;; amdgpu-corpus repo=ROCm/rocSOLVER kind=compiled arch=gfx1250 opt=O3
	.amdgcn_target "amdgcn-amd-amdhsa--gfx1250"
	.amdhsa_code_object_version 6
	.section	.text._ZN9rocsolver6v33100L18getri_kernel_smallILi1EdPdEEvT1_iilPiilS4_bb,"axG",@progbits,_ZN9rocsolver6v33100L18getri_kernel_smallILi1EdPdEEvT1_iilPiilS4_bb,comdat
	.globl	_ZN9rocsolver6v33100L18getri_kernel_smallILi1EdPdEEvT1_iilPiilS4_bb ; -- Begin function _ZN9rocsolver6v33100L18getri_kernel_smallILi1EdPdEEvT1_iilPiilS4_bb
	.p2align	8
	.type	_ZN9rocsolver6v33100L18getri_kernel_smallILi1EdPdEEvT1_iilPiilS4_bb,@function
_ZN9rocsolver6v33100L18getri_kernel_smallILi1EdPdEEvT1_iilPiilS4_bb: ; @_ZN9rocsolver6v33100L18getri_kernel_smallILi1EdPdEEvT1_iilPiilS4_bb
; %bb.0:
	s_mov_b32 s10, 0
	s_mov_b32 s2, exec_lo
	v_cmpx_eq_u32_e32 0, v0
	s_cbranch_execz .LBB0_4
; %bb.1:
	s_clause 0x2
	s_load_b96 s[12:14], s[0:1], 0x0
	s_load_b96 s[4:6], s[0:1], 0x30
	s_load_b64 s[2:3], s[0:1], 0x10
	s_getreg_b32 s7, hwreg(HW_REG_IB_STS2, 6, 4)
	s_wait_kmcnt 0x0
	s_ashr_i32 s1, s14, 31
	s_bitcmp1_b32 s6, 0
	s_cselect_b32 s11, -1, 0
	s_bfe_u32 s0, ttmp6, 0x4000c
	s_and_b32 s6, ttmp6, 15
	s_add_co_i32 s0, s0, 1
	s_delay_alu instid0(SALU_CYCLE_1) | instskip(NEXT) | instid1(SALU_CYCLE_1)
	s_mul_i32 s0, ttmp9, s0
	s_add_co_i32 s6, s6, s0
	s_cmp_eq_u32 s7, 0
	s_mov_b32 s0, s14
	s_cselect_b32 s8, ttmp9, s6
	s_lshl_b64 s[0:1], s[0:1], 3
	s_ashr_i32 s9, s8, 31
	s_and_b32 vcc_lo, exec_lo, s11
	s_mul_u64 s[2:3], s[2:3], s[8:9]
	s_delay_alu instid0(SALU_CYCLE_1) | instskip(NEXT) | instid1(SALU_CYCLE_1)
	s_lshl_b64 s[2:3], s[2:3], 3
	s_add_nc_u64 s[2:3], s[12:13], s[2:3]
	s_delay_alu instid0(SALU_CYCLE_1)
	s_add_nc_u64 s[2:3], s[2:3], s[0:1]
	s_load_b64 s[6:7], s[2:3], 0x0
	s_cbranch_vccnz .LBB0_5
; %bb.2:
	s_lshl_b64 s[0:1], s[8:9], 2
	s_mov_b32 s10, -1
	s_add_nc_u64 s[0:1], s[4:5], s[0:1]
	s_load_b32 s0, s[0:1], 0x0
	s_wait_xcnt 0x0
	s_wait_kmcnt 0x0
	s_cmp_eq_u32 s0, 0
	s_cselect_b32 s0, -1, 0
	s_cbranch_execz .LBB0_6
; %bb.3:
	s_wait_kmcnt 0x0
	v_mov_b64_e32 v[0:1], s[6:7]
	s_and_b32 vcc_lo, exec_lo, s10
	s_cbranch_vccnz .LBB0_14
.LBB0_4:
	s_endpgm
.LBB0_5:
                                        ; implicit-def: $sgpr0
.LBB0_6:
	s_wait_kmcnt 0x0
	v_cmp_neq_f64_e64 s0, s[6:7], 0
	v_mov_b32_e32 v0, 0
	ds_store_b32 v0, v0
	s_wait_dscnt 0x0
	s_barrier_signal -1
	s_barrier_wait -1
	s_and_b32 vcc_lo, exec_lo, s0
	s_cbranch_vccnz .LBB0_11
; %bb.7:
	ds_load_b32 v1, v0
	s_mov_b32 s1, 0
	s_wait_dscnt 0x0
	v_cmp_ne_u32_e32 vcc_lo, 0, v1
	v_cmp_gt_i32_e64 s0, 2, v1
	s_and_b32 s0, vcc_lo, s0
	s_delay_alu instid0(SALU_CYCLE_1)
	s_and_b32 vcc_lo, exec_lo, s0
	s_cbranch_vccnz .LBB0_11
; %bb.8:
	v_dual_mov_b32 v2, 1 :: v_dual_mov_b32 v3, 0
.LBB0_9:                                ; =>This Inner Loop Header: Depth=1
	ds_cmpstore_rtn_b32 v1, v3, v2, v1
	s_wait_dscnt 0x0
	v_cmp_ne_u32_e32 vcc_lo, 0, v1
	v_cmp_gt_i32_e64 s0, 2, v1
	s_and_b32 s0, vcc_lo, s0
	s_delay_alu instid0(SALU_CYCLE_1) | instskip(NEXT) | instid1(SALU_CYCLE_1)
	s_and_b32 s0, exec_lo, s0
	s_or_b32 s1, s0, s1
	s_delay_alu instid0(SALU_CYCLE_1)
	s_and_not1_b32 exec_lo, exec_lo, s1
	s_cbranch_execnz .LBB0_9
; %bb.10:
	s_or_b32 exec_lo, exec_lo, s1
.LBB0_11:
	s_barrier_signal -1
	s_barrier_wait -1
	ds_load_b32 v1, v0
	s_lshl_b64 s[0:1], s[8:9], 2
	s_delay_alu instid0(SALU_CYCLE_1)
	s_add_nc_u64 s[0:1], s[4:5], s[0:1]
	s_wait_dscnt 0x0
	v_cmp_ne_u32_e32 vcc_lo, 0, v1
	global_store_b32 v0, v1, s[0:1]
	s_cbranch_vccz .LBB0_13
; %bb.12:
                                        ; implicit-def: $vgpr0_vgpr1
	s_wait_xcnt 0x0
	s_mov_b32 s0, -1
	s_and_b32 vcc_lo, exec_lo, s10
	s_cbranch_vccz .LBB0_4
	s_branch .LBB0_14
.LBB0_13:
	s_wait_xcnt 0x0
	v_div_scale_f64 v[0:1], null, s[6:7], s[6:7], 1.0
	s_delay_alu instid0(VALU_DEP_1) | instskip(SKIP_1) | instid1(TRANS32_DEP_1)
	v_rcp_f64_e32 v[2:3], v[0:1]
	v_nop
	v_fma_f64 v[4:5], -v[0:1], v[2:3], 1.0
	s_delay_alu instid0(VALU_DEP_1) | instskip(NEXT) | instid1(VALU_DEP_1)
	v_fmac_f64_e32 v[2:3], v[2:3], v[4:5]
	v_fma_f64 v[4:5], -v[0:1], v[2:3], 1.0
	s_delay_alu instid0(VALU_DEP_1) | instskip(SKIP_1) | instid1(VALU_DEP_1)
	v_fmac_f64_e32 v[2:3], v[2:3], v[4:5]
	v_div_scale_f64 v[4:5], vcc_lo, 1.0, s[6:7], 1.0
	v_mul_f64_e32 v[6:7], v[4:5], v[2:3]
	s_delay_alu instid0(VALU_DEP_1) | instskip(NEXT) | instid1(VALU_DEP_1)
	v_fma_f64 v[0:1], -v[0:1], v[6:7], v[4:5]
	v_div_fmas_f64 v[0:1], v[0:1], v[2:3], v[6:7]
	s_delay_alu instid0(VALU_DEP_1)
	v_div_fixup_f64 v[0:1], v[0:1], s[6:7], 1.0
	s_mov_b32 s0, -1
	s_cbranch_execz .LBB0_4
.LBB0_14:
	s_and_not1_b32 vcc_lo, exec_lo, s0
	s_cbranch_vccnz .LBB0_4
; %bb.15:
	v_mov_b32_e32 v2, 0
	global_store_b64 v2, v[0:1], s[2:3]
	s_endpgm
	.section	.rodata,"a",@progbits
	.p2align	6, 0x0
	.amdhsa_kernel _ZN9rocsolver6v33100L18getri_kernel_smallILi1EdPdEEvT1_iilPiilS4_bb
		.amdhsa_group_segment_fixed_size 4
		.amdhsa_private_segment_fixed_size 0
		.amdhsa_kernarg_size 60
		.amdhsa_user_sgpr_count 2
		.amdhsa_user_sgpr_dispatch_ptr 0
		.amdhsa_user_sgpr_queue_ptr 0
		.amdhsa_user_sgpr_kernarg_segment_ptr 1
		.amdhsa_user_sgpr_dispatch_id 0
		.amdhsa_user_sgpr_kernarg_preload_length 0
		.amdhsa_user_sgpr_kernarg_preload_offset 0
		.amdhsa_user_sgpr_private_segment_size 0
		.amdhsa_wavefront_size32 1
		.amdhsa_uses_dynamic_stack 0
		.amdhsa_enable_private_segment 0
		.amdhsa_system_sgpr_workgroup_id_x 1
		.amdhsa_system_sgpr_workgroup_id_y 0
		.amdhsa_system_sgpr_workgroup_id_z 0
		.amdhsa_system_sgpr_workgroup_info 0
		.amdhsa_system_vgpr_workitem_id 0
		.amdhsa_next_free_vgpr 8
		.amdhsa_next_free_sgpr 15
		.amdhsa_named_barrier_count 0
		.amdhsa_reserve_vcc 1
		.amdhsa_float_round_mode_32 0
		.amdhsa_float_round_mode_16_64 0
		.amdhsa_float_denorm_mode_32 3
		.amdhsa_float_denorm_mode_16_64 3
		.amdhsa_fp16_overflow 0
		.amdhsa_memory_ordered 1
		.amdhsa_forward_progress 1
		.amdhsa_inst_pref_size 5
		.amdhsa_round_robin_scheduling 0
		.amdhsa_exception_fp_ieee_invalid_op 0
		.amdhsa_exception_fp_denorm_src 0
		.amdhsa_exception_fp_ieee_div_zero 0
		.amdhsa_exception_fp_ieee_overflow 0
		.amdhsa_exception_fp_ieee_underflow 0
		.amdhsa_exception_fp_ieee_inexact 0
		.amdhsa_exception_int_div_zero 0
	.end_amdhsa_kernel
	.section	.text._ZN9rocsolver6v33100L18getri_kernel_smallILi1EdPdEEvT1_iilPiilS4_bb,"axG",@progbits,_ZN9rocsolver6v33100L18getri_kernel_smallILi1EdPdEEvT1_iilPiilS4_bb,comdat
.Lfunc_end0:
	.size	_ZN9rocsolver6v33100L18getri_kernel_smallILi1EdPdEEvT1_iilPiilS4_bb, .Lfunc_end0-_ZN9rocsolver6v33100L18getri_kernel_smallILi1EdPdEEvT1_iilPiilS4_bb
                                        ; -- End function
	.set _ZN9rocsolver6v33100L18getri_kernel_smallILi1EdPdEEvT1_iilPiilS4_bb.num_vgpr, 8
	.set _ZN9rocsolver6v33100L18getri_kernel_smallILi1EdPdEEvT1_iilPiilS4_bb.num_agpr, 0
	.set _ZN9rocsolver6v33100L18getri_kernel_smallILi1EdPdEEvT1_iilPiilS4_bb.numbered_sgpr, 15
	.set _ZN9rocsolver6v33100L18getri_kernel_smallILi1EdPdEEvT1_iilPiilS4_bb.num_named_barrier, 0
	.set _ZN9rocsolver6v33100L18getri_kernel_smallILi1EdPdEEvT1_iilPiilS4_bb.private_seg_size, 0
	.set _ZN9rocsolver6v33100L18getri_kernel_smallILi1EdPdEEvT1_iilPiilS4_bb.uses_vcc, 1
	.set _ZN9rocsolver6v33100L18getri_kernel_smallILi1EdPdEEvT1_iilPiilS4_bb.uses_flat_scratch, 0
	.set _ZN9rocsolver6v33100L18getri_kernel_smallILi1EdPdEEvT1_iilPiilS4_bb.has_dyn_sized_stack, 0
	.set _ZN9rocsolver6v33100L18getri_kernel_smallILi1EdPdEEvT1_iilPiilS4_bb.has_recursion, 0
	.set _ZN9rocsolver6v33100L18getri_kernel_smallILi1EdPdEEvT1_iilPiilS4_bb.has_indirect_call, 0
	.section	.AMDGPU.csdata,"",@progbits
; Kernel info:
; codeLenInByte = 572
; TotalNumSgprs: 17
; NumVgprs: 8
; ScratchSize: 0
; MemoryBound: 0
; FloatMode: 240
; IeeeMode: 1
; LDSByteSize: 4 bytes/workgroup (compile time only)
; SGPRBlocks: 0
; VGPRBlocks: 0
; NumSGPRsForWavesPerEU: 17
; NumVGPRsForWavesPerEU: 8
; NamedBarCnt: 0
; Occupancy: 16
; WaveLimiterHint : 0
; COMPUTE_PGM_RSRC2:SCRATCH_EN: 0
; COMPUTE_PGM_RSRC2:USER_SGPR: 2
; COMPUTE_PGM_RSRC2:TRAP_HANDLER: 0
; COMPUTE_PGM_RSRC2:TGID_X_EN: 1
; COMPUTE_PGM_RSRC2:TGID_Y_EN: 0
; COMPUTE_PGM_RSRC2:TGID_Z_EN: 0
; COMPUTE_PGM_RSRC2:TIDIG_COMP_CNT: 0
	.section	.text._ZN9rocsolver6v33100L18getri_kernel_smallILi2EdPdEEvT1_iilPiilS4_bb,"axG",@progbits,_ZN9rocsolver6v33100L18getri_kernel_smallILi2EdPdEEvT1_iilPiilS4_bb,comdat
	.globl	_ZN9rocsolver6v33100L18getri_kernel_smallILi2EdPdEEvT1_iilPiilS4_bb ; -- Begin function _ZN9rocsolver6v33100L18getri_kernel_smallILi2EdPdEEvT1_iilPiilS4_bb
	.p2align	8
	.type	_ZN9rocsolver6v33100L18getri_kernel_smallILi2EdPdEEvT1_iilPiilS4_bb,@function
_ZN9rocsolver6v33100L18getri_kernel_smallILi2EdPdEEvT1_iilPiilS4_bb: ; @_ZN9rocsolver6v33100L18getri_kernel_smallILi2EdPdEEvT1_iilPiilS4_bb
; %bb.0:
	s_mov_b32 s2, exec_lo
	v_cmpx_gt_u32_e32 2, v0
	s_cbranch_execz .LBB1_16
; %bb.1:
	s_clause 0x2
	s_load_b32 s2, s[0:1], 0x38
	s_load_b128 s[8:11], s[0:1], 0x10
	s_load_b128 s[4:7], s[0:1], 0x28
	s_getreg_b32 s13, hwreg(HW_REG_IB_STS2, 6, 4)
	s_wait_kmcnt 0x0
	s_bitcmp1_b32 s2, 8
	s_cselect_b32 s14, -1, 0
	s_bfe_u32 s3, ttmp6, 0x4000c
	s_and_b32 s12, ttmp6, 15
	s_add_co_i32 s3, s3, 1
	s_delay_alu instid0(SALU_CYCLE_1) | instskip(NEXT) | instid1(SALU_CYCLE_1)
	s_mul_i32 s3, ttmp9, s3
	s_add_co_i32 s12, s12, s3
	s_cmp_eq_u32 s13, 0
	s_cselect_b32 s12, ttmp9, s12
	s_bfe_u32 s2, s2, 0x10008
	s_ashr_i32 s13, s12, 31
	s_cmp_eq_u32 s2, 0
                                        ; implicit-def: $sgpr2_sgpr3
	s_cbranch_scc1 .LBB1_3
; %bb.2:
	s_load_b32 s2, s[0:1], 0x20
	s_mul_u64 s[4:5], s[4:5], s[12:13]
	s_delay_alu instid0(SALU_CYCLE_1) | instskip(NEXT) | instid1(SALU_CYCLE_1)
	s_lshl_b64 s[4:5], s[4:5], 2
	s_add_nc_u64 s[4:5], s[10:11], s[4:5]
	s_wait_kmcnt 0x0
	s_ashr_i32 s3, s2, 31
	s_delay_alu instid0(SALU_CYCLE_1) | instskip(NEXT) | instid1(SALU_CYCLE_1)
	s_lshl_b64 s[2:3], s[2:3], 2
	s_add_nc_u64 s[2:3], s[4:5], s[2:3]
.LBB1_3:
	s_load_b128 s[16:19], s[0:1], 0x0
	s_mul_u64 s[4:5], s[8:9], s[12:13]
	s_load_b32 s8, s[0:1], 0x38
	s_wait_xcnt 0x0
	s_lshl_b64 s[0:1], s[4:5], 3
	v_dual_mov_b32 v11, 0 :: v_dual_lshlrev_b32 v10, 3, v0
	s_wait_kmcnt 0x0
	s_ashr_i32 s5, s18, 31
	s_mov_b32 s4, s18
	s_add_nc_u64 s[0:1], s[16:17], s[0:1]
	s_lshl_b64 s[4:5], s[4:5], 3
	s_delay_alu instid0(SALU_CYCLE_1) | instskip(SKIP_4) | instid1(VALU_DEP_1)
	s_add_nc_u64 s[0:1], s[0:1], s[4:5]
	s_ashr_i32 s5, s19, 31
	v_add_nc_u64_e32 v[6:7], s[0:1], v[10:11]
	s_mov_b32 s4, s19
	s_bitcmp0_b32 s8, 0
	v_lshl_add_u64 v[8:9], s[4:5], 3, v[6:7]
	s_clause 0x1
	global_load_b64 v[2:3], v0, s[0:1] scale_offset
	global_load_b64 v[4:5], v[8:9], off
	s_wait_xcnt 0x1
	s_mov_b32 s0, -1
	s_cbranch_scc1 .LBB1_14
; %bb.4:
	v_cmp_eq_u32_e64 s0, 0, v0
	s_wait_xcnt 0x0
	s_and_saveexec_b32 s1, s0
; %bb.5:
	v_mov_b32_e32 v1, 0
	ds_store_b32 v1, v1 offset:32
; %bb.6:
	s_or_b32 exec_lo, exec_lo, s1
	v_cmp_eq_u32_e32 vcc_lo, 1, v0
	s_mov_b32 s4, exec_lo
	s_wait_loadcnt_dscnt 0x0
	s_barrier_signal -1
	s_barrier_wait -1
	v_dual_cndmask_b32 v13, v3, v5 :: v_dual_cndmask_b32 v12, v2, v4
	s_delay_alu instid0(VALU_DEP_1)
	v_cmpx_eq_f64_e32 0, v[12:13]
	s_cbranch_execz .LBB1_10
; %bb.7:
	v_mov_b32_e32 v1, 0
	s_mov_b32 s5, 0
	ds_load_b32 v11, v1 offset:32
	s_wait_dscnt 0x0
	v_readfirstlane_b32 s1, v11
	v_add_nc_u32_e32 v11, 1, v0
	s_cmp_eq_u32 s1, 0
	s_delay_alu instid0(VALU_DEP_1) | instskip(SKIP_1) | instid1(SALU_CYCLE_1)
	v_cmp_gt_i32_e32 vcc_lo, s1, v11
	s_cselect_b32 s8, -1, 0
	s_or_b32 s8, s8, vcc_lo
	s_delay_alu instid0(SALU_CYCLE_1)
	s_and_b32 exec_lo, exec_lo, s8
	s_cbranch_execz .LBB1_10
; %bb.8:
	v_mov_b32_e32 v14, s1
.LBB1_9:                                ; =>This Inner Loop Header: Depth=1
	ds_cmpstore_rtn_b32 v14, v1, v11, v14 offset:32
	s_wait_dscnt 0x0
	v_cmp_ne_u32_e32 vcc_lo, 0, v14
	v_cmp_le_i32_e64 s1, v14, v11
	s_and_b32 s1, vcc_lo, s1
	s_delay_alu instid0(SALU_CYCLE_1) | instskip(NEXT) | instid1(SALU_CYCLE_1)
	s_and_b32 s1, exec_lo, s1
	s_or_b32 s5, s1, s5
	s_delay_alu instid0(SALU_CYCLE_1)
	s_and_not1_b32 exec_lo, exec_lo, s5
	s_cbranch_execnz .LBB1_9
.LBB1_10:
	s_or_b32 exec_lo, exec_lo, s4
	v_mov_b32_e32 v1, 0
	s_barrier_signal -1
	s_barrier_wait -1
	ds_load_b32 v11, v1 offset:32
	s_and_saveexec_b32 s1, s0
	s_cbranch_execz .LBB1_12
; %bb.11:
	s_lshl_b64 s[4:5], s[12:13], 2
	s_delay_alu instid0(SALU_CYCLE_1)
	s_add_nc_u64 s[4:5], s[6:7], s[4:5]
	s_wait_dscnt 0x0
	global_store_b32 v1, v11, s[4:5]
.LBB1_12:
	s_wait_xcnt 0x0
	s_or_b32 exec_lo, exec_lo, s1
	s_wait_dscnt 0x0
	v_cmp_ne_u32_e32 vcc_lo, 0, v11
	s_cbranch_vccz .LBB1_17
; %bb.13:
	s_mov_b32 s0, 0
                                        ; implicit-def: $vgpr2_vgpr3_vgpr4_vgpr5
.LBB1_14:
	s_delay_alu instid0(SALU_CYCLE_1)
	s_and_b32 vcc_lo, exec_lo, s0
	s_cbranch_vccz .LBB1_16
.LBB1_15:
	v_mov_b32_e32 v1, 0
	s_lshl_b64 s[0:1], s[12:13], 2
	s_delay_alu instid0(SALU_CYCLE_1)
	s_add_nc_u64 s[0:1], s[6:7], s[0:1]
	global_load_b32 v1, v1, s[0:1]
	s_wait_loadcnt 0x0
	v_cmp_ne_u32_e32 vcc_lo, 0, v1
	s_cbranch_vccz .LBB1_20
.LBB1_16:
	s_endpgm
.LBB1_17:
	v_div_scale_f64 v[14:15], null, v[12:13], v[12:13], 1.0
	v_div_scale_f64 v[20:21], vcc_lo, 1.0, v[12:13], 1.0
	s_delay_alu instid0(VALU_DEP_2) | instskip(SKIP_1) | instid1(TRANS32_DEP_1)
	v_rcp_f64_e32 v[16:17], v[14:15]
	v_nop
	v_fma_f64 v[18:19], -v[14:15], v[16:17], 1.0
	s_delay_alu instid0(VALU_DEP_1) | instskip(NEXT) | instid1(VALU_DEP_1)
	v_fmac_f64_e32 v[16:17], v[16:17], v[18:19]
	v_fma_f64 v[18:19], -v[14:15], v[16:17], 1.0
	s_delay_alu instid0(VALU_DEP_1) | instskip(NEXT) | instid1(VALU_DEP_1)
	v_fmac_f64_e32 v[16:17], v[16:17], v[18:19]
	v_mul_f64_e32 v[18:19], v[20:21], v[16:17]
	s_delay_alu instid0(VALU_DEP_1) | instskip(NEXT) | instid1(VALU_DEP_1)
	v_fma_f64 v[14:15], -v[14:15], v[18:19], v[20:21]
	v_div_fmas_f64 v[14:15], v[14:15], v[16:17], v[18:19]
	v_cmp_eq_u32_e32 vcc_lo, 1, v0
	s_delay_alu instid0(VALU_DEP_2) | instskip(NEXT) | instid1(VALU_DEP_1)
	v_div_fixup_f64 v[12:13], v[14:15], v[12:13], 1.0
	v_dual_cndmask_b32 v5, v5, v13 :: v_dual_cndmask_b32 v4, v4, v12
	v_cmp_eq_u32_e32 vcc_lo, 0, v0
	v_cndmask_b32_e32 v3, v3, v13, vcc_lo
	v_xor_b32_e32 v13, 0x80000000, v13
	v_cndmask_b32_e32 v2, v2, v12, vcc_lo
	ds_store_2addr_b64 v10, v[12:13], v[4:5] offset1:2
	s_wait_storecnt_dscnt 0x0
	s_barrier_signal -1
	s_barrier_wait -1
	s_and_saveexec_b32 s1, s0
	s_cbranch_execz .LBB1_19
; %bb.18:
	v_mov_b32_e32 v1, 0
	ds_load_2addr_b64 v[10:13], v1 offset0:1 offset1:2
	s_wait_dscnt 0x0
	v_fma_f64 v[4:5], v[2:3], v[12:13], 0
	s_delay_alu instid0(VALU_DEP_1)
	v_mul_f64_e32 v[4:5], v[4:5], v[10:11]
.LBB1_19:
	s_or_b32 exec_lo, exec_lo, s1
	s_barrier_signal -1
	s_barrier_wait -1
	s_cbranch_execnz .LBB1_15
	s_branch .LBB1_16
.LBB1_20:
	s_wait_xcnt 0x0
	s_mov_b32 s0, exec_lo
	v_cmpx_eq_u32_e32 1, v0
	s_cbranch_execz .LBB1_22
; %bb.21:
	s_mov_b32 s1, 0
	v_mov_b64_e32 v[12:13], v[4:5]
	v_mov_b64_e32 v[10:11], v[2:3]
	v_dual_mov_b32 v10, s1 :: v_dual_mov_b32 v0, 0
	v_mov_b32_e32 v11, s1
	ds_store_b64 v0, v[2:3] offset:24
	v_mov_b64_e32 v[2:3], v[10:11]
	v_mov_b64_e32 v[4:5], v[12:13]
.LBB1_22:
	s_or_b32 exec_lo, exec_lo, s0
	v_mov_b32_e32 v0, 0
	s_wait_storecnt_dscnt 0x0
	s_barrier_signal -1
	s_barrier_wait -1
	ds_load_b64 v[10:11], v0 offset:24
	s_and_b32 vcc_lo, exec_lo, s14
	s_wait_dscnt 0x0
	v_fma_f64 v[10:11], v[4:5], v[10:11], 0
	s_delay_alu instid0(VALU_DEP_1)
	v_add_f64_e64 v[2:3], v[2:3], -v[10:11]
	s_cbranch_vccz .LBB1_24
; %bb.23:
	global_load_b32 v0, v0, s[2:3]
	s_wait_loadcnt 0x0
	v_add_nc_u32_e32 v0, -1, v0
	s_delay_alu instid0(VALU_DEP_1) | instskip(SKIP_3) | instid1(VALU_DEP_2)
	v_cmp_eq_u32_e32 vcc_lo, 1, v0
	v_dual_cndmask_b32 v1, v3, v5 :: v_dual_cndmask_b32 v10, v2, v4
	v_cmp_eq_u32_e64 s0, 0, v0
	v_dual_cndmask_b32 v0, v4, v2 :: v_dual_cndmask_b32 v11, v5, v3
	v_dual_cndmask_b32 v10, v10, v2, s0 :: v_dual_cndmask_b32 v1, v1, v3, s0
	s_delay_alu instid0(VALU_DEP_2) | instskip(NEXT) | instid1(VALU_DEP_2)
	v_dual_cndmask_b32 v5, v11, v5, s0 :: v_dual_cndmask_b32 v4, v0, v4, s0
	v_dual_cndmask_b32 v2, v10, v2, s0 :: v_dual_cndmask_b32 v3, v1, v3, s0
.LBB1_24:
	s_clause 0x1
	global_store_b64 v[6:7], v[2:3], off
	global_store_b64 v[8:9], v[4:5], off
	s_endpgm
	.section	.rodata,"a",@progbits
	.p2align	6, 0x0
	.amdhsa_kernel _ZN9rocsolver6v33100L18getri_kernel_smallILi2EdPdEEvT1_iilPiilS4_bb
		.amdhsa_group_segment_fixed_size 40
		.amdhsa_private_segment_fixed_size 0
		.amdhsa_kernarg_size 60
		.amdhsa_user_sgpr_count 2
		.amdhsa_user_sgpr_dispatch_ptr 0
		.amdhsa_user_sgpr_queue_ptr 0
		.amdhsa_user_sgpr_kernarg_segment_ptr 1
		.amdhsa_user_sgpr_dispatch_id 0
		.amdhsa_user_sgpr_kernarg_preload_length 0
		.amdhsa_user_sgpr_kernarg_preload_offset 0
		.amdhsa_user_sgpr_private_segment_size 0
		.amdhsa_wavefront_size32 1
		.amdhsa_uses_dynamic_stack 0
		.amdhsa_enable_private_segment 0
		.amdhsa_system_sgpr_workgroup_id_x 1
		.amdhsa_system_sgpr_workgroup_id_y 0
		.amdhsa_system_sgpr_workgroup_id_z 0
		.amdhsa_system_sgpr_workgroup_info 0
		.amdhsa_system_vgpr_workitem_id 0
		.amdhsa_next_free_vgpr 22
		.amdhsa_next_free_sgpr 20
		.amdhsa_named_barrier_count 0
		.amdhsa_reserve_vcc 1
		.amdhsa_float_round_mode_32 0
		.amdhsa_float_round_mode_16_64 0
		.amdhsa_float_denorm_mode_32 3
		.amdhsa_float_denorm_mode_16_64 3
		.amdhsa_fp16_overflow 0
		.amdhsa_memory_ordered 1
		.amdhsa_forward_progress 1
		.amdhsa_inst_pref_size 9
		.amdhsa_round_robin_scheduling 0
		.amdhsa_exception_fp_ieee_invalid_op 0
		.amdhsa_exception_fp_denorm_src 0
		.amdhsa_exception_fp_ieee_div_zero 0
		.amdhsa_exception_fp_ieee_overflow 0
		.amdhsa_exception_fp_ieee_underflow 0
		.amdhsa_exception_fp_ieee_inexact 0
		.amdhsa_exception_int_div_zero 0
	.end_amdhsa_kernel
	.section	.text._ZN9rocsolver6v33100L18getri_kernel_smallILi2EdPdEEvT1_iilPiilS4_bb,"axG",@progbits,_ZN9rocsolver6v33100L18getri_kernel_smallILi2EdPdEEvT1_iilPiilS4_bb,comdat
.Lfunc_end1:
	.size	_ZN9rocsolver6v33100L18getri_kernel_smallILi2EdPdEEvT1_iilPiilS4_bb, .Lfunc_end1-_ZN9rocsolver6v33100L18getri_kernel_smallILi2EdPdEEvT1_iilPiilS4_bb
                                        ; -- End function
	.set _ZN9rocsolver6v33100L18getri_kernel_smallILi2EdPdEEvT1_iilPiilS4_bb.num_vgpr, 22
	.set _ZN9rocsolver6v33100L18getri_kernel_smallILi2EdPdEEvT1_iilPiilS4_bb.num_agpr, 0
	.set _ZN9rocsolver6v33100L18getri_kernel_smallILi2EdPdEEvT1_iilPiilS4_bb.numbered_sgpr, 20
	.set _ZN9rocsolver6v33100L18getri_kernel_smallILi2EdPdEEvT1_iilPiilS4_bb.num_named_barrier, 0
	.set _ZN9rocsolver6v33100L18getri_kernel_smallILi2EdPdEEvT1_iilPiilS4_bb.private_seg_size, 0
	.set _ZN9rocsolver6v33100L18getri_kernel_smallILi2EdPdEEvT1_iilPiilS4_bb.uses_vcc, 1
	.set _ZN9rocsolver6v33100L18getri_kernel_smallILi2EdPdEEvT1_iilPiilS4_bb.uses_flat_scratch, 0
	.set _ZN9rocsolver6v33100L18getri_kernel_smallILi2EdPdEEvT1_iilPiilS4_bb.has_dyn_sized_stack, 0
	.set _ZN9rocsolver6v33100L18getri_kernel_smallILi2EdPdEEvT1_iilPiilS4_bb.has_recursion, 0
	.set _ZN9rocsolver6v33100L18getri_kernel_smallILi2EdPdEEvT1_iilPiilS4_bb.has_indirect_call, 0
	.section	.AMDGPU.csdata,"",@progbits
; Kernel info:
; codeLenInByte = 1064
; TotalNumSgprs: 22
; NumVgprs: 22
; ScratchSize: 0
; MemoryBound: 0
; FloatMode: 240
; IeeeMode: 1
; LDSByteSize: 40 bytes/workgroup (compile time only)
; SGPRBlocks: 0
; VGPRBlocks: 1
; NumSGPRsForWavesPerEU: 22
; NumVGPRsForWavesPerEU: 22
; NamedBarCnt: 0
; Occupancy: 16
; WaveLimiterHint : 0
; COMPUTE_PGM_RSRC2:SCRATCH_EN: 0
; COMPUTE_PGM_RSRC2:USER_SGPR: 2
; COMPUTE_PGM_RSRC2:TRAP_HANDLER: 0
; COMPUTE_PGM_RSRC2:TGID_X_EN: 1
; COMPUTE_PGM_RSRC2:TGID_Y_EN: 0
; COMPUTE_PGM_RSRC2:TGID_Z_EN: 0
; COMPUTE_PGM_RSRC2:TIDIG_COMP_CNT: 0
	.section	.text._ZN9rocsolver6v33100L18getri_kernel_smallILi3EdPdEEvT1_iilPiilS4_bb,"axG",@progbits,_ZN9rocsolver6v33100L18getri_kernel_smallILi3EdPdEEvT1_iilPiilS4_bb,comdat
	.globl	_ZN9rocsolver6v33100L18getri_kernel_smallILi3EdPdEEvT1_iilPiilS4_bb ; -- Begin function _ZN9rocsolver6v33100L18getri_kernel_smallILi3EdPdEEvT1_iilPiilS4_bb
	.p2align	8
	.type	_ZN9rocsolver6v33100L18getri_kernel_smallILi3EdPdEEvT1_iilPiilS4_bb,@function
_ZN9rocsolver6v33100L18getri_kernel_smallILi3EdPdEEvT1_iilPiilS4_bb: ; @_ZN9rocsolver6v33100L18getri_kernel_smallILi3EdPdEEvT1_iilPiilS4_bb
; %bb.0:
	s_mov_b32 s2, exec_lo
	v_cmpx_gt_u32_e32 3, v0
	s_cbranch_execz .LBB2_16
; %bb.1:
	s_clause 0x2
	s_load_b32 s2, s[0:1], 0x38
	s_load_b128 s[8:11], s[0:1], 0x10
	s_load_b128 s[4:7], s[0:1], 0x28
	s_getreg_b32 s14, hwreg(HW_REG_IB_STS2, 6, 4)
	s_wait_kmcnt 0x0
	s_bitcmp1_b32 s2, 8
	s_cselect_b32 s3, -1, 0
	s_bfe_u32 s12, ttmp6, 0x4000c
	s_and_b32 s13, ttmp6, 15
	s_add_co_i32 s12, s12, 1
	s_delay_alu instid0(SALU_CYCLE_1) | instskip(NEXT) | instid1(SALU_CYCLE_1)
	s_mul_i32 s12, ttmp9, s12
	s_add_co_i32 s13, s13, s12
	s_cmp_eq_u32 s14, 0
	s_cselect_b32 s14, ttmp9, s13
	s_bfe_u32 s2, s2, 0x10008
	s_ashr_i32 s15, s14, 31
	s_cmp_eq_u32 s2, 0
                                        ; implicit-def: $sgpr12_sgpr13
	s_cbranch_scc1 .LBB2_3
; %bb.2:
	s_load_b32 s12, s[0:1], 0x20
	s_mul_u64 s[4:5], s[4:5], s[14:15]
	s_delay_alu instid0(SALU_CYCLE_1) | instskip(NEXT) | instid1(SALU_CYCLE_1)
	s_lshl_b64 s[4:5], s[4:5], 2
	s_add_nc_u64 s[4:5], s[10:11], s[4:5]
	s_wait_kmcnt 0x0
	s_ashr_i32 s13, s12, 31
	s_delay_alu instid0(SALU_CYCLE_1) | instskip(NEXT) | instid1(SALU_CYCLE_1)
	s_lshl_b64 s[10:11], s[12:13], 2
	s_add_nc_u64 s[12:13], s[4:5], s[10:11]
.LBB2_3:
	s_clause 0x1
	s_load_b128 s[16:19], s[0:1], 0x0
	s_load_b32 s2, s[0:1], 0x38
	s_wait_xcnt 0x0
	s_mul_u64 s[0:1], s[8:9], s[14:15]
	v_dual_mov_b32 v15, 0 :: v_dual_lshlrev_b32 v14, 3, v0
	s_lshl_b64 s[0:1], s[0:1], 3
	s_wait_kmcnt 0x0
	s_ashr_i32 s5, s18, 31
	s_mov_b32 s4, s18
	s_add_nc_u64 s[0:1], s[16:17], s[0:1]
	s_lshl_b64 s[4:5], s[4:5], 3
	v_add3_u32 v12, s19, s19, v0
	s_add_nc_u64 s[4:5], s[0:1], s[4:5]
	s_ashr_i32 s1, s19, 31
	v_add_nc_u64_e32 v[8:9], s[4:5], v[14:15]
	s_mov_b32 s0, s19
	s_bitcmp0_b32 s2, 0
	s_delay_alu instid0(VALU_DEP_1)
	v_lshl_add_u64 v[10:11], s[0:1], 3, v[8:9]
	s_mov_b32 s0, -1
	s_clause 0x2
	global_load_b64 v[4:5], v[10:11], off
	global_load_b64 v[2:3], v0, s[4:5] scale_offset
	global_load_b64 v[6:7], v12, s[4:5] scale_offset
	s_cbranch_scc1 .LBB2_14
; %bb.4:
	v_cmp_eq_u32_e64 s0, 0, v0
	s_wait_xcnt 0x0
	s_and_saveexec_b32 s1, s0
; %bb.5:
	v_mov_b32_e32 v1, 0
	ds_store_b32 v1, v1 offset:24
; %bb.6:
	s_or_b32 exec_lo, exec_lo, s1
	v_cmp_eq_u32_e32 vcc_lo, 1, v0
	s_mov_b32 s2, exec_lo
	s_wait_loadcnt_dscnt 0x0
	s_barrier_signal -1
	s_barrier_wait -1
	v_dual_cndmask_b32 v1, v3, v5, vcc_lo :: v_dual_cndmask_b32 v13, v2, v4, vcc_lo
	v_cmp_eq_u32_e32 vcc_lo, 2, v0
	s_delay_alu instid0(VALU_DEP_2) | instskip(NEXT) | instid1(VALU_DEP_3)
	v_cndmask_b32_e32 v17, v1, v7, vcc_lo
	v_cndmask_b32_e32 v16, v13, v6, vcc_lo
	s_delay_alu instid0(VALU_DEP_1)
	v_cmpx_eq_f64_e32 0, v[16:17]
	s_cbranch_execz .LBB2_10
; %bb.7:
	v_mov_b32_e32 v1, 0
	s_mov_b32 s8, 0
	ds_load_b32 v13, v1 offset:24
	s_wait_dscnt 0x0
	v_readfirstlane_b32 s1, v13
	v_add_nc_u32_e32 v13, 1, v0
	s_cmp_eq_u32 s1, 0
	s_delay_alu instid0(VALU_DEP_1) | instskip(SKIP_1) | instid1(SALU_CYCLE_1)
	v_cmp_gt_i32_e32 vcc_lo, s1, v13
	s_cselect_b32 s9, -1, 0
	s_or_b32 s9, s9, vcc_lo
	s_delay_alu instid0(SALU_CYCLE_1)
	s_and_b32 exec_lo, exec_lo, s9
	s_cbranch_execz .LBB2_10
; %bb.8:
	v_mov_b32_e32 v15, s1
.LBB2_9:                                ; =>This Inner Loop Header: Depth=1
	ds_cmpstore_rtn_b32 v15, v1, v13, v15 offset:24
	s_wait_dscnt 0x0
	v_cmp_ne_u32_e32 vcc_lo, 0, v15
	v_cmp_le_i32_e64 s1, v15, v13
	s_and_b32 s1, vcc_lo, s1
	s_delay_alu instid0(SALU_CYCLE_1) | instskip(NEXT) | instid1(SALU_CYCLE_1)
	s_and_b32 s1, exec_lo, s1
	s_or_b32 s8, s1, s8
	s_delay_alu instid0(SALU_CYCLE_1)
	s_and_not1_b32 exec_lo, exec_lo, s8
	s_cbranch_execnz .LBB2_9
.LBB2_10:
	s_or_b32 exec_lo, exec_lo, s2
	v_mov_b32_e32 v1, 0
	s_barrier_signal -1
	s_barrier_wait -1
	ds_load_b32 v13, v1 offset:24
	s_and_saveexec_b32 s1, s0
	s_cbranch_execz .LBB2_12
; %bb.11:
	s_lshl_b64 s[8:9], s[14:15], 2
	s_delay_alu instid0(SALU_CYCLE_1)
	s_add_nc_u64 s[8:9], s[6:7], s[8:9]
	s_wait_dscnt 0x0
	global_store_b32 v1, v13, s[8:9]
.LBB2_12:
	s_wait_xcnt 0x0
	s_or_b32 exec_lo, exec_lo, s1
	s_wait_dscnt 0x0
	v_cmp_ne_u32_e32 vcc_lo, 0, v13
	s_cbranch_vccz .LBB2_17
; %bb.13:
	s_mov_b32 s0, 0
                                        ; implicit-def: $vgpr2_vgpr3_vgpr4_vgpr5_vgpr6_vgpr7
.LBB2_14:
	s_delay_alu instid0(SALU_CYCLE_1)
	s_and_b32 vcc_lo, exec_lo, s0
	s_cbranch_vccz .LBB2_16
.LBB2_15:
	v_mov_b32_e32 v1, 0
	s_lshl_b64 s[0:1], s[14:15], 2
	s_delay_alu instid0(SALU_CYCLE_1)
	s_add_nc_u64 s[0:1], s[6:7], s[0:1]
	global_load_b32 v1, v1, s[0:1]
	s_wait_loadcnt 0x0
	v_cmp_ne_u32_e32 vcc_lo, 0, v1
	s_cbranch_vccz .LBB2_24
.LBB2_16:
	s_endpgm
.LBB2_17:
	v_div_scale_f64 v[18:19], null, v[16:17], v[16:17], 1.0
	v_div_scale_f64 v[24:25], vcc_lo, 1.0, v[16:17], 1.0
	v_cmp_eq_u32_e64 s1, 2, v0
	v_cmp_eq_u32_e64 s2, 0, v0
	v_add_nc_u32_e32 v1, 32, v14
	v_rcp_f64_e32 v[20:21], v[18:19]
	v_nop
	s_delay_alu instid0(TRANS32_DEP_1) | instskip(NEXT) | instid1(VALU_DEP_1)
	v_fma_f64 v[22:23], -v[18:19], v[20:21], 1.0
	v_fmac_f64_e32 v[20:21], v[20:21], v[22:23]
	s_delay_alu instid0(VALU_DEP_1) | instskip(NEXT) | instid1(VALU_DEP_1)
	v_fma_f64 v[22:23], -v[18:19], v[20:21], 1.0
	v_fmac_f64_e32 v[20:21], v[20:21], v[22:23]
	s_delay_alu instid0(VALU_DEP_1) | instskip(NEXT) | instid1(VALU_DEP_1)
	v_mul_f64_e32 v[22:23], v[24:25], v[20:21]
	v_fma_f64 v[18:19], -v[18:19], v[22:23], v[24:25]
	s_delay_alu instid0(VALU_DEP_1) | instskip(SKIP_1) | instid1(VALU_DEP_2)
	v_div_fmas_f64 v[18:19], v[18:19], v[20:21], v[22:23]
	v_cmp_eq_u32_e32 vcc_lo, 1, v0
	v_div_fixup_f64 v[16:17], v[18:19], v[16:17], 1.0
	s_delay_alu instid0(VALU_DEP_1)
	v_dual_cndmask_b32 v5, v5, v17 :: v_dual_cndmask_b32 v4, v4, v16
	v_cndmask_b32_e64 v7, v7, v17, s1
	v_xor_b32_e32 v19, 0x80000000, v17
	v_dual_mov_b32 v18, v16 :: v_dual_cndmask_b32 v6, v6, v16, s1
	v_dual_cndmask_b32 v3, v3, v17, s2 :: v_dual_cndmask_b32 v2, v2, v16, s2
	ds_store_2addr_b64 v14, v[18:19], v[4:5] offset1:4
	s_wait_storecnt_dscnt 0x0
	s_barrier_signal -1
	s_barrier_wait -1
	s_and_saveexec_b32 s1, s0
	s_cbranch_execz .LBB2_19
; %bb.18:
	ds_load_b64 v[4:5], v1
	v_mov_b32_e32 v13, 0
	ds_load_b64 v[14:15], v13 offset:8
	s_wait_dscnt 0x1
	v_fma_f64 v[4:5], v[16:17], v[4:5], 0
	s_wait_dscnt 0x0
	s_delay_alu instid0(VALU_DEP_1)
	v_mul_f64_e32 v[4:5], v[4:5], v[14:15]
.LBB2_19:
	s_or_b32 exec_lo, exec_lo, s1
	s_delay_alu instid0(SALU_CYCLE_1)
	s_mov_b32 s1, exec_lo
	s_barrier_signal -1
	s_barrier_wait -1
	ds_store_b64 v1, v[6:7]
	s_wait_dscnt 0x0
	s_barrier_signal -1
	s_barrier_wait -1
	v_cmpx_ne_u32_e32 2, v0
	s_cbranch_execz .LBB2_23
; %bb.20:
	ds_load_b64 v[14:15], v1
	v_cmp_eq_u32_e32 vcc_lo, 1, v0
	v_dual_cndmask_b32 v1, v3, v5, vcc_lo :: v_dual_cndmask_b32 v13, v2, v4, vcc_lo
	v_cmp_eq_u32_e32 vcc_lo, 2, v0
	s_delay_alu instid0(VALU_DEP_2) | instskip(NEXT) | instid1(VALU_DEP_3)
	v_cndmask_b32_e32 v7, v1, v7, vcc_lo
	v_cndmask_b32_e32 v6, v13, v6, vcc_lo
	s_wait_dscnt 0x0
	s_delay_alu instid0(VALU_DEP_1)
	v_fma_f64 v[6:7], v[6:7], v[14:15], 0
	s_and_saveexec_b32 s2, s0
	s_cbranch_execz .LBB2_22
; %bb.21:
	v_mov_b32_e32 v1, 0
	ds_load_b64 v[14:15], v1 offset:40
	s_wait_dscnt 0x0
	v_fmac_f64_e32 v[6:7], v[4:5], v[14:15]
.LBB2_22:
	s_or_b32 exec_lo, exec_lo, s2
	v_mov_b32_e32 v1, 0
	ds_load_b64 v[14:15], v1 offset:16
	s_wait_dscnt 0x0
	v_mul_f64_e32 v[6:7], v[6:7], v[14:15]
.LBB2_23:
	s_or_b32 exec_lo, exec_lo, s1
	s_barrier_signal -1
	s_barrier_wait -1
	s_cbranch_execnz .LBB2_15
	s_branch .LBB2_16
.LBB2_24:
	s_wait_xcnt 0x0
	v_lshl_add_u32 v1, v0, 3, 32
	s_mov_b32 s0, exec_lo
	v_cmpx_eq_u32_e32 2, v0
	s_cbranch_execz .LBB2_26
; %bb.25:
	v_mov_b64_e32 v[18:19], v[6:7]
	v_mov_b64_e32 v[14:15], v[2:3]
	s_mov_b32 s1, 0
	v_mov_b64_e32 v[16:17], v[4:5]
	v_dual_mov_b32 v16, s1 :: v_dual_mov_b32 v17, s1
	ds_store_b64 v1, v[4:5]
	v_mov_b64_e32 v[2:3], v[14:15]
	v_mov_b64_e32 v[6:7], v[18:19]
	;; [unrolled: 1-line block ×3, first 2 shown]
.LBB2_26:
	s_or_b32 exec_lo, exec_lo, s0
	v_mov_b32_e32 v14, 0
	s_wait_storecnt_dscnt 0x0
	s_barrier_signal -1
	s_barrier_wait -1
	ds_load_b64 v[16:17], v14 offset:48
	v_ashrrev_i32_e32 v13, 31, v12
	s_mov_b32 s1, 0
	s_mov_b32 s0, exec_lo
	s_wait_dscnt 0x0
	v_fma_f64 v[16:17], v[6:7], v[16:17], 0
	s_delay_alu instid0(VALU_DEP_1)
	v_add_f64_e64 v[4:5], v[4:5], -v[16:17]
	v_cmpx_ne_u32_e32 0, v0
	s_cbranch_execz .LBB2_28
; %bb.27:
	v_mov_b64_e32 v[20:21], v[6:7]
	s_delay_alu instid0(VALU_DEP_3)
	v_mov_b64_e32 v[18:19], v[4:5]
	v_mov_b64_e32 v[16:17], v[2:3]
	v_dual_mov_b32 v16, s1 :: v_dual_mov_b32 v17, s1
	ds_store_b64 v1, v[2:3]
	v_mov_b64_e32 v[2:3], v[16:17]
	v_mov_b64_e32 v[4:5], v[18:19]
	;; [unrolled: 1-line block ×3, first 2 shown]
.LBB2_28:
	s_or_b32 exec_lo, exec_lo, s0
	s_wait_dscnt 0x0
	s_barrier_signal -1
	s_barrier_wait -1
	ds_load_2addr_b64 v[14:17], v14 offset0:5 offset1:6
	s_and_b32 vcc_lo, exec_lo, s3
	s_wait_dscnt 0x0
	v_fma_f64 v[0:1], v[4:5], v[14:15], 0
	s_delay_alu instid0(VALU_DEP_1) | instskip(NEXT) | instid1(VALU_DEP_1)
	v_fmac_f64_e32 v[0:1], v[6:7], v[16:17]
	v_add_f64_e64 v[2:3], v[2:3], -v[0:1]
	s_cbranch_vccz .LBB2_33
; %bb.29:
	v_mov_b32_e32 v0, 0
	global_load_b32 v1, v0, s[12:13] offset:4
	s_wait_loadcnt 0x0
	v_readfirstlane_b32 s1, v1
	s_add_co_i32 s1, s1, -1
	s_delay_alu instid0(SALU_CYCLE_1)
	s_cmp_lg_u32 s1, 1
	s_cbranch_scc0 .LBB2_31
; %bb.30:
	s_cmp_eq_u32 s1, 1
	s_cselect_b32 vcc_lo, -1, 0
	s_cmp_eq_u32 s1, 2
	v_dual_cndmask_b32 v1, v2, v4 :: v_dual_cndmask_b32 v14, v3, v5
	s_cselect_b32 s0, -1, 0
	s_cmp_eq_u32 s1, 0
	s_delay_alu instid0(VALU_DEP_1) | instskip(NEXT) | instid1(VALU_DEP_2)
	v_dual_cndmask_b32 v18, v6, v4, s0 :: v_dual_cndmask_b32 v1, v1, v6, s0
	v_cndmask_b32_e64 v14, v14, v7, s0
	s_cselect_b32 s1, -1, 0
	v_cndmask_b32_e64 v19, v7, v5, s0
	s_delay_alu instid0(VALU_DEP_3) | instskip(NEXT) | instid1(VALU_DEP_3)
	v_dual_cndmask_b32 v15, v3, v5, s1 :: v_dual_cndmask_b32 v16, v1, v4, vcc_lo
	v_cndmask_b32_e32 v17, v14, v5, vcc_lo
	v_cndmask_b32_e64 v14, v2, v4, s1
	s_delay_alu instid0(VALU_DEP_1) | instskip(NEXT) | instid1(VALU_DEP_3)
	v_mov_b64_e32 v[2:3], v[14:15]
	v_mov_b64_e32 v[4:5], v[16:17]
	v_mov_b64_e32 v[6:7], v[18:19]
.LBB2_31:
	global_load_b32 v0, v0, s[12:13]
	s_wait_loadcnt 0x0
	v_readfirstlane_b32 s1, v0
	s_add_co_i32 s1, s1, -1
	s_delay_alu instid0(SALU_CYCLE_1)
	s_cmp_eq_u32 s1, 0
	s_cbranch_scc1 .LBB2_33
; %bb.32:
	s_cmp_eq_u32 s1, 1
	s_cselect_b32 vcc_lo, -1, 0
	s_cmp_eq_u32 s1, 2
	v_dual_cndmask_b32 v0, v2, v4 :: v_dual_cndmask_b32 v1, v3, v5
	s_cselect_b32 s0, -1, 0
	s_cmp_eq_u32 s1, 0
	v_dual_cndmask_b32 v17, v5, v3, vcc_lo :: v_dual_cndmask_b32 v19, v7, v3, s0
	s_delay_alu instid0(VALU_DEP_2) | instskip(SKIP_3) | instid1(VALU_DEP_3)
	v_dual_cndmask_b32 v0, v0, v6, s0 :: v_dual_cndmask_b32 v1, v1, v7, s0
	v_cndmask_b32_e64 v18, v6, v2, s0
	s_cselect_b32 s0, -1, 0
	v_cndmask_b32_e32 v16, v4, v2, vcc_lo
	v_dual_cndmask_b32 v14, v0, v2, s0 :: v_dual_cndmask_b32 v15, v1, v3, s0
	s_delay_alu instid0(VALU_DEP_1) | instskip(NEXT) | instid1(VALU_DEP_3)
	v_mov_b64_e32 v[2:3], v[14:15]
	v_mov_b64_e32 v[4:5], v[16:17]
	;; [unrolled: 1-line block ×3, first 2 shown]
.LBB2_33:
	v_lshl_add_u64 v[0:1], v[12:13], 3, s[4:5]
	s_clause 0x2
	global_store_b64 v[8:9], v[2:3], off
	global_store_b64 v[10:11], v[4:5], off
	;; [unrolled: 1-line block ×3, first 2 shown]
	s_endpgm
	.section	.rodata,"a",@progbits
	.p2align	6, 0x0
	.amdhsa_kernel _ZN9rocsolver6v33100L18getri_kernel_smallILi3EdPdEEvT1_iilPiilS4_bb
		.amdhsa_group_segment_fixed_size 56
		.amdhsa_private_segment_fixed_size 0
		.amdhsa_kernarg_size 60
		.amdhsa_user_sgpr_count 2
		.amdhsa_user_sgpr_dispatch_ptr 0
		.amdhsa_user_sgpr_queue_ptr 0
		.amdhsa_user_sgpr_kernarg_segment_ptr 1
		.amdhsa_user_sgpr_dispatch_id 0
		.amdhsa_user_sgpr_kernarg_preload_length 0
		.amdhsa_user_sgpr_kernarg_preload_offset 0
		.amdhsa_user_sgpr_private_segment_size 0
		.amdhsa_wavefront_size32 1
		.amdhsa_uses_dynamic_stack 0
		.amdhsa_enable_private_segment 0
		.amdhsa_system_sgpr_workgroup_id_x 1
		.amdhsa_system_sgpr_workgroup_id_y 0
		.amdhsa_system_sgpr_workgroup_id_z 0
		.amdhsa_system_sgpr_workgroup_info 0
		.amdhsa_system_vgpr_workitem_id 0
		.amdhsa_next_free_vgpr 26
		.amdhsa_next_free_sgpr 20
		.amdhsa_named_barrier_count 0
		.amdhsa_reserve_vcc 1
		.amdhsa_float_round_mode_32 0
		.amdhsa_float_round_mode_16_64 0
		.amdhsa_float_denorm_mode_32 3
		.amdhsa_float_denorm_mode_16_64 3
		.amdhsa_fp16_overflow 0
		.amdhsa_memory_ordered 1
		.amdhsa_forward_progress 1
		.amdhsa_inst_pref_size 13
		.amdhsa_round_robin_scheduling 0
		.amdhsa_exception_fp_ieee_invalid_op 0
		.amdhsa_exception_fp_denorm_src 0
		.amdhsa_exception_fp_ieee_div_zero 0
		.amdhsa_exception_fp_ieee_overflow 0
		.amdhsa_exception_fp_ieee_underflow 0
		.amdhsa_exception_fp_ieee_inexact 0
		.amdhsa_exception_int_div_zero 0
	.end_amdhsa_kernel
	.section	.text._ZN9rocsolver6v33100L18getri_kernel_smallILi3EdPdEEvT1_iilPiilS4_bb,"axG",@progbits,_ZN9rocsolver6v33100L18getri_kernel_smallILi3EdPdEEvT1_iilPiilS4_bb,comdat
.Lfunc_end2:
	.size	_ZN9rocsolver6v33100L18getri_kernel_smallILi3EdPdEEvT1_iilPiilS4_bb, .Lfunc_end2-_ZN9rocsolver6v33100L18getri_kernel_smallILi3EdPdEEvT1_iilPiilS4_bb
                                        ; -- End function
	.set _ZN9rocsolver6v33100L18getri_kernel_smallILi3EdPdEEvT1_iilPiilS4_bb.num_vgpr, 26
	.set _ZN9rocsolver6v33100L18getri_kernel_smallILi3EdPdEEvT1_iilPiilS4_bb.num_agpr, 0
	.set _ZN9rocsolver6v33100L18getri_kernel_smallILi3EdPdEEvT1_iilPiilS4_bb.numbered_sgpr, 20
	.set _ZN9rocsolver6v33100L18getri_kernel_smallILi3EdPdEEvT1_iilPiilS4_bb.num_named_barrier, 0
	.set _ZN9rocsolver6v33100L18getri_kernel_smallILi3EdPdEEvT1_iilPiilS4_bb.private_seg_size, 0
	.set _ZN9rocsolver6v33100L18getri_kernel_smallILi3EdPdEEvT1_iilPiilS4_bb.uses_vcc, 1
	.set _ZN9rocsolver6v33100L18getri_kernel_smallILi3EdPdEEvT1_iilPiilS4_bb.uses_flat_scratch, 0
	.set _ZN9rocsolver6v33100L18getri_kernel_smallILi3EdPdEEvT1_iilPiilS4_bb.has_dyn_sized_stack, 0
	.set _ZN9rocsolver6v33100L18getri_kernel_smallILi3EdPdEEvT1_iilPiilS4_bb.has_recursion, 0
	.set _ZN9rocsolver6v33100L18getri_kernel_smallILi3EdPdEEvT1_iilPiilS4_bb.has_indirect_call, 0
	.section	.AMDGPU.csdata,"",@progbits
; Kernel info:
; codeLenInByte = 1648
; TotalNumSgprs: 22
; NumVgprs: 26
; ScratchSize: 0
; MemoryBound: 0
; FloatMode: 240
; IeeeMode: 1
; LDSByteSize: 56 bytes/workgroup (compile time only)
; SGPRBlocks: 0
; VGPRBlocks: 1
; NumSGPRsForWavesPerEU: 22
; NumVGPRsForWavesPerEU: 26
; NamedBarCnt: 0
; Occupancy: 16
; WaveLimiterHint : 0
; COMPUTE_PGM_RSRC2:SCRATCH_EN: 0
; COMPUTE_PGM_RSRC2:USER_SGPR: 2
; COMPUTE_PGM_RSRC2:TRAP_HANDLER: 0
; COMPUTE_PGM_RSRC2:TGID_X_EN: 1
; COMPUTE_PGM_RSRC2:TGID_Y_EN: 0
; COMPUTE_PGM_RSRC2:TGID_Z_EN: 0
; COMPUTE_PGM_RSRC2:TIDIG_COMP_CNT: 0
	.section	.text._ZN9rocsolver6v33100L18getri_kernel_smallILi4EdPdEEvT1_iilPiilS4_bb,"axG",@progbits,_ZN9rocsolver6v33100L18getri_kernel_smallILi4EdPdEEvT1_iilPiilS4_bb,comdat
	.globl	_ZN9rocsolver6v33100L18getri_kernel_smallILi4EdPdEEvT1_iilPiilS4_bb ; -- Begin function _ZN9rocsolver6v33100L18getri_kernel_smallILi4EdPdEEvT1_iilPiilS4_bb
	.p2align	8
	.type	_ZN9rocsolver6v33100L18getri_kernel_smallILi4EdPdEEvT1_iilPiilS4_bb,@function
_ZN9rocsolver6v33100L18getri_kernel_smallILi4EdPdEEvT1_iilPiilS4_bb: ; @_ZN9rocsolver6v33100L18getri_kernel_smallILi4EdPdEEvT1_iilPiilS4_bb
; %bb.0:
	s_mov_b32 s2, exec_lo
	v_cmpx_gt_u32_e32 4, v0
	s_cbranch_execz .LBB3_16
; %bb.1:
	s_clause 0x2
	s_load_b32 s2, s[0:1], 0x38
	s_load_b128 s[8:11], s[0:1], 0x10
	s_load_b128 s[4:7], s[0:1], 0x28
	s_getreg_b32 s13, hwreg(HW_REG_IB_STS2, 6, 4)
	s_wait_kmcnt 0x0
	s_bitcmp1_b32 s2, 8
	s_cselect_b32 s16, -1, 0
	s_bfe_u32 s3, ttmp6, 0x4000c
	s_and_b32 s12, ttmp6, 15
	s_add_co_i32 s3, s3, 1
	s_delay_alu instid0(SALU_CYCLE_1) | instskip(NEXT) | instid1(SALU_CYCLE_1)
	s_mul_i32 s3, ttmp9, s3
	s_add_co_i32 s12, s12, s3
	s_cmp_eq_u32 s13, 0
	s_cselect_b32 s14, ttmp9, s12
	s_bfe_u32 s2, s2, 0x10008
	s_ashr_i32 s15, s14, 31
	s_cmp_eq_u32 s2, 0
                                        ; implicit-def: $sgpr12_sgpr13
	s_cbranch_scc1 .LBB3_3
; %bb.2:
	s_load_b32 s2, s[0:1], 0x20
	s_mul_u64 s[4:5], s[4:5], s[14:15]
	s_delay_alu instid0(SALU_CYCLE_1) | instskip(NEXT) | instid1(SALU_CYCLE_1)
	s_lshl_b64 s[4:5], s[4:5], 2
	s_add_nc_u64 s[4:5], s[10:11], s[4:5]
	s_wait_kmcnt 0x0
	s_ashr_i32 s3, s2, 31
	s_delay_alu instid0(SALU_CYCLE_1) | instskip(NEXT) | instid1(SALU_CYCLE_1)
	s_lshl_b64 s[2:3], s[2:3], 2
	s_add_nc_u64 s[12:13], s[4:5], s[2:3]
.LBB3_3:
	s_clause 0x1
	s_load_b128 s[20:23], s[0:1], 0x0
	s_load_b32 s10, s[0:1], 0x38
	v_dual_mov_b32 v1, 0 :: v_dual_lshlrev_b32 v18, 3, v0
	s_wait_xcnt 0x0
	s_mul_u64 s[0:1], s[8:9], s[14:15]
	s_delay_alu instid0(SALU_CYCLE_1)
	s_lshl_b64 s[0:1], s[0:1], 3
	s_wait_kmcnt 0x0
	s_ashr_i32 s3, s22, 31
	s_mov_b32 s2, s22
	v_add3_u32 v14, s23, s23, v0
	v_mov_b32_e32 v19, v1
	s_add_nc_u64 s[0:1], s[20:21], s[0:1]
	s_lshl_b64 s[2:3], s[2:3], 3
	s_delay_alu instid0(SALU_CYCLE_1)
	s_add_nc_u64 s[4:5], s[0:1], s[2:3]
	v_add_nc_u32_e32 v16, s23, v14
	v_add_nc_u64_e32 v[10:11], s[4:5], v[18:19]
	s_ashr_i32 s1, s23, 31
	s_mov_b32 s0, s23
	s_bitcmp0_b32 s10, 0
	s_delay_alu instid0(VALU_DEP_1)
	v_lshl_add_u64 v[12:13], s[0:1], 3, v[10:11]
	s_mov_b32 s0, -1
	s_clause 0x3
	global_load_b64 v[4:5], v[12:13], off
	global_load_b64 v[2:3], v0, s[4:5] scale_offset
	global_load_b64 v[6:7], v14, s[4:5] scale_offset
	global_load_b64 v[8:9], v16, s[4:5] scale_offset
	s_cbranch_scc1 .LBB3_14
; %bb.4:
	v_cmp_eq_u32_e64 s0, 0, v0
	s_wait_xcnt 0x0
	s_and_saveexec_b32 s1, s0
; %bb.5:
	v_mov_b32_e32 v15, 0
	ds_store_b32 v15, v15 offset:64
; %bb.6:
	s_or_b32 exec_lo, exec_lo, s1
	v_cmp_eq_u32_e32 vcc_lo, 1, v0
	s_mov_b32 s2, exec_lo
	s_wait_loadcnt_dscnt 0x0
	s_barrier_signal -1
	s_barrier_wait -1
	v_dual_cndmask_b32 v15, v3, v5, vcc_lo :: v_dual_cndmask_b32 v17, v2, v4, vcc_lo
	v_cmp_eq_u32_e32 vcc_lo, 2, v0
	s_delay_alu instid0(VALU_DEP_2) | instskip(SKIP_1) | instid1(VALU_DEP_2)
	v_dual_cndmask_b32 v15, v15, v7, vcc_lo :: v_dual_cndmask_b32 v17, v17, v6, vcc_lo
	v_cmp_eq_u32_e32 vcc_lo, 3, v0
	v_dual_cndmask_b32 v21, v15, v9 :: v_dual_cndmask_b32 v20, v17, v8
	s_delay_alu instid0(VALU_DEP_1)
	v_cmpx_eq_f64_e32 0, v[20:21]
	s_cbranch_execz .LBB3_10
; %bb.7:
	v_mov_b32_e32 v15, 0
	s_mov_b32 s3, 0
	ds_load_b32 v17, v15 offset:64
	s_wait_dscnt 0x0
	v_readfirstlane_b32 s1, v17
	v_add_nc_u32_e32 v17, 1, v0
	s_cmp_eq_u32 s1, 0
	s_delay_alu instid0(VALU_DEP_1) | instskip(SKIP_1) | instid1(SALU_CYCLE_1)
	v_cmp_gt_i32_e32 vcc_lo, s1, v17
	s_cselect_b32 s8, -1, 0
	s_or_b32 s8, s8, vcc_lo
	s_delay_alu instid0(SALU_CYCLE_1)
	s_and_b32 exec_lo, exec_lo, s8
	s_cbranch_execz .LBB3_10
; %bb.8:
	v_mov_b32_e32 v19, s1
.LBB3_9:                                ; =>This Inner Loop Header: Depth=1
	ds_cmpstore_rtn_b32 v19, v15, v17, v19 offset:64
	s_wait_dscnt 0x0
	v_cmp_ne_u32_e32 vcc_lo, 0, v19
	v_cmp_le_i32_e64 s1, v19, v17
	s_and_b32 s1, vcc_lo, s1
	s_delay_alu instid0(SALU_CYCLE_1) | instskip(NEXT) | instid1(SALU_CYCLE_1)
	s_and_b32 s1, exec_lo, s1
	s_or_b32 s3, s1, s3
	s_delay_alu instid0(SALU_CYCLE_1)
	s_and_not1_b32 exec_lo, exec_lo, s3
	s_cbranch_execnz .LBB3_9
.LBB3_10:
	s_or_b32 exec_lo, exec_lo, s2
	v_mov_b32_e32 v15, 0
	s_barrier_signal -1
	s_barrier_wait -1
	ds_load_b32 v17, v15 offset:64
	s_and_saveexec_b32 s1, s0
	s_cbranch_execz .LBB3_12
; %bb.11:
	s_lshl_b64 s[2:3], s[14:15], 2
	s_delay_alu instid0(SALU_CYCLE_1)
	s_add_nc_u64 s[2:3], s[6:7], s[2:3]
	s_wait_dscnt 0x0
	global_store_b32 v15, v17, s[2:3]
.LBB3_12:
	s_wait_xcnt 0x0
	s_or_b32 exec_lo, exec_lo, s1
	s_wait_dscnt 0x0
	v_cmp_ne_u32_e32 vcc_lo, 0, v17
	s_cbranch_vccz .LBB3_17
; %bb.13:
	s_mov_b32 s0, 0
                                        ; implicit-def: $vgpr2_vgpr3_vgpr4_vgpr5_vgpr6_vgpr7_vgpr8_vgpr9
.LBB3_14:
	s_delay_alu instid0(SALU_CYCLE_1)
	s_and_b32 vcc_lo, exec_lo, s0
	s_cbranch_vccz .LBB3_16
.LBB3_15:
	v_mov_b32_e32 v1, 0
	s_lshl_b64 s[0:1], s[14:15], 2
	s_delay_alu instid0(SALU_CYCLE_1)
	s_add_nc_u64 s[0:1], s[6:7], s[0:1]
	global_load_b32 v1, v1, s[0:1]
	s_wait_loadcnt 0x0
	v_cmp_ne_u32_e32 vcc_lo, 0, v1
	s_cbranch_vccz .LBB3_28
.LBB3_16:
	s_endpgm
.LBB3_17:
	v_div_scale_f64 v[22:23], null, v[20:21], v[20:21], 1.0
	v_div_scale_f64 v[28:29], vcc_lo, 1.0, v[20:21], 1.0
	v_cmp_eq_u32_e64 s1, 2, v0
	v_cmp_eq_u32_e64 s2, 1, v0
	;; [unrolled: 1-line block ×3, first 2 shown]
	v_add_nc_u32_e32 v15, 32, v18
	v_rcp_f64_e32 v[24:25], v[22:23]
	v_nop
	s_delay_alu instid0(TRANS32_DEP_1) | instskip(NEXT) | instid1(VALU_DEP_1)
	v_fma_f64 v[26:27], -v[22:23], v[24:25], 1.0
	v_fmac_f64_e32 v[24:25], v[24:25], v[26:27]
	s_delay_alu instid0(VALU_DEP_1) | instskip(NEXT) | instid1(VALU_DEP_1)
	v_fma_f64 v[26:27], -v[22:23], v[24:25], 1.0
	v_fmac_f64_e32 v[24:25], v[24:25], v[26:27]
	s_delay_alu instid0(VALU_DEP_1) | instskip(NEXT) | instid1(VALU_DEP_1)
	v_mul_f64_e32 v[26:27], v[28:29], v[24:25]
	v_fma_f64 v[22:23], -v[22:23], v[26:27], v[28:29]
	s_delay_alu instid0(VALU_DEP_1) | instskip(SKIP_1) | instid1(VALU_DEP_2)
	v_div_fmas_f64 v[22:23], v[22:23], v[24:25], v[26:27]
	v_cmp_eq_u32_e32 vcc_lo, 3, v0
	v_div_fixup_f64 v[20:21], v[22:23], v[20:21], 1.0
	s_delay_alu instid0(VALU_DEP_1)
	v_dual_cndmask_b32 v9, v9, v21 :: v_dual_cndmask_b32 v8, v8, v20
	v_dual_cndmask_b32 v5, v5, v21, s2 :: v_dual_cndmask_b32 v4, v4, v20, s2
	v_cndmask_b32_e64 v7, v7, v21, s1
	v_xor_b32_e32 v23, 0x80000000, v21
	v_dual_mov_b32 v22, v20 :: v_dual_cndmask_b32 v6, v6, v20, s1
	v_dual_cndmask_b32 v3, v3, v21, s3 :: v_dual_cndmask_b32 v2, v2, v20, s3
	ds_store_2addr_b64 v18, v[22:23], v[4:5] offset1:4
	s_wait_storecnt_dscnt 0x0
	s_barrier_signal -1
	s_barrier_wait -1
	s_and_saveexec_b32 s1, s0
	s_cbranch_execz .LBB3_19
; %bb.18:
	ds_load_b64 v[4:5], v15
	v_mov_b32_e32 v17, 0
	ds_load_b64 v[18:19], v17 offset:8
	s_wait_dscnt 0x1
	v_fma_f64 v[4:5], v[20:21], v[4:5], 0
	s_wait_dscnt 0x0
	s_delay_alu instid0(VALU_DEP_1)
	v_mul_f64_e32 v[4:5], v[4:5], v[18:19]
.LBB3_19:
	s_or_b32 exec_lo, exec_lo, s1
	s_delay_alu instid0(SALU_CYCLE_1)
	s_mov_b32 s1, exec_lo
	s_barrier_signal -1
	s_barrier_wait -1
	ds_store_b64 v15, v[6:7]
	s_wait_dscnt 0x0
	s_barrier_signal -1
	s_barrier_wait -1
	v_cmpx_gt_u32_e32 2, v0
	s_cbranch_execz .LBB3_23
; %bb.20:
	v_cmp_eq_u32_e32 vcc_lo, 1, v0
	ds_load_b64 v[18:19], v15
	v_dual_cndmask_b32 v17, v3, v5 :: v_dual_cndmask_b32 v20, v2, v4
	v_cmp_eq_u32_e32 vcc_lo, 2, v0
	s_delay_alu instid0(VALU_DEP_2) | instskip(SKIP_1) | instid1(VALU_DEP_2)
	v_dual_cndmask_b32 v7, v17, v7 :: v_dual_cndmask_b32 v6, v20, v6
	v_cmp_eq_u32_e32 vcc_lo, 3, v0
	v_dual_cndmask_b32 v7, v7, v9 :: v_dual_cndmask_b32 v6, v6, v8
	s_wait_dscnt 0x0
	s_delay_alu instid0(VALU_DEP_1)
	v_fma_f64 v[6:7], v[6:7], v[18:19], 0
	s_and_saveexec_b32 s2, s0
	s_cbranch_execz .LBB3_22
; %bb.21:
	v_mov_b32_e32 v17, 0
	ds_load_b64 v[18:19], v17 offset:40
	s_wait_dscnt 0x0
	v_fmac_f64_e32 v[6:7], v[4:5], v[18:19]
.LBB3_22:
	s_or_b32 exec_lo, exec_lo, s2
	v_mov_b32_e32 v17, 0
	ds_load_b64 v[18:19], v17 offset:16
	s_wait_dscnt 0x0
	v_mul_f64_e32 v[6:7], v[6:7], v[18:19]
.LBB3_23:
	s_or_b32 exec_lo, exec_lo, s1
	s_delay_alu instid0(SALU_CYCLE_1)
	s_mov_b32 s1, exec_lo
	s_barrier_signal -1
	s_barrier_wait -1
	ds_store_b64 v15, v[8:9]
	s_wait_dscnt 0x0
	s_barrier_signal -1
	s_barrier_wait -1
	v_cmpx_ne_u32_e32 3, v0
	s_cbranch_execz .LBB3_27
; %bb.24:
	v_mov_b64_e32 v[18:19], 0
	v_mov_b64_e32 v[20:21], v[0:1]
	v_lshl_add_u32 v15, v0, 3, 32
	s_mov_b32 s2, 0
.LBB3_25:                               ; =>This Inner Loop Header: Depth=1
	ds_load_b64 v[22:23], v15
	v_cmp_eq_u32_e32 vcc_lo, 1, v20
	v_cmp_eq_u32_e64 s0, 2, v20
	v_dual_add_nc_u32 v15, 8, v15 :: v_dual_cndmask_b32 v1, v3, v5, vcc_lo
	v_cndmask_b32_e32 v17, v2, v4, vcc_lo
	v_cmp_eq_u32_e32 vcc_lo, 3, v20
	v_add_nc_u64_e32 v[20:21], 1, v[20:21]
	s_delay_alu instid0(VALU_DEP_4) | instskip(NEXT) | instid1(VALU_DEP_4)
	v_cndmask_b32_e64 v1, v1, v7, s0
	v_cndmask_b32_e64 v17, v17, v6, s0
	s_delay_alu instid0(VALU_DEP_2) | instskip(NEXT) | instid1(VALU_DEP_2)
	v_dual_cndmask_b32 v25, v1, v9, vcc_lo :: v_dual_add_nc_u32 v1, -1, v20
	v_cndmask_b32_e32 v24, v17, v8, vcc_lo
	s_delay_alu instid0(VALU_DEP_2) | instskip(SKIP_1) | instid1(VALU_DEP_2)
	v_cmp_lt_u32_e32 vcc_lo, 1, v1
	s_wait_dscnt 0x0
	v_fmac_f64_e32 v[18:19], v[24:25], v[22:23]
	s_or_b32 s2, vcc_lo, s2
	s_delay_alu instid0(SALU_CYCLE_1)
	s_and_not1_b32 exec_lo, exec_lo, s2
	s_cbranch_execnz .LBB3_25
; %bb.26:
	s_or_b32 exec_lo, exec_lo, s2
	v_mov_b32_e32 v1, 0
	ds_load_b64 v[8:9], v1 offset:24
	s_wait_dscnt 0x0
	v_mul_f64_e32 v[8:9], v[18:19], v[8:9]
.LBB3_27:
	s_or_b32 exec_lo, exec_lo, s1
	s_barrier_signal -1
	s_barrier_wait -1
	s_cbranch_execnz .LBB3_15
	s_branch .LBB3_16
.LBB3_28:
	s_wait_xcnt 0x0
	v_lshl_add_u32 v1, v0, 3, 32
	s_mov_b32 s0, exec_lo
	v_cmpx_eq_u32_e32 3, v0
	s_cbranch_execz .LBB3_30
; %bb.29:
	v_mov_b64_e32 v[24:25], v[8:9]
	v_mov_b64_e32 v[18:19], v[2:3]
	s_mov_b32 s1, 0
	v_mov_b64_e32 v[20:21], v[4:5]
	v_mov_b64_e32 v[22:23], v[6:7]
	v_dual_mov_b32 v22, s1 :: v_dual_mov_b32 v23, s1
	ds_store_b64 v1, v[6:7]
	v_mov_b64_e32 v[2:3], v[18:19]
	v_mov_b64_e32 v[8:9], v[24:25]
	;; [unrolled: 1-line block ×4, first 2 shown]
.LBB3_30:
	s_or_b32 exec_lo, exec_lo, s0
	v_mov_b32_e32 v15, 0
	s_wait_storecnt_dscnt 0x0
	s_barrier_signal -1
	s_barrier_wait -1
	ds_load_b64 v[18:19], v15 offset:56
	s_mov_b32 s0, exec_lo
	s_wait_dscnt 0x0
	v_fma_f64 v[18:19], v[8:9], v[18:19], 0
	s_delay_alu instid0(VALU_DEP_1)
	v_add_f64_e64 v[6:7], v[6:7], -v[18:19]
	v_cmpx_lt_u32_e32 1, v0
	s_cbranch_execz .LBB3_32
; %bb.31:
	v_mov_b64_e32 v[24:25], v[8:9]
	v_mov_b64_e32 v[18:19], v[2:3]
	s_mov_b32 s1, 0
	s_delay_alu instid0(VALU_DEP_4)
	v_mov_b64_e32 v[22:23], v[6:7]
	v_mov_b64_e32 v[20:21], v[4:5]
	v_dual_mov_b32 v20, s1 :: v_dual_mov_b32 v21, s1
	ds_store_b64 v1, v[4:5]
	v_mov_b64_e32 v[2:3], v[18:19]
	v_mov_b64_e32 v[8:9], v[24:25]
	;; [unrolled: 1-line block ×4, first 2 shown]
.LBB3_32:
	s_or_b32 exec_lo, exec_lo, s0
	s_wait_dscnt 0x0
	s_barrier_signal -1
	s_barrier_wait -1
	ds_load_b128 v[18:21], v15 offset:48
	v_ashrrev_i32_e32 v15, 31, v14
	s_mov_b32 s1, 0
	s_mov_b32 s0, exec_lo
	v_ashrrev_i32_e32 v17, 31, v16
	s_wait_dscnt 0x0
	v_fma_f64 v[18:19], v[6:7], v[18:19], 0
	s_delay_alu instid0(VALU_DEP_1) | instskip(NEXT) | instid1(VALU_DEP_1)
	v_fmac_f64_e32 v[18:19], v[8:9], v[20:21]
	v_add_f64_e64 v[4:5], v[4:5], -v[18:19]
	v_cmpx_ne_u32_e32 0, v0
	s_cbranch_execz .LBB3_34
; %bb.33:
	v_mov_b64_e32 v[24:25], v[8:9]
	v_mov_b64_e32 v[22:23], v[6:7]
	s_delay_alu instid0(VALU_DEP_4)
	v_mov_b64_e32 v[20:21], v[4:5]
	v_mov_b64_e32 v[18:19], v[2:3]
	v_dual_mov_b32 v18, s1 :: v_dual_mov_b32 v19, s1
	ds_store_b64 v1, v[2:3]
	v_mov_b64_e32 v[2:3], v[18:19]
	v_mov_b64_e32 v[4:5], v[20:21]
	;; [unrolled: 1-line block ×4, first 2 shown]
.LBB3_34:
	s_or_b32 exec_lo, exec_lo, s0
	v_mov_b32_e32 v0, 0
	s_wait_dscnt 0x0
	s_barrier_signal -1
	s_barrier_wait -1
	ds_load_2addr_b64 v[18:21], v0 offset0:5 offset1:6
	ds_load_b64 v[22:23], v0 offset:56
	s_and_b32 vcc_lo, exec_lo, s16
	s_wait_dscnt 0x1
	v_fma_f64 v[18:19], v[4:5], v[18:19], 0
	s_delay_alu instid0(VALU_DEP_1) | instskip(SKIP_1) | instid1(VALU_DEP_1)
	v_fmac_f64_e32 v[18:19], v[6:7], v[20:21]
	s_wait_dscnt 0x0
	v_fmac_f64_e32 v[18:19], v[8:9], v[22:23]
	s_delay_alu instid0(VALU_DEP_1)
	v_add_f64_e64 v[2:3], v[2:3], -v[18:19]
	s_cbranch_vccz .LBB3_41
; %bb.35:
	global_load_b32 v0, v0, s[12:13] offset:8
	s_wait_loadcnt 0x0
	v_readfirstlane_b32 s1, v0
	s_add_co_i32 s1, s1, -1
	s_delay_alu instid0(SALU_CYCLE_1)
	s_cmp_lg_u32 s1, 2
	s_cbranch_scc0 .LBB3_37
; %bb.36:
	s_cmp_eq_u32 s1, 1
	s_cselect_b32 vcc_lo, -1, 0
	s_cmp_eq_u32 s1, 2
	v_dual_cndmask_b32 v0, v2, v4 :: v_dual_cndmask_b32 v1, v3, v5
	s_cselect_b32 s0, -1, 0
	s_cmp_eq_u32 s1, 3
	v_dual_cndmask_b32 v21, v5, v7 :: v_dual_cndmask_b32 v20, v4, v6
	s_delay_alu instid0(VALU_DEP_2) | instskip(SKIP_3) | instid1(VALU_DEP_2)
	v_dual_cndmask_b32 v0, v0, v6, s0 :: v_dual_cndmask_b32 v1, v1, v7, s0
	s_cselect_b32 vcc_lo, -1, 0
	s_cmp_eq_u32 s1, 0
	v_dual_cndmask_b32 v25, v9, v7 :: v_dual_cndmask_b32 v24, v8, v6
	v_dual_cndmask_b32 v0, v0, v8 :: v_dual_cndmask_b32 v1, v1, v9
	s_cselect_b32 vcc_lo, -1, 0
	v_dual_cndmask_b32 v19, v3, v7 :: v_dual_cndmask_b32 v18, v2, v6
	s_delay_alu instid0(VALU_DEP_2) | instskip(NEXT) | instid1(VALU_DEP_2)
	v_dual_cndmask_b32 v22, v0, v6, s0 :: v_dual_cndmask_b32 v23, v1, v7, s0
	v_mov_b64_e32 v[2:3], v[18:19]
	v_mov_b64_e32 v[4:5], v[20:21]
	s_delay_alu instid0(VALU_DEP_3)
	v_mov_b64_e32 v[6:7], v[22:23]
	v_mov_b64_e32 v[8:9], v[24:25]
.LBB3_37:
	v_mov_b32_e32 v0, 0
	global_load_b32 v1, v0, s[12:13] offset:4
	s_wait_loadcnt 0x0
	v_readfirstlane_b32 s1, v1
	s_add_co_i32 s1, s1, -1
	s_delay_alu instid0(SALU_CYCLE_1)
	s_cmp_eq_u32 s1, 1
	s_cbranch_scc1 .LBB3_39
; %bb.38:
	s_cselect_b32 vcc_lo, -1, 0
	s_cmp_eq_u32 s1, 2
	v_dual_cndmask_b32 v1, v2, v4 :: v_dual_cndmask_b32 v18, v3, v5
	s_cselect_b32 s0, -1, 0
	s_cmp_eq_u32 s1, 3
	v_dual_cndmask_b32 v23, v7, v5, s0 :: v_dual_cndmask_b32 v22, v6, v4, s0
	s_delay_alu instid0(VALU_DEP_2) | instskip(SKIP_3) | instid1(VALU_DEP_2)
	v_dual_cndmask_b32 v1, v1, v6, s0 :: v_dual_cndmask_b32 v18, v18, v7, s0
	s_cselect_b32 s0, -1, 0
	s_cmp_eq_u32 s1, 0
	v_dual_cndmask_b32 v25, v9, v5, s0 :: v_dual_cndmask_b32 v24, v8, v4, s0
	v_dual_cndmask_b32 v1, v1, v8, s0 :: v_dual_cndmask_b32 v6, v18, v9, s0
	s_delay_alu instid0(VALU_DEP_1) | instskip(SKIP_2) | instid1(VALU_DEP_1)
	v_dual_cndmask_b32 v20, v1, v4 :: v_dual_cndmask_b32 v21, v6, v5
	s_cselect_b32 vcc_lo, -1, 0
	v_dual_cndmask_b32 v19, v3, v5 :: v_dual_cndmask_b32 v18, v2, v4
	v_mov_b64_e32 v[2:3], v[18:19]
	s_delay_alu instid0(VALU_DEP_3)
	v_mov_b64_e32 v[4:5], v[20:21]
	v_mov_b64_e32 v[6:7], v[22:23]
	;; [unrolled: 1-line block ×3, first 2 shown]
.LBB3_39:
	global_load_b32 v0, v0, s[12:13]
	s_wait_loadcnt 0x0
	v_readfirstlane_b32 s2, v0
	s_add_co_i32 s2, s2, -1
	s_delay_alu instid0(SALU_CYCLE_1)
	s_cmp_eq_u32 s2, 0
	s_cbranch_scc1 .LBB3_41
; %bb.40:
	s_cmp_eq_u32 s2, 1
	s_cselect_b32 vcc_lo, -1, 0
	s_cmp_eq_u32 s2, 2
	v_dual_cndmask_b32 v0, v2, v4 :: v_dual_cndmask_b32 v1, v3, v5
	s_cselect_b32 s0, -1, 0
	s_cmp_eq_u32 s2, 3
	v_dual_cndmask_b32 v21, v5, v3 :: v_dual_cndmask_b32 v20, v4, v2
	s_delay_alu instid0(VALU_DEP_2) | instskip(SKIP_3) | instid1(VALU_DEP_2)
	v_dual_cndmask_b32 v0, v0, v6, s0 :: v_dual_cndmask_b32 v1, v1, v7, s0
	s_cselect_b32 s1, -1, 0
	v_cndmask_b32_e64 v23, v7, v3, s0
	s_cmp_eq_u32 s2, 0
	v_dual_cndmask_b32 v0, v0, v8, s1 :: v_dual_cndmask_b32 v1, v1, v9, s1
	v_cndmask_b32_e64 v22, v6, v2, s0
	s_cselect_b32 s0, -1, 0
	v_dual_cndmask_b32 v25, v9, v3, s1 :: v_dual_cndmask_b32 v24, v8, v2, s1
	s_delay_alu instid0(VALU_DEP_3) | instskip(NEXT) | instid1(VALU_DEP_1)
	v_dual_cndmask_b32 v19, v1, v3, s0 :: v_dual_cndmask_b32 v18, v0, v2, s0
	v_mov_b64_e32 v[2:3], v[18:19]
	v_mov_b64_e32 v[4:5], v[20:21]
	;; [unrolled: 1-line block ×4, first 2 shown]
.LBB3_41:
	v_lshl_add_u64 v[14:15], v[14:15], 3, s[4:5]
	v_lshl_add_u64 v[0:1], v[16:17], 3, s[4:5]
	s_clause 0x3
	global_store_b64 v[10:11], v[2:3], off
	global_store_b64 v[12:13], v[4:5], off
	;; [unrolled: 1-line block ×4, first 2 shown]
	s_endpgm
	.section	.rodata,"a",@progbits
	.p2align	6, 0x0
	.amdhsa_kernel _ZN9rocsolver6v33100L18getri_kernel_smallILi4EdPdEEvT1_iilPiilS4_bb
		.amdhsa_group_segment_fixed_size 72
		.amdhsa_private_segment_fixed_size 0
		.amdhsa_kernarg_size 60
		.amdhsa_user_sgpr_count 2
		.amdhsa_user_sgpr_dispatch_ptr 0
		.amdhsa_user_sgpr_queue_ptr 0
		.amdhsa_user_sgpr_kernarg_segment_ptr 1
		.amdhsa_user_sgpr_dispatch_id 0
		.amdhsa_user_sgpr_kernarg_preload_length 0
		.amdhsa_user_sgpr_kernarg_preload_offset 0
		.amdhsa_user_sgpr_private_segment_size 0
		.amdhsa_wavefront_size32 1
		.amdhsa_uses_dynamic_stack 0
		.amdhsa_enable_private_segment 0
		.amdhsa_system_sgpr_workgroup_id_x 1
		.amdhsa_system_sgpr_workgroup_id_y 0
		.amdhsa_system_sgpr_workgroup_id_z 0
		.amdhsa_system_sgpr_workgroup_info 0
		.amdhsa_system_vgpr_workitem_id 0
		.amdhsa_next_free_vgpr 30
		.amdhsa_next_free_sgpr 24
		.amdhsa_named_barrier_count 0
		.amdhsa_reserve_vcc 1
		.amdhsa_float_round_mode_32 0
		.amdhsa_float_round_mode_16_64 0
		.amdhsa_float_denorm_mode_32 3
		.amdhsa_float_denorm_mode_16_64 3
		.amdhsa_fp16_overflow 0
		.amdhsa_memory_ordered 1
		.amdhsa_forward_progress 1
		.amdhsa_inst_pref_size 19
		.amdhsa_round_robin_scheduling 0
		.amdhsa_exception_fp_ieee_invalid_op 0
		.amdhsa_exception_fp_denorm_src 0
		.amdhsa_exception_fp_ieee_div_zero 0
		.amdhsa_exception_fp_ieee_overflow 0
		.amdhsa_exception_fp_ieee_underflow 0
		.amdhsa_exception_fp_ieee_inexact 0
		.amdhsa_exception_int_div_zero 0
	.end_amdhsa_kernel
	.section	.text._ZN9rocsolver6v33100L18getri_kernel_smallILi4EdPdEEvT1_iilPiilS4_bb,"axG",@progbits,_ZN9rocsolver6v33100L18getri_kernel_smallILi4EdPdEEvT1_iilPiilS4_bb,comdat
.Lfunc_end3:
	.size	_ZN9rocsolver6v33100L18getri_kernel_smallILi4EdPdEEvT1_iilPiilS4_bb, .Lfunc_end3-_ZN9rocsolver6v33100L18getri_kernel_smallILi4EdPdEEvT1_iilPiilS4_bb
                                        ; -- End function
	.set _ZN9rocsolver6v33100L18getri_kernel_smallILi4EdPdEEvT1_iilPiilS4_bb.num_vgpr, 30
	.set _ZN9rocsolver6v33100L18getri_kernel_smallILi4EdPdEEvT1_iilPiilS4_bb.num_agpr, 0
	.set _ZN9rocsolver6v33100L18getri_kernel_smallILi4EdPdEEvT1_iilPiilS4_bb.numbered_sgpr, 24
	.set _ZN9rocsolver6v33100L18getri_kernel_smallILi4EdPdEEvT1_iilPiilS4_bb.num_named_barrier, 0
	.set _ZN9rocsolver6v33100L18getri_kernel_smallILi4EdPdEEvT1_iilPiilS4_bb.private_seg_size, 0
	.set _ZN9rocsolver6v33100L18getri_kernel_smallILi4EdPdEEvT1_iilPiilS4_bb.uses_vcc, 1
	.set _ZN9rocsolver6v33100L18getri_kernel_smallILi4EdPdEEvT1_iilPiilS4_bb.uses_flat_scratch, 0
	.set _ZN9rocsolver6v33100L18getri_kernel_smallILi4EdPdEEvT1_iilPiilS4_bb.has_dyn_sized_stack, 0
	.set _ZN9rocsolver6v33100L18getri_kernel_smallILi4EdPdEEvT1_iilPiilS4_bb.has_recursion, 0
	.set _ZN9rocsolver6v33100L18getri_kernel_smallILi4EdPdEEvT1_iilPiilS4_bb.has_indirect_call, 0
	.section	.AMDGPU.csdata,"",@progbits
; Kernel info:
; codeLenInByte = 2328
; TotalNumSgprs: 26
; NumVgprs: 30
; ScratchSize: 0
; MemoryBound: 0
; FloatMode: 240
; IeeeMode: 1
; LDSByteSize: 72 bytes/workgroup (compile time only)
; SGPRBlocks: 0
; VGPRBlocks: 1
; NumSGPRsForWavesPerEU: 26
; NumVGPRsForWavesPerEU: 30
; NamedBarCnt: 0
; Occupancy: 16
; WaveLimiterHint : 0
; COMPUTE_PGM_RSRC2:SCRATCH_EN: 0
; COMPUTE_PGM_RSRC2:USER_SGPR: 2
; COMPUTE_PGM_RSRC2:TRAP_HANDLER: 0
; COMPUTE_PGM_RSRC2:TGID_X_EN: 1
; COMPUTE_PGM_RSRC2:TGID_Y_EN: 0
; COMPUTE_PGM_RSRC2:TGID_Z_EN: 0
; COMPUTE_PGM_RSRC2:TIDIG_COMP_CNT: 0
	.section	.text._ZN9rocsolver6v33100L18getri_kernel_smallILi5EdPdEEvT1_iilPiilS4_bb,"axG",@progbits,_ZN9rocsolver6v33100L18getri_kernel_smallILi5EdPdEEvT1_iilPiilS4_bb,comdat
	.globl	_ZN9rocsolver6v33100L18getri_kernel_smallILi5EdPdEEvT1_iilPiilS4_bb ; -- Begin function _ZN9rocsolver6v33100L18getri_kernel_smallILi5EdPdEEvT1_iilPiilS4_bb
	.p2align	8
	.type	_ZN9rocsolver6v33100L18getri_kernel_smallILi5EdPdEEvT1_iilPiilS4_bb,@function
_ZN9rocsolver6v33100L18getri_kernel_smallILi5EdPdEEvT1_iilPiilS4_bb: ; @_ZN9rocsolver6v33100L18getri_kernel_smallILi5EdPdEEvT1_iilPiilS4_bb
; %bb.0:
	s_mov_b32 s2, exec_lo
	v_cmpx_gt_u32_e32 5, v0
	s_cbranch_execz .LBB4_16
; %bb.1:
	s_clause 0x2
	s_load_b32 s2, s[0:1], 0x38
	s_load_b128 s[8:11], s[0:1], 0x10
	s_load_b128 s[4:7], s[0:1], 0x28
	s_getreg_b32 s13, hwreg(HW_REG_IB_STS2, 6, 4)
	s_wait_kmcnt 0x0
	s_bitcmp1_b32 s2, 8
	s_cselect_b32 s16, -1, 0
	s_bfe_u32 s3, ttmp6, 0x4000c
	s_and_b32 s12, ttmp6, 15
	s_add_co_i32 s3, s3, 1
	s_delay_alu instid0(SALU_CYCLE_1) | instskip(NEXT) | instid1(SALU_CYCLE_1)
	s_mul_i32 s3, ttmp9, s3
	s_add_co_i32 s12, s12, s3
	s_cmp_eq_u32 s13, 0
	s_cselect_b32 s14, ttmp9, s12
	s_bfe_u32 s2, s2, 0x10008
	s_ashr_i32 s15, s14, 31
	s_cmp_eq_u32 s2, 0
                                        ; implicit-def: $sgpr12_sgpr13
	s_cbranch_scc1 .LBB4_3
; %bb.2:
	s_load_b32 s2, s[0:1], 0x20
	s_mul_u64 s[4:5], s[4:5], s[14:15]
	s_delay_alu instid0(SALU_CYCLE_1) | instskip(NEXT) | instid1(SALU_CYCLE_1)
	s_lshl_b64 s[4:5], s[4:5], 2
	s_add_nc_u64 s[4:5], s[10:11], s[4:5]
	s_wait_kmcnt 0x0
	s_ashr_i32 s3, s2, 31
	s_delay_alu instid0(SALU_CYCLE_1) | instskip(NEXT) | instid1(SALU_CYCLE_1)
	s_lshl_b64 s[2:3], s[2:3], 2
	s_add_nc_u64 s[12:13], s[4:5], s[2:3]
.LBB4_3:
	s_clause 0x1
	s_load_b128 s[20:23], s[0:1], 0x0
	s_load_b32 s4, s[0:1], 0x38
	v_dual_mov_b32 v1, 0 :: v_dual_lshlrev_b32 v12, 3, v0
	s_wait_xcnt 0x0
	s_mul_u64 s[0:1], s[8:9], s[14:15]
	s_delay_alu instid0(SALU_CYCLE_1)
	s_lshl_b64 s[0:1], s[0:1], 3
	s_wait_kmcnt 0x0
	s_ashr_i32 s3, s22, 31
	s_mov_b32 s2, s22
	v_add3_u32 v32, s23, s23, v0
	v_mov_b32_e32 v13, v1
	s_add_nc_u64 s[0:1], s[20:21], s[0:1]
	s_lshl_b64 s[2:3], s[2:3], 3
	s_delay_alu instid0(SALU_CYCLE_1)
	s_add_nc_u64 s[8:9], s[0:1], s[2:3]
	v_add_nc_u32_e32 v34, s23, v32
	v_add_nc_u64_e32 v[28:29], s[8:9], v[12:13]
	s_ashr_i32 s1, s23, 31
	s_mov_b32 s0, s23
	s_bitcmp0_b32 s4, 0
	v_add_nc_u32_e32 v36, s23, v34
	s_delay_alu instid0(VALU_DEP_2)
	v_lshl_add_u64 v[30:31], s[0:1], 3, v[28:29]
	s_mov_b32 s0, -1
	s_clause 0x4
	global_load_b64 v[4:5], v[30:31], off
	global_load_b64 v[2:3], v0, s[8:9] scale_offset
	global_load_b64 v[6:7], v32, s[8:9] scale_offset
	;; [unrolled: 1-line block ×4, first 2 shown]
	s_cbranch_scc1 .LBB4_14
; %bb.4:
	v_cmp_eq_u32_e64 s0, 0, v0
	s_wait_xcnt 0x0
	s_and_saveexec_b32 s1, s0
; %bb.5:
	v_mov_b32_e32 v13, 0
	ds_store_b32 v13, v13 offset:40
; %bb.6:
	s_or_b32 exec_lo, exec_lo, s1
	v_cmp_eq_u32_e32 vcc_lo, 1, v0
	s_mov_b32 s2, exec_lo
	s_wait_loadcnt_dscnt 0x0
	s_barrier_signal -1
	s_barrier_wait -1
	v_dual_cndmask_b32 v13, v3, v5 :: v_dual_cndmask_b32 v14, v2, v4
	v_cmp_eq_u32_e32 vcc_lo, 2, v0
	s_delay_alu instid0(VALU_DEP_2) | instskip(SKIP_1) | instid1(VALU_DEP_2)
	v_dual_cndmask_b32 v13, v13, v7 :: v_dual_cndmask_b32 v14, v14, v6
	v_cmp_eq_u32_e32 vcc_lo, 3, v0
	v_dual_cndmask_b32 v13, v13, v9 :: v_dual_cndmask_b32 v14, v14, v8
	v_cmp_eq_u32_e32 vcc_lo, 4, v0
	s_delay_alu instid0(VALU_DEP_2) | instskip(NEXT) | instid1(VALU_DEP_1)
	v_dual_cndmask_b32 v15, v13, v11 :: v_dual_cndmask_b32 v14, v14, v10
	v_cmpx_eq_f64_e32 0, v[14:15]
	s_cbranch_execz .LBB4_10
; %bb.7:
	v_mov_b32_e32 v13, 0
	s_mov_b32 s3, 0
	ds_load_b32 v16, v13 offset:40
	s_wait_dscnt 0x0
	v_readfirstlane_b32 s1, v16
	v_add_nc_u32_e32 v16, 1, v0
	s_cmp_eq_u32 s1, 0
	s_delay_alu instid0(VALU_DEP_1) | instskip(SKIP_1) | instid1(SALU_CYCLE_1)
	v_cmp_gt_i32_e32 vcc_lo, s1, v16
	s_cselect_b32 s4, -1, 0
	s_or_b32 s4, s4, vcc_lo
	s_delay_alu instid0(SALU_CYCLE_1)
	s_and_b32 exec_lo, exec_lo, s4
	s_cbranch_execz .LBB4_10
; %bb.8:
	v_mov_b32_e32 v17, s1
.LBB4_9:                                ; =>This Inner Loop Header: Depth=1
	ds_cmpstore_rtn_b32 v17, v13, v16, v17 offset:40
	s_wait_dscnt 0x0
	v_cmp_ne_u32_e32 vcc_lo, 0, v17
	v_cmp_le_i32_e64 s1, v17, v16
	s_and_b32 s1, vcc_lo, s1
	s_delay_alu instid0(SALU_CYCLE_1) | instskip(NEXT) | instid1(SALU_CYCLE_1)
	s_and_b32 s1, exec_lo, s1
	s_or_b32 s3, s1, s3
	s_delay_alu instid0(SALU_CYCLE_1)
	s_and_not1_b32 exec_lo, exec_lo, s3
	s_cbranch_execnz .LBB4_9
.LBB4_10:
	s_or_b32 exec_lo, exec_lo, s2
	v_mov_b32_e32 v13, 0
	s_barrier_signal -1
	s_barrier_wait -1
	ds_load_b32 v16, v13 offset:40
	s_and_saveexec_b32 s1, s0
	s_cbranch_execz .LBB4_12
; %bb.11:
	s_lshl_b64 s[2:3], s[14:15], 2
	s_delay_alu instid0(SALU_CYCLE_1)
	s_add_nc_u64 s[2:3], s[6:7], s[2:3]
	s_wait_dscnt 0x0
	global_store_b32 v13, v16, s[2:3]
.LBB4_12:
	s_wait_xcnt 0x0
	s_or_b32 exec_lo, exec_lo, s1
	s_wait_dscnt 0x0
	v_cmp_ne_u32_e32 vcc_lo, 0, v16
	s_cbranch_vccz .LBB4_17
; %bb.13:
	s_mov_b32 s0, 0
                                        ; implicit-def: $vgpr2_vgpr3_vgpr4_vgpr5_vgpr6_vgpr7_vgpr8_vgpr9_vgpr10_vgpr11_vgpr12_vgpr13_vgpr14_vgpr15_vgpr16_vgpr17
.LBB4_14:
	s_delay_alu instid0(SALU_CYCLE_1)
	s_and_b32 vcc_lo, exec_lo, s0
	s_cbranch_vccz .LBB4_16
.LBB4_15:
	v_mov_b32_e32 v1, 0
	s_lshl_b64 s[0:1], s[14:15], 2
	s_delay_alu instid0(SALU_CYCLE_1)
	s_add_nc_u64 s[0:1], s[6:7], s[0:1]
	global_load_b32 v1, v1, s[0:1]
	s_wait_loadcnt 0x0
	v_cmp_ne_u32_e32 vcc_lo, 0, v1
	s_cbranch_vccz .LBB4_32
.LBB4_16:
	s_endpgm
.LBB4_17:
	v_div_scale_f64 v[16:17], null, v[14:15], v[14:15], 1.0
	v_div_scale_f64 v[22:23], vcc_lo, 1.0, v[14:15], 1.0
	v_cmp_eq_u32_e64 s1, 3, v0
	v_cmp_eq_u32_e64 s2, 2, v0
	;; [unrolled: 1-line block ×4, first 2 shown]
	v_rcp_f64_e32 v[18:19], v[16:17]
	v_nop
	s_delay_alu instid0(TRANS32_DEP_1) | instskip(NEXT) | instid1(VALU_DEP_1)
	v_fma_f64 v[20:21], -v[16:17], v[18:19], 1.0
	v_fmac_f64_e32 v[18:19], v[18:19], v[20:21]
	s_delay_alu instid0(VALU_DEP_1) | instskip(NEXT) | instid1(VALU_DEP_1)
	v_fma_f64 v[20:21], -v[16:17], v[18:19], 1.0
	v_fmac_f64_e32 v[18:19], v[18:19], v[20:21]
	s_delay_alu instid0(VALU_DEP_1) | instskip(NEXT) | instid1(VALU_DEP_1)
	v_mul_f64_e32 v[20:21], v[22:23], v[18:19]
	v_fma_f64 v[16:17], -v[16:17], v[20:21], v[22:23]
	s_delay_alu instid0(VALU_DEP_1) | instskip(SKIP_1) | instid1(VALU_DEP_2)
	v_div_fmas_f64 v[16:17], v[16:17], v[18:19], v[20:21]
	v_cmp_eq_u32_e32 vcc_lo, 4, v0
	v_div_fixup_f64 v[14:15], v[16:17], v[14:15], 1.0
	s_delay_alu instid0(VALU_DEP_1) | instskip(NEXT) | instid1(VALU_DEP_2)
	v_dual_cndmask_b32 v11, v11, v15 :: v_dual_add_nc_u32 v16, 48, v12
	v_dual_cndmask_b32 v10, v10, v14, vcc_lo :: v_dual_cndmask_b32 v9, v9, v15, s1
	v_dual_cndmask_b32 v8, v8, v14, s1 :: v_dual_cndmask_b32 v5, v5, v15, s3
	v_dual_cndmask_b32 v4, v4, v14, s3 :: v_dual_mov_b32 v18, v14
	v_xor_b32_e32 v19, 0x80000000, v15
	v_dual_cndmask_b32 v7, v7, v15, s2 :: v_dual_cndmask_b32 v6, v6, v14, s2
	v_dual_cndmask_b32 v3, v3, v15, s4 :: v_dual_cndmask_b32 v2, v2, v14, s4
	ds_store_2addr_b64 v12, v[18:19], v[4:5] offset1:6
	s_wait_storecnt_dscnt 0x0
	s_barrier_signal -1
	s_barrier_wait -1
	s_and_saveexec_b32 s1, s0
	s_cbranch_execz .LBB4_19
; %bb.18:
	ds_load_b64 v[4:5], v16
	v_mov_b32_e32 v12, 0
	ds_load_b64 v[12:13], v12 offset:8
	s_wait_dscnt 0x1
	v_fma_f64 v[4:5], v[14:15], v[4:5], 0
	s_wait_dscnt 0x0
	s_delay_alu instid0(VALU_DEP_1)
	v_mul_f64_e32 v[4:5], v[4:5], v[12:13]
.LBB4_19:
	s_or_b32 exec_lo, exec_lo, s1
	s_delay_alu instid0(SALU_CYCLE_1)
	s_mov_b32 s2, exec_lo
	s_barrier_signal -1
	s_barrier_wait -1
	ds_store_b64 v16, v[6:7]
	s_wait_dscnt 0x0
	s_barrier_signal -1
	s_barrier_wait -1
	v_cmpx_gt_u32_e32 2, v0
	s_cbranch_execz .LBB4_23
; %bb.20:
	v_cmp_eq_u32_e32 vcc_lo, 1, v0
	v_cmp_eq_u32_e64 s1, 2, v0
	ds_load_b64 v[12:13], v16
	v_dual_cndmask_b32 v14, v3, v5 :: v_dual_cndmask_b32 v15, v2, v4
	v_cmp_eq_u32_e32 vcc_lo, 3, v0
	s_delay_alu instid0(VALU_DEP_2) | instskip(NEXT) | instid1(VALU_DEP_1)
	v_dual_cndmask_b32 v7, v14, v7, s1 :: v_dual_cndmask_b32 v6, v15, v6, s1
	v_dual_cndmask_b32 v7, v7, v9 :: v_dual_cndmask_b32 v6, v6, v8
	v_cmp_eq_u32_e32 vcc_lo, 4, v0
	s_delay_alu instid0(VALU_DEP_2) | instskip(SKIP_1) | instid1(VALU_DEP_1)
	v_dual_cndmask_b32 v7, v7, v11 :: v_dual_cndmask_b32 v6, v6, v10
	s_wait_dscnt 0x0
	v_fma_f64 v[6:7], v[6:7], v[12:13], 0
	s_and_saveexec_b32 s1, s0
	s_cbranch_execz .LBB4_22
; %bb.21:
	v_mov_b32_e32 v12, 0
	ds_load_b64 v[12:13], v12 offset:56
	s_wait_dscnt 0x0
	v_fmac_f64_e32 v[6:7], v[4:5], v[12:13]
.LBB4_22:
	s_or_b32 exec_lo, exec_lo, s1
	v_mov_b32_e32 v12, 0
	ds_load_b64 v[12:13], v12 offset:16
	s_wait_dscnt 0x0
	v_mul_f64_e32 v[6:7], v[6:7], v[12:13]
.LBB4_23:
	s_or_b32 exec_lo, exec_lo, s2
	s_delay_alu instid0(SALU_CYCLE_1)
	s_mov_b32 s1, exec_lo
	s_barrier_signal -1
	s_barrier_wait -1
	ds_store_b64 v16, v[8:9]
	s_wait_dscnt 0x0
	s_barrier_signal -1
	s_barrier_wait -1
	v_cmpx_gt_u32_e32 3, v0
	s_cbranch_execz .LBB4_27
; %bb.24:
	v_mov_b64_e32 v[12:13], 0
	v_mov_b64_e32 v[14:15], v[0:1]
	v_lshl_add_u32 v17, v0, 3, 48
	s_mov_b32 s2, 0
.LBB4_25:                               ; =>This Inner Loop Header: Depth=1
	s_delay_alu instid0(VALU_DEP_2)
	v_cmp_eq_u32_e32 vcc_lo, 1, v14
	v_cmp_eq_u32_e64 s0, 2, v14
	ds_load_b64 v[18:19], v17
	v_add_nc_u32_e32 v17, 8, v17
	v_dual_cndmask_b32 v20, v3, v5 :: v_dual_cndmask_b32 v21, v2, v4
	v_cmp_eq_u32_e32 vcc_lo, 3, v14
	s_delay_alu instid0(VALU_DEP_2) | instskip(SKIP_2) | instid1(VALU_DEP_3)
	v_dual_cndmask_b32 v20, v20, v7, s0 :: v_dual_cndmask_b32 v21, v21, v6, s0
	v_cmp_eq_u32_e64 s0, 4, v14
	v_add_nc_u64_e32 v[14:15], 1, v[14:15]
	v_dual_cndmask_b32 v20, v20, v9, vcc_lo :: v_dual_cndmask_b32 v22, v21, v8, vcc_lo
	s_delay_alu instid0(VALU_DEP_1) | instskip(SKIP_1) | instid1(VALU_DEP_1)
	v_dual_cndmask_b32 v21, v20, v11, s0 :: v_dual_cndmask_b32 v20, v22, v10, s0
	s_wait_dscnt 0x0
	v_fmac_f64_e32 v[12:13], v[20:21], v[18:19]
	s_delay_alu instid0(VALU_DEP_4) | instskip(NEXT) | instid1(VALU_DEP_1)
	v_add_nc_u32_e32 v18, -1, v14
	v_cmp_lt_u32_e32 vcc_lo, 1, v18
	s_or_b32 s2, vcc_lo, s2
	s_delay_alu instid0(SALU_CYCLE_1)
	s_and_not1_b32 exec_lo, exec_lo, s2
	s_cbranch_execnz .LBB4_25
; %bb.26:
	s_or_b32 exec_lo, exec_lo, s2
	v_mov_b32_e32 v8, 0
	ds_load_b64 v[8:9], v8 offset:24
	s_wait_dscnt 0x0
	v_mul_f64_e32 v[8:9], v[12:13], v[8:9]
.LBB4_27:
	s_or_b32 exec_lo, exec_lo, s1
	s_delay_alu instid0(SALU_CYCLE_1)
	s_mov_b32 s1, exec_lo
	s_barrier_signal -1
	s_barrier_wait -1
	ds_store_b64 v16, v[10:11]
	s_wait_dscnt 0x0
	s_barrier_signal -1
	s_barrier_wait -1
	v_cmpx_ne_u32_e32 4, v0
	s_cbranch_execz .LBB4_31
; %bb.28:
	v_mov_b64_e32 v[12:13], 0
	v_mov_b64_e32 v[14:15], v[0:1]
	v_lshl_add_u32 v16, v0, 3, 48
	s_mov_b32 s2, 0
.LBB4_29:                               ; =>This Inner Loop Header: Depth=1
	s_delay_alu instid0(VALU_DEP_2)
	v_cmp_eq_u32_e32 vcc_lo, 1, v14
	v_cmp_eq_u32_e64 s0, 2, v14
	ds_load_b64 v[18:19], v16
	v_dual_cndmask_b32 v1, v3, v5 :: v_dual_add_nc_u32 v16, 8, v16
	v_cndmask_b32_e32 v17, v2, v4, vcc_lo
	v_cmp_eq_u32_e32 vcc_lo, 3, v14
	s_delay_alu instid0(VALU_DEP_3) | instskip(NEXT) | instid1(VALU_DEP_3)
	v_cndmask_b32_e64 v1, v1, v7, s0
	v_cndmask_b32_e64 v17, v17, v6, s0
	v_cmp_eq_u32_e64 s0, 4, v14
	v_add_nc_u64_e32 v[14:15], 1, v[14:15]
	s_delay_alu instid0(VALU_DEP_4) | instskip(NEXT) | instid1(VALU_DEP_4)
	v_cndmask_b32_e32 v1, v1, v9, vcc_lo
	v_cndmask_b32_e32 v17, v17, v8, vcc_lo
	s_delay_alu instid0(VALU_DEP_2) | instskip(NEXT) | instid1(VALU_DEP_2)
	v_dual_cndmask_b32 v21, v1, v11, s0 :: v_dual_add_nc_u32 v1, -1, v14
	v_cndmask_b32_e64 v20, v17, v10, s0
	s_delay_alu instid0(VALU_DEP_2) | instskip(SKIP_1) | instid1(VALU_DEP_2)
	v_cmp_lt_u32_e32 vcc_lo, 2, v1
	s_wait_dscnt 0x0
	v_fmac_f64_e32 v[12:13], v[20:21], v[18:19]
	s_or_b32 s2, vcc_lo, s2
	s_delay_alu instid0(SALU_CYCLE_1)
	s_and_not1_b32 exec_lo, exec_lo, s2
	s_cbranch_execnz .LBB4_29
; %bb.30:
	s_or_b32 exec_lo, exec_lo, s2
	v_mov_b32_e32 v1, 0
	ds_load_b64 v[10:11], v1 offset:32
	s_wait_dscnt 0x0
	v_mul_f64_e32 v[10:11], v[12:13], v[10:11]
.LBB4_31:
	s_or_b32 exec_lo, exec_lo, s1
	s_barrier_signal -1
	s_barrier_wait -1
	s_cbranch_execnz .LBB4_15
	s_branch .LBB4_16
.LBB4_32:
	s_wait_xcnt 0x0
	v_lshl_add_u32 v1, v0, 3, 48
	s_mov_b32 s0, exec_lo
	v_cmpx_eq_u32_e32 4, v0
	s_cbranch_execz .LBB4_34
; %bb.33:
	v_dual_mov_b32 v18, 0 :: v_dual_mov_b32 v12, v2
	v_dual_mov_b32 v13, v3 :: v_dual_mov_b32 v14, v4
	s_delay_alu instid0(VALU_DEP_2)
	v_dual_mov_b32 v17, v7 :: v_dual_mov_b32 v19, v18
	v_dual_mov_b32 v20, v10 :: v_dual_mov_b32 v21, v11
	;; [unrolled: 1-line block ×3, first 2 shown]
	ds_store_b64 v1, v[8:9]
	v_mov_b64_e32 v[2:3], v[12:13]
	v_mov_b64_e32 v[4:5], v[14:15]
	;; [unrolled: 1-line block ×8, first 2 shown]
.LBB4_34:
	s_or_b32 exec_lo, exec_lo, s0
	v_mov_b32_e32 v18, 0
	s_wait_storecnt_dscnt 0x0
	s_barrier_signal -1
	s_barrier_wait -1
	ds_load_b64 v[12:13], v18 offset:80
	s_mov_b32 s0, exec_lo
	s_wait_dscnt 0x0
	v_fma_f64 v[12:13], v[10:11], v[12:13], 0
	s_delay_alu instid0(VALU_DEP_1)
	v_add_f64_e64 v[8:9], v[8:9], -v[12:13]
	v_cmpx_lt_u32_e32 2, v0
	s_cbranch_execz .LBB4_36
; %bb.35:
	v_dual_mov_b32 v14, v2 :: v_dual_mov_b32 v15, v3
	s_delay_alu instid0(VALU_DEP_3) | instskip(NEXT) | instid1(VALU_DEP_4)
	v_dual_mov_b32 v19, v18 :: v_dual_mov_b32 v20, v8
	v_dual_mov_b32 v21, v9 :: v_dual_mov_b32 v22, v10
	v_dual_mov_b32 v23, v11 :: v_dual_mov_b32 v16, v4
	v_mov_b32_e32 v17, v5
	ds_store_b64 v1, v[6:7]
	v_mov_b64_e32 v[2:3], v[14:15]
	v_mov_b64_e32 v[4:5], v[16:17]
	v_mov_b64_e32 v[6:7], v[18:19]
	v_mov_b64_e32 v[8:9], v[20:21]
	v_mov_b64_e32 v[10:11], v[22:23]
	v_mov_b64_e32 v[12:13], v[24:25]
	v_mov_b64_e32 v[14:15], v[26:27]
	v_mov_b64_e32 v[16:17], v[28:29]
.LBB4_36:
	s_or_b32 exec_lo, exec_lo, s0
	s_wait_dscnt 0x0
	s_barrier_signal -1
	s_barrier_wait -1
	ds_load_2addr_b64 v[12:15], v18 offset0:9 offset1:10
	s_mov_b32 s0, exec_lo
	s_wait_dscnt 0x0
	v_fma_f64 v[12:13], v[8:9], v[12:13], 0
	s_delay_alu instid0(VALU_DEP_1) | instskip(NEXT) | instid1(VALU_DEP_1)
	v_fmac_f64_e32 v[12:13], v[10:11], v[14:15]
	v_add_f64_e64 v[6:7], v[6:7], -v[12:13]
	v_cmpx_lt_u32_e32 1, v0
	s_cbranch_execz .LBB4_38
; %bb.37:
	v_dual_mov_b32 v14, 0 :: v_dual_mov_b32 v12, v2
	s_delay_alu instid0(VALU_DEP_3) | instskip(SKIP_2) | instid1(VALU_DEP_4)
	v_dual_mov_b32 v13, v3 :: v_dual_mov_b32 v16, v6
	v_dual_mov_b32 v18, v8 :: v_dual_mov_b32 v19, v9
	;; [unrolled: 1-line block ×4, first 2 shown]
	ds_store_b64 v1, v[4:5]
	v_mov_b64_e32 v[2:3], v[12:13]
	v_mov_b64_e32 v[4:5], v[14:15]
	;; [unrolled: 1-line block ×8, first 2 shown]
.LBB4_38:
	s_or_b32 exec_lo, exec_lo, s0
	v_mov_b32_e32 v18, 0
	s_wait_dscnt 0x0
	s_barrier_signal -1
	s_barrier_wait -1
	ds_load_b128 v[12:15], v18 offset:64
	ds_load_b64 v[16:17], v18 offset:80
	v_dual_ashrrev_i32 v33, 31, v32 :: v_dual_ashrrev_i32 v35, 31, v34
	v_ashrrev_i32_e32 v37, 31, v36
	s_mov_b32 s0, exec_lo
	s_wait_dscnt 0x1
	v_fma_f64 v[12:13], v[6:7], v[12:13], 0
	s_delay_alu instid0(VALU_DEP_1) | instskip(SKIP_1) | instid1(VALU_DEP_1)
	v_fmac_f64_e32 v[12:13], v[8:9], v[14:15]
	s_wait_dscnt 0x0
	v_fmac_f64_e32 v[12:13], v[10:11], v[16:17]
	s_delay_alu instid0(VALU_DEP_1)
	v_add_f64_e64 v[4:5], v[4:5], -v[12:13]
	v_cmpx_ne_u32_e32 0, v0
	s_cbranch_execz .LBB4_40
; %bb.39:
	s_delay_alu instid0(VALU_DEP_2) | instskip(NEXT) | instid1(VALU_DEP_3)
	v_dual_mov_b32 v19, v18 :: v_dual_mov_b32 v20, v4
	v_dual_mov_b32 v21, v5 :: v_dual_mov_b32 v22, v6
	;; [unrolled: 1-line block ×4, first 2 shown]
	v_mov_b32_e32 v27, v11
	ds_store_b64 v1, v[2:3]
	v_mov_b64_e32 v[2:3], v[18:19]
	v_mov_b64_e32 v[4:5], v[20:21]
	;; [unrolled: 1-line block ×8, first 2 shown]
.LBB4_40:
	s_or_b32 exec_lo, exec_lo, s0
	s_wait_dscnt 0x0
	s_barrier_signal -1
	s_barrier_wait -1
	ds_load_2addr_b64 v[12:15], v18 offset0:7 offset1:8
	ds_load_2addr_b64 v[16:19], v18 offset0:9 offset1:10
	s_and_b32 vcc_lo, exec_lo, s16
	s_wait_dscnt 0x1
	v_fma_f64 v[0:1], v[4:5], v[12:13], 0
	s_delay_alu instid0(VALU_DEP_1) | instskip(SKIP_1) | instid1(VALU_DEP_1)
	v_fmac_f64_e32 v[0:1], v[6:7], v[14:15]
	s_wait_dscnt 0x0
	v_fmac_f64_e32 v[0:1], v[8:9], v[16:17]
	s_delay_alu instid0(VALU_DEP_1) | instskip(NEXT) | instid1(VALU_DEP_1)
	v_fmac_f64_e32 v[0:1], v[10:11], v[18:19]
	v_add_f64_e64 v[2:3], v[2:3], -v[0:1]
	s_cbranch_vccz .LBB4_49
; %bb.41:
	v_mov_b32_e32 v0, 0
	global_load_b32 v1, v0, s[12:13] offset:12
	s_wait_loadcnt 0x0
	v_readfirstlane_b32 s1, v1
	s_add_co_i32 s1, s1, -1
	s_delay_alu instid0(SALU_CYCLE_1)
	s_cmp_lg_u32 s1, 3
	s_cbranch_scc0 .LBB4_43
; %bb.42:
	s_cmp_eq_u32 s1, 1
	s_cselect_b32 vcc_lo, -1, 0
	s_cmp_eq_u32 s1, 2
	v_dual_cndmask_b32 v1, v2, v4 :: v_dual_cndmask_b32 v12, v3, v5
	s_cselect_b32 s0, -1, 0
	v_cndmask_b32_e32 v13, v5, v9, vcc_lo
	s_cmp_eq_u32 s1, 3
	s_delay_alu instid0(VALU_DEP_2) | instskip(SKIP_3) | instid1(VALU_DEP_2)
	v_dual_cndmask_b32 v1, v1, v6, s0 :: v_dual_cndmask_b32 v5, v12, v7, s0
	v_cndmask_b32_e32 v12, v4, v8, vcc_lo
	s_cselect_b32 vcc_lo, -1, 0
	s_cmp_eq_u32 s1, 4
	v_dual_cndmask_b32 v1, v1, v8, vcc_lo :: v_dual_cndmask_b32 v15, v7, v9, s0
	v_dual_cndmask_b32 v4, v5, v9, vcc_lo :: v_dual_cndmask_b32 v14, v6, v8, s0
	s_cselect_b32 s0, -1, 0
	s_cmp_eq_u32 s1, 0
	s_delay_alu instid0(VALU_DEP_1) | instskip(SKIP_1) | instid1(VALU_DEP_2)
	v_dual_cndmask_b32 v1, v1, v10, s0 :: v_dual_cndmask_b32 v4, v4, v11, s0
	v_dual_cndmask_b32 v19, v11, v9, s0 :: v_dual_cndmask_b32 v18, v10, v8, s0
	v_dual_cndmask_b32 v16, v1, v8 :: v_dual_cndmask_b32 v17, v4, v9
	s_cselect_b32 vcc_lo, -1, 0
	v_dual_cndmask_b32 v11, v3, v9 :: v_dual_cndmask_b32 v10, v2, v8
	s_delay_alu instid0(VALU_DEP_1)
	v_mov_b64_e32 v[2:3], v[10:11]
	v_mov_b64_e32 v[4:5], v[12:13]
	;; [unrolled: 1-line block ×8, first 2 shown]
.LBB4_43:
	global_load_b32 v0, v0, s[12:13] offset:8
	s_wait_loadcnt 0x0
	v_readfirstlane_b32 s1, v0
	s_add_co_i32 s1, s1, -1
	s_delay_alu instid0(SALU_CYCLE_1)
	s_cmp_eq_u32 s1, 2
	s_cbranch_scc1 .LBB4_45
; %bb.44:
	s_cmp_eq_u32 s1, 1
	s_cselect_b32 vcc_lo, -1, 0
	s_cmp_eq_u32 s1, 2
	v_dual_cndmask_b32 v0, v2, v4 :: v_dual_cndmask_b32 v1, v3, v5
	s_cselect_b32 s0, -1, 0
	v_cndmask_b32_e32 v13, v5, v7, vcc_lo
	s_cmp_eq_u32 s1, 3
	s_delay_alu instid0(VALU_DEP_2) | instskip(SKIP_3) | instid1(VALU_DEP_2)
	v_dual_cndmask_b32 v0, v0, v6, s0 :: v_dual_cndmask_b32 v1, v1, v7, s0
	v_cndmask_b32_e32 v12, v4, v6, vcc_lo
	s_cselect_b32 vcc_lo, -1, 0
	s_cmp_eq_u32 s1, 4
	v_dual_cndmask_b32 v0, v0, v8 :: v_dual_cndmask_b32 v1, v1, v9
	v_dual_cndmask_b32 v17, v9, v7 :: v_dual_cndmask_b32 v16, v8, v6
	s_cselect_b32 vcc_lo, -1, 0
	s_cmp_eq_u32 s1, 0
	s_delay_alu instid0(VALU_DEP_2) | instskip(SKIP_2) | instid1(VALU_DEP_2)
	v_dual_cndmask_b32 v0, v0, v10 :: v_dual_cndmask_b32 v1, v1, v11
	v_dual_cndmask_b32 v19, v11, v7 :: v_dual_cndmask_b32 v18, v10, v6
	s_cselect_b32 vcc_lo, -1, 0
	v_dual_cndmask_b32 v14, v0, v6, s0 :: v_dual_cndmask_b32 v15, v1, v7, s0
	v_dual_cndmask_b32 v11, v3, v7 :: v_dual_cndmask_b32 v10, v2, v6
	s_delay_alu instid0(VALU_DEP_1) | instskip(SKIP_1) | instid1(VALU_DEP_4)
	v_mov_b64_e32 v[2:3], v[10:11]
	v_mov_b64_e32 v[4:5], v[12:13]
	;; [unrolled: 1-line block ×8, first 2 shown]
.LBB4_45:
	v_mov_b32_e32 v0, 0
	global_load_b32 v1, v0, s[12:13] offset:4
	s_wait_loadcnt 0x0
	v_readfirstlane_b32 s2, v1
	s_add_co_i32 s2, s2, -1
	s_delay_alu instid0(SALU_CYCLE_1)
	s_cmp_eq_u32 s2, 1
	s_cbranch_scc1 .LBB4_47
; %bb.46:
	s_cselect_b32 vcc_lo, -1, 0
	s_cmp_eq_u32 s2, 2
	v_dual_cndmask_b32 v1, v2, v4 :: v_dual_cndmask_b32 v12, v3, v5
	s_cselect_b32 s0, -1, 0
	s_cmp_eq_u32 s2, 3
	s_cselect_b32 s1, -1, 0
	s_delay_alu instid0(VALU_DEP_1) | instskip(SKIP_3) | instid1(VALU_DEP_3)
	v_dual_cndmask_b32 v1, v1, v6, s0 :: v_dual_cndmask_b32 v12, v12, v7, s0
	v_cndmask_b32_e64 v13, v7, v5, s0
	s_cmp_eq_u32 s2, 4
	v_dual_cndmask_b32 v15, v9, v5, s1 :: v_dual_cndmask_b32 v14, v8, v4, s1
	v_dual_cndmask_b32 v1, v1, v8, s1 :: v_dual_cndmask_b32 v7, v12, v9, s1
	s_cselect_b32 s1, -1, 0
	s_cmp_eq_u32 s2, 0
	s_delay_alu instid0(VALU_DEP_1) | instskip(NEXT) | instid1(VALU_DEP_2)
	v_dual_cndmask_b32 v16, v10, v4, s1 :: v_dual_cndmask_b32 v1, v1, v10, s1
	v_cndmask_b32_e64 v7, v7, v11, s1
	v_dual_cndmask_b32 v17, v11, v5, s1 :: v_dual_cndmask_b32 v12, v6, v4, s0
	s_delay_alu instid0(VALU_DEP_2) | instskip(SKIP_2) | instid1(VALU_DEP_1)
	v_dual_cndmask_b32 v10, v1, v4 :: v_dual_cndmask_b32 v11, v7, v5
	s_cselect_b32 vcc_lo, -1, 0
	v_dual_cndmask_b32 v9, v3, v5 :: v_dual_cndmask_b32 v8, v2, v4
	v_mov_b64_e32 v[2:3], v[8:9]
	s_delay_alu instid0(VALU_DEP_3)
	v_mov_b64_e32 v[4:5], v[10:11]
	v_mov_b64_e32 v[6:7], v[12:13]
	;; [unrolled: 1-line block ×7, first 2 shown]
.LBB4_47:
	global_load_b32 v0, v0, s[12:13]
	s_wait_loadcnt 0x0
	v_readfirstlane_b32 s3, v0
	s_add_co_i32 s3, s3, -1
	s_delay_alu instid0(SALU_CYCLE_1)
	s_cmp_eq_u32 s3, 0
	s_cbranch_scc1 .LBB4_49
; %bb.48:
	s_cmp_eq_u32 s3, 1
	s_cselect_b32 vcc_lo, -1, 0
	s_cmp_eq_u32 s3, 2
	v_dual_cndmask_b32 v0, v2, v4 :: v_dual_cndmask_b32 v1, v3, v5
	s_cselect_b32 s0, -1, 0
	s_cmp_eq_u32 s3, 3
	v_cndmask_b32_e64 v12, v6, v2, s0
	s_delay_alu instid0(VALU_DEP_2) | instskip(SKIP_2) | instid1(VALU_DEP_1)
	v_dual_cndmask_b32 v0, v0, v6, s0 :: v_dual_cndmask_b32 v1, v1, v7, s0
	s_cselect_b32 s1, -1, 0
	s_cmp_eq_u32 s3, 4
	v_dual_cndmask_b32 v13, v7, v3, s0 :: v_dual_cndmask_b32 v0, v0, v8, s1
	s_cselect_b32 s2, -1, 0
	v_cndmask_b32_e64 v1, v1, v9, s1
	s_cmp_eq_u32 s3, 0
	v_dual_cndmask_b32 v15, v9, v3, s1 :: v_dual_cndmask_b32 v14, v8, v2, s1
	s_delay_alu instid0(VALU_DEP_2)
	v_dual_cndmask_b32 v0, v0, v10, s2 :: v_dual_cndmask_b32 v1, v1, v11, s2
	v_cndmask_b32_e64 v16, v10, v2, s2
	s_cselect_b32 s1, -1, 0
	s_delay_alu instid0(VALU_DEP_2) | instid1(SALU_CYCLE_1)
	v_dual_cndmask_b32 v17, v11, v3, s2 :: v_dual_cndmask_b32 v8, v0, v2, s1
	s_delay_alu instid0(VALU_DEP_3) | instskip(SKIP_1) | instid1(VALU_DEP_2)
	v_cndmask_b32_e64 v9, v1, v3, s1
	v_dual_cndmask_b32 v11, v5, v3 :: v_dual_cndmask_b32 v10, v4, v2
	v_mov_b64_e32 v[2:3], v[8:9]
	s_delay_alu instid0(VALU_DEP_2)
	v_mov_b64_e32 v[4:5], v[10:11]
	v_mov_b64_e32 v[6:7], v[12:13]
	;; [unrolled: 1-line block ×7, first 2 shown]
.LBB4_49:
	v_lshl_add_u64 v[14:15], v[32:33], 3, s[8:9]
	v_lshl_add_u64 v[12:13], v[34:35], 3, s[8:9]
	;; [unrolled: 1-line block ×3, first 2 shown]
	s_clause 0x4
	global_store_b64 v[28:29], v[2:3], off
	global_store_b64 v[30:31], v[4:5], off
	;; [unrolled: 1-line block ×5, first 2 shown]
	s_endpgm
	.section	.rodata,"a",@progbits
	.p2align	6, 0x0
	.amdhsa_kernel _ZN9rocsolver6v33100L18getri_kernel_smallILi5EdPdEEvT1_iilPiilS4_bb
		.amdhsa_group_segment_fixed_size 88
		.amdhsa_private_segment_fixed_size 0
		.amdhsa_kernarg_size 60
		.amdhsa_user_sgpr_count 2
		.amdhsa_user_sgpr_dispatch_ptr 0
		.amdhsa_user_sgpr_queue_ptr 0
		.amdhsa_user_sgpr_kernarg_segment_ptr 1
		.amdhsa_user_sgpr_dispatch_id 0
		.amdhsa_user_sgpr_kernarg_preload_length 0
		.amdhsa_user_sgpr_kernarg_preload_offset 0
		.amdhsa_user_sgpr_private_segment_size 0
		.amdhsa_wavefront_size32 1
		.amdhsa_uses_dynamic_stack 0
		.amdhsa_enable_private_segment 0
		.amdhsa_system_sgpr_workgroup_id_x 1
		.amdhsa_system_sgpr_workgroup_id_y 0
		.amdhsa_system_sgpr_workgroup_id_z 0
		.amdhsa_system_sgpr_workgroup_info 0
		.amdhsa_system_vgpr_workitem_id 0
		.amdhsa_next_free_vgpr 38
		.amdhsa_next_free_sgpr 24
		.amdhsa_named_barrier_count 0
		.amdhsa_reserve_vcc 1
		.amdhsa_float_round_mode_32 0
		.amdhsa_float_round_mode_16_64 0
		.amdhsa_float_denorm_mode_32 3
		.amdhsa_float_denorm_mode_16_64 3
		.amdhsa_fp16_overflow 0
		.amdhsa_memory_ordered 1
		.amdhsa_forward_progress 1
		.amdhsa_inst_pref_size 26
		.amdhsa_round_robin_scheduling 0
		.amdhsa_exception_fp_ieee_invalid_op 0
		.amdhsa_exception_fp_denorm_src 0
		.amdhsa_exception_fp_ieee_div_zero 0
		.amdhsa_exception_fp_ieee_overflow 0
		.amdhsa_exception_fp_ieee_underflow 0
		.amdhsa_exception_fp_ieee_inexact 0
		.amdhsa_exception_int_div_zero 0
	.end_amdhsa_kernel
	.section	.text._ZN9rocsolver6v33100L18getri_kernel_smallILi5EdPdEEvT1_iilPiilS4_bb,"axG",@progbits,_ZN9rocsolver6v33100L18getri_kernel_smallILi5EdPdEEvT1_iilPiilS4_bb,comdat
.Lfunc_end4:
	.size	_ZN9rocsolver6v33100L18getri_kernel_smallILi5EdPdEEvT1_iilPiilS4_bb, .Lfunc_end4-_ZN9rocsolver6v33100L18getri_kernel_smallILi5EdPdEEvT1_iilPiilS4_bb
                                        ; -- End function
	.set _ZN9rocsolver6v33100L18getri_kernel_smallILi5EdPdEEvT1_iilPiilS4_bb.num_vgpr, 38
	.set _ZN9rocsolver6v33100L18getri_kernel_smallILi5EdPdEEvT1_iilPiilS4_bb.num_agpr, 0
	.set _ZN9rocsolver6v33100L18getri_kernel_smallILi5EdPdEEvT1_iilPiilS4_bb.numbered_sgpr, 24
	.set _ZN9rocsolver6v33100L18getri_kernel_smallILi5EdPdEEvT1_iilPiilS4_bb.num_named_barrier, 0
	.set _ZN9rocsolver6v33100L18getri_kernel_smallILi5EdPdEEvT1_iilPiilS4_bb.private_seg_size, 0
	.set _ZN9rocsolver6v33100L18getri_kernel_smallILi5EdPdEEvT1_iilPiilS4_bb.uses_vcc, 1
	.set _ZN9rocsolver6v33100L18getri_kernel_smallILi5EdPdEEvT1_iilPiilS4_bb.uses_flat_scratch, 0
	.set _ZN9rocsolver6v33100L18getri_kernel_smallILi5EdPdEEvT1_iilPiilS4_bb.has_dyn_sized_stack, 0
	.set _ZN9rocsolver6v33100L18getri_kernel_smallILi5EdPdEEvT1_iilPiilS4_bb.has_recursion, 0
	.set _ZN9rocsolver6v33100L18getri_kernel_smallILi5EdPdEEvT1_iilPiilS4_bb.has_indirect_call, 0
	.section	.AMDGPU.csdata,"",@progbits
; Kernel info:
; codeLenInByte = 3308
; TotalNumSgprs: 26
; NumVgprs: 38
; ScratchSize: 0
; MemoryBound: 0
; FloatMode: 240
; IeeeMode: 1
; LDSByteSize: 88 bytes/workgroup (compile time only)
; SGPRBlocks: 0
; VGPRBlocks: 2
; NumSGPRsForWavesPerEU: 26
; NumVGPRsForWavesPerEU: 38
; NamedBarCnt: 0
; Occupancy: 16
; WaveLimiterHint : 0
; COMPUTE_PGM_RSRC2:SCRATCH_EN: 0
; COMPUTE_PGM_RSRC2:USER_SGPR: 2
; COMPUTE_PGM_RSRC2:TRAP_HANDLER: 0
; COMPUTE_PGM_RSRC2:TGID_X_EN: 1
; COMPUTE_PGM_RSRC2:TGID_Y_EN: 0
; COMPUTE_PGM_RSRC2:TGID_Z_EN: 0
; COMPUTE_PGM_RSRC2:TIDIG_COMP_CNT: 0
	.section	.text._ZN9rocsolver6v33100L18getri_kernel_smallILi6EdPdEEvT1_iilPiilS4_bb,"axG",@progbits,_ZN9rocsolver6v33100L18getri_kernel_smallILi6EdPdEEvT1_iilPiilS4_bb,comdat
	.globl	_ZN9rocsolver6v33100L18getri_kernel_smallILi6EdPdEEvT1_iilPiilS4_bb ; -- Begin function _ZN9rocsolver6v33100L18getri_kernel_smallILi6EdPdEEvT1_iilPiilS4_bb
	.p2align	8
	.type	_ZN9rocsolver6v33100L18getri_kernel_smallILi6EdPdEEvT1_iilPiilS4_bb,@function
_ZN9rocsolver6v33100L18getri_kernel_smallILi6EdPdEEvT1_iilPiilS4_bb: ; @_ZN9rocsolver6v33100L18getri_kernel_smallILi6EdPdEEvT1_iilPiilS4_bb
; %bb.0:
	s_mov_b32 s2, exec_lo
	v_cmpx_gt_u32_e32 6, v0
	s_cbranch_execz .LBB5_16
; %bb.1:
	s_clause 0x2
	s_load_b32 s2, s[0:1], 0x38
	s_load_b128 s[8:11], s[0:1], 0x10
	s_load_b128 s[4:7], s[0:1], 0x28
	s_getreg_b32 s13, hwreg(HW_REG_IB_STS2, 6, 4)
	s_wait_kmcnt 0x0
	s_bitcmp1_b32 s2, 8
	s_cselect_b32 s16, -1, 0
	s_bfe_u32 s3, ttmp6, 0x4000c
	s_and_b32 s12, ttmp6, 15
	s_add_co_i32 s3, s3, 1
	s_delay_alu instid0(SALU_CYCLE_1) | instskip(NEXT) | instid1(SALU_CYCLE_1)
	s_mul_i32 s3, ttmp9, s3
	s_add_co_i32 s12, s12, s3
	s_cmp_eq_u32 s13, 0
	s_cselect_b32 s14, ttmp9, s12
	s_bfe_u32 s2, s2, 0x10008
	s_ashr_i32 s15, s14, 31
	s_cmp_eq_u32 s2, 0
                                        ; implicit-def: $sgpr12_sgpr13
	s_cbranch_scc1 .LBB5_3
; %bb.2:
	s_load_b32 s2, s[0:1], 0x20
	s_mul_u64 s[4:5], s[4:5], s[14:15]
	s_delay_alu instid0(SALU_CYCLE_1) | instskip(NEXT) | instid1(SALU_CYCLE_1)
	s_lshl_b64 s[4:5], s[4:5], 2
	s_add_nc_u64 s[4:5], s[10:11], s[4:5]
	s_wait_kmcnt 0x0
	s_ashr_i32 s3, s2, 31
	s_delay_alu instid0(SALU_CYCLE_1) | instskip(NEXT) | instid1(SALU_CYCLE_1)
	s_lshl_b64 s[2:3], s[2:3], 2
	s_add_nc_u64 s[12:13], s[4:5], s[2:3]
.LBB5_3:
	s_clause 0x1
	s_load_b128 s[20:23], s[0:1], 0x0
	s_load_b32 s4, s[0:1], 0x38
	v_dual_mov_b32 v1, 0 :: v_dual_lshlrev_b32 v14, 3, v0
	s_wait_xcnt 0x0
	s_mul_u64 s[0:1], s[8:9], s[14:15]
	s_delay_alu instid0(SALU_CYCLE_1)
	s_lshl_b64 s[0:1], s[0:1], 3
	s_wait_kmcnt 0x0
	s_ashr_i32 s3, s22, 31
	s_mov_b32 s2, s22
	v_add3_u32 v32, s23, s23, v0
	v_mov_b32_e32 v15, v1
	s_add_nc_u64 s[0:1], s[20:21], s[0:1]
	s_lshl_b64 s[2:3], s[2:3], 3
	s_delay_alu instid0(SALU_CYCLE_1)
	s_add_nc_u64 s[8:9], s[0:1], s[2:3]
	v_add_nc_u32_e32 v34, s23, v32
	v_add_nc_u64_e32 v[28:29], s[8:9], v[14:15]
	s_ashr_i32 s1, s23, 31
	s_mov_b32 s0, s23
	global_load_b64 v[2:3], v0, s[8:9] scale_offset
	v_add_nc_u32_e32 v36, s23, v34
	s_bitcmp0_b32 s4, 0
	v_lshl_add_u64 v[30:31], s[0:1], 3, v[28:29]
	s_mov_b32 s0, -1
	s_delay_alu instid0(VALU_DEP_2)
	v_add_nc_u32_e32 v38, s23, v36
	s_clause 0x4
	global_load_b64 v[4:5], v[30:31], off
	global_load_b64 v[6:7], v32, s[8:9] scale_offset
	global_load_b64 v[8:9], v34, s[8:9] scale_offset
	;; [unrolled: 1-line block ×4, first 2 shown]
	s_cbranch_scc1 .LBB5_14
; %bb.4:
	v_cmp_eq_u32_e64 s0, 0, v0
	s_wait_xcnt 0x0
	s_and_saveexec_b32 s1, s0
; %bb.5:
	v_mov_b32_e32 v15, 0
	ds_store_b32 v15, v15 offset:96
; %bb.6:
	s_or_b32 exec_lo, exec_lo, s1
	v_cmp_eq_u32_e32 vcc_lo, 1, v0
	s_mov_b32 s2, exec_lo
	s_wait_loadcnt_dscnt 0x0
	s_barrier_signal -1
	s_barrier_wait -1
	v_dual_cndmask_b32 v15, v3, v5 :: v_dual_cndmask_b32 v16, v2, v4
	v_cmp_eq_u32_e32 vcc_lo, 2, v0
	s_delay_alu instid0(VALU_DEP_2) | instskip(SKIP_1) | instid1(VALU_DEP_2)
	v_dual_cndmask_b32 v15, v15, v7 :: v_dual_cndmask_b32 v16, v16, v6
	v_cmp_eq_u32_e32 vcc_lo, 3, v0
	v_dual_cndmask_b32 v15, v15, v9 :: v_dual_cndmask_b32 v16, v16, v8
	v_cmp_eq_u32_e32 vcc_lo, 4, v0
	s_delay_alu instid0(VALU_DEP_2) | instskip(SKIP_1) | instid1(VALU_DEP_2)
	v_dual_cndmask_b32 v15, v15, v11 :: v_dual_cndmask_b32 v16, v16, v10
	v_cmp_eq_u32_e32 vcc_lo, 5, v0
	v_dual_cndmask_b32 v17, v15, v13 :: v_dual_cndmask_b32 v16, v16, v12
	s_delay_alu instid0(VALU_DEP_1)
	v_cmpx_eq_f64_e32 0, v[16:17]
	s_cbranch_execz .LBB5_10
; %bb.7:
	v_mov_b32_e32 v15, 0
	s_mov_b32 s3, 0
	ds_load_b32 v18, v15 offset:96
	s_wait_dscnt 0x0
	v_readfirstlane_b32 s1, v18
	v_add_nc_u32_e32 v18, 1, v0
	s_cmp_eq_u32 s1, 0
	s_delay_alu instid0(VALU_DEP_1) | instskip(SKIP_1) | instid1(SALU_CYCLE_1)
	v_cmp_gt_i32_e32 vcc_lo, s1, v18
	s_cselect_b32 s4, -1, 0
	s_or_b32 s4, s4, vcc_lo
	s_delay_alu instid0(SALU_CYCLE_1)
	s_and_b32 exec_lo, exec_lo, s4
	s_cbranch_execz .LBB5_10
; %bb.8:
	v_mov_b32_e32 v19, s1
.LBB5_9:                                ; =>This Inner Loop Header: Depth=1
	ds_cmpstore_rtn_b32 v19, v15, v18, v19 offset:96
	s_wait_dscnt 0x0
	v_cmp_ne_u32_e32 vcc_lo, 0, v19
	v_cmp_le_i32_e64 s1, v19, v18
	s_and_b32 s1, vcc_lo, s1
	s_delay_alu instid0(SALU_CYCLE_1) | instskip(NEXT) | instid1(SALU_CYCLE_1)
	s_and_b32 s1, exec_lo, s1
	s_or_b32 s3, s1, s3
	s_delay_alu instid0(SALU_CYCLE_1)
	s_and_not1_b32 exec_lo, exec_lo, s3
	s_cbranch_execnz .LBB5_9
.LBB5_10:
	s_or_b32 exec_lo, exec_lo, s2
	v_mov_b32_e32 v15, 0
	s_barrier_signal -1
	s_barrier_wait -1
	ds_load_b32 v18, v15 offset:96
	s_and_saveexec_b32 s1, s0
	s_cbranch_execz .LBB5_12
; %bb.11:
	s_lshl_b64 s[2:3], s[14:15], 2
	s_delay_alu instid0(SALU_CYCLE_1)
	s_add_nc_u64 s[2:3], s[6:7], s[2:3]
	s_wait_dscnt 0x0
	global_store_b32 v15, v18, s[2:3]
.LBB5_12:
	s_wait_xcnt 0x0
	s_or_b32 exec_lo, exec_lo, s1
	s_wait_dscnt 0x0
	v_cmp_ne_u32_e32 vcc_lo, 0, v18
	s_cbranch_vccz .LBB5_17
; %bb.13:
	s_mov_b32 s0, 0
                                        ; implicit-def: $vgpr2_vgpr3_vgpr4_vgpr5_vgpr6_vgpr7_vgpr8_vgpr9_vgpr10_vgpr11_vgpr12_vgpr13_vgpr14_vgpr15_vgpr16_vgpr17
.LBB5_14:
	s_delay_alu instid0(SALU_CYCLE_1)
	s_and_b32 vcc_lo, exec_lo, s0
	s_cbranch_vccz .LBB5_16
.LBB5_15:
	v_mov_b32_e32 v1, 0
	s_lshl_b64 s[0:1], s[14:15], 2
	s_delay_alu instid0(SALU_CYCLE_1)
	s_add_nc_u64 s[0:1], s[6:7], s[0:1]
	global_load_b32 v1, v1, s[0:1]
	s_wait_loadcnt 0x0
	v_cmp_ne_u32_e32 vcc_lo, 0, v1
	s_cbranch_vccz .LBB5_36
.LBB5_16:
	s_endpgm
.LBB5_17:
	v_div_scale_f64 v[18:19], null, v[16:17], v[16:17], 1.0
	v_div_scale_f64 v[24:25], vcc_lo, 1.0, v[16:17], 1.0
	v_cmp_eq_u32_e64 s1, 4, v0
	v_cmp_eq_u32_e64 s2, 3, v0
	;; [unrolled: 1-line block ×5, first 2 shown]
	v_rcp_f64_e32 v[20:21], v[18:19]
	v_nop
	s_delay_alu instid0(TRANS32_DEP_1) | instskip(NEXT) | instid1(VALU_DEP_1)
	v_fma_f64 v[22:23], -v[18:19], v[20:21], 1.0
	v_fmac_f64_e32 v[20:21], v[20:21], v[22:23]
	s_delay_alu instid0(VALU_DEP_1) | instskip(NEXT) | instid1(VALU_DEP_1)
	v_fma_f64 v[22:23], -v[18:19], v[20:21], 1.0
	v_fmac_f64_e32 v[20:21], v[20:21], v[22:23]
	s_delay_alu instid0(VALU_DEP_1) | instskip(NEXT) | instid1(VALU_DEP_1)
	v_mul_f64_e32 v[22:23], v[24:25], v[20:21]
	v_fma_f64 v[18:19], -v[18:19], v[22:23], v[24:25]
	s_delay_alu instid0(VALU_DEP_1) | instskip(SKIP_1) | instid1(VALU_DEP_2)
	v_div_fmas_f64 v[18:19], v[18:19], v[20:21], v[22:23]
	v_cmp_eq_u32_e32 vcc_lo, 5, v0
	v_div_fixup_f64 v[16:17], v[18:19], v[16:17], 1.0
	s_delay_alu instid0(VALU_DEP_1) | instskip(NEXT) | instid1(VALU_DEP_2)
	v_dual_cndmask_b32 v13, v13, v17 :: v_dual_add_nc_u32 v18, 48, v14
	v_dual_cndmask_b32 v12, v12, v16, vcc_lo :: v_dual_cndmask_b32 v11, v11, v17, s1
	v_dual_cndmask_b32 v10, v10, v16, s1 :: v_dual_cndmask_b32 v9, v9, v17, s2
	v_dual_cndmask_b32 v8, v8, v16, s2 :: v_dual_cndmask_b32 v5, v5, v17, s4
	;; [unrolled: 1-line block ×3, first 2 shown]
	v_xor_b32_e32 v21, 0x80000000, v17
	v_dual_mov_b32 v20, v16 :: v_dual_cndmask_b32 v6, v6, v16, s3
	v_dual_cndmask_b32 v3, v3, v17, s5 :: v_dual_cndmask_b32 v2, v2, v16, s5
	ds_store_2addr_b64 v14, v[20:21], v[4:5] offset1:6
	s_wait_storecnt_dscnt 0x0
	s_barrier_signal -1
	s_barrier_wait -1
	s_and_saveexec_b32 s1, s0
	s_cbranch_execz .LBB5_19
; %bb.18:
	ds_load_b64 v[4:5], v18
	v_mov_b32_e32 v14, 0
	ds_load_b64 v[14:15], v14 offset:8
	s_wait_dscnt 0x1
	v_fma_f64 v[4:5], v[16:17], v[4:5], 0
	s_wait_dscnt 0x0
	s_delay_alu instid0(VALU_DEP_1)
	v_mul_f64_e32 v[4:5], v[4:5], v[14:15]
.LBB5_19:
	s_or_b32 exec_lo, exec_lo, s1
	s_delay_alu instid0(SALU_CYCLE_1)
	s_mov_b32 s2, exec_lo
	s_barrier_signal -1
	s_barrier_wait -1
	ds_store_b64 v18, v[6:7]
	s_wait_dscnt 0x0
	s_barrier_signal -1
	s_barrier_wait -1
	v_cmpx_gt_u32_e32 2, v0
	s_cbranch_execz .LBB5_23
; %bb.20:
	v_cmp_eq_u32_e32 vcc_lo, 1, v0
	v_cmp_eq_u32_e64 s1, 3, v0
	v_dual_cndmask_b32 v14, v3, v5 :: v_dual_cndmask_b32 v15, v2, v4
	v_cmp_eq_u32_e32 vcc_lo, 2, v0
	s_delay_alu instid0(VALU_DEP_2) | instskip(SKIP_3) | instid1(VALU_DEP_1)
	v_dual_cndmask_b32 v14, v14, v7 :: v_dual_cndmask_b32 v15, v15, v6
	ds_load_b64 v[6:7], v18
	v_cmp_eq_u32_e32 vcc_lo, 4, v0
	v_dual_cndmask_b32 v14, v14, v9, s1 :: v_dual_cndmask_b32 v15, v15, v8, s1
	v_dual_cndmask_b32 v14, v14, v11, vcc_lo :: v_dual_cndmask_b32 v16, v15, v10, vcc_lo
	v_cmp_eq_u32_e32 vcc_lo, 5, v0
	s_delay_alu instid0(VALU_DEP_2) | instskip(SKIP_1) | instid1(VALU_DEP_1)
	v_dual_cndmask_b32 v15, v14, v13 :: v_dual_cndmask_b32 v14, v16, v12
	s_wait_dscnt 0x0
	v_fma_f64 v[6:7], v[14:15], v[6:7], 0
	s_and_saveexec_b32 s1, s0
	s_cbranch_execz .LBB5_22
; %bb.21:
	v_mov_b32_e32 v14, 0
	ds_load_b64 v[14:15], v14 offset:56
	s_wait_dscnt 0x0
	v_fmac_f64_e32 v[6:7], v[4:5], v[14:15]
.LBB5_22:
	s_or_b32 exec_lo, exec_lo, s1
	v_mov_b32_e32 v14, 0
	ds_load_b64 v[14:15], v14 offset:16
	s_wait_dscnt 0x0
	v_mul_f64_e32 v[6:7], v[6:7], v[14:15]
.LBB5_23:
	s_or_b32 exec_lo, exec_lo, s2
	s_delay_alu instid0(SALU_CYCLE_1)
	s_mov_b32 s1, exec_lo
	s_barrier_signal -1
	s_barrier_wait -1
	ds_store_b64 v18, v[8:9]
	s_wait_dscnt 0x0
	s_barrier_signal -1
	s_barrier_wait -1
	v_cmpx_gt_u32_e32 3, v0
	s_cbranch_execz .LBB5_27
; %bb.24:
	v_mov_b64_e32 v[14:15], 0
	v_mov_b64_e32 v[16:17], v[0:1]
	v_lshl_add_u32 v19, v0, 3, 48
	s_mov_b32 s2, 0
.LBB5_25:                               ; =>This Inner Loop Header: Depth=1
	s_delay_alu instid0(VALU_DEP_2)
	v_cmp_eq_u32_e32 vcc_lo, 1, v16
	v_cmp_eq_u32_e64 s0, 2, v16
	ds_load_b64 v[20:21], v19
	v_dual_cndmask_b32 v22, v3, v5 :: v_dual_add_nc_u32 v19, 8, v19
	v_cndmask_b32_e32 v23, v2, v4, vcc_lo
	v_cmp_eq_u32_e32 vcc_lo, 3, v16
	s_delay_alu instid0(VALU_DEP_2) | instskip(SKIP_1) | instid1(VALU_DEP_2)
	v_dual_cndmask_b32 v22, v22, v7, s0 :: v_dual_cndmask_b32 v23, v23, v6, s0
	v_cmp_eq_u32_e64 s0, 4, v16
	v_dual_cndmask_b32 v22, v22, v9 :: v_dual_cndmask_b32 v23, v23, v8
	v_cmp_eq_u32_e32 vcc_lo, 5, v16
	v_add_nc_u64_e32 v[16:17], 1, v[16:17]
	s_delay_alu instid0(VALU_DEP_3) | instskip(NEXT) | instid1(VALU_DEP_1)
	v_dual_cndmask_b32 v22, v22, v11, s0 :: v_dual_cndmask_b32 v24, v23, v10, s0
	v_dual_cndmask_b32 v23, v22, v13 :: v_dual_cndmask_b32 v22, v24, v12
	s_wait_dscnt 0x0
	s_delay_alu instid0(VALU_DEP_1) | instskip(NEXT) | instid1(VALU_DEP_4)
	v_fmac_f64_e32 v[14:15], v[22:23], v[20:21]
	v_add_nc_u32_e32 v20, -1, v16
	s_delay_alu instid0(VALU_DEP_1) | instskip(SKIP_1) | instid1(SALU_CYCLE_1)
	v_cmp_lt_u32_e32 vcc_lo, 1, v20
	s_or_b32 s2, vcc_lo, s2
	s_and_not1_b32 exec_lo, exec_lo, s2
	s_cbranch_execnz .LBB5_25
; %bb.26:
	s_or_b32 exec_lo, exec_lo, s2
	v_mov_b32_e32 v8, 0
	ds_load_b64 v[8:9], v8 offset:24
	s_wait_dscnt 0x0
	v_mul_f64_e32 v[8:9], v[14:15], v[8:9]
.LBB5_27:
	s_or_b32 exec_lo, exec_lo, s1
	s_delay_alu instid0(SALU_CYCLE_1)
	s_mov_b32 s1, exec_lo
	s_barrier_signal -1
	s_barrier_wait -1
	ds_store_b64 v18, v[10:11]
	s_wait_dscnt 0x0
	s_barrier_signal -1
	s_barrier_wait -1
	v_cmpx_gt_u32_e32 4, v0
	s_cbranch_execz .LBB5_31
; %bb.28:
	v_mov_b64_e32 v[14:15], 0
	v_mov_b64_e32 v[16:17], v[0:1]
	v_lshl_add_u32 v19, v0, 3, 48
	s_mov_b32 s2, 0
.LBB5_29:                               ; =>This Inner Loop Header: Depth=1
	s_delay_alu instid0(VALU_DEP_2)
	v_cmp_eq_u32_e32 vcc_lo, 1, v16
	v_cmp_eq_u32_e64 s0, 2, v16
	ds_load_b64 v[20:21], v19
	v_dual_cndmask_b32 v22, v3, v5 :: v_dual_add_nc_u32 v19, 8, v19
	v_cndmask_b32_e32 v23, v2, v4, vcc_lo
	v_cmp_eq_u32_e32 vcc_lo, 3, v16
	s_delay_alu instid0(VALU_DEP_2) | instskip(SKIP_1) | instid1(VALU_DEP_2)
	v_dual_cndmask_b32 v22, v22, v7, s0 :: v_dual_cndmask_b32 v23, v23, v6, s0
	v_cmp_eq_u32_e64 s0, 4, v16
	v_dual_cndmask_b32 v22, v22, v9 :: v_dual_cndmask_b32 v23, v23, v8
	v_cmp_eq_u32_e32 vcc_lo, 5, v16
	v_add_nc_u64_e32 v[16:17], 1, v[16:17]
	s_delay_alu instid0(VALU_DEP_3) | instskip(NEXT) | instid1(VALU_DEP_1)
	v_dual_cndmask_b32 v22, v22, v11, s0 :: v_dual_cndmask_b32 v24, v23, v10, s0
	v_dual_cndmask_b32 v23, v22, v13 :: v_dual_cndmask_b32 v22, v24, v12
	s_wait_dscnt 0x0
	s_delay_alu instid0(VALU_DEP_1) | instskip(NEXT) | instid1(VALU_DEP_4)
	v_fmac_f64_e32 v[14:15], v[22:23], v[20:21]
	v_add_nc_u32_e32 v20, -1, v16
	s_delay_alu instid0(VALU_DEP_1) | instskip(SKIP_1) | instid1(SALU_CYCLE_1)
	v_cmp_lt_u32_e32 vcc_lo, 2, v20
	s_or_b32 s2, vcc_lo, s2
	s_and_not1_b32 exec_lo, exec_lo, s2
	s_cbranch_execnz .LBB5_29
; %bb.30:
	s_or_b32 exec_lo, exec_lo, s2
	v_mov_b32_e32 v10, 0
	ds_load_b64 v[10:11], v10 offset:32
	s_wait_dscnt 0x0
	v_mul_f64_e32 v[10:11], v[14:15], v[10:11]
.LBB5_31:
	s_or_b32 exec_lo, exec_lo, s1
	s_delay_alu instid0(SALU_CYCLE_1)
	s_mov_b32 s1, exec_lo
	s_barrier_signal -1
	s_barrier_wait -1
	ds_store_b64 v18, v[12:13]
	s_wait_dscnt 0x0
	s_barrier_signal -1
	s_barrier_wait -1
	v_cmpx_ne_u32_e32 5, v0
	s_cbranch_execz .LBB5_35
; %bb.32:
	v_mov_b64_e32 v[14:15], 0
	v_mov_b64_e32 v[16:17], v[0:1]
	v_lshl_add_u32 v18, v0, 3, 48
	s_mov_b32 s2, 0
.LBB5_33:                               ; =>This Inner Loop Header: Depth=1
	s_delay_alu instid0(VALU_DEP_2)
	v_cmp_eq_u32_e32 vcc_lo, 1, v16
	v_cmp_eq_u32_e64 s0, 2, v16
	ds_load_b64 v[20:21], v18
	v_dual_cndmask_b32 v1, v3, v5 :: v_dual_add_nc_u32 v18, 8, v18
	v_cndmask_b32_e32 v19, v2, v4, vcc_lo
	v_cmp_eq_u32_e32 vcc_lo, 3, v16
	s_delay_alu instid0(VALU_DEP_2) | instskip(SKIP_1) | instid1(VALU_DEP_2)
	v_dual_cndmask_b32 v1, v1, v7, s0 :: v_dual_cndmask_b32 v19, v19, v6, s0
	v_cmp_eq_u32_e64 s0, 4, v16
	v_dual_cndmask_b32 v1, v1, v9, vcc_lo :: v_dual_cndmask_b32 v19, v19, v8, vcc_lo
	v_cmp_eq_u32_e32 vcc_lo, 5, v16
	v_add_nc_u64_e32 v[16:17], 1, v[16:17]
	s_delay_alu instid0(VALU_DEP_3) | instskip(NEXT) | instid1(VALU_DEP_1)
	v_dual_cndmask_b32 v1, v1, v11, s0 :: v_dual_cndmask_b32 v19, v19, v10, s0
	v_dual_cndmask_b32 v23, v1, v13 :: v_dual_cndmask_b32 v22, v19, v12
	s_delay_alu instid0(VALU_DEP_3) | instskip(SKIP_1) | instid1(VALU_DEP_2)
	v_add_nc_u32_e32 v1, -1, v16
	s_wait_dscnt 0x0
	v_fmac_f64_e32 v[14:15], v[22:23], v[20:21]
	s_delay_alu instid0(VALU_DEP_2) | instskip(SKIP_1) | instid1(SALU_CYCLE_1)
	v_cmp_lt_u32_e32 vcc_lo, 3, v1
	s_or_b32 s2, vcc_lo, s2
	s_and_not1_b32 exec_lo, exec_lo, s2
	s_cbranch_execnz .LBB5_33
; %bb.34:
	s_or_b32 exec_lo, exec_lo, s2
	v_mov_b32_e32 v1, 0
	ds_load_b64 v[12:13], v1 offset:40
	s_wait_dscnt 0x0
	v_mul_f64_e32 v[12:13], v[14:15], v[12:13]
.LBB5_35:
	s_or_b32 exec_lo, exec_lo, s1
	s_barrier_signal -1
	s_barrier_wait -1
	s_cbranch_execnz .LBB5_15
	s_branch .LBB5_16
.LBB5_36:
	s_wait_xcnt 0x0
	v_lshl_add_u32 v1, v0, 3, 48
	s_mov_b32 s0, exec_lo
	v_cmpx_eq_u32_e32 5, v0
	s_cbranch_execz .LBB5_38
; %bb.37:
	v_dual_mov_b32 v22, 0 :: v_dual_mov_b32 v14, v2
	v_dual_mov_b32 v15, v3 :: v_dual_mov_b32 v16, v4
	;; [unrolled: 1-line block ×4, first 2 shown]
	s_delay_alu instid0(VALU_DEP_4)
	v_dual_mov_b32 v21, v9 :: v_dual_mov_b32 v23, v22
	v_dual_mov_b32 v24, v12 :: v_dual_mov_b32 v25, v13
	ds_store_b64 v1, v[10:11]
	v_mov_b64_e32 v[2:3], v[14:15]
	v_mov_b64_e32 v[4:5], v[16:17]
	;; [unrolled: 1-line block ×8, first 2 shown]
.LBB5_38:
	s_or_b32 exec_lo, exec_lo, s0
	v_mov_b32_e32 v20, 0
	s_wait_storecnt_dscnt 0x0
	s_barrier_signal -1
	s_barrier_wait -1
	ds_load_b64 v[14:15], v20 offset:88
	s_mov_b32 s0, exec_lo
	s_wait_dscnt 0x0
	v_fma_f64 v[14:15], v[12:13], v[14:15], 0
	s_delay_alu instid0(VALU_DEP_1)
	v_add_f64_e64 v[10:11], v[10:11], -v[14:15]
	v_cmpx_lt_u32_e32 3, v0
	s_cbranch_execz .LBB5_40
; %bb.39:
	v_dual_mov_b32 v14, v2 :: v_dual_mov_b32 v15, v3
	v_dual_mov_b32 v18, v6 :: v_dual_mov_b32 v19, v7
	s_delay_alu instid0(VALU_DEP_4)
	v_dual_mov_b32 v21, v20 :: v_dual_mov_b32 v22, v10
	v_dual_mov_b32 v23, v11 :: v_dual_mov_b32 v24, v12
	;; [unrolled: 1-line block ×3, first 2 shown]
	v_mov_b32_e32 v17, v5
	ds_store_b64 v1, v[8:9]
	v_mov_b64_e32 v[2:3], v[14:15]
	v_mov_b64_e32 v[4:5], v[16:17]
	v_mov_b64_e32 v[6:7], v[18:19]
	v_mov_b64_e32 v[8:9], v[20:21]
	v_mov_b64_e32 v[10:11], v[22:23]
	v_mov_b64_e32 v[12:13], v[24:25]
	v_mov_b64_e32 v[14:15], v[26:27]
	v_mov_b64_e32 v[16:17], v[28:29]
.LBB5_40:
	s_or_b32 exec_lo, exec_lo, s0
	s_wait_dscnt 0x0
	s_barrier_signal -1
	s_barrier_wait -1
	ds_load_b128 v[14:17], v20 offset:80
	s_mov_b32 s0, exec_lo
	s_wait_dscnt 0x0
	v_fma_f64 v[14:15], v[10:11], v[14:15], 0
	s_delay_alu instid0(VALU_DEP_1) | instskip(NEXT) | instid1(VALU_DEP_1)
	v_fmac_f64_e32 v[14:15], v[12:13], v[16:17]
	v_add_f64_e64 v[8:9], v[8:9], -v[14:15]
	v_cmpx_lt_u32_e32 2, v0
	s_cbranch_execz .LBB5_42
; %bb.41:
	v_dual_mov_b32 v18, 0 :: v_dual_mov_b32 v14, v2
	v_dual_mov_b32 v15, v3 :: v_dual_mov_b32 v16, v4
	s_delay_alu instid0(VALU_DEP_2)
	v_dual_mov_b32 v17, v5 :: v_dual_mov_b32 v19, v18
	v_dual_mov_b32 v20, v8 :: v_dual_mov_b32 v21, v9
	;; [unrolled: 1-line block ×4, first 2 shown]
	ds_store_b64 v1, v[6:7]
	v_mov_b64_e32 v[2:3], v[14:15]
	v_mov_b64_e32 v[4:5], v[16:17]
	;; [unrolled: 1-line block ×8, first 2 shown]
.LBB5_42:
	s_or_b32 exec_lo, exec_lo, s0
	v_mov_b32_e32 v18, 0
	s_wait_dscnt 0x0
	s_barrier_signal -1
	s_barrier_wait -1
	ds_load_2addr_b64 v[14:17], v18 offset0:9 offset1:10
	ds_load_b64 v[20:21], v18 offset:88
	s_mov_b32 s0, exec_lo
	s_wait_dscnt 0x1
	v_fma_f64 v[14:15], v[8:9], v[14:15], 0
	s_delay_alu instid0(VALU_DEP_1) | instskip(SKIP_1) | instid1(VALU_DEP_1)
	v_fmac_f64_e32 v[14:15], v[10:11], v[16:17]
	s_wait_dscnt 0x0
	v_fmac_f64_e32 v[14:15], v[12:13], v[20:21]
	s_delay_alu instid0(VALU_DEP_1)
	v_add_f64_e64 v[6:7], v[6:7], -v[14:15]
	v_cmpx_lt_u32_e32 1, v0
	s_cbranch_execz .LBB5_44
; %bb.43:
	v_dual_mov_b32 v16, v2 :: v_dual_mov_b32 v17, v3
	s_delay_alu instid0(VALU_DEP_3) | instskip(NEXT) | instid1(VALU_DEP_4)
	v_dual_mov_b32 v19, v18 :: v_dual_mov_b32 v20, v6
	v_dual_mov_b32 v21, v7 :: v_dual_mov_b32 v22, v8
	;; [unrolled: 1-line block ×4, first 2 shown]
	v_mov_b32_e32 v27, v13
	ds_store_b64 v1, v[4:5]
	v_mov_b64_e32 v[2:3], v[16:17]
	v_mov_b64_e32 v[4:5], v[18:19]
	;; [unrolled: 1-line block ×8, first 2 shown]
.LBB5_44:
	s_or_b32 exec_lo, exec_lo, s0
	s_wait_dscnt 0x0
	s_barrier_signal -1
	s_barrier_wait -1
	ds_load_b128 v[14:17], v18 offset:64
	ds_load_b128 v[18:21], v18 offset:80
	v_dual_ashrrev_i32 v35, 31, v34 :: v_dual_ashrrev_i32 v37, 31, v36
	v_ashrrev_i32_e32 v39, 31, v38
	s_mov_b32 s0, exec_lo
	v_ashrrev_i32_e32 v33, 31, v32
	s_wait_dscnt 0x1
	v_fma_f64 v[14:15], v[6:7], v[14:15], 0
	s_delay_alu instid0(VALU_DEP_1) | instskip(SKIP_1) | instid1(VALU_DEP_1)
	v_fmac_f64_e32 v[14:15], v[8:9], v[16:17]
	s_wait_dscnt 0x0
	v_fmac_f64_e32 v[14:15], v[10:11], v[18:19]
	s_delay_alu instid0(VALU_DEP_1) | instskip(NEXT) | instid1(VALU_DEP_1)
	v_fmac_f64_e32 v[14:15], v[12:13], v[20:21]
	v_add_f64_e64 v[4:5], v[4:5], -v[14:15]
	v_cmpx_ne_u32_e32 0, v0
	s_cbranch_execz .LBB5_46
; %bb.45:
	s_delay_alu instid0(VALU_DEP_2) | instskip(NEXT) | instid1(VALU_DEP_3)
	v_dual_mov_b32 v14, 0 :: v_dual_mov_b32 v16, v4
	v_dual_mov_b32 v19, v7 :: v_dual_mov_b32 v17, v5
	s_delay_alu instid0(VALU_DEP_2)
	v_dual_mov_b32 v18, v6 :: v_dual_mov_b32 v15, v14
	v_dual_mov_b32 v20, v8 :: v_dual_mov_b32 v21, v9
	;; [unrolled: 1-line block ×4, first 2 shown]
	ds_store_b64 v1, v[2:3]
	v_mov_b64_e32 v[2:3], v[14:15]
	v_mov_b64_e32 v[4:5], v[16:17]
	;; [unrolled: 1-line block ×8, first 2 shown]
.LBB5_46:
	s_or_b32 exec_lo, exec_lo, s0
	v_mov_b32_e32 v0, 0
	s_wait_dscnt 0x0
	s_barrier_signal -1
	s_barrier_wait -1
	ds_load_2addr_b64 v[14:17], v0 offset0:7 offset1:8
	ds_load_2addr_b64 v[18:21], v0 offset0:9 offset1:10
	s_and_b32 vcc_lo, exec_lo, s16
	s_wait_dscnt 0x1
	v_fma_f64 v[14:15], v[4:5], v[14:15], 0
	s_delay_alu instid0(VALU_DEP_1) | instskip(SKIP_3) | instid1(VALU_DEP_1)
	v_fmac_f64_e32 v[14:15], v[6:7], v[16:17]
	ds_load_b64 v[16:17], v0 offset:88
	s_wait_dscnt 0x1
	v_fmac_f64_e32 v[14:15], v[8:9], v[18:19]
	v_fmac_f64_e32 v[14:15], v[10:11], v[20:21]
	s_wait_dscnt 0x0
	s_delay_alu instid0(VALU_DEP_1) | instskip(NEXT) | instid1(VALU_DEP_1)
	v_fmac_f64_e32 v[14:15], v[12:13], v[16:17]
	v_add_f64_e64 v[2:3], v[2:3], -v[14:15]
	s_cbranch_vccz .LBB5_57
; %bb.47:
	global_load_b32 v0, v0, s[12:13] offset:16
	s_wait_loadcnt 0x0
	v_readfirstlane_b32 s0, v0
	s_add_co_i32 s0, s0, -1
	s_delay_alu instid0(SALU_CYCLE_1)
	s_cmp_lg_u32 s0, 4
	s_cbranch_scc0 .LBB5_49
; %bb.48:
	s_lshl_b32 m0, s0, 1
	v_movrels_b32_e32 v0, v2
	v_movrels_b32_e32 v1, v3
	v_mov_b64_e32 v[26:27], v[16:17]
	v_mov_b64_e32 v[24:25], v[14:15]
	;; [unrolled: 1-line block ×8, first 2 shown]
	v_dual_mov_b32 v20, v0 :: v_dual_mov_b32 v21, v1
	s_delay_alu instid0(VALU_DEP_2) | instskip(NEXT) | instid1(VALU_DEP_3)
	v_movreld_b32_e32 v12, v10
	v_movreld_b32_e32 v13, v11
	v_mov_b64_e32 v[2:3], v[12:13]
	v_mov_b64_e32 v[4:5], v[14:15]
	;; [unrolled: 1-line block ×8, first 2 shown]
.LBB5_49:
	v_mov_b32_e32 v0, 0
	global_load_b32 v1, v0, s[12:13] offset:12
	s_wait_loadcnt 0x0
	v_readfirstlane_b32 s0, v1
	s_add_co_i32 s0, s0, -1
	s_delay_alu instid0(SALU_CYCLE_1)
	s_cmp_eq_u32 s0, 3
	s_cbranch_scc1 .LBB5_51
; %bb.50:
	s_lshl_b32 m0, s0, 1
	v_movrels_b32_e32 v1, v2
	v_movrels_b32_e32 v26, v3
	v_mov_b64_e32 v[24:25], v[16:17]
	v_mov_b64_e32 v[22:23], v[14:15]
	;; [unrolled: 1-line block ×8, first 2 shown]
	v_dual_mov_b32 v16, v1 :: v_dual_mov_b32 v17, v26
	s_delay_alu instid0(VALU_DEP_2) | instskip(NEXT) | instid1(VALU_DEP_3)
	v_movreld_b32_e32 v10, v8
	v_movreld_b32_e32 v11, v9
	v_mov_b64_e32 v[2:3], v[10:11]
	v_mov_b64_e32 v[4:5], v[12:13]
	v_mov_b64_e32 v[6:7], v[14:15]
	v_mov_b64_e32 v[8:9], v[16:17]
	v_mov_b64_e32 v[10:11], v[18:19]
	v_mov_b64_e32 v[12:13], v[20:21]
	v_mov_b64_e32 v[14:15], v[22:23]
	v_mov_b64_e32 v[16:17], v[24:25]
.LBB5_51:
	global_load_b32 v0, v0, s[12:13] offset:8
	s_wait_loadcnt 0x0
	v_readfirstlane_b32 s0, v0
	s_add_co_i32 s0, s0, -1
	s_delay_alu instid0(SALU_CYCLE_1)
	s_cmp_eq_u32 s0, 2
	s_cbranch_scc1 .LBB5_53
; %bb.52:
	s_lshl_b32 m0, s0, 1
	v_movrels_b32_e32 v0, v2
	v_movrels_b32_e32 v1, v3
	v_mov_b64_e32 v[22:23], v[16:17]
	v_mov_b64_e32 v[20:21], v[14:15]
	;; [unrolled: 1-line block ×8, first 2 shown]
	v_dual_mov_b32 v12, v0 :: v_dual_mov_b32 v13, v1
	s_delay_alu instid0(VALU_DEP_2) | instskip(NEXT) | instid1(VALU_DEP_3)
	v_movreld_b32_e32 v8, v6
	v_movreld_b32_e32 v9, v7
	v_mov_b64_e32 v[2:3], v[8:9]
	v_mov_b64_e32 v[4:5], v[10:11]
	;; [unrolled: 1-line block ×8, first 2 shown]
.LBB5_53:
	v_mov_b32_e32 v0, 0
	global_load_b32 v1, v0, s[12:13] offset:4
	s_wait_loadcnt 0x0
	v_readfirstlane_b32 s0, v1
	s_add_co_i32 s0, s0, -1
	s_delay_alu instid0(SALU_CYCLE_1)
	s_cmp_eq_u32 s0, 1
	s_cbranch_scc1 .LBB5_55
; %bb.54:
	s_lshl_b32 m0, s0, 1
	v_movrels_b32_e32 v1, v2
	v_movrels_b32_e32 v22, v3
	v_mov_b64_e32 v[20:21], v[16:17]
	v_mov_b64_e32 v[18:19], v[14:15]
	;; [unrolled: 1-line block ×8, first 2 shown]
	v_dual_mov_b32 v8, v1 :: v_dual_mov_b32 v9, v22
	s_delay_alu instid0(VALU_DEP_2) | instskip(NEXT) | instid1(VALU_DEP_3)
	v_movreld_b32_e32 v6, v4
	v_movreld_b32_e32 v7, v5
	v_mov_b64_e32 v[2:3], v[6:7]
	s_delay_alu instid0(VALU_DEP_4)
	v_mov_b64_e32 v[4:5], v[8:9]
	v_mov_b64_e32 v[6:7], v[10:11]
	;; [unrolled: 1-line block ×7, first 2 shown]
.LBB5_55:
	global_load_b32 v0, v0, s[12:13]
	s_wait_loadcnt 0x0
	v_readfirstlane_b32 s0, v0
	s_add_co_i32 s0, s0, -1
	s_delay_alu instid0(SALU_CYCLE_1)
	s_cmp_eq_u32 s0, 0
	s_cbranch_scc1 .LBB5_57
; %bb.56:
	s_lshl_b32 m0, s0, 1
	v_movrels_b32_e32 v0, v2
	v_movrels_b32_e32 v1, v3
	v_mov_b64_e32 v[18:19], v[16:17]
	v_mov_b64_e32 v[16:17], v[14:15]
	;; [unrolled: 1-line block ×8, first 2 shown]
	v_dual_mov_b32 v4, v0 :: v_dual_mov_b32 v5, v1
	s_delay_alu instid0(VALU_DEP_1) | instskip(NEXT) | instid1(VALU_DEP_2)
	v_movreld_b32_e32 v4, v2
	v_movreld_b32_e32 v5, v3
	v_mov_b64_e32 v[2:3], v[4:5]
	v_mov_b64_e32 v[4:5], v[6:7]
	;; [unrolled: 1-line block ×8, first 2 shown]
.LBB5_57:
	v_lshl_add_u64 v[18:19], v[32:33], 3, s[8:9]
	v_lshl_add_u64 v[16:17], v[34:35], 3, s[8:9]
	v_lshl_add_u64 v[14:15], v[36:37], 3, s[8:9]
	v_lshl_add_u64 v[0:1], v[38:39], 3, s[8:9]
	s_clause 0x5
	global_store_b64 v[28:29], v[2:3], off
	global_store_b64 v[30:31], v[4:5], off
	;; [unrolled: 1-line block ×6, first 2 shown]
	s_endpgm
	.section	.rodata,"a",@progbits
	.p2align	6, 0x0
	.amdhsa_kernel _ZN9rocsolver6v33100L18getri_kernel_smallILi6EdPdEEvT1_iilPiilS4_bb
		.amdhsa_group_segment_fixed_size 104
		.amdhsa_private_segment_fixed_size 0
		.amdhsa_kernarg_size 60
		.amdhsa_user_sgpr_count 2
		.amdhsa_user_sgpr_dispatch_ptr 0
		.amdhsa_user_sgpr_queue_ptr 0
		.amdhsa_user_sgpr_kernarg_segment_ptr 1
		.amdhsa_user_sgpr_dispatch_id 0
		.amdhsa_user_sgpr_kernarg_preload_length 0
		.amdhsa_user_sgpr_kernarg_preload_offset 0
		.amdhsa_user_sgpr_private_segment_size 0
		.amdhsa_wavefront_size32 1
		.amdhsa_uses_dynamic_stack 0
		.amdhsa_enable_private_segment 0
		.amdhsa_system_sgpr_workgroup_id_x 1
		.amdhsa_system_sgpr_workgroup_id_y 0
		.amdhsa_system_sgpr_workgroup_id_z 0
		.amdhsa_system_sgpr_workgroup_info 0
		.amdhsa_system_vgpr_workitem_id 0
		.amdhsa_next_free_vgpr 40
		.amdhsa_next_free_sgpr 24
		.amdhsa_named_barrier_count 0
		.amdhsa_reserve_vcc 1
		.amdhsa_float_round_mode_32 0
		.amdhsa_float_round_mode_16_64 0
		.amdhsa_float_denorm_mode_32 3
		.amdhsa_float_denorm_mode_16_64 3
		.amdhsa_fp16_overflow 0
		.amdhsa_memory_ordered 1
		.amdhsa_forward_progress 1
		.amdhsa_inst_pref_size 29
		.amdhsa_round_robin_scheduling 0
		.amdhsa_exception_fp_ieee_invalid_op 0
		.amdhsa_exception_fp_denorm_src 0
		.amdhsa_exception_fp_ieee_div_zero 0
		.amdhsa_exception_fp_ieee_overflow 0
		.amdhsa_exception_fp_ieee_underflow 0
		.amdhsa_exception_fp_ieee_inexact 0
		.amdhsa_exception_int_div_zero 0
	.end_amdhsa_kernel
	.section	.text._ZN9rocsolver6v33100L18getri_kernel_smallILi6EdPdEEvT1_iilPiilS4_bb,"axG",@progbits,_ZN9rocsolver6v33100L18getri_kernel_smallILi6EdPdEEvT1_iilPiilS4_bb,comdat
.Lfunc_end5:
	.size	_ZN9rocsolver6v33100L18getri_kernel_smallILi6EdPdEEvT1_iilPiilS4_bb, .Lfunc_end5-_ZN9rocsolver6v33100L18getri_kernel_smallILi6EdPdEEvT1_iilPiilS4_bb
                                        ; -- End function
	.set _ZN9rocsolver6v33100L18getri_kernel_smallILi6EdPdEEvT1_iilPiilS4_bb.num_vgpr, 40
	.set _ZN9rocsolver6v33100L18getri_kernel_smallILi6EdPdEEvT1_iilPiilS4_bb.num_agpr, 0
	.set _ZN9rocsolver6v33100L18getri_kernel_smallILi6EdPdEEvT1_iilPiilS4_bb.numbered_sgpr, 24
	.set _ZN9rocsolver6v33100L18getri_kernel_smallILi6EdPdEEvT1_iilPiilS4_bb.num_named_barrier, 0
	.set _ZN9rocsolver6v33100L18getri_kernel_smallILi6EdPdEEvT1_iilPiilS4_bb.private_seg_size, 0
	.set _ZN9rocsolver6v33100L18getri_kernel_smallILi6EdPdEEvT1_iilPiilS4_bb.uses_vcc, 1
	.set _ZN9rocsolver6v33100L18getri_kernel_smallILi6EdPdEEvT1_iilPiilS4_bb.uses_flat_scratch, 0
	.set _ZN9rocsolver6v33100L18getri_kernel_smallILi6EdPdEEvT1_iilPiilS4_bb.has_dyn_sized_stack, 0
	.set _ZN9rocsolver6v33100L18getri_kernel_smallILi6EdPdEEvT1_iilPiilS4_bb.has_recursion, 0
	.set _ZN9rocsolver6v33100L18getri_kernel_smallILi6EdPdEEvT1_iilPiilS4_bb.has_indirect_call, 0
	.section	.AMDGPU.csdata,"",@progbits
; Kernel info:
; codeLenInByte = 3684
; TotalNumSgprs: 26
; NumVgprs: 40
; ScratchSize: 0
; MemoryBound: 0
; FloatMode: 240
; IeeeMode: 1
; LDSByteSize: 104 bytes/workgroup (compile time only)
; SGPRBlocks: 0
; VGPRBlocks: 2
; NumSGPRsForWavesPerEU: 26
; NumVGPRsForWavesPerEU: 40
; NamedBarCnt: 0
; Occupancy: 16
; WaveLimiterHint : 0
; COMPUTE_PGM_RSRC2:SCRATCH_EN: 0
; COMPUTE_PGM_RSRC2:USER_SGPR: 2
; COMPUTE_PGM_RSRC2:TRAP_HANDLER: 0
; COMPUTE_PGM_RSRC2:TGID_X_EN: 1
; COMPUTE_PGM_RSRC2:TGID_Y_EN: 0
; COMPUTE_PGM_RSRC2:TGID_Z_EN: 0
; COMPUTE_PGM_RSRC2:TIDIG_COMP_CNT: 0
	.section	.text._ZN9rocsolver6v33100L18getri_kernel_smallILi7EdPdEEvT1_iilPiilS4_bb,"axG",@progbits,_ZN9rocsolver6v33100L18getri_kernel_smallILi7EdPdEEvT1_iilPiilS4_bb,comdat
	.globl	_ZN9rocsolver6v33100L18getri_kernel_smallILi7EdPdEEvT1_iilPiilS4_bb ; -- Begin function _ZN9rocsolver6v33100L18getri_kernel_smallILi7EdPdEEvT1_iilPiilS4_bb
	.p2align	8
	.type	_ZN9rocsolver6v33100L18getri_kernel_smallILi7EdPdEEvT1_iilPiilS4_bb,@function
_ZN9rocsolver6v33100L18getri_kernel_smallILi7EdPdEEvT1_iilPiilS4_bb: ; @_ZN9rocsolver6v33100L18getri_kernel_smallILi7EdPdEEvT1_iilPiilS4_bb
; %bb.0:
	s_mov_b32 s2, exec_lo
	v_cmpx_gt_u32_e32 7, v0
	s_cbranch_execz .LBB6_16
; %bb.1:
	s_clause 0x2
	s_load_b32 s2, s[0:1], 0x38
	s_load_b128 s[4:7], s[0:1], 0x10
	s_load_b128 s[8:11], s[0:1], 0x28
	s_getreg_b32 s13, hwreg(HW_REG_IB_STS2, 6, 4)
	s_wait_kmcnt 0x0
	s_bitcmp1_b32 s2, 8
	s_cselect_b32 s16, -1, 0
	s_bfe_u32 s3, ttmp6, 0x4000c
	s_and_b32 s12, ttmp6, 15
	s_add_co_i32 s3, s3, 1
	s_delay_alu instid0(SALU_CYCLE_1) | instskip(NEXT) | instid1(SALU_CYCLE_1)
	s_mul_i32 s3, ttmp9, s3
	s_add_co_i32 s12, s12, s3
	s_cmp_eq_u32 s13, 0
	s_cselect_b32 s14, ttmp9, s12
	s_bfe_u32 s2, s2, 0x10008
	s_ashr_i32 s15, s14, 31
	s_cmp_eq_u32 s2, 0
                                        ; implicit-def: $sgpr12_sgpr13
	s_cbranch_scc1 .LBB6_3
; %bb.2:
	s_load_b32 s2, s[0:1], 0x20
	s_mul_u64 s[8:9], s[8:9], s[14:15]
	s_delay_alu instid0(SALU_CYCLE_1) | instskip(NEXT) | instid1(SALU_CYCLE_1)
	s_lshl_b64 s[8:9], s[8:9], 2
	s_add_nc_u64 s[6:7], s[6:7], s[8:9]
	s_wait_kmcnt 0x0
	s_ashr_i32 s3, s2, 31
	s_delay_alu instid0(SALU_CYCLE_1) | instskip(NEXT) | instid1(SALU_CYCLE_1)
	s_lshl_b64 s[2:3], s[2:3], 2
	s_add_nc_u64 s[12:13], s[6:7], s[2:3]
.LBB6_3:
	s_clause 0x1
	s_load_b128 s[20:23], s[0:1], 0x0
	s_load_b32 s6, s[0:1], 0x38
	v_dual_mov_b32 v1, 0 :: v_dual_lshlrev_b32 v16, 3, v0
	s_wait_xcnt 0x0
	s_mul_u64 s[0:1], s[4:5], s[14:15]
	s_delay_alu instid0(SALU_CYCLE_1)
	s_lshl_b64 s[0:1], s[0:1], 3
	s_wait_kmcnt 0x0
	v_add3_u32 v36, s23, s23, v0
	s_ashr_i32 s3, s22, 31
	s_mov_b32 s2, s22
	v_mov_b32_e32 v17, v1
	s_add_nc_u64 s[0:1], s[20:21], s[0:1]
	s_lshl_b64 s[2:3], s[2:3], 3
	v_add_nc_u32_e32 v38, s23, v36
	s_add_nc_u64 s[8:9], s[0:1], s[2:3]
	s_ashr_i32 s1, s23, 31
	v_add_nc_u64_e32 v[32:33], s[8:9], v[16:17]
	s_mov_b32 s0, s23
	v_add_nc_u32_e32 v40, s23, v38
	s_bitcmp0_b32 s6, 0
	s_delay_alu instid0(VALU_DEP_2) | instskip(NEXT) | instid1(VALU_DEP_2)
	v_lshl_add_u64 v[34:35], s[0:1], 3, v[32:33]
	v_add_nc_u32_e32 v42, s23, v40
	s_mov_b32 s0, -1
	global_load_b64 v[4:5], v[34:35], off
	v_add_nc_u32_e32 v44, s23, v42
	s_clause 0x5
	global_load_b64 v[6:7], v36, s[8:9] scale_offset
	global_load_b64 v[8:9], v38, s[8:9] scale_offset
	global_load_b64 v[10:11], v40, s[8:9] scale_offset
	global_load_b64 v[12:13], v42, s[8:9] scale_offset
	global_load_b64 v[2:3], v0, s[8:9] scale_offset
	global_load_b64 v[14:15], v44, s[8:9] scale_offset
	s_cbranch_scc1 .LBB6_14
; %bb.4:
	v_cmp_eq_u32_e64 s0, 0, v0
	s_wait_xcnt 0x0
	s_and_saveexec_b32 s1, s0
; %bb.5:
	v_mov_b32_e32 v17, 0
	ds_store_b32 v17, v17 offset:56
; %bb.6:
	s_or_b32 exec_lo, exec_lo, s1
	v_cmp_eq_u32_e32 vcc_lo, 1, v0
	s_mov_b32 s2, exec_lo
	s_wait_loadcnt_dscnt 0x0
	s_barrier_signal -1
	s_barrier_wait -1
	v_dual_cndmask_b32 v17, v3, v5 :: v_dual_cndmask_b32 v18, v2, v4
	v_cmp_eq_u32_e32 vcc_lo, 2, v0
	s_delay_alu instid0(VALU_DEP_2) | instskip(SKIP_1) | instid1(VALU_DEP_2)
	v_dual_cndmask_b32 v17, v17, v7 :: v_dual_cndmask_b32 v18, v18, v6
	v_cmp_eq_u32_e32 vcc_lo, 3, v0
	v_dual_cndmask_b32 v17, v17, v9 :: v_dual_cndmask_b32 v18, v18, v8
	v_cmp_eq_u32_e32 vcc_lo, 4, v0
	s_delay_alu instid0(VALU_DEP_2) | instskip(SKIP_1) | instid1(VALU_DEP_2)
	v_dual_cndmask_b32 v17, v17, v11 :: v_dual_cndmask_b32 v18, v18, v10
	v_cmp_eq_u32_e32 vcc_lo, 5, v0
	v_dual_cndmask_b32 v17, v17, v13 :: v_dual_cndmask_b32 v18, v18, v12
	v_cmp_eq_u32_e32 vcc_lo, 6, v0
	s_delay_alu instid0(VALU_DEP_2) | instskip(NEXT) | instid1(VALU_DEP_1)
	v_dual_cndmask_b32 v19, v17, v15 :: v_dual_cndmask_b32 v18, v18, v14
	v_cmpx_eq_f64_e32 0, v[18:19]
	s_cbranch_execz .LBB6_10
; %bb.7:
	v_mov_b32_e32 v17, 0
	s_mov_b32 s3, 0
	ds_load_b32 v20, v17 offset:56
	s_wait_dscnt 0x0
	v_readfirstlane_b32 s1, v20
	v_add_nc_u32_e32 v20, 1, v0
	s_cmp_eq_u32 s1, 0
	s_delay_alu instid0(VALU_DEP_1) | instskip(SKIP_1) | instid1(SALU_CYCLE_1)
	v_cmp_gt_i32_e32 vcc_lo, s1, v20
	s_cselect_b32 s4, -1, 0
	s_or_b32 s4, s4, vcc_lo
	s_delay_alu instid0(SALU_CYCLE_1)
	s_and_b32 exec_lo, exec_lo, s4
	s_cbranch_execz .LBB6_10
; %bb.8:
	v_mov_b32_e32 v21, s1
.LBB6_9:                                ; =>This Inner Loop Header: Depth=1
	ds_cmpstore_rtn_b32 v21, v17, v20, v21 offset:56
	s_wait_dscnt 0x0
	v_cmp_ne_u32_e32 vcc_lo, 0, v21
	v_cmp_le_i32_e64 s1, v21, v20
	s_and_b32 s1, vcc_lo, s1
	s_delay_alu instid0(SALU_CYCLE_1) | instskip(NEXT) | instid1(SALU_CYCLE_1)
	s_and_b32 s1, exec_lo, s1
	s_or_b32 s3, s1, s3
	s_delay_alu instid0(SALU_CYCLE_1)
	s_and_not1_b32 exec_lo, exec_lo, s3
	s_cbranch_execnz .LBB6_9
.LBB6_10:
	s_or_b32 exec_lo, exec_lo, s2
	v_mov_b32_e32 v17, 0
	s_barrier_signal -1
	s_barrier_wait -1
	ds_load_b32 v20, v17 offset:56
	s_and_saveexec_b32 s1, s0
	s_cbranch_execz .LBB6_12
; %bb.11:
	s_lshl_b64 s[2:3], s[14:15], 2
	s_delay_alu instid0(SALU_CYCLE_1)
	s_add_nc_u64 s[2:3], s[10:11], s[2:3]
	s_wait_dscnt 0x0
	global_store_b32 v17, v20, s[2:3]
.LBB6_12:
	s_wait_xcnt 0x0
	s_or_b32 exec_lo, exec_lo, s1
	s_wait_dscnt 0x0
	v_cmp_ne_u32_e32 vcc_lo, 0, v20
	s_cbranch_vccz .LBB6_17
; %bb.13:
	s_mov_b32 s0, 0
                                        ; implicit-def: $vgpr2_vgpr3_vgpr4_vgpr5_vgpr6_vgpr7_vgpr8_vgpr9_vgpr10_vgpr11_vgpr12_vgpr13_vgpr14_vgpr15_vgpr16_vgpr17
.LBB6_14:
	s_delay_alu instid0(SALU_CYCLE_1)
	s_and_b32 vcc_lo, exec_lo, s0
	s_cbranch_vccz .LBB6_16
.LBB6_15:
	v_mov_b32_e32 v1, 0
	s_lshl_b64 s[0:1], s[14:15], 2
	s_delay_alu instid0(SALU_CYCLE_1)
	s_add_nc_u64 s[0:1], s[10:11], s[0:1]
	global_load_b32 v1, v1, s[0:1]
	s_wait_loadcnt 0x0
	v_cmp_ne_u32_e32 vcc_lo, 0, v1
	s_cbranch_vccz .LBB6_40
.LBB6_16:
	s_endpgm
.LBB6_17:
	v_div_scale_f64 v[20:21], null, v[18:19], v[18:19], 1.0
	v_div_scale_f64 v[26:27], vcc_lo, 1.0, v[18:19], 1.0
	v_cmp_eq_u32_e64 s1, 5, v0
	v_cmp_eq_u32_e64 s2, 4, v0
	;; [unrolled: 1-line block ×6, first 2 shown]
	v_rcp_f64_e32 v[22:23], v[20:21]
	v_nop
	s_delay_alu instid0(TRANS32_DEP_1) | instskip(NEXT) | instid1(VALU_DEP_1)
	v_fma_f64 v[24:25], -v[20:21], v[22:23], 1.0
	v_fmac_f64_e32 v[22:23], v[22:23], v[24:25]
	s_delay_alu instid0(VALU_DEP_1) | instskip(NEXT) | instid1(VALU_DEP_1)
	v_fma_f64 v[24:25], -v[20:21], v[22:23], 1.0
	v_fmac_f64_e32 v[22:23], v[22:23], v[24:25]
	s_delay_alu instid0(VALU_DEP_1) | instskip(NEXT) | instid1(VALU_DEP_1)
	v_mul_f64_e32 v[24:25], v[26:27], v[22:23]
	v_fma_f64 v[20:21], -v[20:21], v[24:25], v[26:27]
	s_delay_alu instid0(VALU_DEP_1) | instskip(SKIP_1) | instid1(VALU_DEP_2)
	v_div_fmas_f64 v[20:21], v[20:21], v[22:23], v[24:25]
	v_cmp_eq_u32_e32 vcc_lo, 6, v0
	v_div_fixup_f64 v[18:19], v[20:21], v[18:19], 1.0
	s_delay_alu instid0(VALU_DEP_1) | instskip(NEXT) | instid1(VALU_DEP_2)
	v_dual_cndmask_b32 v15, v15, v19 :: v_dual_add_nc_u32 v20, 64, v16
	v_dual_cndmask_b32 v14, v14, v18, vcc_lo :: v_dual_cndmask_b32 v13, v13, v19, s1
	v_dual_cndmask_b32 v12, v12, v18, s1 :: v_dual_cndmask_b32 v11, v11, v19, s2
	v_dual_cndmask_b32 v10, v10, v18, s2 :: v_dual_cndmask_b32 v9, v9, v19, s3
	;; [unrolled: 1-line block ×3, first 2 shown]
	v_dual_cndmask_b32 v4, v4, v18, s5 :: v_dual_mov_b32 v22, v18
	v_xor_b32_e32 v23, 0x80000000, v19
	v_dual_cndmask_b32 v7, v7, v19, s4 :: v_dual_cndmask_b32 v6, v6, v18, s4
	v_dual_cndmask_b32 v3, v3, v19, s6 :: v_dual_cndmask_b32 v2, v2, v18, s6
	ds_store_2addr_b64 v16, v[22:23], v[4:5] offset1:8
	s_wait_storecnt_dscnt 0x0
	s_barrier_signal -1
	s_barrier_wait -1
	s_and_saveexec_b32 s1, s0
	s_cbranch_execz .LBB6_19
; %bb.18:
	ds_load_b64 v[4:5], v20
	v_mov_b32_e32 v16, 0
	ds_load_b64 v[16:17], v16 offset:8
	s_wait_dscnt 0x1
	v_fma_f64 v[4:5], v[18:19], v[4:5], 0
	s_wait_dscnt 0x0
	s_delay_alu instid0(VALU_DEP_1)
	v_mul_f64_e32 v[4:5], v[4:5], v[16:17]
.LBB6_19:
	s_or_b32 exec_lo, exec_lo, s1
	s_delay_alu instid0(SALU_CYCLE_1)
	s_mov_b32 s2, exec_lo
	s_barrier_signal -1
	s_barrier_wait -1
	ds_store_b64 v20, v[6:7]
	s_wait_dscnt 0x0
	s_barrier_signal -1
	s_barrier_wait -1
	v_cmpx_gt_u32_e32 2, v0
	s_cbranch_execz .LBB6_23
; %bb.20:
	v_cmp_eq_u32_e32 vcc_lo, 1, v0
	v_cmp_eq_u32_e64 s1, 4, v0
	v_dual_cndmask_b32 v16, v3, v5 :: v_dual_cndmask_b32 v17, v2, v4
	v_cmp_eq_u32_e32 vcc_lo, 2, v0
	s_delay_alu instid0(VALU_DEP_2) | instskip(SKIP_1) | instid1(VALU_DEP_2)
	v_dual_cndmask_b32 v7, v16, v7 :: v_dual_cndmask_b32 v6, v17, v6
	v_cmp_eq_u32_e32 vcc_lo, 3, v0
	v_dual_cndmask_b32 v16, v7, v9 :: v_dual_cndmask_b32 v17, v6, v8
	ds_load_b64 v[6:7], v20
	v_cmp_eq_u32_e32 vcc_lo, 5, v0
	v_dual_cndmask_b32 v16, v16, v11, s1 :: v_dual_cndmask_b32 v17, v17, v10, s1
	s_delay_alu instid0(VALU_DEP_1) | instskip(SKIP_1) | instid1(VALU_DEP_2)
	v_dual_cndmask_b32 v16, v16, v13, vcc_lo :: v_dual_cndmask_b32 v18, v17, v12, vcc_lo
	v_cmp_eq_u32_e32 vcc_lo, 6, v0
	v_dual_cndmask_b32 v17, v16, v15 :: v_dual_cndmask_b32 v16, v18, v14
	s_wait_dscnt 0x0
	s_delay_alu instid0(VALU_DEP_1)
	v_fma_f64 v[6:7], v[16:17], v[6:7], 0
	s_and_saveexec_b32 s1, s0
	s_cbranch_execz .LBB6_22
; %bb.21:
	v_mov_b32_e32 v16, 0
	ds_load_b64 v[16:17], v16 offset:72
	s_wait_dscnt 0x0
	v_fmac_f64_e32 v[6:7], v[4:5], v[16:17]
.LBB6_22:
	s_or_b32 exec_lo, exec_lo, s1
	v_mov_b32_e32 v16, 0
	ds_load_b64 v[16:17], v16 offset:16
	s_wait_dscnt 0x0
	v_mul_f64_e32 v[6:7], v[6:7], v[16:17]
.LBB6_23:
	s_or_b32 exec_lo, exec_lo, s2
	s_delay_alu instid0(SALU_CYCLE_1)
	s_mov_b32 s1, exec_lo
	s_barrier_signal -1
	s_barrier_wait -1
	ds_store_b64 v20, v[8:9]
	s_wait_dscnt 0x0
	s_barrier_signal -1
	s_barrier_wait -1
	v_cmpx_gt_u32_e32 3, v0
	s_cbranch_execz .LBB6_27
; %bb.24:
	v_mov_b64_e32 v[16:17], 0
	v_mov_b64_e32 v[18:19], v[0:1]
	v_lshl_add_u32 v21, v0, 3, 64
	s_mov_b32 s2, 0
.LBB6_25:                               ; =>This Inner Loop Header: Depth=1
	s_delay_alu instid0(VALU_DEP_2) | instskip(SKIP_3) | instid1(VALU_DEP_2)
	v_cmp_eq_u32_e32 vcc_lo, 1, v18
	v_cmp_eq_u32_e64 s0, 2, v18
	v_dual_cndmask_b32 v22, v3, v5 :: v_dual_cndmask_b32 v23, v2, v4
	v_cmp_eq_u32_e32 vcc_lo, 3, v18
	v_dual_cndmask_b32 v24, v22, v7, s0 :: v_dual_cndmask_b32 v25, v23, v6, s0
	ds_load_b64 v[22:23], v21
	v_cmp_eq_u32_e64 s0, 4, v18
	v_add_nc_u32_e32 v21, 8, v21
	v_dual_cndmask_b32 v24, v24, v9 :: v_dual_cndmask_b32 v25, v25, v8
	v_cmp_eq_u32_e32 vcc_lo, 5, v18
	s_delay_alu instid0(VALU_DEP_2) | instskip(SKIP_2) | instid1(VALU_DEP_3)
	v_dual_cndmask_b32 v24, v24, v11, s0 :: v_dual_cndmask_b32 v25, v25, v10, s0
	v_cmp_eq_u32_e64 s0, 6, v18
	v_add_nc_u64_e32 v[18:19], 1, v[18:19]
	v_dual_cndmask_b32 v24, v24, v13, vcc_lo :: v_dual_cndmask_b32 v26, v25, v12, vcc_lo
	s_delay_alu instid0(VALU_DEP_1) | instskip(SKIP_1) | instid1(VALU_DEP_1)
	v_dual_cndmask_b32 v25, v24, v15, s0 :: v_dual_cndmask_b32 v24, v26, v14, s0
	s_wait_dscnt 0x0
	v_fmac_f64_e32 v[16:17], v[24:25], v[22:23]
	s_delay_alu instid0(VALU_DEP_4) | instskip(NEXT) | instid1(VALU_DEP_1)
	v_add_nc_u32_e32 v22, -1, v18
	v_cmp_lt_u32_e32 vcc_lo, 1, v22
	s_or_b32 s2, vcc_lo, s2
	s_delay_alu instid0(SALU_CYCLE_1)
	s_and_not1_b32 exec_lo, exec_lo, s2
	s_cbranch_execnz .LBB6_25
; %bb.26:
	s_or_b32 exec_lo, exec_lo, s2
	v_mov_b32_e32 v8, 0
	ds_load_b64 v[8:9], v8 offset:24
	s_wait_dscnt 0x0
	v_mul_f64_e32 v[8:9], v[16:17], v[8:9]
.LBB6_27:
	s_or_b32 exec_lo, exec_lo, s1
	s_delay_alu instid0(SALU_CYCLE_1)
	s_mov_b32 s1, exec_lo
	s_barrier_signal -1
	s_barrier_wait -1
	ds_store_b64 v20, v[10:11]
	s_wait_dscnt 0x0
	s_barrier_signal -1
	s_barrier_wait -1
	v_cmpx_gt_u32_e32 4, v0
	s_cbranch_execz .LBB6_31
; %bb.28:
	v_mov_b64_e32 v[16:17], 0
	v_mov_b64_e32 v[18:19], v[0:1]
	v_lshl_add_u32 v21, v0, 3, 64
	s_mov_b32 s2, 0
.LBB6_29:                               ; =>This Inner Loop Header: Depth=1
	s_delay_alu instid0(VALU_DEP_2) | instskip(SKIP_3) | instid1(VALU_DEP_2)
	v_cmp_eq_u32_e32 vcc_lo, 1, v18
	v_cmp_eq_u32_e64 s0, 2, v18
	v_dual_cndmask_b32 v22, v3, v5 :: v_dual_cndmask_b32 v23, v2, v4
	v_cmp_eq_u32_e32 vcc_lo, 3, v18
	v_dual_cndmask_b32 v24, v22, v7, s0 :: v_dual_cndmask_b32 v25, v23, v6, s0
	ds_load_b64 v[22:23], v21
	v_cmp_eq_u32_e64 s0, 4, v18
	v_add_nc_u32_e32 v21, 8, v21
	v_dual_cndmask_b32 v24, v24, v9 :: v_dual_cndmask_b32 v25, v25, v8
	v_cmp_eq_u32_e32 vcc_lo, 5, v18
	s_delay_alu instid0(VALU_DEP_2) | instskip(SKIP_2) | instid1(VALU_DEP_3)
	v_dual_cndmask_b32 v24, v24, v11, s0 :: v_dual_cndmask_b32 v25, v25, v10, s0
	v_cmp_eq_u32_e64 s0, 6, v18
	v_add_nc_u64_e32 v[18:19], 1, v[18:19]
	v_dual_cndmask_b32 v24, v24, v13, vcc_lo :: v_dual_cndmask_b32 v26, v25, v12, vcc_lo
	s_delay_alu instid0(VALU_DEP_1) | instskip(SKIP_1) | instid1(VALU_DEP_1)
	v_dual_cndmask_b32 v25, v24, v15, s0 :: v_dual_cndmask_b32 v24, v26, v14, s0
	s_wait_dscnt 0x0
	v_fmac_f64_e32 v[16:17], v[24:25], v[22:23]
	s_delay_alu instid0(VALU_DEP_4) | instskip(NEXT) | instid1(VALU_DEP_1)
	v_add_nc_u32_e32 v22, -1, v18
	v_cmp_lt_u32_e32 vcc_lo, 2, v22
	s_or_b32 s2, vcc_lo, s2
	s_delay_alu instid0(SALU_CYCLE_1)
	s_and_not1_b32 exec_lo, exec_lo, s2
	s_cbranch_execnz .LBB6_29
; %bb.30:
	s_or_b32 exec_lo, exec_lo, s2
	v_mov_b32_e32 v10, 0
	ds_load_b64 v[10:11], v10 offset:32
	s_wait_dscnt 0x0
	v_mul_f64_e32 v[10:11], v[16:17], v[10:11]
.LBB6_31:
	;; [unrolled: 51-line block ×3, first 2 shown]
	s_or_b32 exec_lo, exec_lo, s1
	s_delay_alu instid0(SALU_CYCLE_1)
	s_mov_b32 s1, exec_lo
	s_barrier_signal -1
	s_barrier_wait -1
	ds_store_b64 v20, v[14:15]
	s_wait_dscnt 0x0
	s_barrier_signal -1
	s_barrier_wait -1
	v_cmpx_ne_u32_e32 6, v0
	s_cbranch_execz .LBB6_39
; %bb.36:
	v_mov_b64_e32 v[16:17], 0
	v_mov_b64_e32 v[18:19], v[0:1]
	v_lshl_add_u32 v20, v0, 3, 64
	s_mov_b32 s2, 0
.LBB6_37:                               ; =>This Inner Loop Header: Depth=1
	s_delay_alu instid0(VALU_DEP_2)
	v_cmp_eq_u32_e32 vcc_lo, 1, v18
	v_cmp_eq_u32_e64 s0, 2, v18
	ds_load_b64 v[22:23], v20
	v_dual_cndmask_b32 v1, v3, v5 :: v_dual_add_nc_u32 v20, 8, v20
	v_cndmask_b32_e32 v21, v2, v4, vcc_lo
	v_cmp_eq_u32_e32 vcc_lo, 3, v18
	s_delay_alu instid0(VALU_DEP_3) | instskip(NEXT) | instid1(VALU_DEP_3)
	v_cndmask_b32_e64 v1, v1, v7, s0
	v_cndmask_b32_e64 v21, v21, v6, s0
	v_cmp_eq_u32_e64 s0, 4, v18
	s_delay_alu instid0(VALU_DEP_3) | instskip(NEXT) | instid1(VALU_DEP_3)
	v_cndmask_b32_e32 v1, v1, v9, vcc_lo
	v_cndmask_b32_e32 v21, v21, v8, vcc_lo
	v_cmp_eq_u32_e32 vcc_lo, 5, v18
	s_delay_alu instid0(VALU_DEP_3) | instskip(NEXT) | instid1(VALU_DEP_3)
	v_cndmask_b32_e64 v1, v1, v11, s0
	v_cndmask_b32_e64 v21, v21, v10, s0
	v_cmp_eq_u32_e64 s0, 6, v18
	v_add_nc_u64_e32 v[18:19], 1, v[18:19]
	s_delay_alu instid0(VALU_DEP_4) | instskip(NEXT) | instid1(VALU_DEP_4)
	v_cndmask_b32_e32 v1, v1, v13, vcc_lo
	v_cndmask_b32_e32 v21, v21, v12, vcc_lo
	s_delay_alu instid0(VALU_DEP_2) | instskip(NEXT) | instid1(VALU_DEP_2)
	v_cndmask_b32_e64 v25, v1, v15, s0
	v_cndmask_b32_e64 v24, v21, v14, s0
	v_add_nc_u32_e32 v1, -1, v18
	s_wait_dscnt 0x0
	s_delay_alu instid0(VALU_DEP_2) | instskip(NEXT) | instid1(VALU_DEP_2)
	v_fmac_f64_e32 v[16:17], v[24:25], v[22:23]
	v_cmp_lt_u32_e32 vcc_lo, 4, v1
	s_or_b32 s2, vcc_lo, s2
	s_delay_alu instid0(SALU_CYCLE_1)
	s_and_not1_b32 exec_lo, exec_lo, s2
	s_cbranch_execnz .LBB6_37
; %bb.38:
	s_or_b32 exec_lo, exec_lo, s2
	v_mov_b32_e32 v1, 0
	ds_load_b64 v[14:15], v1 offset:48
	s_wait_dscnt 0x0
	v_mul_f64_e32 v[14:15], v[16:17], v[14:15]
.LBB6_39:
	s_or_b32 exec_lo, exec_lo, s1
	s_barrier_signal -1
	s_barrier_wait -1
	s_cbranch_execnz .LBB6_15
	s_branch .LBB6_16
.LBB6_40:
	s_wait_xcnt 0x0
	v_lshl_add_u32 v1, v0, 3, 64
	s_mov_b32 s0, exec_lo
	v_cmpx_eq_u32_e32 6, v0
	s_cbranch_execz .LBB6_42
; %bb.41:
	v_dual_mov_b32 v26, 0 :: v_dual_mov_b32 v16, v2
	v_dual_mov_b32 v17, v3 :: v_dual_mov_b32 v18, v4
	;; [unrolled: 1-line block ×7, first 2 shown]
	ds_store_b64 v1, v[12:13]
	v_mov_b64_e32 v[2:3], v[16:17]
	v_mov_b64_e32 v[4:5], v[18:19]
	;; [unrolled: 1-line block ×8, first 2 shown]
.LBB6_42:
	s_or_b32 exec_lo, exec_lo, s0
	v_mov_b32_e32 v24, 0
	s_wait_storecnt_dscnt 0x0
	s_barrier_signal -1
	s_barrier_wait -1
	ds_load_b64 v[16:17], v24 offset:112
	s_mov_b32 s0, exec_lo
	s_wait_dscnt 0x0
	v_fma_f64 v[16:17], v[14:15], v[16:17], 0
	s_delay_alu instid0(VALU_DEP_1)
	v_add_f64_e64 v[12:13], v[12:13], -v[16:17]
	v_cmpx_lt_u32_e32 4, v0
	s_cbranch_execz .LBB6_44
; %bb.43:
	v_dual_mov_b32 v16, v2 :: v_dual_mov_b32 v17, v3
	v_dual_mov_b32 v18, v4 :: v_dual_mov_b32 v19, v5
	;; [unrolled: 1-line block ×6, first 2 shown]
	v_mov_b32_e32 v29, v15
	ds_store_b64 v1, v[10:11]
	v_mov_b64_e32 v[2:3], v[16:17]
	v_mov_b64_e32 v[4:5], v[18:19]
	;; [unrolled: 1-line block ×8, first 2 shown]
.LBB6_44:
	s_or_b32 exec_lo, exec_lo, s0
	s_wait_dscnt 0x0
	s_barrier_signal -1
	s_barrier_wait -1
	ds_load_2addr_b64 v[16:19], v24 offset0:13 offset1:14
	s_mov_b32 s0, exec_lo
	s_wait_dscnt 0x0
	v_fma_f64 v[16:17], v[12:13], v[16:17], 0
	s_delay_alu instid0(VALU_DEP_1) | instskip(NEXT) | instid1(VALU_DEP_1)
	v_fmac_f64_e32 v[16:17], v[14:15], v[18:19]
	v_add_f64_e64 v[10:11], v[10:11], -v[16:17]
	v_cmpx_lt_u32_e32 3, v0
	s_cbranch_execz .LBB6_46
; %bb.45:
	v_dual_mov_b32 v22, 0 :: v_dual_mov_b32 v16, v2
	v_dual_mov_b32 v17, v3 :: v_dual_mov_b32 v18, v4
	;; [unrolled: 1-line block ×3, first 2 shown]
	s_delay_alu instid0(VALU_DEP_3)
	v_dual_mov_b32 v21, v7 :: v_dual_mov_b32 v23, v22
	v_dual_mov_b32 v24, v10 :: v_dual_mov_b32 v25, v11
	;; [unrolled: 1-line block ×4, first 2 shown]
	ds_store_b64 v1, v[8:9]
	v_mov_b64_e32 v[2:3], v[16:17]
	v_mov_b64_e32 v[4:5], v[18:19]
	;; [unrolled: 1-line block ×8, first 2 shown]
.LBB6_46:
	s_or_b32 exec_lo, exec_lo, s0
	v_mov_b32_e32 v20, 0
	s_wait_dscnt 0x0
	s_barrier_signal -1
	s_barrier_wait -1
	ds_load_b128 v[16:19], v20 offset:96
	ds_load_b64 v[22:23], v20 offset:112
	s_mov_b32 s0, exec_lo
	s_wait_dscnt 0x1
	v_fma_f64 v[16:17], v[10:11], v[16:17], 0
	s_delay_alu instid0(VALU_DEP_1) | instskip(SKIP_1) | instid1(VALU_DEP_1)
	v_fmac_f64_e32 v[16:17], v[12:13], v[18:19]
	s_wait_dscnt 0x0
	v_fmac_f64_e32 v[16:17], v[14:15], v[22:23]
	s_delay_alu instid0(VALU_DEP_1)
	v_add_f64_e64 v[8:9], v[8:9], -v[16:17]
	v_cmpx_lt_u32_e32 2, v0
	s_cbranch_execz .LBB6_48
; %bb.47:
	v_dual_mov_b32 v16, v2 :: v_dual_mov_b32 v17, v3
	v_dual_mov_b32 v18, v4 :: v_dual_mov_b32 v19, v5
	s_delay_alu instid0(VALU_DEP_4)
	v_dual_mov_b32 v21, v20 :: v_dual_mov_b32 v22, v8
	v_dual_mov_b32 v23, v9 :: v_dual_mov_b32 v24, v10
	;; [unrolled: 1-line block ×4, first 2 shown]
	v_mov_b32_e32 v29, v15
	ds_store_b64 v1, v[6:7]
	v_mov_b64_e32 v[2:3], v[16:17]
	v_mov_b64_e32 v[4:5], v[18:19]
	;; [unrolled: 1-line block ×8, first 2 shown]
.LBB6_48:
	s_or_b32 exec_lo, exec_lo, s0
	s_wait_dscnt 0x0
	s_barrier_signal -1
	s_barrier_wait -1
	ds_load_2addr_b64 v[16:19], v20 offset0:11 offset1:12
	ds_load_2addr_b64 v[20:23], v20 offset0:13 offset1:14
	s_mov_b32 s0, exec_lo
	s_wait_dscnt 0x1
	v_fma_f64 v[16:17], v[8:9], v[16:17], 0
	s_delay_alu instid0(VALU_DEP_1) | instskip(SKIP_1) | instid1(VALU_DEP_1)
	v_fmac_f64_e32 v[16:17], v[10:11], v[18:19]
	s_wait_dscnt 0x0
	v_fmac_f64_e32 v[16:17], v[12:13], v[20:21]
	s_delay_alu instid0(VALU_DEP_1) | instskip(NEXT) | instid1(VALU_DEP_1)
	v_fmac_f64_e32 v[16:17], v[14:15], v[22:23]
	v_add_f64_e64 v[6:7], v[6:7], -v[16:17]
	v_cmpx_lt_u32_e32 1, v0
	s_cbranch_execz .LBB6_50
; %bb.49:
	v_dual_mov_b32 v18, 0 :: v_dual_mov_b32 v16, v2
	s_delay_alu instid0(VALU_DEP_3) | instskip(NEXT) | instid1(VALU_DEP_2)
	v_dual_mov_b32 v17, v3 :: v_dual_mov_b32 v20, v6
	v_dual_mov_b32 v21, v7 :: v_dual_mov_b32 v19, v18
	;; [unrolled: 1-line block ×6, first 2 shown]
	ds_store_b64 v1, v[4:5]
	v_mov_b64_e32 v[2:3], v[16:17]
	v_mov_b64_e32 v[4:5], v[18:19]
	;; [unrolled: 1-line block ×8, first 2 shown]
.LBB6_50:
	s_or_b32 exec_lo, exec_lo, s0
	v_mov_b32_e32 v18, 0
	s_wait_dscnt 0x0
	s_barrier_signal -1
	s_barrier_wait -1
	ds_load_b128 v[20:23], v18 offset:80
	ds_load_b128 v[24:27], v18 offset:96
	v_dual_ashrrev_i32 v37, 31, v36 :: v_dual_ashrrev_i32 v39, 31, v38
	v_dual_ashrrev_i32 v41, 31, v40 :: v_dual_ashrrev_i32 v43, 31, v42
	v_ashrrev_i32_e32 v45, 31, v44
	s_mov_b32 s0, exec_lo
	s_wait_dscnt 0x1
	v_fma_f64 v[16:17], v[6:7], v[20:21], 0
	ds_load_b64 v[20:21], v18 offset:112
	v_fmac_f64_e32 v[16:17], v[8:9], v[22:23]
	s_wait_dscnt 0x1
	s_delay_alu instid0(VALU_DEP_1) | instskip(NEXT) | instid1(VALU_DEP_1)
	v_fmac_f64_e32 v[16:17], v[10:11], v[24:25]
	v_fmac_f64_e32 v[16:17], v[12:13], v[26:27]
	s_wait_dscnt 0x0
	s_delay_alu instid0(VALU_DEP_1) | instskip(NEXT) | instid1(VALU_DEP_1)
	v_fmac_f64_e32 v[16:17], v[14:15], v[20:21]
	v_add_f64_e64 v[4:5], v[4:5], -v[16:17]
	v_cmpx_ne_u32_e32 0, v0
	s_cbranch_execz .LBB6_52
; %bb.51:
	s_delay_alu instid0(VALU_DEP_2) | instskip(NEXT) | instid1(VALU_DEP_3)
	v_dual_mov_b32 v19, v18 :: v_dual_mov_b32 v20, v4
	v_dual_mov_b32 v21, v5 :: v_dual_mov_b32 v22, v6
	v_dual_mov_b32 v23, v7 :: v_dual_mov_b32 v24, v8
	v_dual_mov_b32 v25, v9 :: v_dual_mov_b32 v26, v10
	v_dual_mov_b32 v27, v11 :: v_dual_mov_b32 v28, v12
	v_dual_mov_b32 v29, v13 :: v_dual_mov_b32 v30, v14
	v_mov_b32_e32 v31, v15
	ds_store_b64 v1, v[2:3]
	v_mov_b64_e32 v[2:3], v[18:19]
	v_mov_b64_e32 v[4:5], v[20:21]
	v_mov_b64_e32 v[6:7], v[22:23]
	v_mov_b64_e32 v[8:9], v[24:25]
	v_mov_b64_e32 v[10:11], v[26:27]
	v_mov_b64_e32 v[12:13], v[28:29]
	v_mov_b64_e32 v[14:15], v[30:31]
	v_mov_b64_e32 v[16:17], v[32:33]
.LBB6_52:
	s_or_b32 exec_lo, exec_lo, s0
	s_wait_dscnt 0x0
	s_barrier_signal -1
	s_barrier_wait -1
	ds_load_2addr_b64 v[20:23], v18 offset0:9 offset1:10
	ds_load_2addr_b64 v[24:27], v18 offset0:11 offset1:12
	ds_load_2addr_b64 v[16:19], v18 offset0:13 offset1:14
	s_and_b32 vcc_lo, exec_lo, s16
	s_wait_dscnt 0x2
	v_fma_f64 v[0:1], v[4:5], v[20:21], 0
	s_delay_alu instid0(VALU_DEP_1) | instskip(SKIP_1) | instid1(VALU_DEP_1)
	v_fmac_f64_e32 v[0:1], v[6:7], v[22:23]
	s_wait_dscnt 0x1
	v_fmac_f64_e32 v[0:1], v[8:9], v[24:25]
	s_delay_alu instid0(VALU_DEP_1) | instskip(SKIP_1) | instid1(VALU_DEP_1)
	v_fmac_f64_e32 v[0:1], v[10:11], v[26:27]
	s_wait_dscnt 0x0
	v_fmac_f64_e32 v[0:1], v[12:13], v[16:17]
	s_delay_alu instid0(VALU_DEP_1) | instskip(NEXT) | instid1(VALU_DEP_1)
	v_fmac_f64_e32 v[0:1], v[14:15], v[18:19]
	v_add_f64_e64 v[2:3], v[2:3], -v[0:1]
	s_cbranch_vccz .LBB6_65
; %bb.53:
	v_mov_b32_e32 v0, 0
	global_load_b32 v1, v0, s[12:13] offset:20
	s_wait_loadcnt 0x0
	v_readfirstlane_b32 s0, v1
	s_add_co_i32 s0, s0, -1
	s_delay_alu instid0(SALU_CYCLE_1)
	s_cmp_lg_u32 s0, 5
	s_cbranch_scc0 .LBB6_55
; %bb.54:
	s_lshl_b32 m0, s0, 1
	v_movrels_b32_e32 v1, v2
	v_movrels_b32_e32 v30, v3
	v_mov_b64_e32 v[28:29], v[16:17]
	v_mov_b64_e32 v[26:27], v[14:15]
	;; [unrolled: 1-line block ×8, first 2 shown]
	v_dual_mov_b32 v24, v1 :: v_dual_mov_b32 v25, v30
	s_delay_alu instid0(VALU_DEP_2) | instskip(NEXT) | instid1(VALU_DEP_3)
	v_movreld_b32_e32 v14, v12
	v_movreld_b32_e32 v15, v13
	v_mov_b64_e32 v[2:3], v[14:15]
	v_mov_b64_e32 v[4:5], v[16:17]
	;; [unrolled: 1-line block ×8, first 2 shown]
.LBB6_55:
	global_load_b32 v0, v0, s[12:13] offset:16
	s_wait_loadcnt 0x0
	v_readfirstlane_b32 s0, v0
	s_add_co_i32 s0, s0, -1
	s_delay_alu instid0(SALU_CYCLE_1)
	s_cmp_eq_u32 s0, 4
	s_cbranch_scc1 .LBB6_57
; %bb.56:
	s_lshl_b32 m0, s0, 1
	v_movrels_b32_e32 v0, v2
	v_movrels_b32_e32 v1, v3
	v_mov_b64_e32 v[26:27], v[16:17]
	v_mov_b64_e32 v[24:25], v[14:15]
	;; [unrolled: 1-line block ×8, first 2 shown]
	v_dual_mov_b32 v20, v0 :: v_dual_mov_b32 v21, v1
	s_delay_alu instid0(VALU_DEP_2) | instskip(NEXT) | instid1(VALU_DEP_3)
	v_movreld_b32_e32 v12, v10
	v_movreld_b32_e32 v13, v11
	v_mov_b64_e32 v[2:3], v[12:13]
	v_mov_b64_e32 v[4:5], v[14:15]
	;; [unrolled: 1-line block ×8, first 2 shown]
.LBB6_57:
	v_mov_b32_e32 v0, 0
	global_load_b32 v1, v0, s[12:13] offset:12
	s_wait_loadcnt 0x0
	v_readfirstlane_b32 s0, v1
	s_add_co_i32 s0, s0, -1
	s_delay_alu instid0(SALU_CYCLE_1)
	s_cmp_eq_u32 s0, 3
	s_cbranch_scc1 .LBB6_59
; %bb.58:
	s_lshl_b32 m0, s0, 1
	v_movrels_b32_e32 v1, v2
	v_movrels_b32_e32 v26, v3
	v_mov_b64_e32 v[24:25], v[16:17]
	v_mov_b64_e32 v[22:23], v[14:15]
	;; [unrolled: 1-line block ×8, first 2 shown]
	v_dual_mov_b32 v16, v1 :: v_dual_mov_b32 v17, v26
	s_delay_alu instid0(VALU_DEP_2) | instskip(NEXT) | instid1(VALU_DEP_3)
	v_movreld_b32_e32 v10, v8
	v_movreld_b32_e32 v11, v9
	v_mov_b64_e32 v[2:3], v[10:11]
	v_mov_b64_e32 v[4:5], v[12:13]
	;; [unrolled: 1-line block ×8, first 2 shown]
.LBB6_59:
	global_load_b32 v0, v0, s[12:13] offset:8
	s_wait_loadcnt 0x0
	v_readfirstlane_b32 s0, v0
	s_add_co_i32 s0, s0, -1
	s_delay_alu instid0(SALU_CYCLE_1)
	s_cmp_eq_u32 s0, 2
	s_cbranch_scc1 .LBB6_61
; %bb.60:
	s_lshl_b32 m0, s0, 1
	v_movrels_b32_e32 v0, v2
	v_movrels_b32_e32 v1, v3
	v_mov_b64_e32 v[22:23], v[16:17]
	v_mov_b64_e32 v[20:21], v[14:15]
	;; [unrolled: 1-line block ×8, first 2 shown]
	v_dual_mov_b32 v12, v0 :: v_dual_mov_b32 v13, v1
	s_delay_alu instid0(VALU_DEP_2) | instskip(NEXT) | instid1(VALU_DEP_3)
	v_movreld_b32_e32 v8, v6
	v_movreld_b32_e32 v9, v7
	v_mov_b64_e32 v[2:3], v[8:9]
	v_mov_b64_e32 v[4:5], v[10:11]
	;; [unrolled: 1-line block ×8, first 2 shown]
.LBB6_61:
	v_mov_b32_e32 v0, 0
	global_load_b32 v1, v0, s[12:13] offset:4
	s_wait_loadcnt 0x0
	v_readfirstlane_b32 s0, v1
	s_add_co_i32 s0, s0, -1
	s_delay_alu instid0(SALU_CYCLE_1)
	s_cmp_eq_u32 s0, 1
	s_cbranch_scc1 .LBB6_63
; %bb.62:
	s_lshl_b32 m0, s0, 1
	v_movrels_b32_e32 v1, v2
	v_movrels_b32_e32 v22, v3
	v_mov_b64_e32 v[20:21], v[16:17]
	v_mov_b64_e32 v[18:19], v[14:15]
	;; [unrolled: 1-line block ×8, first 2 shown]
	v_dual_mov_b32 v8, v1 :: v_dual_mov_b32 v9, v22
	s_delay_alu instid0(VALU_DEP_2) | instskip(NEXT) | instid1(VALU_DEP_3)
	v_movreld_b32_e32 v6, v4
	v_movreld_b32_e32 v7, v5
	v_mov_b64_e32 v[2:3], v[6:7]
	s_delay_alu instid0(VALU_DEP_4)
	v_mov_b64_e32 v[4:5], v[8:9]
	v_mov_b64_e32 v[6:7], v[10:11]
	;; [unrolled: 1-line block ×7, first 2 shown]
.LBB6_63:
	global_load_b32 v0, v0, s[12:13]
	s_wait_loadcnt 0x0
	v_readfirstlane_b32 s0, v0
	s_add_co_i32 s0, s0, -1
	s_delay_alu instid0(SALU_CYCLE_1)
	s_cmp_eq_u32 s0, 0
	s_cbranch_scc1 .LBB6_65
; %bb.64:
	s_lshl_b32 m0, s0, 1
	v_movrels_b32_e32 v0, v2
	v_movrels_b32_e32 v1, v3
	v_mov_b64_e32 v[18:19], v[16:17]
	v_mov_b64_e32 v[16:17], v[14:15]
	v_mov_b64_e32 v[14:15], v[12:13]
	v_mov_b64_e32 v[12:13], v[10:11]
	v_mov_b64_e32 v[10:11], v[8:9]
	v_mov_b64_e32 v[8:9], v[6:7]
	v_mov_b64_e32 v[6:7], v[4:5]
	v_mov_b64_e32 v[4:5], v[2:3]
	v_dual_mov_b32 v4, v0 :: v_dual_mov_b32 v5, v1
	s_delay_alu instid0(VALU_DEP_1) | instskip(NEXT) | instid1(VALU_DEP_2)
	v_movreld_b32_e32 v4, v2
	v_movreld_b32_e32 v5, v3
	v_mov_b64_e32 v[2:3], v[4:5]
	v_mov_b64_e32 v[4:5], v[6:7]
	;; [unrolled: 1-line block ×8, first 2 shown]
.LBB6_65:
	v_lshl_add_u64 v[22:23], v[36:37], 3, s[8:9]
	v_lshl_add_u64 v[20:21], v[38:39], 3, s[8:9]
	;; [unrolled: 1-line block ×5, first 2 shown]
	s_clause 0x6
	global_store_b64 v[32:33], v[2:3], off
	global_store_b64 v[34:35], v[4:5], off
	;; [unrolled: 1-line block ×7, first 2 shown]
	s_endpgm
	.section	.rodata,"a",@progbits
	.p2align	6, 0x0
	.amdhsa_kernel _ZN9rocsolver6v33100L18getri_kernel_smallILi7EdPdEEvT1_iilPiilS4_bb
		.amdhsa_group_segment_fixed_size 120
		.amdhsa_private_segment_fixed_size 0
		.amdhsa_kernarg_size 60
		.amdhsa_user_sgpr_count 2
		.amdhsa_user_sgpr_dispatch_ptr 0
		.amdhsa_user_sgpr_queue_ptr 0
		.amdhsa_user_sgpr_kernarg_segment_ptr 1
		.amdhsa_user_sgpr_dispatch_id 0
		.amdhsa_user_sgpr_kernarg_preload_length 0
		.amdhsa_user_sgpr_kernarg_preload_offset 0
		.amdhsa_user_sgpr_private_segment_size 0
		.amdhsa_wavefront_size32 1
		.amdhsa_uses_dynamic_stack 0
		.amdhsa_enable_private_segment 0
		.amdhsa_system_sgpr_workgroup_id_x 1
		.amdhsa_system_sgpr_workgroup_id_y 0
		.amdhsa_system_sgpr_workgroup_id_z 0
		.amdhsa_system_sgpr_workgroup_info 0
		.amdhsa_system_vgpr_workitem_id 0
		.amdhsa_next_free_vgpr 46
		.amdhsa_next_free_sgpr 24
		.amdhsa_named_barrier_count 0
		.amdhsa_reserve_vcc 1
		.amdhsa_float_round_mode_32 0
		.amdhsa_float_round_mode_16_64 0
		.amdhsa_float_denorm_mode_32 3
		.amdhsa_float_denorm_mode_16_64 3
		.amdhsa_fp16_overflow 0
		.amdhsa_memory_ordered 1
		.amdhsa_forward_progress 1
		.amdhsa_inst_pref_size 36
		.amdhsa_round_robin_scheduling 0
		.amdhsa_exception_fp_ieee_invalid_op 0
		.amdhsa_exception_fp_denorm_src 0
		.amdhsa_exception_fp_ieee_div_zero 0
		.amdhsa_exception_fp_ieee_overflow 0
		.amdhsa_exception_fp_ieee_underflow 0
		.amdhsa_exception_fp_ieee_inexact 0
		.amdhsa_exception_int_div_zero 0
	.end_amdhsa_kernel
	.section	.text._ZN9rocsolver6v33100L18getri_kernel_smallILi7EdPdEEvT1_iilPiilS4_bb,"axG",@progbits,_ZN9rocsolver6v33100L18getri_kernel_smallILi7EdPdEEvT1_iilPiilS4_bb,comdat
.Lfunc_end6:
	.size	_ZN9rocsolver6v33100L18getri_kernel_smallILi7EdPdEEvT1_iilPiilS4_bb, .Lfunc_end6-_ZN9rocsolver6v33100L18getri_kernel_smallILi7EdPdEEvT1_iilPiilS4_bb
                                        ; -- End function
	.set _ZN9rocsolver6v33100L18getri_kernel_smallILi7EdPdEEvT1_iilPiilS4_bb.num_vgpr, 46
	.set _ZN9rocsolver6v33100L18getri_kernel_smallILi7EdPdEEvT1_iilPiilS4_bb.num_agpr, 0
	.set _ZN9rocsolver6v33100L18getri_kernel_smallILi7EdPdEEvT1_iilPiilS4_bb.numbered_sgpr, 24
	.set _ZN9rocsolver6v33100L18getri_kernel_smallILi7EdPdEEvT1_iilPiilS4_bb.num_named_barrier, 0
	.set _ZN9rocsolver6v33100L18getri_kernel_smallILi7EdPdEEvT1_iilPiilS4_bb.private_seg_size, 0
	.set _ZN9rocsolver6v33100L18getri_kernel_smallILi7EdPdEEvT1_iilPiilS4_bb.uses_vcc, 1
	.set _ZN9rocsolver6v33100L18getri_kernel_smallILi7EdPdEEvT1_iilPiilS4_bb.uses_flat_scratch, 0
	.set _ZN9rocsolver6v33100L18getri_kernel_smallILi7EdPdEEvT1_iilPiilS4_bb.has_dyn_sized_stack, 0
	.set _ZN9rocsolver6v33100L18getri_kernel_smallILi7EdPdEEvT1_iilPiilS4_bb.has_recursion, 0
	.set _ZN9rocsolver6v33100L18getri_kernel_smallILi7EdPdEEvT1_iilPiilS4_bb.has_indirect_call, 0
	.section	.AMDGPU.csdata,"",@progbits
; Kernel info:
; codeLenInByte = 4488
; TotalNumSgprs: 26
; NumVgprs: 46
; ScratchSize: 0
; MemoryBound: 0
; FloatMode: 240
; IeeeMode: 1
; LDSByteSize: 120 bytes/workgroup (compile time only)
; SGPRBlocks: 0
; VGPRBlocks: 2
; NumSGPRsForWavesPerEU: 26
; NumVGPRsForWavesPerEU: 46
; NamedBarCnt: 0
; Occupancy: 16
; WaveLimiterHint : 0
; COMPUTE_PGM_RSRC2:SCRATCH_EN: 0
; COMPUTE_PGM_RSRC2:USER_SGPR: 2
; COMPUTE_PGM_RSRC2:TRAP_HANDLER: 0
; COMPUTE_PGM_RSRC2:TGID_X_EN: 1
; COMPUTE_PGM_RSRC2:TGID_Y_EN: 0
; COMPUTE_PGM_RSRC2:TGID_Z_EN: 0
; COMPUTE_PGM_RSRC2:TIDIG_COMP_CNT: 0
	.section	.text._ZN9rocsolver6v33100L18getri_kernel_smallILi8EdPdEEvT1_iilPiilS4_bb,"axG",@progbits,_ZN9rocsolver6v33100L18getri_kernel_smallILi8EdPdEEvT1_iilPiilS4_bb,comdat
	.globl	_ZN9rocsolver6v33100L18getri_kernel_smallILi8EdPdEEvT1_iilPiilS4_bb ; -- Begin function _ZN9rocsolver6v33100L18getri_kernel_smallILi8EdPdEEvT1_iilPiilS4_bb
	.p2align	8
	.type	_ZN9rocsolver6v33100L18getri_kernel_smallILi8EdPdEEvT1_iilPiilS4_bb,@function
_ZN9rocsolver6v33100L18getri_kernel_smallILi8EdPdEEvT1_iilPiilS4_bb: ; @_ZN9rocsolver6v33100L18getri_kernel_smallILi8EdPdEEvT1_iilPiilS4_bb
; %bb.0:
	s_mov_b32 s2, exec_lo
	v_cmpx_gt_u32_e32 8, v0
	s_cbranch_execz .LBB7_16
; %bb.1:
	s_clause 0x2
	s_load_b32 s2, s[0:1], 0x38
	s_load_b128 s[4:7], s[0:1], 0x10
	s_load_b128 s[8:11], s[0:1], 0x28
	s_getreg_b32 s13, hwreg(HW_REG_IB_STS2, 6, 4)
                                        ; implicit-def: $sgpr16_sgpr17
	s_wait_kmcnt 0x0
	s_bitcmp1_b32 s2, 8
	s_cselect_b32 s20, -1, 0
	s_bfe_u32 s3, ttmp6, 0x4000c
	s_and_b32 s12, ttmp6, 15
	s_add_co_i32 s3, s3, 1
	s_delay_alu instid0(SALU_CYCLE_1) | instskip(NEXT) | instid1(SALU_CYCLE_1)
	s_mul_i32 s3, ttmp9, s3
	s_add_co_i32 s12, s12, s3
	s_cmp_eq_u32 s13, 0
	s_cselect_b32 s18, ttmp9, s12
	s_bfe_u32 s2, s2, 0x10008
	s_ashr_i32 s19, s18, 31
	s_cmp_eq_u32 s2, 0
	s_cbranch_scc1 .LBB7_3
; %bb.2:
	s_load_b32 s2, s[0:1], 0x20
	s_mul_u64 s[8:9], s[8:9], s[18:19]
	s_delay_alu instid0(SALU_CYCLE_1) | instskip(NEXT) | instid1(SALU_CYCLE_1)
	s_lshl_b64 s[8:9], s[8:9], 2
	s_add_nc_u64 s[6:7], s[6:7], s[8:9]
	s_wait_kmcnt 0x0
	s_ashr_i32 s3, s2, 31
	s_delay_alu instid0(SALU_CYCLE_1) | instskip(NEXT) | instid1(SALU_CYCLE_1)
	s_lshl_b64 s[2:3], s[2:3], 2
	s_add_nc_u64 s[16:17], s[6:7], s[2:3]
.LBB7_3:
	s_clause 0x1
	s_load_b128 s[12:15], s[0:1], 0x0
	s_load_b32 s6, s[0:1], 0x38
	v_dual_mov_b32 v1, 0 :: v_dual_lshlrev_b32 v18, 3, v0
	s_wait_xcnt 0x0
	s_mul_u64 s[0:1], s[4:5], s[18:19]
	s_delay_alu instid0(SALU_CYCLE_1)
	s_lshl_b64 s[0:1], s[0:1], 3
	s_wait_kmcnt 0x0
	v_add3_u32 v32, s15, s15, v0
	v_mov_b32_e32 v19, v1
	s_ashr_i32 s3, s14, 31
	s_mov_b32 s2, s14
	s_add_nc_u64 s[0:1], s[12:13], s[0:1]
	v_add_nc_u32_e32 v38, s15, v32
	s_lshl_b64 s[2:3], s[2:3], 3
	s_delay_alu instid0(SALU_CYCLE_1) | instskip(SKIP_1) | instid1(VALU_DEP_1)
	s_add_nc_u64 s[8:9], s[0:1], s[2:3]
	s_ashr_i32 s1, s15, 31
	v_add_nc_u32_e32 v40, s15, v38
	v_add_nc_u64_e32 v[34:35], s[8:9], v[18:19]
	s_mov_b32 s0, s15
	s_bitcmp0_b32 s6, 0
	s_delay_alu instid0(VALU_DEP_2) | instskip(NEXT) | instid1(VALU_DEP_2)
	v_add_nc_u32_e32 v42, s15, v40
	v_lshl_add_u64 v[36:37], s[0:1], 3, v[34:35]
	s_mov_b32 s0, -1
	s_delay_alu instid0(VALU_DEP_2)
	v_add_nc_u32_e32 v44, s15, v42
	global_load_b64 v[4:5], v[36:37], off
	v_add_nc_u32_e32 v46, s15, v44
	s_clause 0x6
	global_load_b64 v[6:7], v32, s[8:9] scale_offset
	global_load_b64 v[8:9], v38, s[8:9] scale_offset
	;; [unrolled: 1-line block ×7, first 2 shown]
	s_cbranch_scc1 .LBB7_14
; %bb.4:
	v_cmp_eq_u32_e64 s0, 0, v0
	s_wait_xcnt 0x0
	s_and_saveexec_b32 s1, s0
; %bb.5:
	v_mov_b32_e32 v19, 0
	ds_store_b32 v19, v19 offset:128
; %bb.6:
	s_or_b32 exec_lo, exec_lo, s1
	v_cmp_eq_u32_e32 vcc_lo, 1, v0
	s_mov_b32 s2, exec_lo
	s_wait_loadcnt_dscnt 0x0
	s_barrier_signal -1
	s_barrier_wait -1
	v_dual_cndmask_b32 v19, v3, v5 :: v_dual_cndmask_b32 v20, v2, v4
	v_cmp_eq_u32_e32 vcc_lo, 2, v0
	s_delay_alu instid0(VALU_DEP_2) | instskip(SKIP_1) | instid1(VALU_DEP_2)
	v_dual_cndmask_b32 v19, v19, v7 :: v_dual_cndmask_b32 v20, v20, v6
	v_cmp_eq_u32_e32 vcc_lo, 3, v0
	v_dual_cndmask_b32 v19, v19, v9 :: v_dual_cndmask_b32 v20, v20, v8
	v_cmp_eq_u32_e32 vcc_lo, 4, v0
	s_delay_alu instid0(VALU_DEP_2) | instskip(SKIP_1) | instid1(VALU_DEP_2)
	v_dual_cndmask_b32 v19, v19, v11 :: v_dual_cndmask_b32 v20, v20, v10
	v_cmp_eq_u32_e32 vcc_lo, 5, v0
	;; [unrolled: 5-line block ×3, first 2 shown]
	v_dual_cndmask_b32 v21, v19, v17 :: v_dual_cndmask_b32 v20, v20, v16
	s_delay_alu instid0(VALU_DEP_1)
	v_cmpx_eq_f64_e32 0, v[20:21]
	s_cbranch_execz .LBB7_10
; %bb.7:
	v_mov_b32_e32 v19, 0
	s_mov_b32 s3, 0
	ds_load_b32 v22, v19 offset:128
	s_wait_dscnt 0x0
	v_readfirstlane_b32 s1, v22
	v_add_nc_u32_e32 v22, 1, v0
	s_cmp_eq_u32 s1, 0
	s_delay_alu instid0(VALU_DEP_1) | instskip(SKIP_1) | instid1(SALU_CYCLE_1)
	v_cmp_gt_i32_e32 vcc_lo, s1, v22
	s_cselect_b32 s4, -1, 0
	s_or_b32 s4, s4, vcc_lo
	s_delay_alu instid0(SALU_CYCLE_1)
	s_and_b32 exec_lo, exec_lo, s4
	s_cbranch_execz .LBB7_10
; %bb.8:
	v_mov_b32_e32 v23, s1
.LBB7_9:                                ; =>This Inner Loop Header: Depth=1
	ds_cmpstore_rtn_b32 v23, v19, v22, v23 offset:128
	s_wait_dscnt 0x0
	v_cmp_ne_u32_e32 vcc_lo, 0, v23
	v_cmp_le_i32_e64 s1, v23, v22
	s_and_b32 s1, vcc_lo, s1
	s_delay_alu instid0(SALU_CYCLE_1) | instskip(NEXT) | instid1(SALU_CYCLE_1)
	s_and_b32 s1, exec_lo, s1
	s_or_b32 s3, s1, s3
	s_delay_alu instid0(SALU_CYCLE_1)
	s_and_not1_b32 exec_lo, exec_lo, s3
	s_cbranch_execnz .LBB7_9
.LBB7_10:
	s_or_b32 exec_lo, exec_lo, s2
	v_mov_b32_e32 v19, 0
	s_barrier_signal -1
	s_barrier_wait -1
	ds_load_b32 v22, v19 offset:128
	s_and_saveexec_b32 s1, s0
	s_cbranch_execz .LBB7_12
; %bb.11:
	s_lshl_b64 s[2:3], s[18:19], 2
	s_delay_alu instid0(SALU_CYCLE_1)
	s_add_nc_u64 s[2:3], s[10:11], s[2:3]
	s_wait_dscnt 0x0
	global_store_b32 v19, v22, s[2:3]
.LBB7_12:
	s_wait_xcnt 0x0
	s_or_b32 exec_lo, exec_lo, s1
	s_wait_dscnt 0x0
	v_cmp_ne_u32_e32 vcc_lo, 0, v22
	s_cbranch_vccz .LBB7_17
; %bb.13:
	s_mov_b32 s0, 0
                                        ; implicit-def: $vgpr2_vgpr3_vgpr4_vgpr5_vgpr6_vgpr7_vgpr8_vgpr9_vgpr10_vgpr11_vgpr12_vgpr13_vgpr14_vgpr15_vgpr16_vgpr17
.LBB7_14:
	s_delay_alu instid0(SALU_CYCLE_1)
	s_and_b32 vcc_lo, exec_lo, s0
	s_cbranch_vccz .LBB7_16
.LBB7_15:
	v_mov_b32_e32 v1, 0
	s_lshl_b64 s[0:1], s[18:19], 2
	s_delay_alu instid0(SALU_CYCLE_1)
	s_add_nc_u64 s[0:1], s[10:11], s[0:1]
	global_load_b32 v1, v1, s[0:1]
	s_wait_loadcnt 0x0
	v_cmp_ne_u32_e32 vcc_lo, 0, v1
	s_cbranch_vccz .LBB7_44
.LBB7_16:
	s_endpgm
.LBB7_17:
	v_div_scale_f64 v[22:23], null, v[20:21], v[20:21], 1.0
	v_div_scale_f64 v[28:29], vcc_lo, 1.0, v[20:21], 1.0
	v_cmp_eq_u32_e64 s1, 6, v0
	v_cmp_eq_u32_e64 s2, 5, v0
	;; [unrolled: 1-line block ×7, first 2 shown]
	v_rcp_f64_e32 v[24:25], v[22:23]
	v_nop
	s_delay_alu instid0(TRANS32_DEP_1) | instskip(NEXT) | instid1(VALU_DEP_1)
	v_fma_f64 v[26:27], -v[22:23], v[24:25], 1.0
	v_fmac_f64_e32 v[24:25], v[24:25], v[26:27]
	s_delay_alu instid0(VALU_DEP_1) | instskip(NEXT) | instid1(VALU_DEP_1)
	v_fma_f64 v[26:27], -v[22:23], v[24:25], 1.0
	v_fmac_f64_e32 v[24:25], v[24:25], v[26:27]
	s_delay_alu instid0(VALU_DEP_1) | instskip(NEXT) | instid1(VALU_DEP_1)
	v_mul_f64_e32 v[26:27], v[28:29], v[24:25]
	v_fma_f64 v[22:23], -v[22:23], v[26:27], v[28:29]
	s_delay_alu instid0(VALU_DEP_1) | instskip(SKIP_1) | instid1(VALU_DEP_2)
	v_div_fmas_f64 v[22:23], v[22:23], v[24:25], v[26:27]
	v_cmp_eq_u32_e32 vcc_lo, 7, v0
	v_div_fixup_f64 v[20:21], v[22:23], v[20:21], 1.0
	s_delay_alu instid0(VALU_DEP_1) | instskip(NEXT) | instid1(VALU_DEP_2)
	v_dual_cndmask_b32 v17, v17, v21 :: v_dual_add_nc_u32 v22, 64, v18
	v_dual_cndmask_b32 v16, v16, v20, vcc_lo :: v_dual_cndmask_b32 v15, v15, v21, s1
	v_dual_cndmask_b32 v14, v14, v20, s1 :: v_dual_cndmask_b32 v13, v13, v21, s2
	v_dual_cndmask_b32 v12, v12, v20, s2 :: v_dual_cndmask_b32 v11, v11, v21, s3
	;; [unrolled: 1-line block ×5, first 2 shown]
	v_xor_b32_e32 v25, 0x80000000, v21
	v_dual_mov_b32 v24, v20 :: v_dual_cndmask_b32 v6, v6, v20, s5
	v_dual_cndmask_b32 v3, v3, v21, s7 :: v_dual_cndmask_b32 v2, v2, v20, s7
	ds_store_2addr_b64 v18, v[24:25], v[4:5] offset1:8
	s_wait_storecnt_dscnt 0x0
	s_barrier_signal -1
	s_barrier_wait -1
	s_and_saveexec_b32 s1, s0
	s_cbranch_execz .LBB7_19
; %bb.18:
	ds_load_b64 v[4:5], v22
	v_mov_b32_e32 v18, 0
	ds_load_b64 v[18:19], v18 offset:8
	s_wait_dscnt 0x1
	v_fma_f64 v[4:5], v[20:21], v[4:5], 0
	s_wait_dscnt 0x0
	s_delay_alu instid0(VALU_DEP_1)
	v_mul_f64_e32 v[4:5], v[4:5], v[18:19]
.LBB7_19:
	s_or_b32 exec_lo, exec_lo, s1
	s_delay_alu instid0(SALU_CYCLE_1)
	s_mov_b32 s2, exec_lo
	s_barrier_signal -1
	s_barrier_wait -1
	ds_store_b64 v22, v[6:7]
	s_wait_dscnt 0x0
	s_barrier_signal -1
	s_barrier_wait -1
	v_cmpx_gt_u32_e32 2, v0
	s_cbranch_execz .LBB7_23
; %bb.20:
	v_cmp_eq_u32_e32 vcc_lo, 1, v0
	v_cmp_eq_u32_e64 s1, 5, v0
	v_dual_cndmask_b32 v18, v3, v5 :: v_dual_cndmask_b32 v19, v2, v4
	v_cmp_eq_u32_e32 vcc_lo, 2, v0
	s_delay_alu instid0(VALU_DEP_2) | instskip(SKIP_1) | instid1(VALU_DEP_2)
	v_dual_cndmask_b32 v7, v18, v7 :: v_dual_cndmask_b32 v6, v19, v6
	v_cmp_eq_u32_e32 vcc_lo, 3, v0
	v_dual_cndmask_b32 v7, v7, v9 :: v_dual_cndmask_b32 v6, v6, v8
	v_cmp_eq_u32_e32 vcc_lo, 4, v0
	s_delay_alu instid0(VALU_DEP_2) | instskip(SKIP_3) | instid1(VALU_DEP_1)
	v_dual_cndmask_b32 v18, v7, v11 :: v_dual_cndmask_b32 v19, v6, v10
	ds_load_b64 v[6:7], v22
	v_cmp_eq_u32_e32 vcc_lo, 6, v0
	v_dual_cndmask_b32 v18, v18, v13, s1 :: v_dual_cndmask_b32 v19, v19, v12, s1
	v_dual_cndmask_b32 v18, v18, v15, vcc_lo :: v_dual_cndmask_b32 v20, v19, v14, vcc_lo
	v_cmp_eq_u32_e32 vcc_lo, 7, v0
	s_delay_alu instid0(VALU_DEP_2) | instskip(SKIP_1) | instid1(VALU_DEP_1)
	v_dual_cndmask_b32 v19, v18, v17 :: v_dual_cndmask_b32 v18, v20, v16
	s_wait_dscnt 0x0
	v_fma_f64 v[6:7], v[18:19], v[6:7], 0
	s_and_saveexec_b32 s1, s0
	s_cbranch_execz .LBB7_22
; %bb.21:
	v_mov_b32_e32 v18, 0
	ds_load_b64 v[18:19], v18 offset:72
	s_wait_dscnt 0x0
	v_fmac_f64_e32 v[6:7], v[4:5], v[18:19]
.LBB7_22:
	s_or_b32 exec_lo, exec_lo, s1
	v_mov_b32_e32 v18, 0
	ds_load_b64 v[18:19], v18 offset:16
	s_wait_dscnt 0x0
	v_mul_f64_e32 v[6:7], v[6:7], v[18:19]
.LBB7_23:
	s_or_b32 exec_lo, exec_lo, s2
	s_delay_alu instid0(SALU_CYCLE_1)
	s_mov_b32 s1, exec_lo
	s_barrier_signal -1
	s_barrier_wait -1
	ds_store_b64 v22, v[8:9]
	s_wait_dscnt 0x0
	s_barrier_signal -1
	s_barrier_wait -1
	v_cmpx_gt_u32_e32 3, v0
	s_cbranch_execz .LBB7_27
; %bb.24:
	v_mov_b64_e32 v[18:19], 0
	v_mov_b64_e32 v[20:21], v[0:1]
	v_lshl_add_u32 v23, v0, 3, 64
	s_mov_b32 s2, 0
.LBB7_25:                               ; =>This Inner Loop Header: Depth=1
	s_delay_alu instid0(VALU_DEP_2) | instskip(SKIP_3) | instid1(VALU_DEP_2)
	v_cmp_eq_u32_e32 vcc_lo, 1, v20
	v_cmp_eq_u32_e64 s0, 2, v20
	v_dual_cndmask_b32 v24, v3, v5 :: v_dual_cndmask_b32 v25, v2, v4
	v_cmp_eq_u32_e32 vcc_lo, 3, v20
	v_dual_cndmask_b32 v24, v24, v7, s0 :: v_dual_cndmask_b32 v25, v25, v6, s0
	v_cmp_eq_u32_e64 s0, 4, v20
	s_delay_alu instid0(VALU_DEP_2)
	v_dual_cndmask_b32 v26, v24, v9 :: v_dual_cndmask_b32 v27, v25, v8
	ds_load_b64 v[24:25], v23
	v_cmp_eq_u32_e32 vcc_lo, 5, v20
	v_add_nc_u32_e32 v23, 8, v23
	v_dual_cndmask_b32 v26, v26, v11, s0 :: v_dual_cndmask_b32 v27, v27, v10, s0
	v_cmp_eq_u32_e64 s0, 6, v20
	s_delay_alu instid0(VALU_DEP_2) | instskip(SKIP_2) | instid1(VALU_DEP_3)
	v_dual_cndmask_b32 v26, v26, v13 :: v_dual_cndmask_b32 v27, v27, v12
	v_cmp_eq_u32_e32 vcc_lo, 7, v20
	v_add_nc_u64_e32 v[20:21], 1, v[20:21]
	v_dual_cndmask_b32 v26, v26, v15, s0 :: v_dual_cndmask_b32 v28, v27, v14, s0
	s_delay_alu instid0(VALU_DEP_1) | instskip(SKIP_1) | instid1(VALU_DEP_1)
	v_dual_cndmask_b32 v27, v26, v17 :: v_dual_cndmask_b32 v26, v28, v16
	s_wait_dscnt 0x0
	v_fmac_f64_e32 v[18:19], v[26:27], v[24:25]
	s_delay_alu instid0(VALU_DEP_4) | instskip(NEXT) | instid1(VALU_DEP_1)
	v_add_nc_u32_e32 v24, -1, v20
	v_cmp_lt_u32_e32 vcc_lo, 1, v24
	s_or_b32 s2, vcc_lo, s2
	s_delay_alu instid0(SALU_CYCLE_1)
	s_and_not1_b32 exec_lo, exec_lo, s2
	s_cbranch_execnz .LBB7_25
; %bb.26:
	s_or_b32 exec_lo, exec_lo, s2
	v_mov_b32_e32 v8, 0
	ds_load_b64 v[8:9], v8 offset:24
	s_wait_dscnt 0x0
	v_mul_f64_e32 v[8:9], v[18:19], v[8:9]
.LBB7_27:
	s_or_b32 exec_lo, exec_lo, s1
	s_delay_alu instid0(SALU_CYCLE_1)
	s_mov_b32 s1, exec_lo
	s_barrier_signal -1
	s_barrier_wait -1
	ds_store_b64 v22, v[10:11]
	s_wait_dscnt 0x0
	s_barrier_signal -1
	s_barrier_wait -1
	v_cmpx_gt_u32_e32 4, v0
	s_cbranch_execz .LBB7_31
; %bb.28:
	v_mov_b64_e32 v[18:19], 0
	v_mov_b64_e32 v[20:21], v[0:1]
	v_lshl_add_u32 v23, v0, 3, 64
	s_mov_b32 s2, 0
.LBB7_29:                               ; =>This Inner Loop Header: Depth=1
	s_delay_alu instid0(VALU_DEP_2) | instskip(SKIP_3) | instid1(VALU_DEP_2)
	v_cmp_eq_u32_e32 vcc_lo, 1, v20
	v_cmp_eq_u32_e64 s0, 2, v20
	v_dual_cndmask_b32 v24, v3, v5 :: v_dual_cndmask_b32 v25, v2, v4
	v_cmp_eq_u32_e32 vcc_lo, 3, v20
	v_dual_cndmask_b32 v24, v24, v7, s0 :: v_dual_cndmask_b32 v25, v25, v6, s0
	v_cmp_eq_u32_e64 s0, 4, v20
	s_delay_alu instid0(VALU_DEP_2)
	v_dual_cndmask_b32 v26, v24, v9 :: v_dual_cndmask_b32 v27, v25, v8
	ds_load_b64 v[24:25], v23
	v_cmp_eq_u32_e32 vcc_lo, 5, v20
	v_add_nc_u32_e32 v23, 8, v23
	v_dual_cndmask_b32 v26, v26, v11, s0 :: v_dual_cndmask_b32 v27, v27, v10, s0
	v_cmp_eq_u32_e64 s0, 6, v20
	s_delay_alu instid0(VALU_DEP_2) | instskip(SKIP_2) | instid1(VALU_DEP_3)
	v_dual_cndmask_b32 v26, v26, v13 :: v_dual_cndmask_b32 v27, v27, v12
	v_cmp_eq_u32_e32 vcc_lo, 7, v20
	v_add_nc_u64_e32 v[20:21], 1, v[20:21]
	v_dual_cndmask_b32 v26, v26, v15, s0 :: v_dual_cndmask_b32 v28, v27, v14, s0
	s_delay_alu instid0(VALU_DEP_1) | instskip(SKIP_1) | instid1(VALU_DEP_1)
	v_dual_cndmask_b32 v27, v26, v17 :: v_dual_cndmask_b32 v26, v28, v16
	s_wait_dscnt 0x0
	v_fmac_f64_e32 v[18:19], v[26:27], v[24:25]
	s_delay_alu instid0(VALU_DEP_4) | instskip(NEXT) | instid1(VALU_DEP_1)
	v_add_nc_u32_e32 v24, -1, v20
	v_cmp_lt_u32_e32 vcc_lo, 2, v24
	s_or_b32 s2, vcc_lo, s2
	s_delay_alu instid0(SALU_CYCLE_1)
	s_and_not1_b32 exec_lo, exec_lo, s2
	s_cbranch_execnz .LBB7_29
; %bb.30:
	s_or_b32 exec_lo, exec_lo, s2
	v_mov_b32_e32 v10, 0
	ds_load_b64 v[10:11], v10 offset:32
	s_wait_dscnt 0x0
	v_mul_f64_e32 v[10:11], v[18:19], v[10:11]
.LBB7_31:
	;; [unrolled: 54-line block ×4, first 2 shown]
	s_or_b32 exec_lo, exec_lo, s1
	s_delay_alu instid0(SALU_CYCLE_1)
	s_mov_b32 s1, exec_lo
	s_barrier_signal -1
	s_barrier_wait -1
	ds_store_b64 v22, v[16:17]
	s_wait_dscnt 0x0
	s_barrier_signal -1
	s_barrier_wait -1
	v_cmpx_ne_u32_e32 7, v0
	s_cbranch_execz .LBB7_43
; %bb.40:
	v_mov_b64_e32 v[18:19], 0
	v_mov_b64_e32 v[20:21], v[0:1]
	v_lshl_add_u32 v22, v0, 3, 64
	s_mov_b32 s2, 0
.LBB7_41:                               ; =>This Inner Loop Header: Depth=1
	s_delay_alu instid0(VALU_DEP_2)
	v_cmp_eq_u32_e32 vcc_lo, 1, v20
	v_cmp_eq_u32_e64 s0, 2, v20
	ds_load_b64 v[24:25], v22
	v_dual_cndmask_b32 v1, v3, v5 :: v_dual_add_nc_u32 v22, 8, v22
	v_cndmask_b32_e32 v23, v2, v4, vcc_lo
	v_cmp_eq_u32_e32 vcc_lo, 3, v20
	s_delay_alu instid0(VALU_DEP_2) | instskip(SKIP_1) | instid1(VALU_DEP_2)
	v_dual_cndmask_b32 v1, v1, v7, s0 :: v_dual_cndmask_b32 v23, v23, v6, s0
	v_cmp_eq_u32_e64 s0, 4, v20
	v_dual_cndmask_b32 v1, v1, v9, vcc_lo :: v_dual_cndmask_b32 v23, v23, v8, vcc_lo
	v_cmp_eq_u32_e32 vcc_lo, 5, v20
	s_delay_alu instid0(VALU_DEP_2) | instskip(SKIP_1) | instid1(VALU_DEP_2)
	v_dual_cndmask_b32 v1, v1, v11, s0 :: v_dual_cndmask_b32 v23, v23, v10, s0
	v_cmp_eq_u32_e64 s0, 6, v20
	v_dual_cndmask_b32 v1, v1, v13, vcc_lo :: v_dual_cndmask_b32 v23, v23, v12, vcc_lo
	v_cmp_eq_u32_e32 vcc_lo, 7, v20
	v_add_nc_u64_e32 v[20:21], 1, v[20:21]
	s_delay_alu instid0(VALU_DEP_3) | instskip(NEXT) | instid1(VALU_DEP_1)
	v_dual_cndmask_b32 v1, v1, v15, s0 :: v_dual_cndmask_b32 v23, v23, v14, s0
	v_dual_cndmask_b32 v27, v1, v17 :: v_dual_cndmask_b32 v26, v23, v16
	s_delay_alu instid0(VALU_DEP_3) | instskip(SKIP_1) | instid1(VALU_DEP_2)
	v_add_nc_u32_e32 v1, -1, v20
	s_wait_dscnt 0x0
	v_fmac_f64_e32 v[18:19], v[26:27], v[24:25]
	s_delay_alu instid0(VALU_DEP_2) | instskip(SKIP_1) | instid1(SALU_CYCLE_1)
	v_cmp_lt_u32_e32 vcc_lo, 5, v1
	s_or_b32 s2, vcc_lo, s2
	s_and_not1_b32 exec_lo, exec_lo, s2
	s_cbranch_execnz .LBB7_41
; %bb.42:
	s_or_b32 exec_lo, exec_lo, s2
	v_mov_b32_e32 v1, 0
	ds_load_b64 v[16:17], v1 offset:56
	s_wait_dscnt 0x0
	v_mul_f64_e32 v[16:17], v[18:19], v[16:17]
.LBB7_43:
	s_or_b32 exec_lo, exec_lo, s1
	s_barrier_signal -1
	s_barrier_wait -1
	s_cbranch_execnz .LBB7_15
	s_branch .LBB7_16
.LBB7_44:
	s_wait_xcnt 0x0
	v_lshl_add_u32 v1, v0, 3, 64
	s_mov_b32 s0, exec_lo
	v_cmpx_eq_u32_e32 7, v0
	s_cbranch_execz .LBB7_46
; %bb.45:
	v_mov_b64_e32 v[30:31], v[16:17]
	v_mov_b64_e32 v[28:29], v[14:15]
	v_mov_b64_e32 v[26:27], v[12:13]
	v_mov_b64_e32 v[24:25], v[10:11]
	v_mov_b64_e32 v[22:23], v[8:9]
	v_mov_b64_e32 v[20:21], v[6:7]
	v_mov_b64_e32 v[18:19], v[4:5]
	v_mov_b64_e32 v[16:17], v[2:3]
	s_mov_b32 s1, 0
	ds_store_b64 v1, v[14:15]
	v_dual_mov_b32 v28, s1 :: v_dual_mov_b32 v29, s1
	v_mov_b64_e32 v[2:3], v[16:17]
	v_mov_b64_e32 v[4:5], v[18:19]
	;; [unrolled: 1-line block ×8, first 2 shown]
.LBB7_46:
	s_or_b32 exec_lo, exec_lo, s0
	v_mov_b32_e32 v30, 0
	s_wait_storecnt_dscnt 0x0
	s_barrier_signal -1
	s_barrier_wait -1
	ds_load_b64 v[18:19], v30 offset:120
	s_mov_b32 s0, exec_lo
	s_wait_dscnt 0x0
	v_fma_f64 v[18:19], v[16:17], v[18:19], 0
	s_delay_alu instid0(VALU_DEP_1)
	v_add_f64_e64 v[14:15], v[14:15], -v[18:19]
	v_cmpx_lt_u32_e32 5, v0
	s_cbranch_execz .LBB7_48
; %bb.47:
	v_mov_b64_e32 v[28:29], v[16:17]
	s_delay_alu instid0(VALU_DEP_3)
	v_mov_b64_e32 v[26:27], v[14:15]
	v_mov_b64_e32 v[24:25], v[12:13]
	;; [unrolled: 1-line block ×7, first 2 shown]
	s_mov_b32 s1, 0
	ds_store_b64 v1, v[12:13]
	v_dual_mov_b32 v24, s1 :: v_dual_mov_b32 v25, s1
	v_mov_b64_e32 v[2:3], v[14:15]
	v_mov_b64_e32 v[4:5], v[16:17]
	;; [unrolled: 1-line block ×8, first 2 shown]
.LBB7_48:
	s_or_b32 exec_lo, exec_lo, s0
	s_wait_dscnt 0x0
	s_barrier_signal -1
	s_barrier_wait -1
	ds_load_b128 v[18:21], v30 offset:112
	s_mov_b32 s0, exec_lo
	s_wait_dscnt 0x0
	v_fma_f64 v[18:19], v[14:15], v[18:19], 0
	s_delay_alu instid0(VALU_DEP_1) | instskip(NEXT) | instid1(VALU_DEP_1)
	v_fmac_f64_e32 v[18:19], v[16:17], v[20:21]
	v_add_f64_e64 v[12:13], v[12:13], -v[18:19]
	v_cmpx_lt_u32_e32 4, v0
	s_cbranch_execz .LBB7_50
; %bb.49:
	v_mov_b64_e32 v[26:27], v[16:17]
	v_mov_b64_e32 v[24:25], v[14:15]
	s_delay_alu instid0(VALU_DEP_4)
	v_mov_b64_e32 v[22:23], v[12:13]
	v_mov_b64_e32 v[20:21], v[10:11]
	;; [unrolled: 1-line block ×6, first 2 shown]
	s_mov_b32 s1, 0
	ds_store_b64 v1, v[10:11]
	v_dual_mov_b32 v20, s1 :: v_dual_mov_b32 v21, s1
	v_mov_b64_e32 v[2:3], v[12:13]
	v_mov_b64_e32 v[4:5], v[14:15]
	;; [unrolled: 1-line block ×8, first 2 shown]
.LBB7_50:
	s_or_b32 exec_lo, exec_lo, s0
	v_mov_b32_e32 v26, 0
	s_wait_dscnt 0x0
	s_barrier_signal -1
	s_barrier_wait -1
	ds_load_2addr_b64 v[18:21], v26 offset0:13 offset1:14
	ds_load_b64 v[22:23], v26 offset:120
	s_mov_b32 s0, exec_lo
	s_wait_dscnt 0x1
	v_fma_f64 v[18:19], v[12:13], v[18:19], 0
	s_delay_alu instid0(VALU_DEP_1) | instskip(SKIP_1) | instid1(VALU_DEP_1)
	v_fmac_f64_e32 v[18:19], v[14:15], v[20:21]
	s_wait_dscnt 0x0
	v_fmac_f64_e32 v[18:19], v[16:17], v[22:23]
	s_delay_alu instid0(VALU_DEP_1)
	v_add_f64_e64 v[10:11], v[10:11], -v[18:19]
	v_cmpx_lt_u32_e32 3, v0
	s_cbranch_execz .LBB7_52
; %bb.51:
	v_mov_b64_e32 v[24:25], v[16:17]
	v_mov_b64_e32 v[22:23], v[14:15]
	;; [unrolled: 1-line block ×8, first 2 shown]
	s_mov_b32 s1, 0
	ds_store_b64 v1, v[8:9]
	v_dual_mov_b32 v16, s1 :: v_dual_mov_b32 v17, s1
	v_mov_b64_e32 v[2:3], v[10:11]
	v_mov_b64_e32 v[4:5], v[12:13]
	;; [unrolled: 1-line block ×3, first 2 shown]
	s_delay_alu instid0(VALU_DEP_4)
	v_mov_b64_e32 v[8:9], v[16:17]
	v_mov_b64_e32 v[10:11], v[18:19]
	;; [unrolled: 1-line block ×5, first 2 shown]
.LBB7_52:
	s_or_b32 exec_lo, exec_lo, s0
	s_wait_dscnt 0x0
	s_barrier_signal -1
	s_barrier_wait -1
	ds_load_b128 v[18:21], v26 offset:96
	ds_load_b128 v[22:25], v26 offset:112
	s_mov_b32 s0, exec_lo
	s_wait_dscnt 0x1
	v_fma_f64 v[18:19], v[10:11], v[18:19], 0
	s_delay_alu instid0(VALU_DEP_1) | instskip(SKIP_1) | instid1(VALU_DEP_1)
	v_fmac_f64_e32 v[18:19], v[12:13], v[20:21]
	s_wait_dscnt 0x0
	v_fmac_f64_e32 v[18:19], v[14:15], v[22:23]
	s_delay_alu instid0(VALU_DEP_1) | instskip(NEXT) | instid1(VALU_DEP_1)
	v_fmac_f64_e32 v[18:19], v[16:17], v[24:25]
	v_add_f64_e64 v[8:9], v[8:9], -v[18:19]
	v_cmpx_lt_u32_e32 2, v0
	s_cbranch_execz .LBB7_54
; %bb.53:
	v_mov_b64_e32 v[22:23], v[16:17]
	v_mov_b64_e32 v[20:21], v[14:15]
	v_mov_b64_e32 v[18:19], v[12:13]
	v_mov_b64_e32 v[16:17], v[10:11]
	v_mov_b64_e32 v[14:15], v[8:9]
	v_mov_b64_e32 v[12:13], v[6:7]
	v_mov_b64_e32 v[10:11], v[4:5]
	v_mov_b64_e32 v[8:9], v[2:3]
	s_mov_b32 s1, 0
	ds_store_b64 v1, v[6:7]
	v_dual_mov_b32 v12, s1 :: v_dual_mov_b32 v13, s1
	v_mov_b64_e32 v[2:3], v[8:9]
	v_mov_b64_e32 v[4:5], v[10:11]
	s_delay_alu instid0(VALU_DEP_3)
	v_mov_b64_e32 v[6:7], v[12:13]
	v_mov_b64_e32 v[8:9], v[14:15]
	;; [unrolled: 1-line block ×6, first 2 shown]
.LBB7_54:
	s_or_b32 exec_lo, exec_lo, s0
	v_mov_b32_e32 v22, 0
	s_wait_dscnt 0x0
	s_barrier_signal -1
	s_barrier_wait -1
	ds_load_2addr_b64 v[18:21], v22 offset0:11 offset1:12
	ds_load_2addr_b64 v[24:27], v22 offset0:13 offset1:14
	s_mov_b32 s0, exec_lo
	s_wait_dscnt 0x1
	v_fma_f64 v[18:19], v[8:9], v[18:19], 0
	s_delay_alu instid0(VALU_DEP_1) | instskip(SKIP_3) | instid1(VALU_DEP_1)
	v_fmac_f64_e32 v[18:19], v[10:11], v[20:21]
	ds_load_b64 v[20:21], v22 offset:120
	s_wait_dscnt 0x1
	v_fmac_f64_e32 v[18:19], v[12:13], v[24:25]
	v_fmac_f64_e32 v[18:19], v[14:15], v[26:27]
	s_wait_dscnt 0x0
	s_delay_alu instid0(VALU_DEP_1) | instskip(NEXT) | instid1(VALU_DEP_1)
	v_fmac_f64_e32 v[18:19], v[16:17], v[20:21]
	v_add_f64_e64 v[6:7], v[6:7], -v[18:19]
	v_cmpx_lt_u32_e32 1, v0
	s_cbranch_execz .LBB7_56
; %bb.55:
	v_mov_b64_e32 v[20:21], v[16:17]
	v_mov_b64_e32 v[18:19], v[14:15]
	;; [unrolled: 1-line block ×8, first 2 shown]
	s_mov_b32 s1, 0
	ds_store_b64 v1, v[4:5]
	v_dual_mov_b32 v8, s1 :: v_dual_mov_b32 v9, s1
	v_mov_b64_e32 v[2:3], v[6:7]
	s_delay_alu instid0(VALU_DEP_2)
	v_mov_b64_e32 v[4:5], v[8:9]
	v_mov_b64_e32 v[6:7], v[10:11]
	;; [unrolled: 1-line block ×7, first 2 shown]
.LBB7_56:
	s_or_b32 exec_lo, exec_lo, s0
	s_wait_dscnt 0x0
	s_barrier_signal -1
	s_barrier_wait -1
	ds_load_b128 v[18:21], v22 offset:80
	ds_load_b128 v[24:27], v22 offset:96
	v_dual_ashrrev_i32 v33, 31, v32 :: v_dual_ashrrev_i32 v43, 31, v42
	v_dual_ashrrev_i32 v41, 31, v40 :: v_dual_ashrrev_i32 v47, 31, v46
	v_ashrrev_i32_e32 v45, 31, v44
	s_mov_b32 s1, 0
	s_mov_b32 s0, exec_lo
	v_ashrrev_i32_e32 v39, 31, v38
	s_wait_dscnt 0x1
	v_fma_f64 v[28:29], v[6:7], v[18:19], 0
	s_delay_alu instid0(VALU_DEP_1) | instskip(SKIP_3) | instid1(VALU_DEP_1)
	v_fmac_f64_e32 v[28:29], v[8:9], v[20:21]
	ds_load_b128 v[18:21], v22 offset:112
	s_wait_dscnt 0x1
	v_fmac_f64_e32 v[28:29], v[10:11], v[24:25]
	v_fmac_f64_e32 v[28:29], v[12:13], v[26:27]
	s_wait_dscnt 0x0
	s_delay_alu instid0(VALU_DEP_1) | instskip(NEXT) | instid1(VALU_DEP_1)
	v_fmac_f64_e32 v[28:29], v[14:15], v[18:19]
	v_fmac_f64_e32 v[28:29], v[16:17], v[20:21]
	s_delay_alu instid0(VALU_DEP_1)
	v_add_f64_e64 v[4:5], v[4:5], -v[28:29]
	v_cmpx_ne_u32_e32 0, v0
	s_cbranch_execz .LBB7_58
; %bb.57:
	v_mov_b64_e32 v[18:19], v[16:17]
	v_mov_b64_e32 v[16:17], v[14:15]
	;; [unrolled: 1-line block ×8, first 2 shown]
	v_dual_mov_b32 v4, s1 :: v_dual_mov_b32 v5, s1
	ds_store_b64 v1, v[2:3]
	v_mov_b64_e32 v[2:3], v[4:5]
	v_mov_b64_e32 v[4:5], v[6:7]
	;; [unrolled: 1-line block ×8, first 2 shown]
.LBB7_58:
	s_or_b32 exec_lo, exec_lo, s0
	v_mov_b32_e32 v0, 0
	s_wait_dscnt 0x0
	s_barrier_signal -1
	s_barrier_wait -1
	ds_load_2addr_b64 v[18:21], v0 offset0:9 offset1:10
	ds_load_2addr_b64 v[22:25], v0 offset0:11 offset1:12
	s_and_b32 vcc_lo, exec_lo, s20
	s_wait_dscnt 0x1
	v_fma_f64 v[26:27], v[4:5], v[18:19], 0
	s_delay_alu instid0(VALU_DEP_1) | instskip(SKIP_1) | instid1(VALU_DEP_1)
	v_fmac_f64_e32 v[26:27], v[6:7], v[20:21]
	s_wait_dscnt 0x0
	v_fmac_f64_e32 v[26:27], v[8:9], v[22:23]
	ds_load_2addr_b64 v[18:21], v0 offset0:13 offset1:14
	ds_load_b64 v[22:23], v0 offset:120
	v_fmac_f64_e32 v[26:27], v[10:11], v[24:25]
	s_wait_dscnt 0x1
	s_delay_alu instid0(VALU_DEP_1) | instskip(NEXT) | instid1(VALU_DEP_1)
	v_fmac_f64_e32 v[26:27], v[12:13], v[18:19]
	v_fmac_f64_e32 v[26:27], v[14:15], v[20:21]
	s_wait_dscnt 0x0
	s_delay_alu instid0(VALU_DEP_1) | instskip(NEXT) | instid1(VALU_DEP_1)
	v_fmac_f64_e32 v[26:27], v[16:17], v[22:23]
	v_add_f64_e64 v[2:3], v[2:3], -v[26:27]
	s_cbranch_vccz .LBB7_73
; %bb.59:
	global_load_b32 v0, v0, s[16:17] offset:24
	s_wait_loadcnt 0x0
	v_readfirstlane_b32 s0, v0
	s_add_co_i32 s0, s0, -1
	s_delay_alu instid0(SALU_CYCLE_1)
	s_cmp_lg_u32 s0, 6
	s_cbranch_scc0 .LBB7_61
; %bb.60:
	s_lshl_b32 m0, s0, 1
	v_movrels_b32_e32 v0, v2
	v_movrels_b32_e32 v1, v3
	v_mov_b64_e32 v[30:31], v[16:17]
	v_mov_b64_e32 v[28:29], v[14:15]
	;; [unrolled: 1-line block ×8, first 2 shown]
	v_dual_mov_b32 v28, v0 :: v_dual_mov_b32 v29, v1
	s_delay_alu instid0(VALU_DEP_2) | instskip(NEXT) | instid1(VALU_DEP_3)
	v_movreld_b32_e32 v16, v14
	v_movreld_b32_e32 v17, v15
	v_mov_b64_e32 v[2:3], v[16:17]
	v_mov_b64_e32 v[4:5], v[18:19]
	;; [unrolled: 1-line block ×8, first 2 shown]
.LBB7_61:
	v_mov_b32_e32 v0, 0
	global_load_b32 v1, v0, s[16:17] offset:20
	s_wait_loadcnt 0x0
	v_readfirstlane_b32 s0, v1
	s_add_co_i32 s0, s0, -1
	s_delay_alu instid0(SALU_CYCLE_1)
	s_cmp_eq_u32 s0, 5
	s_cbranch_scc1 .LBB7_63
; %bb.62:
	s_lshl_b32 m0, s0, 1
	v_movrels_b32_e32 v1, v2
	v_movrels_b32_e32 v30, v3
	v_mov_b64_e32 v[28:29], v[16:17]
	v_mov_b64_e32 v[26:27], v[14:15]
	;; [unrolled: 1-line block ×8, first 2 shown]
	v_dual_mov_b32 v24, v1 :: v_dual_mov_b32 v25, v30
	s_delay_alu instid0(VALU_DEP_2) | instskip(NEXT) | instid1(VALU_DEP_3)
	v_movreld_b32_e32 v14, v12
	v_movreld_b32_e32 v15, v13
	v_mov_b64_e32 v[2:3], v[14:15]
	v_mov_b64_e32 v[4:5], v[16:17]
	;; [unrolled: 1-line block ×8, first 2 shown]
.LBB7_63:
	global_load_b32 v0, v0, s[16:17] offset:16
	s_wait_loadcnt 0x0
	v_readfirstlane_b32 s0, v0
	s_add_co_i32 s0, s0, -1
	s_delay_alu instid0(SALU_CYCLE_1)
	s_cmp_eq_u32 s0, 4
	s_cbranch_scc1 .LBB7_65
; %bb.64:
	s_lshl_b32 m0, s0, 1
	v_movrels_b32_e32 v0, v2
	v_movrels_b32_e32 v1, v3
	v_mov_b64_e32 v[26:27], v[16:17]
	v_mov_b64_e32 v[24:25], v[14:15]
	;; [unrolled: 1-line block ×8, first 2 shown]
	v_dual_mov_b32 v20, v0 :: v_dual_mov_b32 v21, v1
	s_delay_alu instid0(VALU_DEP_2) | instskip(NEXT) | instid1(VALU_DEP_3)
	v_movreld_b32_e32 v12, v10
	v_movreld_b32_e32 v13, v11
	v_mov_b64_e32 v[2:3], v[12:13]
	v_mov_b64_e32 v[4:5], v[14:15]
	;; [unrolled: 1-line block ×8, first 2 shown]
.LBB7_65:
	v_mov_b32_e32 v0, 0
	global_load_b32 v1, v0, s[16:17] offset:12
	s_wait_loadcnt 0x0
	v_readfirstlane_b32 s0, v1
	s_add_co_i32 s0, s0, -1
	s_delay_alu instid0(SALU_CYCLE_1)
	s_cmp_eq_u32 s0, 3
	s_cbranch_scc1 .LBB7_67
; %bb.66:
	s_lshl_b32 m0, s0, 1
	v_movrels_b32_e32 v1, v2
	v_movrels_b32_e32 v26, v3
	v_mov_b64_e32 v[24:25], v[16:17]
	v_mov_b64_e32 v[22:23], v[14:15]
	;; [unrolled: 1-line block ×8, first 2 shown]
	v_dual_mov_b32 v16, v1 :: v_dual_mov_b32 v17, v26
	s_delay_alu instid0(VALU_DEP_2) | instskip(NEXT) | instid1(VALU_DEP_3)
	v_movreld_b32_e32 v10, v8
	v_movreld_b32_e32 v11, v9
	v_mov_b64_e32 v[2:3], v[10:11]
	v_mov_b64_e32 v[4:5], v[12:13]
	;; [unrolled: 1-line block ×8, first 2 shown]
.LBB7_67:
	global_load_b32 v0, v0, s[16:17] offset:8
	s_wait_loadcnt 0x0
	v_readfirstlane_b32 s0, v0
	s_add_co_i32 s0, s0, -1
	s_delay_alu instid0(SALU_CYCLE_1)
	s_cmp_eq_u32 s0, 2
	s_cbranch_scc1 .LBB7_69
; %bb.68:
	s_lshl_b32 m0, s0, 1
	v_movrels_b32_e32 v0, v2
	v_movrels_b32_e32 v1, v3
	v_mov_b64_e32 v[22:23], v[16:17]
	v_mov_b64_e32 v[20:21], v[14:15]
	v_mov_b64_e32 v[18:19], v[12:13]
	v_mov_b64_e32 v[16:17], v[10:11]
	v_mov_b64_e32 v[14:15], v[8:9]
	v_mov_b64_e32 v[12:13], v[6:7]
	v_mov_b64_e32 v[10:11], v[4:5]
	v_mov_b64_e32 v[8:9], v[2:3]
	v_dual_mov_b32 v12, v0 :: v_dual_mov_b32 v13, v1
	s_delay_alu instid0(VALU_DEP_2) | instskip(NEXT) | instid1(VALU_DEP_3)
	v_movreld_b32_e32 v8, v6
	v_movreld_b32_e32 v9, v7
	v_mov_b64_e32 v[2:3], v[8:9]
	v_mov_b64_e32 v[4:5], v[10:11]
	;; [unrolled: 1-line block ×8, first 2 shown]
.LBB7_69:
	v_mov_b32_e32 v0, 0
	global_load_b32 v1, v0, s[16:17] offset:4
	s_wait_loadcnt 0x0
	v_readfirstlane_b32 s0, v1
	s_add_co_i32 s0, s0, -1
	s_delay_alu instid0(SALU_CYCLE_1)
	s_cmp_eq_u32 s0, 1
	s_cbranch_scc1 .LBB7_71
; %bb.70:
	s_lshl_b32 m0, s0, 1
	v_movrels_b32_e32 v1, v2
	v_movrels_b32_e32 v22, v3
	v_mov_b64_e32 v[20:21], v[16:17]
	v_mov_b64_e32 v[18:19], v[14:15]
	;; [unrolled: 1-line block ×8, first 2 shown]
	v_dual_mov_b32 v8, v1 :: v_dual_mov_b32 v9, v22
	s_delay_alu instid0(VALU_DEP_2) | instskip(NEXT) | instid1(VALU_DEP_3)
	v_movreld_b32_e32 v6, v4
	v_movreld_b32_e32 v7, v5
	v_mov_b64_e32 v[2:3], v[6:7]
	s_delay_alu instid0(VALU_DEP_4)
	v_mov_b64_e32 v[4:5], v[8:9]
	v_mov_b64_e32 v[6:7], v[10:11]
	v_mov_b64_e32 v[8:9], v[12:13]
	v_mov_b64_e32 v[10:11], v[14:15]
	v_mov_b64_e32 v[12:13], v[16:17]
	v_mov_b64_e32 v[14:15], v[18:19]
	v_mov_b64_e32 v[16:17], v[20:21]
.LBB7_71:
	global_load_b32 v0, v0, s[16:17]
	s_wait_loadcnt 0x0
	v_readfirstlane_b32 s0, v0
	s_add_co_i32 s0, s0, -1
	s_delay_alu instid0(SALU_CYCLE_1)
	s_cmp_eq_u32 s0, 0
	s_cbranch_scc1 .LBB7_73
; %bb.72:
	s_lshl_b32 m0, s0, 1
	v_movrels_b32_e32 v0, v2
	v_movrels_b32_e32 v1, v3
	v_mov_b64_e32 v[18:19], v[16:17]
	v_mov_b64_e32 v[16:17], v[14:15]
	;; [unrolled: 1-line block ×8, first 2 shown]
	v_dual_mov_b32 v4, v0 :: v_dual_mov_b32 v5, v1
	s_delay_alu instid0(VALU_DEP_1) | instskip(NEXT) | instid1(VALU_DEP_2)
	v_movreld_b32_e32 v4, v2
	v_movreld_b32_e32 v5, v3
	v_mov_b64_e32 v[2:3], v[4:5]
	v_mov_b64_e32 v[4:5], v[6:7]
	;; [unrolled: 1-line block ×8, first 2 shown]
.LBB7_73:
	v_lshl_add_u64 v[26:27], v[32:33], 3, s[8:9]
	v_lshl_add_u64 v[24:25], v[38:39], 3, s[8:9]
	;; [unrolled: 1-line block ×6, first 2 shown]
	s_clause 0x7
	global_store_b64 v[34:35], v[2:3], off
	global_store_b64 v[36:37], v[4:5], off
	global_store_b64 v[26:27], v[6:7], off
	global_store_b64 v[24:25], v[8:9], off
	global_store_b64 v[22:23], v[10:11], off
	global_store_b64 v[20:21], v[12:13], off
	global_store_b64 v[18:19], v[14:15], off
	global_store_b64 v[0:1], v[16:17], off
	s_endpgm
	.section	.rodata,"a",@progbits
	.p2align	6, 0x0
	.amdhsa_kernel _ZN9rocsolver6v33100L18getri_kernel_smallILi8EdPdEEvT1_iilPiilS4_bb
		.amdhsa_group_segment_fixed_size 136
		.amdhsa_private_segment_fixed_size 0
		.amdhsa_kernarg_size 60
		.amdhsa_user_sgpr_count 2
		.amdhsa_user_sgpr_dispatch_ptr 0
		.amdhsa_user_sgpr_queue_ptr 0
		.amdhsa_user_sgpr_kernarg_segment_ptr 1
		.amdhsa_user_sgpr_dispatch_id 0
		.amdhsa_user_sgpr_kernarg_preload_length 0
		.amdhsa_user_sgpr_kernarg_preload_offset 0
		.amdhsa_user_sgpr_private_segment_size 0
		.amdhsa_wavefront_size32 1
		.amdhsa_uses_dynamic_stack 0
		.amdhsa_enable_private_segment 0
		.amdhsa_system_sgpr_workgroup_id_x 1
		.amdhsa_system_sgpr_workgroup_id_y 0
		.amdhsa_system_sgpr_workgroup_id_z 0
		.amdhsa_system_sgpr_workgroup_info 0
		.amdhsa_system_vgpr_workitem_id 0
		.amdhsa_next_free_vgpr 48
		.amdhsa_next_free_sgpr 21
		.amdhsa_named_barrier_count 0
		.amdhsa_reserve_vcc 1
		.amdhsa_float_round_mode_32 0
		.amdhsa_float_round_mode_16_64 0
		.amdhsa_float_denorm_mode_32 3
		.amdhsa_float_denorm_mode_16_64 3
		.amdhsa_fp16_overflow 0
		.amdhsa_memory_ordered 1
		.amdhsa_forward_progress 1
		.amdhsa_inst_pref_size 41
		.amdhsa_round_robin_scheduling 0
		.amdhsa_exception_fp_ieee_invalid_op 0
		.amdhsa_exception_fp_denorm_src 0
		.amdhsa_exception_fp_ieee_div_zero 0
		.amdhsa_exception_fp_ieee_overflow 0
		.amdhsa_exception_fp_ieee_underflow 0
		.amdhsa_exception_fp_ieee_inexact 0
		.amdhsa_exception_int_div_zero 0
	.end_amdhsa_kernel
	.section	.text._ZN9rocsolver6v33100L18getri_kernel_smallILi8EdPdEEvT1_iilPiilS4_bb,"axG",@progbits,_ZN9rocsolver6v33100L18getri_kernel_smallILi8EdPdEEvT1_iilPiilS4_bb,comdat
.Lfunc_end7:
	.size	_ZN9rocsolver6v33100L18getri_kernel_smallILi8EdPdEEvT1_iilPiilS4_bb, .Lfunc_end7-_ZN9rocsolver6v33100L18getri_kernel_smallILi8EdPdEEvT1_iilPiilS4_bb
                                        ; -- End function
	.set _ZN9rocsolver6v33100L18getri_kernel_smallILi8EdPdEEvT1_iilPiilS4_bb.num_vgpr, 48
	.set _ZN9rocsolver6v33100L18getri_kernel_smallILi8EdPdEEvT1_iilPiilS4_bb.num_agpr, 0
	.set _ZN9rocsolver6v33100L18getri_kernel_smallILi8EdPdEEvT1_iilPiilS4_bb.numbered_sgpr, 21
	.set _ZN9rocsolver6v33100L18getri_kernel_smallILi8EdPdEEvT1_iilPiilS4_bb.num_named_barrier, 0
	.set _ZN9rocsolver6v33100L18getri_kernel_smallILi8EdPdEEvT1_iilPiilS4_bb.private_seg_size, 0
	.set _ZN9rocsolver6v33100L18getri_kernel_smallILi8EdPdEEvT1_iilPiilS4_bb.uses_vcc, 1
	.set _ZN9rocsolver6v33100L18getri_kernel_smallILi8EdPdEEvT1_iilPiilS4_bb.uses_flat_scratch, 0
	.set _ZN9rocsolver6v33100L18getri_kernel_smallILi8EdPdEEvT1_iilPiilS4_bb.has_dyn_sized_stack, 0
	.set _ZN9rocsolver6v33100L18getri_kernel_smallILi8EdPdEEvT1_iilPiilS4_bb.has_recursion, 0
	.set _ZN9rocsolver6v33100L18getri_kernel_smallILi8EdPdEEvT1_iilPiilS4_bb.has_indirect_call, 0
	.section	.AMDGPU.csdata,"",@progbits
; Kernel info:
; codeLenInByte = 5156
; TotalNumSgprs: 23
; NumVgprs: 48
; ScratchSize: 0
; MemoryBound: 0
; FloatMode: 240
; IeeeMode: 1
; LDSByteSize: 136 bytes/workgroup (compile time only)
; SGPRBlocks: 0
; VGPRBlocks: 2
; NumSGPRsForWavesPerEU: 23
; NumVGPRsForWavesPerEU: 48
; NamedBarCnt: 0
; Occupancy: 16
; WaveLimiterHint : 0
; COMPUTE_PGM_RSRC2:SCRATCH_EN: 0
; COMPUTE_PGM_RSRC2:USER_SGPR: 2
; COMPUTE_PGM_RSRC2:TRAP_HANDLER: 0
; COMPUTE_PGM_RSRC2:TGID_X_EN: 1
; COMPUTE_PGM_RSRC2:TGID_Y_EN: 0
; COMPUTE_PGM_RSRC2:TGID_Z_EN: 0
; COMPUTE_PGM_RSRC2:TIDIG_COMP_CNT: 0
	.section	.text._ZN9rocsolver6v33100L18getri_kernel_smallILi9EdPdEEvT1_iilPiilS4_bb,"axG",@progbits,_ZN9rocsolver6v33100L18getri_kernel_smallILi9EdPdEEvT1_iilPiilS4_bb,comdat
	.globl	_ZN9rocsolver6v33100L18getri_kernel_smallILi9EdPdEEvT1_iilPiilS4_bb ; -- Begin function _ZN9rocsolver6v33100L18getri_kernel_smallILi9EdPdEEvT1_iilPiilS4_bb
	.p2align	8
	.type	_ZN9rocsolver6v33100L18getri_kernel_smallILi9EdPdEEvT1_iilPiilS4_bb,@function
_ZN9rocsolver6v33100L18getri_kernel_smallILi9EdPdEEvT1_iilPiilS4_bb: ; @_ZN9rocsolver6v33100L18getri_kernel_smallILi9EdPdEEvT1_iilPiilS4_bb
; %bb.0:
	s_mov_b32 s2, exec_lo
	v_cmpx_gt_u32_e32 9, v0
	s_cbranch_execz .LBB8_16
; %bb.1:
	s_clause 0x2
	s_load_b32 s2, s[0:1], 0x38
	s_load_b128 s[4:7], s[0:1], 0x10
	s_load_b128 s[8:11], s[0:1], 0x28
	s_getreg_b32 s13, hwreg(HW_REG_IB_STS2, 6, 4)
                                        ; implicit-def: $sgpr16_sgpr17
	s_wait_kmcnt 0x0
	s_bitcmp1_b32 s2, 8
	s_cselect_b32 s20, -1, 0
	s_bfe_u32 s3, ttmp6, 0x4000c
	s_and_b32 s12, ttmp6, 15
	s_add_co_i32 s3, s3, 1
	s_delay_alu instid0(SALU_CYCLE_1) | instskip(NEXT) | instid1(SALU_CYCLE_1)
	s_mul_i32 s3, ttmp9, s3
	s_add_co_i32 s12, s12, s3
	s_cmp_eq_u32 s13, 0
	s_cselect_b32 s18, ttmp9, s12
	s_bfe_u32 s2, s2, 0x10008
	s_ashr_i32 s19, s18, 31
	s_cmp_eq_u32 s2, 0
	s_cbranch_scc1 .LBB8_3
; %bb.2:
	s_load_b32 s2, s[0:1], 0x20
	s_mul_u64 s[8:9], s[8:9], s[18:19]
	s_delay_alu instid0(SALU_CYCLE_1) | instskip(NEXT) | instid1(SALU_CYCLE_1)
	s_lshl_b64 s[8:9], s[8:9], 2
	s_add_nc_u64 s[6:7], s[6:7], s[8:9]
	s_wait_kmcnt 0x0
	s_ashr_i32 s3, s2, 31
	s_delay_alu instid0(SALU_CYCLE_1) | instskip(NEXT) | instid1(SALU_CYCLE_1)
	s_lshl_b64 s[2:3], s[2:3], 2
	s_add_nc_u64 s[16:17], s[6:7], s[2:3]
.LBB8_3:
	s_clause 0x1
	s_load_b128 s[12:15], s[0:1], 0x0
	s_load_b32 s6, s[0:1], 0x38
	v_dual_mov_b32 v1, 0 :: v_dual_lshlrev_b32 v20, 3, v0
	s_wait_xcnt 0x0
	s_mul_u64 s[0:1], s[4:5], s[18:19]
	s_delay_alu instid0(SALU_CYCLE_1) | instskip(NEXT) | instid1(VALU_DEP_1)
	s_lshl_b64 s[0:1], s[0:1], 3
	v_mov_b32_e32 v21, v1
	s_wait_kmcnt 0x0
	v_add3_u32 v52, s15, s15, v0
	s_ashr_i32 s3, s14, 31
	s_mov_b32 s2, s14
	s_add_nc_u64 s[0:1], s[12:13], s[0:1]
	s_lshl_b64 s[2:3], s[2:3], 3
	v_add_nc_u32_e32 v54, s15, v52
	s_add_nc_u64 s[12:13], s[0:1], s[2:3]
	s_ashr_i32 s1, s15, 31
	s_mov_b32 s0, s15
	s_bitcmp0_b32 s6, 0
	v_add_nc_u32_e32 v60, s15, v54
	v_add_nc_u64_e32 v[56:57], s[12:13], v[20:21]
	s_delay_alu instid0(VALU_DEP_2) | instskip(NEXT) | instid1(VALU_DEP_2)
	v_add_nc_u32_e32 v62, s15, v60
	v_lshl_add_u64 v[58:59], s[0:1], 3, v[56:57]
	s_mov_b32 s0, -1
	s_delay_alu instid0(VALU_DEP_2) | instskip(SKIP_2) | instid1(VALU_DEP_1)
	v_add_nc_u32_e32 v64, s15, v62
	global_load_b64 v[4:5], v[58:59], off
	v_add_nc_u32_e32 v66, s15, v64
	v_add_nc_u32_e32 v68, s15, v66
	s_clause 0x7
	global_load_b64 v[6:7], v52, s[12:13] scale_offset
	global_load_b64 v[8:9], v54, s[12:13] scale_offset
	;; [unrolled: 1-line block ×8, first 2 shown]
	s_cbranch_scc1 .LBB8_14
; %bb.4:
	v_cmp_eq_u32_e64 s0, 0, v0
	s_wait_xcnt 0x0
	s_and_saveexec_b32 s1, s0
; %bb.5:
	v_mov_b32_e32 v21, 0
	ds_store_b32 v21, v21 offset:72
; %bb.6:
	s_or_b32 exec_lo, exec_lo, s1
	v_cmp_eq_u32_e32 vcc_lo, 1, v0
	s_mov_b32 s2, exec_lo
	s_wait_loadcnt_dscnt 0x0
	s_barrier_signal -1
	s_barrier_wait -1
	v_dual_cndmask_b32 v21, v3, v5 :: v_dual_cndmask_b32 v22, v2, v4
	v_cmp_eq_u32_e32 vcc_lo, 2, v0
	s_delay_alu instid0(VALU_DEP_2) | instskip(SKIP_1) | instid1(VALU_DEP_2)
	v_dual_cndmask_b32 v21, v21, v7 :: v_dual_cndmask_b32 v22, v22, v6
	v_cmp_eq_u32_e32 vcc_lo, 3, v0
	v_dual_cndmask_b32 v21, v21, v9 :: v_dual_cndmask_b32 v22, v22, v8
	v_cmp_eq_u32_e32 vcc_lo, 4, v0
	s_delay_alu instid0(VALU_DEP_2) | instskip(SKIP_1) | instid1(VALU_DEP_2)
	v_dual_cndmask_b32 v21, v21, v11 :: v_dual_cndmask_b32 v22, v22, v10
	v_cmp_eq_u32_e32 vcc_lo, 5, v0
	;; [unrolled: 5-line block ×3, first 2 shown]
	v_dual_cndmask_b32 v21, v21, v17 :: v_dual_cndmask_b32 v22, v22, v16
	v_cmp_eq_u32_e32 vcc_lo, 8, v0
	s_delay_alu instid0(VALU_DEP_2) | instskip(NEXT) | instid1(VALU_DEP_1)
	v_dual_cndmask_b32 v23, v21, v19 :: v_dual_cndmask_b32 v22, v22, v18
	v_cmpx_eq_f64_e32 0, v[22:23]
	s_cbranch_execz .LBB8_10
; %bb.7:
	v_mov_b32_e32 v21, 0
	s_mov_b32 s3, 0
	ds_load_b32 v24, v21 offset:72
	s_wait_dscnt 0x0
	v_readfirstlane_b32 s1, v24
	v_add_nc_u32_e32 v24, 1, v0
	s_cmp_eq_u32 s1, 0
	s_delay_alu instid0(VALU_DEP_1) | instskip(SKIP_1) | instid1(SALU_CYCLE_1)
	v_cmp_gt_i32_e32 vcc_lo, s1, v24
	s_cselect_b32 s4, -1, 0
	s_or_b32 s4, s4, vcc_lo
	s_delay_alu instid0(SALU_CYCLE_1)
	s_and_b32 exec_lo, exec_lo, s4
	s_cbranch_execz .LBB8_10
; %bb.8:
	v_mov_b32_e32 v25, s1
.LBB8_9:                                ; =>This Inner Loop Header: Depth=1
	ds_cmpstore_rtn_b32 v25, v21, v24, v25 offset:72
	s_wait_dscnt 0x0
	v_cmp_ne_u32_e32 vcc_lo, 0, v25
	v_cmp_le_i32_e64 s1, v25, v24
	s_and_b32 s1, vcc_lo, s1
	s_delay_alu instid0(SALU_CYCLE_1) | instskip(NEXT) | instid1(SALU_CYCLE_1)
	s_and_b32 s1, exec_lo, s1
	s_or_b32 s3, s1, s3
	s_delay_alu instid0(SALU_CYCLE_1)
	s_and_not1_b32 exec_lo, exec_lo, s3
	s_cbranch_execnz .LBB8_9
.LBB8_10:
	s_or_b32 exec_lo, exec_lo, s2
	v_mov_b32_e32 v21, 0
	s_barrier_signal -1
	s_barrier_wait -1
	ds_load_b32 v24, v21 offset:72
	s_and_saveexec_b32 s1, s0
	s_cbranch_execz .LBB8_12
; %bb.11:
	s_lshl_b64 s[2:3], s[18:19], 2
	s_delay_alu instid0(SALU_CYCLE_1)
	s_add_nc_u64 s[2:3], s[10:11], s[2:3]
	s_wait_dscnt 0x0
	global_store_b32 v21, v24, s[2:3]
.LBB8_12:
	s_wait_xcnt 0x0
	s_or_b32 exec_lo, exec_lo, s1
	s_wait_dscnt 0x0
	v_cmp_ne_u32_e32 vcc_lo, 0, v24
	s_cbranch_vccz .LBB8_17
; %bb.13:
	s_mov_b32 s0, 0
                                        ; implicit-def: $vgpr2_vgpr3_vgpr4_vgpr5_vgpr6_vgpr7_vgpr8_vgpr9_vgpr10_vgpr11_vgpr12_vgpr13_vgpr14_vgpr15_vgpr16_vgpr17_vgpr18_vgpr19_vgpr20_vgpr21_vgpr22_vgpr23_vgpr24_vgpr25_vgpr26_vgpr27_vgpr28_vgpr29_vgpr30_vgpr31_vgpr32_vgpr33
.LBB8_14:
	s_delay_alu instid0(SALU_CYCLE_1)
	s_and_b32 vcc_lo, exec_lo, s0
	s_cbranch_vccz .LBB8_16
.LBB8_15:
	v_mov_b32_e32 v1, 0
	s_lshl_b64 s[0:1], s[18:19], 2
	s_delay_alu instid0(SALU_CYCLE_1)
	s_add_nc_u64 s[0:1], s[10:11], s[0:1]
	global_load_b32 v1, v1, s[0:1]
	s_wait_loadcnt 0x0
	v_cmp_ne_u32_e32 vcc_lo, 0, v1
	s_cbranch_vccz .LBB8_60
.LBB8_16:
	s_sendmsg sendmsg(MSG_DEALLOC_VGPRS)
	s_endpgm
.LBB8_17:
	v_div_scale_f64 v[24:25], null, v[22:23], v[22:23], 1.0
	v_div_scale_f64 v[30:31], vcc_lo, 1.0, v[22:23], 1.0
	v_cmp_eq_u32_e64 s1, 7, v0
	v_cmp_eq_u32_e64 s2, 6, v0
	;; [unrolled: 1-line block ×8, first 2 shown]
	v_rcp_f64_e32 v[26:27], v[24:25]
	v_nop
	s_delay_alu instid0(TRANS32_DEP_1) | instskip(NEXT) | instid1(VALU_DEP_1)
	v_fma_f64 v[28:29], -v[24:25], v[26:27], 1.0
	v_fmac_f64_e32 v[26:27], v[26:27], v[28:29]
	s_delay_alu instid0(VALU_DEP_1) | instskip(NEXT) | instid1(VALU_DEP_1)
	v_fma_f64 v[28:29], -v[24:25], v[26:27], 1.0
	v_fmac_f64_e32 v[26:27], v[26:27], v[28:29]
	s_delay_alu instid0(VALU_DEP_1) | instskip(NEXT) | instid1(VALU_DEP_1)
	v_mul_f64_e32 v[28:29], v[30:31], v[26:27]
	v_fma_f64 v[24:25], -v[24:25], v[28:29], v[30:31]
	s_delay_alu instid0(VALU_DEP_1) | instskip(SKIP_1) | instid1(VALU_DEP_2)
	v_div_fmas_f64 v[24:25], v[24:25], v[26:27], v[28:29]
	v_cmp_eq_u32_e32 vcc_lo, 8, v0
	v_div_fixup_f64 v[22:23], v[24:25], v[22:23], 1.0
	s_delay_alu instid0(VALU_DEP_1) | instskip(NEXT) | instid1(VALU_DEP_2)
	v_dual_cndmask_b32 v19, v19, v23 :: v_dual_add_nc_u32 v24, 0x50, v20
	v_dual_cndmask_b32 v18, v18, v22, vcc_lo :: v_dual_cndmask_b32 v17, v17, v23, s1
	v_dual_cndmask_b32 v16, v16, v22, s1 :: v_dual_cndmask_b32 v15, v15, v23, s2
	v_dual_cndmask_b32 v14, v14, v22, s2 :: v_dual_cndmask_b32 v13, v13, v23, s3
	;; [unrolled: 1-line block ×5, first 2 shown]
	v_dual_cndmask_b32 v4, v4, v22, s7 :: v_dual_mov_b32 v26, v22
	v_xor_b32_e32 v27, 0x80000000, v23
	v_dual_cndmask_b32 v7, v7, v23, s6 :: v_dual_cndmask_b32 v6, v6, v22, s6
	v_dual_cndmask_b32 v3, v3, v23, s8 :: v_dual_cndmask_b32 v2, v2, v22, s8
	ds_store_2addr_b64 v20, v[26:27], v[4:5] offset1:10
	s_wait_storecnt_dscnt 0x0
	s_barrier_signal -1
	s_barrier_wait -1
	s_and_saveexec_b32 s1, s0
	s_cbranch_execz .LBB8_19
; %bb.18:
	ds_load_b64 v[4:5], v24
	v_mov_b32_e32 v20, 0
	ds_load_b64 v[20:21], v20 offset:8
	s_wait_dscnt 0x1
	v_fma_f64 v[4:5], v[22:23], v[4:5], 0
	s_wait_dscnt 0x0
	s_delay_alu instid0(VALU_DEP_1)
	v_mul_f64_e32 v[4:5], v[4:5], v[20:21]
.LBB8_19:
	s_or_b32 exec_lo, exec_lo, s1
	s_delay_alu instid0(SALU_CYCLE_1)
	s_mov_b32 s2, exec_lo
	s_barrier_signal -1
	s_barrier_wait -1
	ds_store_b64 v24, v[6:7]
	s_wait_dscnt 0x0
	s_barrier_signal -1
	s_barrier_wait -1
	v_cmpx_gt_u32_e32 2, v0
	s_cbranch_execz .LBB8_23
; %bb.20:
	v_cmp_eq_u32_e32 vcc_lo, 1, v0
	v_cmp_eq_u32_e64 s1, 6, v0
	v_dual_cndmask_b32 v20, v3, v5 :: v_dual_cndmask_b32 v21, v2, v4
	v_cmp_eq_u32_e32 vcc_lo, 2, v0
	s_delay_alu instid0(VALU_DEP_2) | instskip(SKIP_1) | instid1(VALU_DEP_2)
	v_dual_cndmask_b32 v7, v20, v7 :: v_dual_cndmask_b32 v6, v21, v6
	v_cmp_eq_u32_e32 vcc_lo, 3, v0
	v_dual_cndmask_b32 v7, v7, v9 :: v_dual_cndmask_b32 v6, v6, v8
	v_cmp_eq_u32_e32 vcc_lo, 4, v0
	s_delay_alu instid0(VALU_DEP_2) | instskip(SKIP_1) | instid1(VALU_DEP_2)
	v_dual_cndmask_b32 v7, v7, v11 :: v_dual_cndmask_b32 v6, v6, v10
	v_cmp_eq_u32_e32 vcc_lo, 5, v0
	v_dual_cndmask_b32 v20, v7, v13 :: v_dual_cndmask_b32 v21, v6, v12
	ds_load_b64 v[6:7], v24
	v_cmp_eq_u32_e32 vcc_lo, 7, v0
	v_dual_cndmask_b32 v20, v20, v15, s1 :: v_dual_cndmask_b32 v21, v21, v14, s1
	s_delay_alu instid0(VALU_DEP_1) | instskip(SKIP_1) | instid1(VALU_DEP_2)
	v_dual_cndmask_b32 v20, v20, v17, vcc_lo :: v_dual_cndmask_b32 v22, v21, v16, vcc_lo
	v_cmp_eq_u32_e32 vcc_lo, 8, v0
	v_dual_cndmask_b32 v21, v20, v19 :: v_dual_cndmask_b32 v20, v22, v18
	s_wait_dscnt 0x0
	s_delay_alu instid0(VALU_DEP_1)
	v_fma_f64 v[6:7], v[20:21], v[6:7], 0
	s_and_saveexec_b32 s1, s0
	s_cbranch_execz .LBB8_22
; %bb.21:
	v_mov_b32_e32 v20, 0
	ds_load_b64 v[20:21], v20 offset:88
	s_wait_dscnt 0x0
	v_fmac_f64_e32 v[6:7], v[4:5], v[20:21]
.LBB8_22:
	s_or_b32 exec_lo, exec_lo, s1
	v_mov_b32_e32 v20, 0
	ds_load_b64 v[20:21], v20 offset:16
	s_wait_dscnt 0x0
	v_mul_f64_e32 v[6:7], v[6:7], v[20:21]
.LBB8_23:
	s_or_b32 exec_lo, exec_lo, s2
	v_cmp_gt_u32_e32 vcc_lo, 3, v0
	s_barrier_signal -1
	s_barrier_wait -1
	ds_store_b64 v24, v[8:9]
	s_wait_dscnt 0x0
	s_barrier_signal -1
	s_barrier_wait -1
	s_and_saveexec_b32 s3, vcc_lo
	s_cbranch_execz .LBB8_27
; %bb.24:
	v_mov_b64_e32 v[20:21], 0
	v_mov_b64_e32 v[22:23], v[0:1]
	v_lshl_add_u32 v25, v0, 3, 0x50
	s_mov_b32 s4, 0
.LBB8_25:                               ; =>This Inner Loop Header: Depth=1
	s_delay_alu instid0(VALU_DEP_2) | instskip(SKIP_1) | instid1(VALU_DEP_2)
	v_cmp_eq_u32_e64 s1, 1, v22
	v_cmp_eq_u32_e64 s2, 2, v22
	v_dual_cndmask_b32 v26, v3, v5, s1 :: v_dual_cndmask_b32 v27, v2, v4, s1
	v_cmp_eq_u32_e64 s1, 3, v22
	s_delay_alu instid0(VALU_DEP_2) | instskip(SKIP_1) | instid1(VALU_DEP_2)
	v_dual_cndmask_b32 v26, v26, v7, s2 :: v_dual_cndmask_b32 v27, v27, v6, s2
	v_cmp_eq_u32_e64 s2, 4, v22
	v_dual_cndmask_b32 v26, v26, v9, s1 :: v_dual_cndmask_b32 v27, v27, v8, s1
	v_cmp_eq_u32_e64 s1, 5, v22
	s_delay_alu instid0(VALU_DEP_2)
	v_dual_cndmask_b32 v28, v26, v11, s2 :: v_dual_cndmask_b32 v29, v27, v10, s2
	ds_load_b64 v[26:27], v25
	v_cmp_eq_u32_e64 s2, 6, v22
	v_add_nc_u32_e32 v25, 8, v25
	v_dual_cndmask_b32 v28, v28, v13, s1 :: v_dual_cndmask_b32 v29, v29, v12, s1
	v_cmp_eq_u32_e64 s1, 7, v22
	s_delay_alu instid0(VALU_DEP_2) | instskip(SKIP_2) | instid1(VALU_DEP_3)
	v_dual_cndmask_b32 v28, v28, v15, s2 :: v_dual_cndmask_b32 v29, v29, v14, s2
	v_cmp_eq_u32_e64 s2, 8, v22
	v_add_nc_u64_e32 v[22:23], 1, v[22:23]
	v_dual_cndmask_b32 v28, v28, v17, s1 :: v_dual_cndmask_b32 v30, v29, v16, s1
	s_delay_alu instid0(VALU_DEP_1) | instskip(SKIP_1) | instid1(VALU_DEP_1)
	v_dual_cndmask_b32 v29, v28, v19, s2 :: v_dual_cndmask_b32 v28, v30, v18, s2
	s_wait_dscnt 0x0
	v_fmac_f64_e32 v[20:21], v[28:29], v[26:27]
	s_delay_alu instid0(VALU_DEP_4) | instskip(NEXT) | instid1(VALU_DEP_1)
	v_add_nc_u32_e32 v26, -1, v22
	v_cmp_lt_u32_e64 s1, 1, v26
	s_or_b32 s4, s1, s4
	s_delay_alu instid0(SALU_CYCLE_1)
	s_and_not1_b32 exec_lo, exec_lo, s4
	s_cbranch_execnz .LBB8_25
; %bb.26:
	s_or_b32 exec_lo, exec_lo, s4
	v_mov_b32_e32 v8, 0
	ds_load_b64 v[8:9], v8 offset:24
	s_wait_dscnt 0x0
	v_mul_f64_e32 v[8:9], v[20:21], v[8:9]
.LBB8_27:
	s_or_b32 exec_lo, exec_lo, s3
	s_delay_alu instid0(SALU_CYCLE_1)
	s_mov_b32 s3, exec_lo
	s_barrier_signal -1
	s_barrier_wait -1
	ds_store_b64 v24, v[10:11]
	s_wait_dscnt 0x0
	s_barrier_signal -1
	s_barrier_wait -1
	v_cmpx_gt_u32_e32 4, v0
	s_cbranch_execz .LBB8_31
; %bb.28:
	v_mov_b64_e32 v[20:21], 0
	v_mov_b64_e32 v[22:23], v[0:1]
	v_lshl_add_u32 v25, v0, 3, 0x50
	s_mov_b32 s4, 0
.LBB8_29:                               ; =>This Inner Loop Header: Depth=1
	s_delay_alu instid0(VALU_DEP_2) | instskip(SKIP_1) | instid1(VALU_DEP_2)
	v_cmp_eq_u32_e64 s1, 1, v22
	v_cmp_eq_u32_e64 s2, 2, v22
	v_dual_cndmask_b32 v26, v3, v5, s1 :: v_dual_cndmask_b32 v27, v2, v4, s1
	v_cmp_eq_u32_e64 s1, 3, v22
	s_delay_alu instid0(VALU_DEP_2) | instskip(SKIP_1) | instid1(VALU_DEP_2)
	v_dual_cndmask_b32 v26, v26, v7, s2 :: v_dual_cndmask_b32 v27, v27, v6, s2
	v_cmp_eq_u32_e64 s2, 4, v22
	v_dual_cndmask_b32 v26, v26, v9, s1 :: v_dual_cndmask_b32 v27, v27, v8, s1
	v_cmp_eq_u32_e64 s1, 5, v22
	s_delay_alu instid0(VALU_DEP_2)
	v_dual_cndmask_b32 v28, v26, v11, s2 :: v_dual_cndmask_b32 v29, v27, v10, s2
	ds_load_b64 v[26:27], v25
	v_cmp_eq_u32_e64 s2, 6, v22
	v_add_nc_u32_e32 v25, 8, v25
	v_dual_cndmask_b32 v28, v28, v13, s1 :: v_dual_cndmask_b32 v29, v29, v12, s1
	v_cmp_eq_u32_e64 s1, 7, v22
	s_delay_alu instid0(VALU_DEP_2) | instskip(SKIP_2) | instid1(VALU_DEP_3)
	v_dual_cndmask_b32 v28, v28, v15, s2 :: v_dual_cndmask_b32 v29, v29, v14, s2
	v_cmp_eq_u32_e64 s2, 8, v22
	v_add_nc_u64_e32 v[22:23], 1, v[22:23]
	v_dual_cndmask_b32 v28, v28, v17, s1 :: v_dual_cndmask_b32 v30, v29, v16, s1
	s_delay_alu instid0(VALU_DEP_1) | instskip(SKIP_1) | instid1(VALU_DEP_1)
	v_dual_cndmask_b32 v29, v28, v19, s2 :: v_dual_cndmask_b32 v28, v30, v18, s2
	s_wait_dscnt 0x0
	v_fmac_f64_e32 v[20:21], v[28:29], v[26:27]
	s_delay_alu instid0(VALU_DEP_4) | instskip(NEXT) | instid1(VALU_DEP_1)
	v_add_nc_u32_e32 v26, -1, v22
	v_cmp_lt_u32_e64 s1, 2, v26
	s_or_b32 s4, s1, s4
	s_delay_alu instid0(SALU_CYCLE_1)
	s_and_not1_b32 exec_lo, exec_lo, s4
	s_cbranch_execnz .LBB8_29
; %bb.30:
	s_or_b32 exec_lo, exec_lo, s4
	v_mov_b32_e32 v10, 0
	ds_load_b64 v[10:11], v10 offset:32
	s_wait_dscnt 0x0
	v_mul_f64_e32 v[10:11], v[20:21], v[10:11]
.LBB8_31:
	s_or_b32 exec_lo, exec_lo, s3
	v_cmp_gt_u32_e64 s1, 5, v0
	s_barrier_signal -1
	s_barrier_wait -1
	ds_store_b64 v24, v[12:13]
	s_wait_dscnt 0x0
	s_barrier_signal -1
	s_barrier_wait -1
	s_and_saveexec_b32 s4, s1
	s_cbranch_execz .LBB8_35
; %bb.32:
	v_mov_b64_e32 v[20:21], 0
	v_mov_b64_e32 v[22:23], v[0:1]
	v_lshl_add_u32 v25, v0, 3, 0x50
	s_mov_b32 s5, 0
.LBB8_33:                               ; =>This Inner Loop Header: Depth=1
	s_delay_alu instid0(VALU_DEP_2) | instskip(SKIP_1) | instid1(VALU_DEP_2)
	v_cmp_eq_u32_e64 s2, 1, v22
	v_cmp_eq_u32_e64 s3, 2, v22
	v_dual_cndmask_b32 v26, v3, v5, s2 :: v_dual_cndmask_b32 v27, v2, v4, s2
	v_cmp_eq_u32_e64 s2, 3, v22
	s_delay_alu instid0(VALU_DEP_2) | instskip(SKIP_1) | instid1(VALU_DEP_2)
	v_dual_cndmask_b32 v26, v26, v7, s3 :: v_dual_cndmask_b32 v27, v27, v6, s3
	v_cmp_eq_u32_e64 s3, 4, v22
	v_dual_cndmask_b32 v26, v26, v9, s2 :: v_dual_cndmask_b32 v27, v27, v8, s2
	v_cmp_eq_u32_e64 s2, 5, v22
	s_delay_alu instid0(VALU_DEP_2)
	v_dual_cndmask_b32 v28, v26, v11, s3 :: v_dual_cndmask_b32 v29, v27, v10, s3
	ds_load_b64 v[26:27], v25
	v_cmp_eq_u32_e64 s3, 6, v22
	v_add_nc_u32_e32 v25, 8, v25
	v_dual_cndmask_b32 v28, v28, v13, s2 :: v_dual_cndmask_b32 v29, v29, v12, s2
	v_cmp_eq_u32_e64 s2, 7, v22
	s_delay_alu instid0(VALU_DEP_2) | instskip(SKIP_2) | instid1(VALU_DEP_3)
	v_dual_cndmask_b32 v28, v28, v15, s3 :: v_dual_cndmask_b32 v29, v29, v14, s3
	v_cmp_eq_u32_e64 s3, 8, v22
	v_add_nc_u64_e32 v[22:23], 1, v[22:23]
	v_dual_cndmask_b32 v28, v28, v17, s2 :: v_dual_cndmask_b32 v30, v29, v16, s2
	s_delay_alu instid0(VALU_DEP_1) | instskip(SKIP_1) | instid1(VALU_DEP_1)
	v_dual_cndmask_b32 v29, v28, v19, s3 :: v_dual_cndmask_b32 v28, v30, v18, s3
	s_wait_dscnt 0x0
	v_fmac_f64_e32 v[20:21], v[28:29], v[26:27]
	s_delay_alu instid0(VALU_DEP_4) | instskip(NEXT) | instid1(VALU_DEP_1)
	v_add_nc_u32_e32 v26, -1, v22
	v_cmp_lt_u32_e64 s2, 3, v26
	s_or_b32 s5, s2, s5
	s_delay_alu instid0(SALU_CYCLE_1)
	s_and_not1_b32 exec_lo, exec_lo, s5
	s_cbranch_execnz .LBB8_33
; %bb.34:
	s_or_b32 exec_lo, exec_lo, s5
	v_mov_b32_e32 v12, 0
	ds_load_b64 v[12:13], v12 offset:40
	s_wait_dscnt 0x0
	v_mul_f64_e32 v[12:13], v[20:21], v[12:13]
.LBB8_35:
	s_or_b32 exec_lo, exec_lo, s4
	s_delay_alu instid0(SALU_CYCLE_1)
	s_mov_b32 s4, exec_lo
	s_barrier_signal -1
	s_barrier_wait -1
	ds_store_b64 v24, v[14:15]
	s_wait_dscnt 0x0
	s_barrier_signal -1
	s_barrier_wait -1
	v_cmpx_gt_u32_e32 6, v0
	s_cbranch_execz .LBB8_39
; %bb.36:
	v_mov_b64_e32 v[20:21], 0
	v_mov_b64_e32 v[22:23], v[0:1]
	v_lshl_add_u32 v25, v0, 3, 0x50
	s_mov_b32 s5, 0
.LBB8_37:                               ; =>This Inner Loop Header: Depth=1
	s_delay_alu instid0(VALU_DEP_2) | instskip(SKIP_1) | instid1(VALU_DEP_2)
	v_cmp_eq_u32_e64 s2, 1, v22
	v_cmp_eq_u32_e64 s3, 2, v22
	v_dual_cndmask_b32 v26, v3, v5, s2 :: v_dual_cndmask_b32 v27, v2, v4, s2
	v_cmp_eq_u32_e64 s2, 3, v22
	s_delay_alu instid0(VALU_DEP_2) | instskip(SKIP_1) | instid1(VALU_DEP_2)
	v_dual_cndmask_b32 v26, v26, v7, s3 :: v_dual_cndmask_b32 v27, v27, v6, s3
	v_cmp_eq_u32_e64 s3, 4, v22
	v_dual_cndmask_b32 v26, v26, v9, s2 :: v_dual_cndmask_b32 v27, v27, v8, s2
	v_cmp_eq_u32_e64 s2, 5, v22
	s_delay_alu instid0(VALU_DEP_2)
	v_dual_cndmask_b32 v28, v26, v11, s3 :: v_dual_cndmask_b32 v29, v27, v10, s3
	ds_load_b64 v[26:27], v25
	v_cmp_eq_u32_e64 s3, 6, v22
	v_add_nc_u32_e32 v25, 8, v25
	v_dual_cndmask_b32 v28, v28, v13, s2 :: v_dual_cndmask_b32 v29, v29, v12, s2
	v_cmp_eq_u32_e64 s2, 7, v22
	s_delay_alu instid0(VALU_DEP_2) | instskip(SKIP_2) | instid1(VALU_DEP_3)
	v_dual_cndmask_b32 v28, v28, v15, s3 :: v_dual_cndmask_b32 v29, v29, v14, s3
	v_cmp_eq_u32_e64 s3, 8, v22
	v_add_nc_u64_e32 v[22:23], 1, v[22:23]
	v_dual_cndmask_b32 v28, v28, v17, s2 :: v_dual_cndmask_b32 v30, v29, v16, s2
	s_delay_alu instid0(VALU_DEP_1) | instskip(SKIP_1) | instid1(VALU_DEP_1)
	v_dual_cndmask_b32 v29, v28, v19, s3 :: v_dual_cndmask_b32 v28, v30, v18, s3
	s_wait_dscnt 0x0
	v_fmac_f64_e32 v[20:21], v[28:29], v[26:27]
	s_delay_alu instid0(VALU_DEP_4) | instskip(NEXT) | instid1(VALU_DEP_1)
	v_add_nc_u32_e32 v26, -1, v22
	v_cmp_lt_u32_e64 s2, 4, v26
	s_or_b32 s5, s2, s5
	s_delay_alu instid0(SALU_CYCLE_1)
	s_and_not1_b32 exec_lo, exec_lo, s5
	s_cbranch_execnz .LBB8_37
; %bb.38:
	s_or_b32 exec_lo, exec_lo, s5
	v_mov_b32_e32 v14, 0
	ds_load_b64 v[14:15], v14 offset:48
	s_wait_dscnt 0x0
	v_mul_f64_e32 v[14:15], v[20:21], v[14:15]
.LBB8_39:
	s_or_b32 exec_lo, exec_lo, s4
	v_cmp_gt_u32_e64 s2, 7, v0
	s_barrier_signal -1
	s_barrier_wait -1
	ds_store_b64 v24, v[16:17]
	s_wait_dscnt 0x0
	s_barrier_signal -1
	s_barrier_wait -1
	s_and_saveexec_b32 s5, s2
	s_cbranch_execz .LBB8_43
; %bb.40:
	v_mov_b64_e32 v[20:21], 0
	v_mov_b64_e32 v[22:23], v[0:1]
	v_lshl_add_u32 v25, v0, 3, 0x50
	s_mov_b32 s6, 0
.LBB8_41:                               ; =>This Inner Loop Header: Depth=1
	s_delay_alu instid0(VALU_DEP_2) | instskip(SKIP_1) | instid1(VALU_DEP_2)
	v_cmp_eq_u32_e64 s3, 1, v22
	v_cmp_eq_u32_e64 s4, 2, v22
	v_dual_cndmask_b32 v1, v3, v5, s3 :: v_dual_cndmask_b32 v26, v2, v4, s3
	v_cmp_eq_u32_e64 s3, 3, v22
	s_delay_alu instid0(VALU_DEP_2) | instskip(SKIP_1) | instid1(VALU_DEP_2)
	v_dual_cndmask_b32 v1, v1, v7, s4 :: v_dual_cndmask_b32 v26, v26, v6, s4
	v_cmp_eq_u32_e64 s4, 4, v22
	v_dual_cndmask_b32 v1, v1, v9, s3 :: v_dual_cndmask_b32 v26, v26, v8, s3
	v_cmp_eq_u32_e64 s3, 5, v22
	s_delay_alu instid0(VALU_DEP_2)
	v_dual_cndmask_b32 v1, v1, v11, s4 :: v_dual_cndmask_b32 v28, v26, v10, s4
	ds_load_b64 v[26:27], v25
	v_cmp_eq_u32_e64 s4, 6, v22
	v_add_nc_u32_e32 v25, 8, v25
	v_dual_cndmask_b32 v1, v1, v13, s3 :: v_dual_cndmask_b32 v28, v28, v12, s3
	v_cmp_eq_u32_e64 s3, 7, v22
	s_delay_alu instid0(VALU_DEP_2) | instskip(SKIP_2) | instid1(VALU_DEP_3)
	v_dual_cndmask_b32 v1, v1, v15, s4 :: v_dual_cndmask_b32 v28, v28, v14, s4
	v_cmp_eq_u32_e64 s4, 8, v22
	v_add_nc_u64_e32 v[22:23], 1, v[22:23]
	v_dual_cndmask_b32 v1, v1, v17, s3 :: v_dual_cndmask_b32 v28, v28, v16, s3
	s_delay_alu instid0(VALU_DEP_1) | instskip(NEXT) | instid1(VALU_DEP_3)
	v_dual_cndmask_b32 v29, v1, v19, s4 :: v_dual_cndmask_b32 v28, v28, v18, s4
	v_add_nc_u32_e32 v1, -1, v22
	s_wait_dscnt 0x0
	s_delay_alu instid0(VALU_DEP_2) | instskip(NEXT) | instid1(VALU_DEP_2)
	v_fmac_f64_e32 v[20:21], v[28:29], v[26:27]
	v_cmp_lt_u32_e64 s3, 5, v1
	s_or_b32 s6, s3, s6
	s_delay_alu instid0(SALU_CYCLE_1)
	s_and_not1_b32 exec_lo, exec_lo, s6
	s_cbranch_execnz .LBB8_41
; %bb.42:
	s_or_b32 exec_lo, exec_lo, s6
	v_mov_b32_e32 v1, 0
	ds_load_b64 v[16:17], v1 offset:56
	s_wait_dscnt 0x0
	v_mul_f64_e32 v[16:17], v[20:21], v[16:17]
.LBB8_43:
	s_or_b32 exec_lo, exec_lo, s5
	s_delay_alu instid0(SALU_CYCLE_1)
	s_mov_b32 s5, exec_lo
	s_barrier_signal -1
	s_barrier_wait -1
	ds_store_b64 v24, v[18:19]
	s_wait_dscnt 0x0
	s_barrier_signal -1
	s_barrier_wait -1
	v_cmpx_ne_u32_e32 8, v0
	s_cbranch_execz .LBB8_59
; %bb.44:
	v_cmp_eq_u32_e64 s3, 1, v0
	v_cmp_eq_u32_e64 s4, 6, v0
	s_delay_alu instid0(VALU_DEP_2) | instskip(SKIP_1) | instid1(VALU_DEP_1)
	v_dual_cndmask_b32 v1, v3, v5, s3 :: v_dual_cndmask_b32 v20, v2, v4, s3
	v_cmp_eq_u32_e64 s3, 2, v0
	v_dual_cndmask_b32 v1, v1, v7, s3 :: v_dual_cndmask_b32 v20, v20, v6, s3
	v_cmp_eq_u32_e64 s3, 3, v0
	s_delay_alu instid0(VALU_DEP_1) | instskip(SKIP_1) | instid1(VALU_DEP_1)
	v_dual_cndmask_b32 v1, v1, v9, s3 :: v_dual_cndmask_b32 v20, v20, v8, s3
	v_cmp_eq_u32_e64 s3, 4, v0
	v_dual_cndmask_b32 v1, v1, v11, s3 :: v_dual_cndmask_b32 v20, v20, v10, s3
	v_cmp_eq_u32_e64 s3, 5, v0
	s_delay_alu instid0(VALU_DEP_1) | instskip(SKIP_3) | instid1(VALU_DEP_1)
	v_dual_cndmask_b32 v1, v1, v13, s3 :: v_dual_cndmask_b32 v22, v20, v12, s3
	ds_load_b64 v[20:21], v24
	v_cmp_eq_u32_e64 s3, 7, v0
	v_dual_cndmask_b32 v1, v1, v15, s4 :: v_dual_cndmask_b32 v22, v22, v14, s4
	v_dual_cndmask_b32 v1, v1, v17, s3 :: v_dual_cndmask_b32 v22, v22, v16, s3
	v_cmp_eq_u32_e64 s3, 8, v0
	s_delay_alu instid0(VALU_DEP_1) | instskip(SKIP_1) | instid1(VALU_DEP_1)
	v_dual_cndmask_b32 v23, v1, v19, s3 :: v_dual_cndmask_b32 v22, v22, v18, s3
	s_wait_dscnt 0x0
	v_fma_f64 v[20:21], v[22:23], v[20:21], 0
	s_and_saveexec_b32 s4, s2
	s_cbranch_execz .LBB8_58
; %bb.45:
	v_add_nc_u32_e32 v1, 1, v0
	s_mov_b32 s6, exec_lo
	s_delay_alu instid0(VALU_DEP_1) | instskip(NEXT) | instid1(VALU_DEP_1)
	v_cmp_eq_u32_e64 s2, 1, v1
	v_cndmask_b32_e64 v22, v3, v5, s2
	v_cmp_eq_u32_e64 s3, 6, v1
	v_cndmask_b32_e64 v23, v2, v4, s2
	v_cmp_eq_u32_e64 s2, 2, v1
	s_delay_alu instid0(VALU_DEP_1) | instskip(SKIP_1) | instid1(VALU_DEP_1)
	v_dual_cndmask_b32 v22, v22, v7, s2 :: v_dual_cndmask_b32 v23, v23, v6, s2
	v_cmp_eq_u32_e64 s2, 3, v1
	v_dual_cndmask_b32 v22, v22, v9, s2 :: v_dual_cndmask_b32 v23, v23, v8, s2
	v_cmp_eq_u32_e64 s2, 4, v1
	s_delay_alu instid0(VALU_DEP_1) | instskip(SKIP_1) | instid1(VALU_DEP_1)
	v_dual_cndmask_b32 v22, v22, v11, s2 :: v_dual_cndmask_b32 v23, v23, v10, s2
	v_cmp_eq_u32_e64 s2, 5, v1
	v_dual_cndmask_b32 v25, v22, v13, s2 :: v_dual_cndmask_b32 v26, v23, v12, s2
	ds_load_b64 v[22:23], v24 offset:8
	v_cmp_eq_u32_e64 s2, 7, v1
	v_dual_cndmask_b32 v25, v25, v15, s3 :: v_dual_cndmask_b32 v26, v26, v14, s3
	s_delay_alu instid0(VALU_DEP_1) | instskip(SKIP_1) | instid1(VALU_DEP_1)
	v_dual_cndmask_b32 v25, v25, v17, s2 :: v_dual_cndmask_b32 v26, v26, v16, s2
	v_cmp_eq_u32_e64 s2, 8, v1
	v_dual_cndmask_b32 v27, v25, v19, s2 :: v_dual_cndmask_b32 v26, v26, v18, s2
	s_wait_dscnt 0x0
	s_delay_alu instid0(VALU_DEP_1)
	v_fmac_f64_e32 v[20:21], v[26:27], v[22:23]
	v_cmpx_ne_u32_e32 6, v0
	s_cbranch_execz .LBB8_57
; %bb.46:
	v_add_nc_u32_e32 v1, 2, v0
	s_delay_alu instid0(VALU_DEP_1) | instskip(NEXT) | instid1(VALU_DEP_1)
	v_cmp_eq_u32_e64 s2, 1, v1
	v_cndmask_b32_e64 v22, v3, v5, s2
	v_cmp_eq_u32_e64 s3, 6, v1
	v_cndmask_b32_e64 v23, v2, v4, s2
	v_cmp_eq_u32_e64 s2, 2, v1
	s_delay_alu instid0(VALU_DEP_1) | instskip(SKIP_1) | instid1(VALU_DEP_1)
	v_dual_cndmask_b32 v22, v22, v7, s2 :: v_dual_cndmask_b32 v23, v23, v6, s2
	v_cmp_eq_u32_e64 s2, 3, v1
	v_dual_cndmask_b32 v22, v22, v9, s2 :: v_dual_cndmask_b32 v23, v23, v8, s2
	v_cmp_eq_u32_e64 s2, 4, v1
	s_delay_alu instid0(VALU_DEP_1) | instskip(SKIP_1) | instid1(VALU_DEP_1)
	v_dual_cndmask_b32 v22, v22, v11, s2 :: v_dual_cndmask_b32 v23, v23, v10, s2
	v_cmp_eq_u32_e64 s2, 5, v1
	v_dual_cndmask_b32 v25, v22, v13, s2 :: v_dual_cndmask_b32 v26, v23, v12, s2
	ds_load_b64 v[22:23], v24 offset:16
	v_cmp_eq_u32_e64 s2, 7, v1
	v_dual_cndmask_b32 v25, v25, v15, s3 :: v_dual_cndmask_b32 v26, v26, v14, s3
	s_delay_alu instid0(VALU_DEP_1) | instskip(SKIP_1) | instid1(VALU_DEP_1)
	v_dual_cndmask_b32 v25, v25, v17, s2 :: v_dual_cndmask_b32 v26, v26, v16, s2
	v_cmp_eq_u32_e64 s2, 8, v1
	v_dual_cndmask_b32 v27, v25, v19, s2 :: v_dual_cndmask_b32 v26, v26, v18, s2
	s_wait_dscnt 0x0
	s_delay_alu instid0(VALU_DEP_1)
	v_fmac_f64_e32 v[20:21], v[26:27], v[22:23]
	s_and_saveexec_b32 s3, s1
	s_cbranch_execz .LBB8_56
; %bb.47:
	v_add_nc_u32_e32 v1, 3, v0
	s_mov_b32 s7, exec_lo
	s_delay_alu instid0(VALU_DEP_1) | instskip(NEXT) | instid1(VALU_DEP_1)
	v_cmp_eq_u32_e64 s1, 1, v1
	v_cndmask_b32_e64 v22, v3, v5, s1
	v_cmp_eq_u32_e64 s2, 6, v1
	v_cndmask_b32_e64 v23, v2, v4, s1
	v_cmp_eq_u32_e64 s1, 2, v1
	s_delay_alu instid0(VALU_DEP_1) | instskip(SKIP_1) | instid1(VALU_DEP_1)
	v_dual_cndmask_b32 v22, v22, v7, s1 :: v_dual_cndmask_b32 v23, v23, v6, s1
	v_cmp_eq_u32_e64 s1, 3, v1
	v_dual_cndmask_b32 v22, v22, v9, s1 :: v_dual_cndmask_b32 v23, v23, v8, s1
	v_cmp_eq_u32_e64 s1, 4, v1
	s_delay_alu instid0(VALU_DEP_1) | instskip(SKIP_1) | instid1(VALU_DEP_1)
	v_dual_cndmask_b32 v22, v22, v11, s1 :: v_dual_cndmask_b32 v23, v23, v10, s1
	v_cmp_eq_u32_e64 s1, 5, v1
	v_dual_cndmask_b32 v25, v22, v13, s1 :: v_dual_cndmask_b32 v26, v23, v12, s1
	ds_load_b64 v[22:23], v24 offset:24
	v_cmp_eq_u32_e64 s1, 7, v1
	v_dual_cndmask_b32 v25, v25, v15, s2 :: v_dual_cndmask_b32 v26, v26, v14, s2
	s_delay_alu instid0(VALU_DEP_1) | instskip(SKIP_1) | instid1(VALU_DEP_1)
	v_dual_cndmask_b32 v25, v25, v17, s1 :: v_dual_cndmask_b32 v26, v26, v16, s1
	v_cmp_eq_u32_e64 s1, 8, v1
	v_dual_cndmask_b32 v27, v25, v19, s1 :: v_dual_cndmask_b32 v26, v26, v18, s1
	s_wait_dscnt 0x0
	s_delay_alu instid0(VALU_DEP_1)
	v_fmac_f64_e32 v[20:21], v[26:27], v[22:23]
	v_cmpx_ne_u32_e32 4, v0
	s_cbranch_execz .LBB8_55
; %bb.48:
	v_add_nc_u32_e32 v1, 4, v0
	s_delay_alu instid0(VALU_DEP_1) | instskip(NEXT) | instid1(VALU_DEP_1)
	v_cmp_eq_u32_e64 s1, 1, v1
	v_cndmask_b32_e64 v22, v3, v5, s1
	v_cmp_eq_u32_e64 s2, 6, v1
	v_cndmask_b32_e64 v23, v2, v4, s1
	v_cmp_eq_u32_e64 s1, 2, v1
	s_delay_alu instid0(VALU_DEP_1) | instskip(SKIP_1) | instid1(VALU_DEP_1)
	v_dual_cndmask_b32 v22, v22, v7, s1 :: v_dual_cndmask_b32 v23, v23, v6, s1
	v_cmp_eq_u32_e64 s1, 3, v1
	v_dual_cndmask_b32 v22, v22, v9, s1 :: v_dual_cndmask_b32 v23, v23, v8, s1
	v_cmp_eq_u32_e64 s1, 4, v1
	s_delay_alu instid0(VALU_DEP_1) | instskip(SKIP_1) | instid1(VALU_DEP_1)
	v_dual_cndmask_b32 v22, v22, v11, s1 :: v_dual_cndmask_b32 v23, v23, v10, s1
	v_cmp_eq_u32_e64 s1, 5, v1
	v_dual_cndmask_b32 v25, v22, v13, s1 :: v_dual_cndmask_b32 v26, v23, v12, s1
	ds_load_b64 v[22:23], v24 offset:32
	v_cmp_eq_u32_e64 s1, 7, v1
	v_dual_cndmask_b32 v25, v25, v15, s2 :: v_dual_cndmask_b32 v26, v26, v14, s2
	s_delay_alu instid0(VALU_DEP_1) | instskip(SKIP_1) | instid1(VALU_DEP_1)
	v_dual_cndmask_b32 v25, v25, v17, s1 :: v_dual_cndmask_b32 v26, v26, v16, s1
	v_cmp_eq_u32_e64 s1, 8, v1
	v_dual_cndmask_b32 v27, v25, v19, s1 :: v_dual_cndmask_b32 v26, v26, v18, s1
	s_wait_dscnt 0x0
	s_delay_alu instid0(VALU_DEP_1)
	v_fmac_f64_e32 v[20:21], v[26:27], v[22:23]
	s_and_saveexec_b32 s2, vcc_lo
	s_cbranch_execz .LBB8_54
; %bb.49:
	v_add_nc_u32_e32 v1, 5, v0
	s_mov_b32 s8, exec_lo
	s_delay_alu instid0(VALU_DEP_1) | instskip(SKIP_4) | instid1(VALU_DEP_2)
	v_cmp_eq_u32_e32 vcc_lo, 1, v1
	v_cndmask_b32_e32 v22, v3, v5, vcc_lo
	v_cmp_eq_u32_e64 s1, 6, v1
	v_cndmask_b32_e32 v23, v2, v4, vcc_lo
	v_cmp_eq_u32_e32 vcc_lo, 2, v1
	v_dual_cndmask_b32 v22, v22, v7 :: v_dual_cndmask_b32 v23, v23, v6
	v_cmp_eq_u32_e32 vcc_lo, 3, v1
	s_delay_alu instid0(VALU_DEP_2) | instskip(SKIP_1) | instid1(VALU_DEP_2)
	v_dual_cndmask_b32 v22, v22, v9 :: v_dual_cndmask_b32 v23, v23, v8
	v_cmp_eq_u32_e32 vcc_lo, 4, v1
	v_dual_cndmask_b32 v22, v22, v11 :: v_dual_cndmask_b32 v23, v23, v10
	v_cmp_eq_u32_e32 vcc_lo, 5, v1
	s_delay_alu instid0(VALU_DEP_2) | instskip(SKIP_3) | instid1(VALU_DEP_1)
	v_dual_cndmask_b32 v25, v22, v13 :: v_dual_cndmask_b32 v26, v23, v12
	ds_load_b64 v[22:23], v24 offset:40
	v_cmp_eq_u32_e32 vcc_lo, 7, v1
	v_dual_cndmask_b32 v25, v25, v15, s1 :: v_dual_cndmask_b32 v26, v26, v14, s1
	v_dual_cndmask_b32 v25, v25, v17 :: v_dual_cndmask_b32 v26, v26, v16
	v_cmp_eq_u32_e32 vcc_lo, 8, v1
	s_delay_alu instid0(VALU_DEP_2) | instskip(SKIP_1) | instid1(VALU_DEP_1)
	v_dual_cndmask_b32 v27, v25, v19 :: v_dual_cndmask_b32 v26, v26, v18
	s_wait_dscnt 0x0
	v_fmac_f64_e32 v[20:21], v[26:27], v[22:23]
	v_cmpx_ne_u32_e32 2, v0
	s_cbranch_execz .LBB8_53
; %bb.50:
	v_add_nc_u32_e32 v1, 6, v0
	s_delay_alu instid0(VALU_DEP_1) | instskip(SKIP_4) | instid1(VALU_DEP_2)
	v_cmp_eq_u32_e32 vcc_lo, 1, v1
	v_cndmask_b32_e32 v22, v3, v5, vcc_lo
	v_cmp_eq_u32_e64 s1, 6, v1
	v_cndmask_b32_e32 v23, v2, v4, vcc_lo
	v_cmp_eq_u32_e32 vcc_lo, 2, v1
	v_dual_cndmask_b32 v22, v22, v7 :: v_dual_cndmask_b32 v23, v23, v6
	v_cmp_eq_u32_e32 vcc_lo, 3, v1
	s_delay_alu instid0(VALU_DEP_2) | instskip(SKIP_1) | instid1(VALU_DEP_2)
	v_dual_cndmask_b32 v22, v22, v9 :: v_dual_cndmask_b32 v23, v23, v8
	v_cmp_eq_u32_e32 vcc_lo, 4, v1
	v_dual_cndmask_b32 v22, v22, v11 :: v_dual_cndmask_b32 v23, v23, v10
	v_cmp_eq_u32_e32 vcc_lo, 5, v1
	s_delay_alu instid0(VALU_DEP_2) | instskip(SKIP_3) | instid1(VALU_DEP_1)
	v_dual_cndmask_b32 v25, v22, v13 :: v_dual_cndmask_b32 v26, v23, v12
	ds_load_b64 v[22:23], v24 offset:48
	v_cmp_eq_u32_e32 vcc_lo, 7, v1
	v_dual_cndmask_b32 v25, v25, v15, s1 :: v_dual_cndmask_b32 v26, v26, v14, s1
	v_dual_cndmask_b32 v25, v25, v17 :: v_dual_cndmask_b32 v26, v26, v16
	v_cmp_eq_u32_e32 vcc_lo, 8, v1
	s_delay_alu instid0(VALU_DEP_2) | instskip(SKIP_1) | instid1(VALU_DEP_1)
	v_dual_cndmask_b32 v19, v25, v19 :: v_dual_cndmask_b32 v18, v26, v18
	s_wait_dscnt 0x0
	v_fmac_f64_e32 v[20:21], v[18:19], v[22:23]
	s_and_saveexec_b32 s1, s0
	s_cbranch_execz .LBB8_52
; %bb.51:
	ds_load_b64 v[18:19], v24 offset:56
	s_wait_dscnt 0x0
	v_fmac_f64_e32 v[20:21], v[16:17], v[18:19]
.LBB8_52:
	s_or_b32 exec_lo, exec_lo, s1
.LBB8_53:
	s_delay_alu instid0(SALU_CYCLE_1)
	s_or_b32 exec_lo, exec_lo, s8
.LBB8_54:
	s_delay_alu instid0(SALU_CYCLE_1)
	s_or_b32 exec_lo, exec_lo, s2
.LBB8_55:
	s_delay_alu instid0(SALU_CYCLE_1)
	s_or_b32 exec_lo, exec_lo, s7
.LBB8_56:
	s_delay_alu instid0(SALU_CYCLE_1)
	s_or_b32 exec_lo, exec_lo, s3
.LBB8_57:
	s_delay_alu instid0(SALU_CYCLE_1)
	s_or_b32 exec_lo, exec_lo, s6
.LBB8_58:
	s_delay_alu instid0(SALU_CYCLE_1)
	s_or_b32 exec_lo, exec_lo, s4
	v_mov_b32_e32 v1, 0
	ds_load_b64 v[18:19], v1 offset:64
	s_wait_dscnt 0x0
	v_mul_f64_e32 v[18:19], v[20:21], v[18:19]
.LBB8_59:
	s_or_b32 exec_lo, exec_lo, s5
	s_barrier_signal -1
	s_barrier_wait -1
	s_cbranch_execnz .LBB8_15
	s_branch .LBB8_16
.LBB8_60:
	s_wait_xcnt 0x0
	v_lshl_add_u32 v1, v0, 3, 0x50
	s_mov_b32 s0, exec_lo
	v_cmpx_eq_u32_e32 8, v0
	s_cbranch_execz .LBB8_62
; %bb.61:
	v_dual_mov_b32 v34, 0 :: v_dual_mov_b32 v32, v14
	v_dual_mov_b32 v20, v2 :: v_dual_mov_b32 v21, v3
	;; [unrolled: 1-line block ×3, first 2 shown]
	s_delay_alu instid0(VALU_DEP_3)
	v_dual_mov_b32 v37, v19 :: v_dual_mov_b32 v35, v34
	v_dual_mov_b32 v22, v4 :: v_dual_mov_b32 v23, v5
	;; [unrolled: 1-line block ×6, first 2 shown]
	ds_store_b64 v1, v[16:17]
	v_mov_b64_e32 v[2:3], v[20:21]
	v_mov_b64_e32 v[4:5], v[22:23]
	;; [unrolled: 1-line block ×16, first 2 shown]
.LBB8_62:
	s_or_b32 exec_lo, exec_lo, s0
	v_mov_b32_e32 v34, 0
	s_wait_storecnt_dscnt 0x0
	s_barrier_signal -1
	s_barrier_wait -1
	ds_load_b64 v[20:21], v34 offset:144
	s_mov_b32 s0, exec_lo
	s_wait_dscnt 0x0
	v_fma_f64 v[20:21], v[18:19], v[20:21], 0
	s_delay_alu instid0(VALU_DEP_1)
	v_add_f64_e64 v[16:17], v[16:17], -v[20:21]
	v_cmpx_lt_u32_e32 6, v0
	s_cbranch_execz .LBB8_64
; %bb.63:
	v_dual_mov_b32 v22, v2 :: v_dual_mov_b32 v23, v3
	s_delay_alu instid0(VALU_DEP_3)
	v_dual_mov_b32 v36, v16 :: v_dual_mov_b32 v37, v17
	v_dual_mov_b32 v38, v18 :: v_dual_mov_b32 v39, v19
	;; [unrolled: 1-line block ×7, first 2 shown]
	v_mov_b32_e32 v33, v13
	ds_store_b64 v1, v[14:15]
	v_mov_b64_e32 v[2:3], v[22:23]
	v_mov_b64_e32 v[4:5], v[24:25]
	;; [unrolled: 1-line block ×16, first 2 shown]
.LBB8_64:
	s_or_b32 exec_lo, exec_lo, s0
	s_wait_dscnt 0x0
	s_barrier_signal -1
	s_barrier_wait -1
	ds_load_2addr_b64 v[20:23], v34 offset0:17 offset1:18
	s_mov_b32 s0, exec_lo
	s_wait_dscnt 0x0
	v_fma_f64 v[20:21], v[16:17], v[20:21], 0
	s_delay_alu instid0(VALU_DEP_1) | instskip(NEXT) | instid1(VALU_DEP_1)
	v_fmac_f64_e32 v[20:21], v[18:19], v[22:23]
	v_add_f64_e64 v[14:15], v[14:15], -v[20:21]
	v_cmpx_lt_u32_e32 5, v0
	s_cbranch_execz .LBB8_66
; %bb.65:
	v_dual_mov_b32 v30, 0 :: v_dual_mov_b32 v34, v16
	v_dual_mov_b32 v20, v2 :: v_dual_mov_b32 v21, v3
	;; [unrolled: 1-line block ×3, first 2 shown]
	s_delay_alu instid0(VALU_DEP_3)
	v_dual_mov_b32 v37, v19 :: v_dual_mov_b32 v31, v30
	v_dual_mov_b32 v22, v4 :: v_dual_mov_b32 v23, v5
	;; [unrolled: 1-line block ×6, first 2 shown]
	ds_store_b64 v1, v[12:13]
	v_mov_b64_e32 v[2:3], v[20:21]
	v_mov_b64_e32 v[4:5], v[22:23]
	;; [unrolled: 1-line block ×16, first 2 shown]
.LBB8_66:
	s_or_b32 exec_lo, exec_lo, s0
	v_mov_b32_e32 v34, 0
	s_wait_dscnt 0x0
	s_barrier_signal -1
	s_barrier_wait -1
	ds_load_b128 v[20:23], v34 offset:128
	s_mov_b32 s0, exec_lo
	s_wait_dscnt 0x0
	v_fma_f64 v[20:21], v[14:15], v[20:21], 0
	s_delay_alu instid0(VALU_DEP_1) | instskip(SKIP_3) | instid1(VALU_DEP_1)
	v_fmac_f64_e32 v[20:21], v[16:17], v[22:23]
	ds_load_b64 v[22:23], v34 offset:144
	s_wait_dscnt 0x0
	v_fmac_f64_e32 v[20:21], v[18:19], v[22:23]
	v_add_f64_e64 v[12:13], v[12:13], -v[20:21]
	v_cmpx_lt_u32_e32 4, v0
	s_cbranch_execz .LBB8_68
; %bb.67:
	v_dual_mov_b32 v26, v2 :: v_dual_mov_b32 v27, v3
	s_delay_alu instid0(VALU_DEP_3)
	v_dual_mov_b32 v36, v12 :: v_dual_mov_b32 v37, v13
	v_dual_mov_b32 v38, v14 :: v_dual_mov_b32 v39, v15
	;; [unrolled: 1-line block ×7, first 2 shown]
	v_mov_b32_e32 v33, v9
	ds_store_b64 v1, v[10:11]
	v_mov_b64_e32 v[2:3], v[26:27]
	v_mov_b64_e32 v[4:5], v[28:29]
	;; [unrolled: 1-line block ×16, first 2 shown]
.LBB8_68:
	s_or_b32 exec_lo, exec_lo, s0
	s_wait_dscnt 0x0
	s_barrier_signal -1
	s_barrier_wait -1
	ds_load_2addr_b64 v[20:23], v34 offset0:15 offset1:16
	ds_load_2addr_b64 v[24:27], v34 offset0:17 offset1:18
	s_mov_b32 s0, exec_lo
	s_wait_dscnt 0x1
	v_fma_f64 v[20:21], v[12:13], v[20:21], 0
	s_delay_alu instid0(VALU_DEP_1) | instskip(SKIP_1) | instid1(VALU_DEP_1)
	v_fmac_f64_e32 v[20:21], v[14:15], v[22:23]
	s_wait_dscnt 0x0
	v_fmac_f64_e32 v[20:21], v[16:17], v[24:25]
	s_delay_alu instid0(VALU_DEP_1) | instskip(NEXT) | instid1(VALU_DEP_1)
	v_fmac_f64_e32 v[20:21], v[18:19], v[26:27]
	v_add_f64_e64 v[10:11], v[10:11], -v[20:21]
	v_cmpx_lt_u32_e32 3, v0
	s_cbranch_execz .LBB8_70
; %bb.69:
	v_dual_mov_b32 v26, 0 :: v_dual_mov_b32 v34, v16
	v_dual_mov_b32 v20, v2 :: v_dual_mov_b32 v21, v3
	;; [unrolled: 1-line block ×3, first 2 shown]
	s_delay_alu instid0(VALU_DEP_3)
	v_dual_mov_b32 v37, v19 :: v_dual_mov_b32 v27, v26
	v_dual_mov_b32 v22, v4 :: v_dual_mov_b32 v23, v5
	v_dual_mov_b32 v24, v6 :: v_dual_mov_b32 v25, v7
	v_dual_mov_b32 v28, v10 :: v_dual_mov_b32 v29, v11
	v_dual_mov_b32 v30, v12 :: v_dual_mov_b32 v31, v13
	v_dual_mov_b32 v32, v14 :: v_dual_mov_b32 v33, v15
	ds_store_b64 v1, v[8:9]
	v_mov_b64_e32 v[2:3], v[20:21]
	v_mov_b64_e32 v[4:5], v[22:23]
	;; [unrolled: 1-line block ×16, first 2 shown]
.LBB8_70:
	s_or_b32 exec_lo, exec_lo, s0
	v_mov_b32_e32 v34, 0
	s_wait_dscnt 0x0
	s_barrier_signal -1
	s_barrier_wait -1
	ds_load_b128 v[20:23], v34 offset:112
	ds_load_b128 v[24:27], v34 offset:128
	s_mov_b32 s0, exec_lo
	s_wait_dscnt 0x1
	v_fma_f64 v[20:21], v[10:11], v[20:21], 0
	s_delay_alu instid0(VALU_DEP_1) | instskip(SKIP_3) | instid1(VALU_DEP_1)
	v_fmac_f64_e32 v[20:21], v[12:13], v[22:23]
	ds_load_b64 v[22:23], v34 offset:144
	s_wait_dscnt 0x1
	v_fmac_f64_e32 v[20:21], v[14:15], v[24:25]
	v_fmac_f64_e32 v[20:21], v[16:17], v[26:27]
	s_wait_dscnt 0x0
	s_delay_alu instid0(VALU_DEP_1) | instskip(NEXT) | instid1(VALU_DEP_1)
	v_fmac_f64_e32 v[20:21], v[18:19], v[22:23]
	v_add_f64_e64 v[8:9], v[8:9], -v[20:21]
	v_cmpx_lt_u32_e32 2, v0
	s_cbranch_execz .LBB8_72
; %bb.71:
	v_dual_mov_b32 v30, v2 :: v_dual_mov_b32 v31, v3
	s_delay_alu instid0(VALU_DEP_3)
	v_dual_mov_b32 v36, v8 :: v_dual_mov_b32 v37, v9
	v_dual_mov_b32 v38, v10 :: v_dual_mov_b32 v39, v11
	;; [unrolled: 1-line block ×7, first 2 shown]
	v_mov_b32_e32 v33, v5
	ds_store_b64 v1, v[6:7]
	v_mov_b64_e32 v[2:3], v[30:31]
	v_mov_b64_e32 v[4:5], v[32:33]
	;; [unrolled: 1-line block ×16, first 2 shown]
.LBB8_72:
	s_or_b32 exec_lo, exec_lo, s0
	s_wait_dscnt 0x0
	s_barrier_signal -1
	s_barrier_wait -1
	ds_load_2addr_b64 v[20:23], v34 offset0:13 offset1:14
	ds_load_2addr_b64 v[24:27], v34 offset0:15 offset1:16
	s_mov_b32 s0, exec_lo
	s_wait_dscnt 0x1
	v_fma_f64 v[28:29], v[8:9], v[20:21], 0
	s_delay_alu instid0(VALU_DEP_1) | instskip(SKIP_3) | instid1(VALU_DEP_1)
	v_fmac_f64_e32 v[28:29], v[10:11], v[22:23]
	ds_load_2addr_b64 v[20:23], v34 offset0:17 offset1:18
	s_wait_dscnt 0x1
	v_fmac_f64_e32 v[28:29], v[12:13], v[24:25]
	v_fmac_f64_e32 v[28:29], v[14:15], v[26:27]
	s_wait_dscnt 0x0
	s_delay_alu instid0(VALU_DEP_1) | instskip(NEXT) | instid1(VALU_DEP_1)
	v_fmac_f64_e32 v[28:29], v[16:17], v[20:21]
	v_fmac_f64_e32 v[28:29], v[18:19], v[22:23]
	s_delay_alu instid0(VALU_DEP_1)
	v_add_f64_e64 v[6:7], v[6:7], -v[28:29]
	v_cmpx_lt_u32_e32 1, v0
	s_cbranch_execz .LBB8_74
; %bb.73:
	v_dual_mov_b32 v22, 0 :: v_dual_mov_b32 v34, v16
	v_dual_mov_b32 v20, v2 :: v_dual_mov_b32 v21, v3
	;; [unrolled: 1-line block ×3, first 2 shown]
	s_delay_alu instid0(VALU_DEP_3)
	v_dual_mov_b32 v37, v19 :: v_dual_mov_b32 v23, v22
	v_dual_mov_b32 v24, v6 :: v_dual_mov_b32 v25, v7
	;; [unrolled: 1-line block ×6, first 2 shown]
	ds_store_b64 v1, v[4:5]
	v_mov_b64_e32 v[2:3], v[20:21]
	v_mov_b64_e32 v[4:5], v[22:23]
	;; [unrolled: 1-line block ×16, first 2 shown]
.LBB8_74:
	s_or_b32 exec_lo, exec_lo, s0
	v_mov_b32_e32 v34, 0
	s_wait_dscnt 0x0
	s_barrier_signal -1
	s_barrier_wait -1
	ds_load_b128 v[20:23], v34 offset:96
	ds_load_b128 v[24:27], v34 offset:112
	v_dual_ashrrev_i32 v53, 31, v52 :: v_dual_ashrrev_i32 v55, 31, v54
	v_dual_ashrrev_i32 v61, 31, v60 :: v_dual_ashrrev_i32 v63, 31, v62
	;; [unrolled: 1-line block ×3, first 2 shown]
	v_ashrrev_i32_e32 v69, 31, v68
	s_mov_b32 s0, exec_lo
	s_wait_dscnt 0x1
	v_fma_f64 v[28:29], v[6:7], v[20:21], 0
	s_delay_alu instid0(VALU_DEP_1) | instskip(SKIP_3) | instid1(VALU_DEP_1)
	v_fmac_f64_e32 v[28:29], v[8:9], v[22:23]
	ds_load_b128 v[20:23], v34 offset:128
	s_wait_dscnt 0x1
	v_fmac_f64_e32 v[28:29], v[10:11], v[24:25]
	v_fmac_f64_e32 v[28:29], v[12:13], v[26:27]
	s_wait_dscnt 0x0
	s_delay_alu instid0(VALU_DEP_1) | instskip(SKIP_3) | instid1(VALU_DEP_1)
	v_fmac_f64_e32 v[28:29], v[14:15], v[20:21]
	ds_load_b64 v[20:21], v34 offset:144
	v_fmac_f64_e32 v[28:29], v[16:17], v[22:23]
	s_wait_dscnt 0x0
	v_fmac_f64_e32 v[28:29], v[18:19], v[20:21]
	s_delay_alu instid0(VALU_DEP_1)
	v_add_f64_e64 v[4:5], v[4:5], -v[28:29]
	v_cmpx_ne_u32_e32 0, v0
	s_cbranch_execz .LBB8_76
; %bb.75:
	s_delay_alu instid0(VALU_DEP_2) | instskip(NEXT) | instid1(VALU_DEP_3)
	v_dual_mov_b32 v35, v34 :: v_dual_mov_b32 v36, v4
	v_dual_mov_b32 v37, v5 :: v_dual_mov_b32 v38, v6
	;; [unrolled: 1-line block ×8, first 2 shown]
	v_mov_b32_e32 v51, v19
	ds_store_b64 v1, v[2:3]
	v_mov_b64_e32 v[2:3], v[34:35]
	v_mov_b64_e32 v[4:5], v[36:37]
	;; [unrolled: 1-line block ×16, first 2 shown]
.LBB8_76:
	s_or_b32 exec_lo, exec_lo, s0
	s_wait_dscnt 0x0
	s_barrier_signal -1
	s_barrier_wait -1
	ds_load_2addr_b64 v[20:23], v34 offset0:11 offset1:12
	ds_load_2addr_b64 v[24:27], v34 offset0:13 offset1:14
	s_and_b32 vcc_lo, exec_lo, s20
	s_wait_dscnt 0x1
	v_fma_f64 v[0:1], v[4:5], v[20:21], 0
	s_delay_alu instid0(VALU_DEP_1) | instskip(SKIP_1) | instid1(VALU_DEP_1)
	v_fmac_f64_e32 v[0:1], v[6:7], v[22:23]
	s_wait_dscnt 0x0
	v_fmac_f64_e32 v[0:1], v[8:9], v[24:25]
	s_delay_alu instid0(VALU_DEP_1) | instskip(SKIP_4) | instid1(VALU_DEP_1)
	v_fmac_f64_e32 v[0:1], v[10:11], v[26:27]
	ds_load_2addr_b64 v[20:23], v34 offset0:15 offset1:16
	ds_load_2addr_b64 v[24:27], v34 offset0:17 offset1:18
	s_wait_dscnt 0x1
	v_fmac_f64_e32 v[0:1], v[12:13], v[20:21]
	v_fmac_f64_e32 v[0:1], v[14:15], v[22:23]
	s_wait_dscnt 0x0
	s_delay_alu instid0(VALU_DEP_1) | instskip(NEXT) | instid1(VALU_DEP_1)
	v_fmac_f64_e32 v[0:1], v[16:17], v[24:25]
	v_fmac_f64_e32 v[0:1], v[18:19], v[26:27]
	s_delay_alu instid0(VALU_DEP_1)
	v_add_f64_e64 v[2:3], v[2:3], -v[0:1]
	s_cbranch_vccz .LBB8_93
; %bb.77:
	v_mov_b32_e32 v0, 0
	global_load_b32 v1, v0, s[16:17] offset:28
	s_wait_loadcnt 0x0
	v_readfirstlane_b32 s0, v1
	s_add_co_i32 s0, s0, -1
	s_delay_alu instid0(SALU_CYCLE_1)
	s_cmp_lg_u32 s0, 7
	s_cbranch_scc0 .LBB8_79
; %bb.78:
	s_lshl_b32 m0, s0, 1
	v_movrels_b32_e32 v1, v2
	v_movrels_b32_e32 v50, v3
	v_mov_b64_e32 v[48:49], v[32:33]
	v_mov_b64_e32 v[46:47], v[30:31]
	;; [unrolled: 1-line block ×16, first 2 shown]
	v_dual_mov_b32 v32, v1 :: v_dual_mov_b32 v33, v50
	s_delay_alu instid0(VALU_DEP_2) | instskip(NEXT) | instid1(VALU_DEP_3)
	v_movreld_b32_e32 v18, v16
	v_movreld_b32_e32 v19, v17
	v_mov_b64_e32 v[2:3], v[18:19]
	v_mov_b64_e32 v[4:5], v[20:21]
	;; [unrolled: 1-line block ×16, first 2 shown]
.LBB8_79:
	global_load_b32 v0, v0, s[16:17] offset:24
	s_wait_loadcnt 0x0
	v_readfirstlane_b32 s0, v0
	s_add_co_i32 s0, s0, -1
	s_delay_alu instid0(SALU_CYCLE_1)
	s_cmp_eq_u32 s0, 6
	s_cbranch_scc1 .LBB8_81
; %bb.80:
	s_lshl_b32 m0, s0, 1
	v_movrels_b32_e32 v0, v2
	v_movrels_b32_e32 v1, v3
	v_mov_b64_e32 v[46:47], v[32:33]
	v_mov_b64_e32 v[44:45], v[30:31]
	;; [unrolled: 1-line block ×16, first 2 shown]
	v_dual_mov_b32 v28, v0 :: v_dual_mov_b32 v29, v1
	s_delay_alu instid0(VALU_DEP_2) | instskip(NEXT) | instid1(VALU_DEP_3)
	v_movreld_b32_e32 v16, v14
	v_movreld_b32_e32 v17, v15
	v_mov_b64_e32 v[2:3], v[16:17]
	v_mov_b64_e32 v[4:5], v[18:19]
	;; [unrolled: 1-line block ×16, first 2 shown]
.LBB8_81:
	v_mov_b32_e32 v0, 0
	global_load_b32 v1, v0, s[16:17] offset:20
	s_wait_loadcnt 0x0
	v_readfirstlane_b32 s0, v1
	s_add_co_i32 s0, s0, -1
	s_delay_alu instid0(SALU_CYCLE_1)
	s_cmp_eq_u32 s0, 5
	s_cbranch_scc1 .LBB8_83
; %bb.82:
	s_lshl_b32 m0, s0, 1
	v_movrels_b32_e32 v1, v2
	v_movrels_b32_e32 v46, v3
	v_mov_b64_e32 v[44:45], v[32:33]
	v_mov_b64_e32 v[42:43], v[30:31]
	;; [unrolled: 1-line block ×16, first 2 shown]
	v_dual_mov_b32 v24, v1 :: v_dual_mov_b32 v25, v46
	s_delay_alu instid0(VALU_DEP_2) | instskip(NEXT) | instid1(VALU_DEP_3)
	v_movreld_b32_e32 v14, v12
	v_movreld_b32_e32 v15, v13
	v_mov_b64_e32 v[2:3], v[14:15]
	v_mov_b64_e32 v[4:5], v[16:17]
	;; [unrolled: 1-line block ×16, first 2 shown]
.LBB8_83:
	global_load_b32 v0, v0, s[16:17] offset:16
	s_wait_loadcnt 0x0
	v_readfirstlane_b32 s0, v0
	s_add_co_i32 s0, s0, -1
	s_delay_alu instid0(SALU_CYCLE_1)
	s_cmp_eq_u32 s0, 4
	s_cbranch_scc1 .LBB8_85
; %bb.84:
	s_lshl_b32 m0, s0, 1
	v_movrels_b32_e32 v0, v2
	v_movrels_b32_e32 v1, v3
	v_mov_b64_e32 v[42:43], v[32:33]
	v_mov_b64_e32 v[40:41], v[30:31]
	;; [unrolled: 1-line block ×16, first 2 shown]
	v_dual_mov_b32 v20, v0 :: v_dual_mov_b32 v21, v1
	s_delay_alu instid0(VALU_DEP_2) | instskip(NEXT) | instid1(VALU_DEP_3)
	v_movreld_b32_e32 v12, v10
	v_movreld_b32_e32 v13, v11
	v_mov_b64_e32 v[2:3], v[12:13]
	v_mov_b64_e32 v[4:5], v[14:15]
	;; [unrolled: 1-line block ×16, first 2 shown]
.LBB8_85:
	v_mov_b32_e32 v0, 0
	global_load_b32 v1, v0, s[16:17] offset:12
	s_wait_loadcnt 0x0
	v_readfirstlane_b32 s0, v1
	s_add_co_i32 s0, s0, -1
	s_delay_alu instid0(SALU_CYCLE_1)
	s_cmp_eq_u32 s0, 3
	s_cbranch_scc1 .LBB8_87
; %bb.86:
	s_lshl_b32 m0, s0, 1
	v_movrels_b32_e32 v1, v2
	v_movrels_b32_e32 v42, v3
	v_mov_b64_e32 v[40:41], v[32:33]
	v_mov_b64_e32 v[38:39], v[30:31]
	;; [unrolled: 1-line block ×16, first 2 shown]
	v_dual_mov_b32 v16, v1 :: v_dual_mov_b32 v17, v42
	s_delay_alu instid0(VALU_DEP_2) | instskip(NEXT) | instid1(VALU_DEP_3)
	v_movreld_b32_e32 v10, v8
	v_movreld_b32_e32 v11, v9
	v_mov_b64_e32 v[2:3], v[10:11]
	v_mov_b64_e32 v[4:5], v[12:13]
	;; [unrolled: 1-line block ×16, first 2 shown]
.LBB8_87:
	global_load_b32 v0, v0, s[16:17] offset:8
	s_wait_loadcnt 0x0
	v_readfirstlane_b32 s0, v0
	s_add_co_i32 s0, s0, -1
	s_delay_alu instid0(SALU_CYCLE_1)
	s_cmp_eq_u32 s0, 2
	s_cbranch_scc1 .LBB8_89
; %bb.88:
	s_lshl_b32 m0, s0, 1
	v_movrels_b32_e32 v0, v2
	v_movrels_b32_e32 v1, v3
	v_mov_b64_e32 v[38:39], v[32:33]
	v_mov_b64_e32 v[36:37], v[30:31]
	v_mov_b64_e32 v[34:35], v[28:29]
	v_mov_b64_e32 v[32:33], v[26:27]
	v_mov_b64_e32 v[30:31], v[24:25]
	v_mov_b64_e32 v[28:29], v[22:23]
	v_mov_b64_e32 v[26:27], v[20:21]
	v_mov_b64_e32 v[24:25], v[18:19]
	v_mov_b64_e32 v[22:23], v[16:17]
	v_mov_b64_e32 v[20:21], v[14:15]
	v_mov_b64_e32 v[18:19], v[12:13]
	v_mov_b64_e32 v[16:17], v[10:11]
	v_mov_b64_e32 v[14:15], v[8:9]
	v_mov_b64_e32 v[12:13], v[6:7]
	v_mov_b64_e32 v[10:11], v[4:5]
	v_mov_b64_e32 v[8:9], v[2:3]
	v_dual_mov_b32 v12, v0 :: v_dual_mov_b32 v13, v1
	s_delay_alu instid0(VALU_DEP_2) | instskip(NEXT) | instid1(VALU_DEP_3)
	v_movreld_b32_e32 v8, v6
	v_movreld_b32_e32 v9, v7
	v_mov_b64_e32 v[2:3], v[8:9]
	v_mov_b64_e32 v[4:5], v[10:11]
	;; [unrolled: 1-line block ×16, first 2 shown]
.LBB8_89:
	v_mov_b32_e32 v0, 0
	global_load_b32 v1, v0, s[16:17] offset:4
	s_wait_loadcnt 0x0
	v_readfirstlane_b32 s0, v1
	s_add_co_i32 s0, s0, -1
	s_delay_alu instid0(SALU_CYCLE_1)
	s_cmp_eq_u32 s0, 1
	s_cbranch_scc1 .LBB8_91
; %bb.90:
	s_lshl_b32 m0, s0, 1
	v_movrels_b32_e32 v1, v2
	v_movrels_b32_e32 v38, v3
	v_mov_b64_e32 v[36:37], v[32:33]
	v_mov_b64_e32 v[34:35], v[30:31]
	v_mov_b64_e32 v[32:33], v[28:29]
	v_mov_b64_e32 v[30:31], v[26:27]
	v_mov_b64_e32 v[28:29], v[24:25]
	v_mov_b64_e32 v[26:27], v[22:23]
	v_mov_b64_e32 v[24:25], v[20:21]
	v_mov_b64_e32 v[22:23], v[18:19]
	v_mov_b64_e32 v[20:21], v[16:17]
	v_mov_b64_e32 v[18:19], v[14:15]
	v_mov_b64_e32 v[16:17], v[12:13]
	v_mov_b64_e32 v[14:15], v[10:11]
	v_mov_b64_e32 v[12:13], v[8:9]
	v_mov_b64_e32 v[10:11], v[6:7]
	v_mov_b64_e32 v[8:9], v[4:5]
	v_mov_b64_e32 v[6:7], v[2:3]
	v_dual_mov_b32 v8, v1 :: v_dual_mov_b32 v9, v38
	s_delay_alu instid0(VALU_DEP_2) | instskip(NEXT) | instid1(VALU_DEP_3)
	v_movreld_b32_e32 v6, v4
	v_movreld_b32_e32 v7, v5
	v_mov_b64_e32 v[2:3], v[6:7]
	s_delay_alu instid0(VALU_DEP_4)
	v_mov_b64_e32 v[4:5], v[8:9]
	v_mov_b64_e32 v[6:7], v[10:11]
	;; [unrolled: 1-line block ×15, first 2 shown]
.LBB8_91:
	global_load_b32 v0, v0, s[16:17]
	s_wait_loadcnt 0x0
	v_readfirstlane_b32 s0, v0
	s_add_co_i32 s0, s0, -1
	s_delay_alu instid0(SALU_CYCLE_1)
	s_cmp_eq_u32 s0, 0
	s_cbranch_scc1 .LBB8_93
; %bb.92:
	s_lshl_b32 m0, s0, 1
	v_movrels_b32_e32 v0, v2
	v_movrels_b32_e32 v1, v3
	v_mov_b64_e32 v[34:35], v[32:33]
	v_mov_b64_e32 v[32:33], v[30:31]
	v_mov_b64_e32 v[30:31], v[28:29]
	v_mov_b64_e32 v[28:29], v[26:27]
	v_mov_b64_e32 v[26:27], v[24:25]
	v_mov_b64_e32 v[24:25], v[22:23]
	v_mov_b64_e32 v[22:23], v[20:21]
	v_mov_b64_e32 v[20:21], v[18:19]
	v_mov_b64_e32 v[18:19], v[16:17]
	v_mov_b64_e32 v[16:17], v[14:15]
	v_mov_b64_e32 v[14:15], v[12:13]
	v_mov_b64_e32 v[12:13], v[10:11]
	v_mov_b64_e32 v[10:11], v[8:9]
	v_mov_b64_e32 v[8:9], v[6:7]
	v_mov_b64_e32 v[6:7], v[4:5]
	v_mov_b64_e32 v[4:5], v[2:3]
	v_dual_mov_b32 v4, v0 :: v_dual_mov_b32 v5, v1
	s_delay_alu instid0(VALU_DEP_1) | instskip(NEXT) | instid1(VALU_DEP_2)
	v_movreld_b32_e32 v4, v2
	v_movreld_b32_e32 v5, v3
	v_mov_b64_e32 v[2:3], v[4:5]
	v_mov_b64_e32 v[4:5], v[6:7]
	;; [unrolled: 1-line block ×16, first 2 shown]
.LBB8_93:
	v_lshl_add_u64 v[30:31], v[52:53], 3, s[12:13]
	v_lshl_add_u64 v[28:29], v[54:55], 3, s[12:13]
	;; [unrolled: 1-line block ×7, first 2 shown]
	s_clause 0x8
	global_store_b64 v[56:57], v[2:3], off
	global_store_b64 v[58:59], v[4:5], off
	;; [unrolled: 1-line block ×9, first 2 shown]
	s_sendmsg sendmsg(MSG_DEALLOC_VGPRS)
	s_endpgm
	.section	.rodata,"a",@progbits
	.p2align	6, 0x0
	.amdhsa_kernel _ZN9rocsolver6v33100L18getri_kernel_smallILi9EdPdEEvT1_iilPiilS4_bb
		.amdhsa_group_segment_fixed_size 152
		.amdhsa_private_segment_fixed_size 0
		.amdhsa_kernarg_size 60
		.amdhsa_user_sgpr_count 2
		.amdhsa_user_sgpr_dispatch_ptr 0
		.amdhsa_user_sgpr_queue_ptr 0
		.amdhsa_user_sgpr_kernarg_segment_ptr 1
		.amdhsa_user_sgpr_dispatch_id 0
		.amdhsa_user_sgpr_kernarg_preload_length 0
		.amdhsa_user_sgpr_kernarg_preload_offset 0
		.amdhsa_user_sgpr_private_segment_size 0
		.amdhsa_wavefront_size32 1
		.amdhsa_uses_dynamic_stack 0
		.amdhsa_enable_private_segment 0
		.amdhsa_system_sgpr_workgroup_id_x 1
		.amdhsa_system_sgpr_workgroup_id_y 0
		.amdhsa_system_sgpr_workgroup_id_z 0
		.amdhsa_system_sgpr_workgroup_info 0
		.amdhsa_system_vgpr_workitem_id 0
		.amdhsa_next_free_vgpr 70
		.amdhsa_next_free_sgpr 21
		.amdhsa_named_barrier_count 0
		.amdhsa_reserve_vcc 1
		.amdhsa_float_round_mode_32 0
		.amdhsa_float_round_mode_16_64 0
		.amdhsa_float_denorm_mode_32 3
		.amdhsa_float_denorm_mode_16_64 3
		.amdhsa_fp16_overflow 0
		.amdhsa_memory_ordered 1
		.amdhsa_forward_progress 1
		.amdhsa_inst_pref_size 66
		.amdhsa_round_robin_scheduling 0
		.amdhsa_exception_fp_ieee_invalid_op 0
		.amdhsa_exception_fp_denorm_src 0
		.amdhsa_exception_fp_ieee_div_zero 0
		.amdhsa_exception_fp_ieee_overflow 0
		.amdhsa_exception_fp_ieee_underflow 0
		.amdhsa_exception_fp_ieee_inexact 0
		.amdhsa_exception_int_div_zero 0
	.end_amdhsa_kernel
	.section	.text._ZN9rocsolver6v33100L18getri_kernel_smallILi9EdPdEEvT1_iilPiilS4_bb,"axG",@progbits,_ZN9rocsolver6v33100L18getri_kernel_smallILi9EdPdEEvT1_iilPiilS4_bb,comdat
.Lfunc_end8:
	.size	_ZN9rocsolver6v33100L18getri_kernel_smallILi9EdPdEEvT1_iilPiilS4_bb, .Lfunc_end8-_ZN9rocsolver6v33100L18getri_kernel_smallILi9EdPdEEvT1_iilPiilS4_bb
                                        ; -- End function
	.set _ZN9rocsolver6v33100L18getri_kernel_smallILi9EdPdEEvT1_iilPiilS4_bb.num_vgpr, 70
	.set _ZN9rocsolver6v33100L18getri_kernel_smallILi9EdPdEEvT1_iilPiilS4_bb.num_agpr, 0
	.set _ZN9rocsolver6v33100L18getri_kernel_smallILi9EdPdEEvT1_iilPiilS4_bb.numbered_sgpr, 21
	.set _ZN9rocsolver6v33100L18getri_kernel_smallILi9EdPdEEvT1_iilPiilS4_bb.num_named_barrier, 0
	.set _ZN9rocsolver6v33100L18getri_kernel_smallILi9EdPdEEvT1_iilPiilS4_bb.private_seg_size, 0
	.set _ZN9rocsolver6v33100L18getri_kernel_smallILi9EdPdEEvT1_iilPiilS4_bb.uses_vcc, 1
	.set _ZN9rocsolver6v33100L18getri_kernel_smallILi9EdPdEEvT1_iilPiilS4_bb.uses_flat_scratch, 0
	.set _ZN9rocsolver6v33100L18getri_kernel_smallILi9EdPdEEvT1_iilPiilS4_bb.has_dyn_sized_stack, 0
	.set _ZN9rocsolver6v33100L18getri_kernel_smallILi9EdPdEEvT1_iilPiilS4_bb.has_recursion, 0
	.set _ZN9rocsolver6v33100L18getri_kernel_smallILi9EdPdEEvT1_iilPiilS4_bb.has_indirect_call, 0
	.section	.AMDGPU.csdata,"",@progbits
; Kernel info:
; codeLenInByte = 8436
; TotalNumSgprs: 23
; NumVgprs: 70
; ScratchSize: 0
; MemoryBound: 0
; FloatMode: 240
; IeeeMode: 1
; LDSByteSize: 152 bytes/workgroup (compile time only)
; SGPRBlocks: 0
; VGPRBlocks: 4
; NumSGPRsForWavesPerEU: 23
; NumVGPRsForWavesPerEU: 70
; NamedBarCnt: 0
; Occupancy: 12
; WaveLimiterHint : 0
; COMPUTE_PGM_RSRC2:SCRATCH_EN: 0
; COMPUTE_PGM_RSRC2:USER_SGPR: 2
; COMPUTE_PGM_RSRC2:TRAP_HANDLER: 0
; COMPUTE_PGM_RSRC2:TGID_X_EN: 1
; COMPUTE_PGM_RSRC2:TGID_Y_EN: 0
; COMPUTE_PGM_RSRC2:TGID_Z_EN: 0
; COMPUTE_PGM_RSRC2:TIDIG_COMP_CNT: 0
	.section	.text._ZN9rocsolver6v33100L18getri_kernel_smallILi10EdPdEEvT1_iilPiilS4_bb,"axG",@progbits,_ZN9rocsolver6v33100L18getri_kernel_smallILi10EdPdEEvT1_iilPiilS4_bb,comdat
	.globl	_ZN9rocsolver6v33100L18getri_kernel_smallILi10EdPdEEvT1_iilPiilS4_bb ; -- Begin function _ZN9rocsolver6v33100L18getri_kernel_smallILi10EdPdEEvT1_iilPiilS4_bb
	.p2align	8
	.type	_ZN9rocsolver6v33100L18getri_kernel_smallILi10EdPdEEvT1_iilPiilS4_bb,@function
_ZN9rocsolver6v33100L18getri_kernel_smallILi10EdPdEEvT1_iilPiilS4_bb: ; @_ZN9rocsolver6v33100L18getri_kernel_smallILi10EdPdEEvT1_iilPiilS4_bb
; %bb.0:
	s_mov_b32 s2, exec_lo
	v_cmpx_gt_u32_e32 10, v0
	s_cbranch_execz .LBB9_16
; %bb.1:
	s_clause 0x2
	s_load_b32 s2, s[0:1], 0x38
	s_load_b128 s[4:7], s[0:1], 0x10
	s_load_b128 s[8:11], s[0:1], 0x28
	s_getreg_b32 s13, hwreg(HW_REG_IB_STS2, 6, 4)
                                        ; implicit-def: $sgpr16_sgpr17
	s_wait_kmcnt 0x0
	s_bitcmp1_b32 s2, 8
	s_cselect_b32 s20, -1, 0
	s_bfe_u32 s3, ttmp6, 0x4000c
	s_and_b32 s12, ttmp6, 15
	s_add_co_i32 s3, s3, 1
	s_delay_alu instid0(SALU_CYCLE_1) | instskip(NEXT) | instid1(SALU_CYCLE_1)
	s_mul_i32 s3, ttmp9, s3
	s_add_co_i32 s12, s12, s3
	s_cmp_eq_u32 s13, 0
	s_cselect_b32 s18, ttmp9, s12
	s_bfe_u32 s2, s2, 0x10008
	s_ashr_i32 s19, s18, 31
	s_cmp_eq_u32 s2, 0
	s_cbranch_scc1 .LBB9_3
; %bb.2:
	s_load_b32 s2, s[0:1], 0x20
	s_mul_u64 s[8:9], s[8:9], s[18:19]
	s_delay_alu instid0(SALU_CYCLE_1) | instskip(NEXT) | instid1(SALU_CYCLE_1)
	s_lshl_b64 s[8:9], s[8:9], 2
	s_add_nc_u64 s[6:7], s[6:7], s[8:9]
	s_wait_kmcnt 0x0
	s_ashr_i32 s3, s2, 31
	s_delay_alu instid0(SALU_CYCLE_1) | instskip(NEXT) | instid1(SALU_CYCLE_1)
	s_lshl_b64 s[2:3], s[2:3], 2
	s_add_nc_u64 s[16:17], s[6:7], s[2:3]
.LBB9_3:
	s_clause 0x1
	s_load_b128 s[12:15], s[0:1], 0x0
	s_load_b32 s6, s[0:1], 0x38
	s_wait_xcnt 0x0
	s_mul_u64 s[0:1], s[4:5], s[18:19]
	v_mov_b32_e32 v1, 0
	s_lshl_b64 s[0:1], s[0:1], 3
	s_wait_kmcnt 0x0
	v_add3_u32 v52, s15, s15, v0
	s_ashr_i32 s3, s14, 31
	s_mov_b32 s2, s14
	s_add_nc_u64 s[0:1], s[12:13], s[0:1]
	s_lshl_b64 s[2:3], s[2:3], 3
	v_add_nc_u32_e32 v54, s15, v52
	v_lshlrev_b32_e32 v22, 3, v0
	s_add_nc_u64 s[12:13], s[0:1], s[2:3]
	s_ashr_i32 s1, s15, 31
	s_mov_b32 s0, s15
	v_dual_mov_b32 v23, v1 :: v_dual_add_nc_u32 v56, s15, v54
	s_bitcmp0_b32 s6, 0
	s_delay_alu instid0(VALU_DEP_1) | instskip(NEXT) | instid1(VALU_DEP_2)
	v_add_nc_u32_e32 v62, s15, v56
	v_add_nc_u64_e32 v[58:59], s[12:13], v[22:23]
	s_delay_alu instid0(VALU_DEP_2) | instskip(NEXT) | instid1(VALU_DEP_2)
	v_add_nc_u32_e32 v64, s15, v62
	v_lshl_add_u64 v[60:61], s[0:1], 3, v[58:59]
	s_mov_b32 s0, -1
	s_delay_alu instid0(VALU_DEP_2) | instskip(SKIP_4) | instid1(VALU_DEP_1)
	v_add_nc_u32_e32 v66, s15, v64
	s_clause 0x1
	global_load_b64 v[2:3], v0, s[12:13] scale_offset
	global_load_b64 v[4:5], v[60:61], off
	v_add_nc_u32_e32 v68, s15, v66
	v_add_nc_u32_e32 v70, s15, v68
	s_clause 0x7
	global_load_b64 v[6:7], v52, s[12:13] scale_offset
	global_load_b64 v[8:9], v54, s[12:13] scale_offset
	;; [unrolled: 1-line block ×8, first 2 shown]
	s_cbranch_scc1 .LBB9_14
; %bb.4:
	v_cmp_eq_u32_e64 s0, 0, v0
	s_wait_xcnt 0x0
	s_and_saveexec_b32 s1, s0
; %bb.5:
	v_mov_b32_e32 v23, 0
	ds_store_b32 v23, v23 offset:160
; %bb.6:
	s_or_b32 exec_lo, exec_lo, s1
	v_cmp_eq_u32_e32 vcc_lo, 1, v0
	s_mov_b32 s2, exec_lo
	s_wait_loadcnt_dscnt 0x0
	s_barrier_signal -1
	s_barrier_wait -1
	v_dual_cndmask_b32 v23, v3, v5 :: v_dual_cndmask_b32 v24, v2, v4
	v_cmp_eq_u32_e32 vcc_lo, 2, v0
	s_delay_alu instid0(VALU_DEP_2) | instskip(SKIP_1) | instid1(VALU_DEP_2)
	v_dual_cndmask_b32 v23, v23, v7 :: v_dual_cndmask_b32 v24, v24, v6
	v_cmp_eq_u32_e32 vcc_lo, 3, v0
	v_dual_cndmask_b32 v23, v23, v9 :: v_dual_cndmask_b32 v24, v24, v8
	v_cmp_eq_u32_e32 vcc_lo, 4, v0
	s_delay_alu instid0(VALU_DEP_2) | instskip(SKIP_1) | instid1(VALU_DEP_2)
	v_dual_cndmask_b32 v23, v23, v11 :: v_dual_cndmask_b32 v24, v24, v10
	v_cmp_eq_u32_e32 vcc_lo, 5, v0
	;; [unrolled: 5-line block ×4, first 2 shown]
	v_dual_cndmask_b32 v25, v23, v21 :: v_dual_cndmask_b32 v24, v24, v20
	s_delay_alu instid0(VALU_DEP_1)
	v_cmpx_eq_f64_e32 0, v[24:25]
	s_cbranch_execz .LBB9_10
; %bb.7:
	v_mov_b32_e32 v23, 0
	s_mov_b32 s3, 0
	ds_load_b32 v26, v23 offset:160
	s_wait_dscnt 0x0
	v_readfirstlane_b32 s1, v26
	v_add_nc_u32_e32 v26, 1, v0
	s_cmp_eq_u32 s1, 0
	s_delay_alu instid0(VALU_DEP_1) | instskip(SKIP_1) | instid1(SALU_CYCLE_1)
	v_cmp_gt_i32_e32 vcc_lo, s1, v26
	s_cselect_b32 s4, -1, 0
	s_or_b32 s4, s4, vcc_lo
	s_delay_alu instid0(SALU_CYCLE_1)
	s_and_b32 exec_lo, exec_lo, s4
	s_cbranch_execz .LBB9_10
; %bb.8:
	v_mov_b32_e32 v27, s1
.LBB9_9:                                ; =>This Inner Loop Header: Depth=1
	ds_cmpstore_rtn_b32 v27, v23, v26, v27 offset:160
	s_wait_dscnt 0x0
	v_cmp_ne_u32_e32 vcc_lo, 0, v27
	v_cmp_le_i32_e64 s1, v27, v26
	s_and_b32 s1, vcc_lo, s1
	s_delay_alu instid0(SALU_CYCLE_1) | instskip(NEXT) | instid1(SALU_CYCLE_1)
	s_and_b32 s1, exec_lo, s1
	s_or_b32 s3, s1, s3
	s_delay_alu instid0(SALU_CYCLE_1)
	s_and_not1_b32 exec_lo, exec_lo, s3
	s_cbranch_execnz .LBB9_9
.LBB9_10:
	s_or_b32 exec_lo, exec_lo, s2
	v_mov_b32_e32 v23, 0
	s_barrier_signal -1
	s_barrier_wait -1
	ds_load_b32 v26, v23 offset:160
	s_and_saveexec_b32 s1, s0
	s_cbranch_execz .LBB9_12
; %bb.11:
	s_lshl_b64 s[2:3], s[18:19], 2
	s_delay_alu instid0(SALU_CYCLE_1)
	s_add_nc_u64 s[2:3], s[10:11], s[2:3]
	s_wait_dscnt 0x0
	global_store_b32 v23, v26, s[2:3]
.LBB9_12:
	s_wait_xcnt 0x0
	s_or_b32 exec_lo, exec_lo, s1
	s_wait_dscnt 0x0
	v_cmp_ne_u32_e32 vcc_lo, 0, v26
	s_cbranch_vccz .LBB9_17
; %bb.13:
	s_mov_b32 s0, 0
                                        ; implicit-def: $vgpr2_vgpr3_vgpr4_vgpr5_vgpr6_vgpr7_vgpr8_vgpr9_vgpr10_vgpr11_vgpr12_vgpr13_vgpr14_vgpr15_vgpr16_vgpr17_vgpr18_vgpr19_vgpr20_vgpr21_vgpr22_vgpr23_vgpr24_vgpr25_vgpr26_vgpr27_vgpr28_vgpr29_vgpr30_vgpr31_vgpr32_vgpr33
.LBB9_14:
	s_delay_alu instid0(SALU_CYCLE_1)
	s_and_b32 vcc_lo, exec_lo, s0
	s_cbranch_vccz .LBB9_16
.LBB9_15:
	v_mov_b32_e32 v1, 0
	s_lshl_b64 s[0:1], s[18:19], 2
	s_delay_alu instid0(SALU_CYCLE_1)
	s_add_nc_u64 s[0:1], s[10:11], s[0:1]
	global_load_b32 v1, v1, s[0:1]
	s_wait_loadcnt 0x0
	v_cmp_ne_u32_e32 vcc_lo, 0, v1
	s_cbranch_vccz .LBB9_64
.LBB9_16:
	s_sendmsg sendmsg(MSG_DEALLOC_VGPRS)
	s_endpgm
.LBB9_17:
	v_div_scale_f64 v[26:27], null, v[24:25], v[24:25], 1.0
	v_div_scale_f64 v[32:33], vcc_lo, 1.0, v[24:25], 1.0
	v_cmp_eq_u32_e64 s1, 8, v0
	v_cmp_eq_u32_e64 s2, 7, v0
	;; [unrolled: 1-line block ×9, first 2 shown]
	v_rcp_f64_e32 v[28:29], v[26:27]
	v_nop
	s_delay_alu instid0(TRANS32_DEP_1) | instskip(NEXT) | instid1(VALU_DEP_1)
	v_fma_f64 v[30:31], -v[26:27], v[28:29], 1.0
	v_fmac_f64_e32 v[28:29], v[28:29], v[30:31]
	s_delay_alu instid0(VALU_DEP_1) | instskip(NEXT) | instid1(VALU_DEP_1)
	v_fma_f64 v[30:31], -v[26:27], v[28:29], 1.0
	v_fmac_f64_e32 v[28:29], v[28:29], v[30:31]
	s_delay_alu instid0(VALU_DEP_1) | instskip(NEXT) | instid1(VALU_DEP_1)
	v_mul_f64_e32 v[30:31], v[32:33], v[28:29]
	v_fma_f64 v[26:27], -v[26:27], v[30:31], v[32:33]
	s_delay_alu instid0(VALU_DEP_1) | instskip(SKIP_1) | instid1(VALU_DEP_2)
	v_div_fmas_f64 v[26:27], v[26:27], v[28:29], v[30:31]
	v_cmp_eq_u32_e32 vcc_lo, 9, v0
	v_div_fixup_f64 v[24:25], v[26:27], v[24:25], 1.0
	s_delay_alu instid0(VALU_DEP_1) | instskip(NEXT) | instid1(VALU_DEP_2)
	v_dual_cndmask_b32 v21, v21, v25 :: v_dual_add_nc_u32 v26, 0x50, v22
	v_dual_cndmask_b32 v20, v20, v24, vcc_lo :: v_dual_cndmask_b32 v19, v19, v25, s1
	v_dual_cndmask_b32 v18, v18, v24, s1 :: v_dual_cndmask_b32 v17, v17, v25, s2
	v_dual_cndmask_b32 v16, v16, v24, s2 :: v_dual_cndmask_b32 v15, v15, v25, s3
	;; [unrolled: 1-line block ×7, first 2 shown]
	v_xor_b32_e32 v29, 0x80000000, v25
	v_dual_mov_b32 v28, v24 :: v_dual_cndmask_b32 v6, v6, v24, s7
	v_dual_cndmask_b32 v3, v3, v25, s9 :: v_dual_cndmask_b32 v2, v2, v24, s9
	ds_store_2addr_b64 v22, v[28:29], v[4:5] offset1:10
	s_wait_storecnt_dscnt 0x0
	s_barrier_signal -1
	s_barrier_wait -1
	s_and_saveexec_b32 s1, s0
	s_cbranch_execz .LBB9_19
; %bb.18:
	ds_load_b64 v[4:5], v26
	v_mov_b32_e32 v22, 0
	ds_load_b64 v[22:23], v22 offset:8
	s_wait_dscnt 0x1
	v_fma_f64 v[4:5], v[24:25], v[4:5], 0
	s_wait_dscnt 0x0
	s_delay_alu instid0(VALU_DEP_1)
	v_mul_f64_e32 v[4:5], v[4:5], v[22:23]
.LBB9_19:
	s_or_b32 exec_lo, exec_lo, s1
	v_cmp_gt_u32_e32 vcc_lo, 2, v0
	s_barrier_signal -1
	s_barrier_wait -1
	ds_store_b64 v26, v[6:7]
	s_wait_dscnt 0x0
	s_barrier_signal -1
	s_barrier_wait -1
	s_and_saveexec_b32 s3, vcc_lo
	s_cbranch_execz .LBB9_23
; %bb.20:
	v_cmp_eq_u32_e64 s1, 1, v0
	v_cmp_eq_u32_e64 s2, 7, v0
	s_delay_alu instid0(VALU_DEP_2) | instskip(SKIP_1) | instid1(VALU_DEP_1)
	v_dual_cndmask_b32 v22, v3, v5, s1 :: v_dual_cndmask_b32 v23, v2, v4, s1
	v_cmp_eq_u32_e64 s1, 2, v0
	v_dual_cndmask_b32 v7, v22, v7, s1 :: v_dual_cndmask_b32 v6, v23, v6, s1
	v_cmp_eq_u32_e64 s1, 3, v0
	s_delay_alu instid0(VALU_DEP_1) | instskip(SKIP_1) | instid1(VALU_DEP_1)
	v_dual_cndmask_b32 v7, v7, v9, s1 :: v_dual_cndmask_b32 v6, v6, v8, s1
	v_cmp_eq_u32_e64 s1, 4, v0
	v_dual_cndmask_b32 v7, v7, v11, s1 :: v_dual_cndmask_b32 v6, v6, v10, s1
	v_cmp_eq_u32_e64 s1, 5, v0
	s_delay_alu instid0(VALU_DEP_1) | instskip(SKIP_1) | instid1(VALU_DEP_1)
	v_dual_cndmask_b32 v7, v7, v13, s1 :: v_dual_cndmask_b32 v6, v6, v12, s1
	v_cmp_eq_u32_e64 s1, 6, v0
	v_dual_cndmask_b32 v22, v7, v15, s1 :: v_dual_cndmask_b32 v23, v6, v14, s1
	ds_load_b64 v[6:7], v26
	v_cmp_eq_u32_e64 s1, 8, v0
	v_dual_cndmask_b32 v22, v22, v17, s2 :: v_dual_cndmask_b32 v23, v23, v16, s2
	s_delay_alu instid0(VALU_DEP_1) | instskip(SKIP_1) | instid1(VALU_DEP_1)
	v_dual_cndmask_b32 v22, v22, v19, s1 :: v_dual_cndmask_b32 v24, v23, v18, s1
	v_cmp_eq_u32_e64 s1, 9, v0
	v_dual_cndmask_b32 v23, v22, v21, s1 :: v_dual_cndmask_b32 v22, v24, v20, s1
	s_wait_dscnt 0x0
	s_delay_alu instid0(VALU_DEP_1)
	v_fma_f64 v[6:7], v[22:23], v[6:7], 0
	s_and_saveexec_b32 s1, s0
	s_cbranch_execz .LBB9_22
; %bb.21:
	v_mov_b32_e32 v22, 0
	ds_load_b64 v[22:23], v22 offset:88
	s_wait_dscnt 0x0
	v_fmac_f64_e32 v[6:7], v[4:5], v[22:23]
.LBB9_22:
	s_or_b32 exec_lo, exec_lo, s1
	v_mov_b32_e32 v22, 0
	ds_load_b64 v[22:23], v22 offset:16
	s_wait_dscnt 0x0
	v_mul_f64_e32 v[6:7], v[6:7], v[22:23]
.LBB9_23:
	s_or_b32 exec_lo, exec_lo, s3
	s_delay_alu instid0(SALU_CYCLE_1)
	s_mov_b32 s3, exec_lo
	s_barrier_signal -1
	s_barrier_wait -1
	ds_store_b64 v26, v[8:9]
	s_wait_dscnt 0x0
	s_barrier_signal -1
	s_barrier_wait -1
	v_cmpx_gt_u32_e32 3, v0
	s_cbranch_execz .LBB9_27
; %bb.24:
	v_mov_b64_e32 v[22:23], 0
	v_mov_b64_e32 v[24:25], v[0:1]
	v_lshl_add_u32 v27, v0, 3, 0x50
	s_mov_b32 s4, 0
.LBB9_25:                               ; =>This Inner Loop Header: Depth=1
	s_delay_alu instid0(VALU_DEP_2) | instskip(SKIP_1) | instid1(VALU_DEP_2)
	v_cmp_eq_u32_e64 s1, 1, v24
	v_cmp_eq_u32_e64 s2, 2, v24
	v_dual_cndmask_b32 v28, v3, v5, s1 :: v_dual_cndmask_b32 v29, v2, v4, s1
	v_cmp_eq_u32_e64 s1, 3, v24
	s_delay_alu instid0(VALU_DEP_2) | instskip(SKIP_1) | instid1(VALU_DEP_2)
	v_dual_cndmask_b32 v28, v28, v7, s2 :: v_dual_cndmask_b32 v29, v29, v6, s2
	v_cmp_eq_u32_e64 s2, 4, v24
	v_dual_cndmask_b32 v28, v28, v9, s1 :: v_dual_cndmask_b32 v29, v29, v8, s1
	v_cmp_eq_u32_e64 s1, 5, v24
	s_delay_alu instid0(VALU_DEP_2) | instskip(SKIP_1) | instid1(VALU_DEP_2)
	v_dual_cndmask_b32 v28, v28, v11, s2 :: v_dual_cndmask_b32 v29, v29, v10, s2
	v_cmp_eq_u32_e64 s2, 6, v24
	v_dual_cndmask_b32 v30, v28, v13, s1 :: v_dual_cndmask_b32 v31, v29, v12, s1
	ds_load_b64 v[28:29], v27
	v_cmp_eq_u32_e64 s1, 7, v24
	v_add_nc_u32_e32 v27, 8, v27
	v_dual_cndmask_b32 v30, v30, v15, s2 :: v_dual_cndmask_b32 v31, v31, v14, s2
	v_cmp_eq_u32_e64 s2, 8, v24
	s_delay_alu instid0(VALU_DEP_2) | instskip(SKIP_2) | instid1(VALU_DEP_3)
	v_dual_cndmask_b32 v30, v30, v17, s1 :: v_dual_cndmask_b32 v31, v31, v16, s1
	v_cmp_eq_u32_e64 s1, 9, v24
	v_add_nc_u64_e32 v[24:25], 1, v[24:25]
	v_dual_cndmask_b32 v30, v30, v19, s2 :: v_dual_cndmask_b32 v32, v31, v18, s2
	s_delay_alu instid0(VALU_DEP_1) | instskip(SKIP_1) | instid1(VALU_DEP_1)
	v_dual_cndmask_b32 v31, v30, v21, s1 :: v_dual_cndmask_b32 v30, v32, v20, s1
	s_wait_dscnt 0x0
	v_fmac_f64_e32 v[22:23], v[30:31], v[28:29]
	s_delay_alu instid0(VALU_DEP_4) | instskip(NEXT) | instid1(VALU_DEP_1)
	v_add_nc_u32_e32 v28, -1, v24
	v_cmp_lt_u32_e64 s1, 1, v28
	s_or_b32 s4, s1, s4
	s_delay_alu instid0(SALU_CYCLE_1)
	s_and_not1_b32 exec_lo, exec_lo, s4
	s_cbranch_execnz .LBB9_25
; %bb.26:
	s_or_b32 exec_lo, exec_lo, s4
	v_mov_b32_e32 v8, 0
	ds_load_b64 v[8:9], v8 offset:24
	s_wait_dscnt 0x0
	v_mul_f64_e32 v[8:9], v[22:23], v[8:9]
.LBB9_27:
	s_or_b32 exec_lo, exec_lo, s3
	v_cmp_gt_u32_e64 s1, 4, v0
	s_barrier_signal -1
	s_barrier_wait -1
	ds_store_b64 v26, v[10:11]
	s_wait_dscnt 0x0
	s_barrier_signal -1
	s_barrier_wait -1
	s_and_saveexec_b32 s4, s1
	s_cbranch_execz .LBB9_31
; %bb.28:
	v_mov_b64_e32 v[22:23], 0
	v_mov_b64_e32 v[24:25], v[0:1]
	v_lshl_add_u32 v27, v0, 3, 0x50
	s_mov_b32 s5, 0
.LBB9_29:                               ; =>This Inner Loop Header: Depth=1
	s_delay_alu instid0(VALU_DEP_2) | instskip(SKIP_1) | instid1(VALU_DEP_2)
	v_cmp_eq_u32_e64 s2, 1, v24
	v_cmp_eq_u32_e64 s3, 2, v24
	v_dual_cndmask_b32 v28, v3, v5, s2 :: v_dual_cndmask_b32 v29, v2, v4, s2
	v_cmp_eq_u32_e64 s2, 3, v24
	s_delay_alu instid0(VALU_DEP_2) | instskip(SKIP_1) | instid1(VALU_DEP_2)
	v_dual_cndmask_b32 v28, v28, v7, s3 :: v_dual_cndmask_b32 v29, v29, v6, s3
	v_cmp_eq_u32_e64 s3, 4, v24
	v_dual_cndmask_b32 v28, v28, v9, s2 :: v_dual_cndmask_b32 v29, v29, v8, s2
	v_cmp_eq_u32_e64 s2, 5, v24
	s_delay_alu instid0(VALU_DEP_2) | instskip(SKIP_1) | instid1(VALU_DEP_2)
	v_dual_cndmask_b32 v28, v28, v11, s3 :: v_dual_cndmask_b32 v29, v29, v10, s3
	v_cmp_eq_u32_e64 s3, 6, v24
	v_dual_cndmask_b32 v30, v28, v13, s2 :: v_dual_cndmask_b32 v31, v29, v12, s2
	ds_load_b64 v[28:29], v27
	v_cmp_eq_u32_e64 s2, 7, v24
	v_add_nc_u32_e32 v27, 8, v27
	v_dual_cndmask_b32 v30, v30, v15, s3 :: v_dual_cndmask_b32 v31, v31, v14, s3
	v_cmp_eq_u32_e64 s3, 8, v24
	s_delay_alu instid0(VALU_DEP_2) | instskip(SKIP_2) | instid1(VALU_DEP_3)
	v_dual_cndmask_b32 v30, v30, v17, s2 :: v_dual_cndmask_b32 v31, v31, v16, s2
	v_cmp_eq_u32_e64 s2, 9, v24
	v_add_nc_u64_e32 v[24:25], 1, v[24:25]
	v_dual_cndmask_b32 v30, v30, v19, s3 :: v_dual_cndmask_b32 v32, v31, v18, s3
	s_delay_alu instid0(VALU_DEP_1) | instskip(SKIP_1) | instid1(VALU_DEP_1)
	v_dual_cndmask_b32 v31, v30, v21, s2 :: v_dual_cndmask_b32 v30, v32, v20, s2
	s_wait_dscnt 0x0
	v_fmac_f64_e32 v[22:23], v[30:31], v[28:29]
	s_delay_alu instid0(VALU_DEP_4) | instskip(NEXT) | instid1(VALU_DEP_1)
	v_add_nc_u32_e32 v28, -1, v24
	v_cmp_lt_u32_e64 s2, 2, v28
	s_or_b32 s5, s2, s5
	s_delay_alu instid0(SALU_CYCLE_1)
	s_and_not1_b32 exec_lo, exec_lo, s5
	s_cbranch_execnz .LBB9_29
; %bb.30:
	s_or_b32 exec_lo, exec_lo, s5
	v_mov_b32_e32 v10, 0
	ds_load_b64 v[10:11], v10 offset:32
	s_wait_dscnt 0x0
	v_mul_f64_e32 v[10:11], v[22:23], v[10:11]
.LBB9_31:
	s_or_b32 exec_lo, exec_lo, s4
	s_delay_alu instid0(SALU_CYCLE_1)
	s_mov_b32 s4, exec_lo
	s_barrier_signal -1
	s_barrier_wait -1
	ds_store_b64 v26, v[12:13]
	s_wait_dscnt 0x0
	s_barrier_signal -1
	s_barrier_wait -1
	v_cmpx_gt_u32_e32 5, v0
	s_cbranch_execz .LBB9_35
; %bb.32:
	v_mov_b64_e32 v[22:23], 0
	v_mov_b64_e32 v[24:25], v[0:1]
	v_lshl_add_u32 v27, v0, 3, 0x50
	s_mov_b32 s5, 0
.LBB9_33:                               ; =>This Inner Loop Header: Depth=1
	s_delay_alu instid0(VALU_DEP_2) | instskip(SKIP_1) | instid1(VALU_DEP_2)
	v_cmp_eq_u32_e64 s2, 1, v24
	v_cmp_eq_u32_e64 s3, 2, v24
	v_dual_cndmask_b32 v28, v3, v5, s2 :: v_dual_cndmask_b32 v29, v2, v4, s2
	v_cmp_eq_u32_e64 s2, 3, v24
	s_delay_alu instid0(VALU_DEP_2) | instskip(SKIP_1) | instid1(VALU_DEP_2)
	v_dual_cndmask_b32 v28, v28, v7, s3 :: v_dual_cndmask_b32 v29, v29, v6, s3
	v_cmp_eq_u32_e64 s3, 4, v24
	v_dual_cndmask_b32 v28, v28, v9, s2 :: v_dual_cndmask_b32 v29, v29, v8, s2
	v_cmp_eq_u32_e64 s2, 5, v24
	s_delay_alu instid0(VALU_DEP_2) | instskip(SKIP_1) | instid1(VALU_DEP_2)
	v_dual_cndmask_b32 v28, v28, v11, s3 :: v_dual_cndmask_b32 v29, v29, v10, s3
	v_cmp_eq_u32_e64 s3, 6, v24
	v_dual_cndmask_b32 v30, v28, v13, s2 :: v_dual_cndmask_b32 v31, v29, v12, s2
	ds_load_b64 v[28:29], v27
	v_cmp_eq_u32_e64 s2, 7, v24
	v_add_nc_u32_e32 v27, 8, v27
	v_dual_cndmask_b32 v30, v30, v15, s3 :: v_dual_cndmask_b32 v31, v31, v14, s3
	v_cmp_eq_u32_e64 s3, 8, v24
	s_delay_alu instid0(VALU_DEP_2) | instskip(SKIP_2) | instid1(VALU_DEP_3)
	v_dual_cndmask_b32 v30, v30, v17, s2 :: v_dual_cndmask_b32 v31, v31, v16, s2
	v_cmp_eq_u32_e64 s2, 9, v24
	v_add_nc_u64_e32 v[24:25], 1, v[24:25]
	v_dual_cndmask_b32 v30, v30, v19, s3 :: v_dual_cndmask_b32 v32, v31, v18, s3
	s_delay_alu instid0(VALU_DEP_1) | instskip(SKIP_1) | instid1(VALU_DEP_1)
	v_dual_cndmask_b32 v31, v30, v21, s2 :: v_dual_cndmask_b32 v30, v32, v20, s2
	s_wait_dscnt 0x0
	v_fmac_f64_e32 v[22:23], v[30:31], v[28:29]
	s_delay_alu instid0(VALU_DEP_4) | instskip(NEXT) | instid1(VALU_DEP_1)
	v_add_nc_u32_e32 v28, -1, v24
	v_cmp_lt_u32_e64 s2, 3, v28
	s_or_b32 s5, s2, s5
	s_delay_alu instid0(SALU_CYCLE_1)
	s_and_not1_b32 exec_lo, exec_lo, s5
	s_cbranch_execnz .LBB9_33
; %bb.34:
	s_or_b32 exec_lo, exec_lo, s5
	v_mov_b32_e32 v12, 0
	ds_load_b64 v[12:13], v12 offset:40
	s_wait_dscnt 0x0
	v_mul_f64_e32 v[12:13], v[22:23], v[12:13]
.LBB9_35:
	s_or_b32 exec_lo, exec_lo, s4
	v_cmp_gt_u32_e64 s2, 6, v0
	s_barrier_signal -1
	s_barrier_wait -1
	ds_store_b64 v26, v[14:15]
	s_wait_dscnt 0x0
	s_barrier_signal -1
	s_barrier_wait -1
	s_and_saveexec_b32 s5, s2
	s_cbranch_execz .LBB9_39
; %bb.36:
	v_mov_b64_e32 v[22:23], 0
	v_mov_b64_e32 v[24:25], v[0:1]
	v_lshl_add_u32 v27, v0, 3, 0x50
	s_mov_b32 s6, 0
.LBB9_37:                               ; =>This Inner Loop Header: Depth=1
	s_delay_alu instid0(VALU_DEP_2) | instskip(SKIP_1) | instid1(VALU_DEP_2)
	v_cmp_eq_u32_e64 s3, 1, v24
	v_cmp_eq_u32_e64 s4, 2, v24
	v_dual_cndmask_b32 v28, v3, v5, s3 :: v_dual_cndmask_b32 v29, v2, v4, s3
	v_cmp_eq_u32_e64 s3, 3, v24
	s_delay_alu instid0(VALU_DEP_2) | instskip(SKIP_1) | instid1(VALU_DEP_2)
	v_dual_cndmask_b32 v28, v28, v7, s4 :: v_dual_cndmask_b32 v29, v29, v6, s4
	v_cmp_eq_u32_e64 s4, 4, v24
	v_dual_cndmask_b32 v28, v28, v9, s3 :: v_dual_cndmask_b32 v29, v29, v8, s3
	v_cmp_eq_u32_e64 s3, 5, v24
	s_delay_alu instid0(VALU_DEP_2) | instskip(SKIP_1) | instid1(VALU_DEP_2)
	v_dual_cndmask_b32 v28, v28, v11, s4 :: v_dual_cndmask_b32 v29, v29, v10, s4
	v_cmp_eq_u32_e64 s4, 6, v24
	v_dual_cndmask_b32 v30, v28, v13, s3 :: v_dual_cndmask_b32 v31, v29, v12, s3
	ds_load_b64 v[28:29], v27
	v_cmp_eq_u32_e64 s3, 7, v24
	v_add_nc_u32_e32 v27, 8, v27
	v_dual_cndmask_b32 v30, v30, v15, s4 :: v_dual_cndmask_b32 v31, v31, v14, s4
	v_cmp_eq_u32_e64 s4, 8, v24
	s_delay_alu instid0(VALU_DEP_2) | instskip(SKIP_2) | instid1(VALU_DEP_3)
	v_dual_cndmask_b32 v30, v30, v17, s3 :: v_dual_cndmask_b32 v31, v31, v16, s3
	v_cmp_eq_u32_e64 s3, 9, v24
	v_add_nc_u64_e32 v[24:25], 1, v[24:25]
	v_dual_cndmask_b32 v30, v30, v19, s4 :: v_dual_cndmask_b32 v32, v31, v18, s4
	s_delay_alu instid0(VALU_DEP_1) | instskip(SKIP_1) | instid1(VALU_DEP_1)
	v_dual_cndmask_b32 v31, v30, v21, s3 :: v_dual_cndmask_b32 v30, v32, v20, s3
	s_wait_dscnt 0x0
	v_fmac_f64_e32 v[22:23], v[30:31], v[28:29]
	s_delay_alu instid0(VALU_DEP_4) | instskip(NEXT) | instid1(VALU_DEP_1)
	v_add_nc_u32_e32 v28, -1, v24
	v_cmp_lt_u32_e64 s3, 4, v28
	s_or_b32 s6, s3, s6
	s_delay_alu instid0(SALU_CYCLE_1)
	s_and_not1_b32 exec_lo, exec_lo, s6
	s_cbranch_execnz .LBB9_37
; %bb.38:
	s_or_b32 exec_lo, exec_lo, s6
	v_mov_b32_e32 v14, 0
	ds_load_b64 v[14:15], v14 offset:48
	s_wait_dscnt 0x0
	v_mul_f64_e32 v[14:15], v[22:23], v[14:15]
.LBB9_39:
	s_or_b32 exec_lo, exec_lo, s5
	s_delay_alu instid0(SALU_CYCLE_1)
	s_mov_b32 s5, exec_lo
	s_barrier_signal -1
	s_barrier_wait -1
	ds_store_b64 v26, v[16:17]
	s_wait_dscnt 0x0
	s_barrier_signal -1
	s_barrier_wait -1
	v_cmpx_gt_u32_e32 7, v0
	s_cbranch_execz .LBB9_43
; %bb.40:
	v_mov_b64_e32 v[22:23], 0
	v_mov_b64_e32 v[24:25], v[0:1]
	v_lshl_add_u32 v27, v0, 3, 0x50
	s_mov_b32 s6, 0
.LBB9_41:                               ; =>This Inner Loop Header: Depth=1
	s_delay_alu instid0(VALU_DEP_2) | instskip(SKIP_1) | instid1(VALU_DEP_2)
	v_cmp_eq_u32_e64 s3, 1, v24
	v_cmp_eq_u32_e64 s4, 2, v24
	v_dual_cndmask_b32 v28, v3, v5, s3 :: v_dual_cndmask_b32 v29, v2, v4, s3
	v_cmp_eq_u32_e64 s3, 3, v24
	s_delay_alu instid0(VALU_DEP_2) | instskip(SKIP_1) | instid1(VALU_DEP_2)
	v_dual_cndmask_b32 v28, v28, v7, s4 :: v_dual_cndmask_b32 v29, v29, v6, s4
	v_cmp_eq_u32_e64 s4, 4, v24
	v_dual_cndmask_b32 v28, v28, v9, s3 :: v_dual_cndmask_b32 v29, v29, v8, s3
	v_cmp_eq_u32_e64 s3, 5, v24
	s_delay_alu instid0(VALU_DEP_2) | instskip(SKIP_1) | instid1(VALU_DEP_2)
	v_dual_cndmask_b32 v28, v28, v11, s4 :: v_dual_cndmask_b32 v29, v29, v10, s4
	v_cmp_eq_u32_e64 s4, 6, v24
	v_dual_cndmask_b32 v30, v28, v13, s3 :: v_dual_cndmask_b32 v31, v29, v12, s3
	ds_load_b64 v[28:29], v27
	v_cmp_eq_u32_e64 s3, 7, v24
	v_add_nc_u32_e32 v27, 8, v27
	v_dual_cndmask_b32 v30, v30, v15, s4 :: v_dual_cndmask_b32 v31, v31, v14, s4
	v_cmp_eq_u32_e64 s4, 8, v24
	s_delay_alu instid0(VALU_DEP_2) | instskip(SKIP_2) | instid1(VALU_DEP_3)
	v_dual_cndmask_b32 v30, v30, v17, s3 :: v_dual_cndmask_b32 v31, v31, v16, s3
	v_cmp_eq_u32_e64 s3, 9, v24
	v_add_nc_u64_e32 v[24:25], 1, v[24:25]
	v_dual_cndmask_b32 v30, v30, v19, s4 :: v_dual_cndmask_b32 v32, v31, v18, s4
	s_delay_alu instid0(VALU_DEP_1) | instskip(SKIP_1) | instid1(VALU_DEP_1)
	v_dual_cndmask_b32 v31, v30, v21, s3 :: v_dual_cndmask_b32 v30, v32, v20, s3
	s_wait_dscnt 0x0
	v_fmac_f64_e32 v[22:23], v[30:31], v[28:29]
	s_delay_alu instid0(VALU_DEP_4) | instskip(NEXT) | instid1(VALU_DEP_1)
	v_add_nc_u32_e32 v28, -1, v24
	v_cmp_lt_u32_e64 s3, 5, v28
	s_or_b32 s6, s3, s6
	s_delay_alu instid0(SALU_CYCLE_1)
	s_and_not1_b32 exec_lo, exec_lo, s6
	s_cbranch_execnz .LBB9_41
; %bb.42:
	s_or_b32 exec_lo, exec_lo, s6
	v_mov_b32_e32 v16, 0
	ds_load_b64 v[16:17], v16 offset:56
	s_wait_dscnt 0x0
	v_mul_f64_e32 v[16:17], v[22:23], v[16:17]
.LBB9_43:
	s_or_b32 exec_lo, exec_lo, s5
	s_delay_alu instid0(SALU_CYCLE_1)
	s_mov_b32 s5, exec_lo
	s_barrier_signal -1
	s_barrier_wait -1
	ds_store_b64 v26, v[18:19]
	s_wait_dscnt 0x0
	s_barrier_signal -1
	s_barrier_wait -1
	v_cmpx_gt_u32_e32 8, v0
	s_cbranch_execz .LBB9_59
; %bb.44:
	v_cmp_eq_u32_e64 s3, 1, v0
	v_cmp_eq_u32_e64 s4, 7, v0
	s_mov_b32 s6, exec_lo
	v_dual_cndmask_b32 v22, v3, v5, s3 :: v_dual_cndmask_b32 v23, v2, v4, s3
	v_cmp_eq_u32_e64 s3, 2, v0
	s_delay_alu instid0(VALU_DEP_1) | instskip(SKIP_1) | instid1(VALU_DEP_1)
	v_dual_cndmask_b32 v22, v22, v7, s3 :: v_dual_cndmask_b32 v23, v23, v6, s3
	v_cmp_eq_u32_e64 s3, 3, v0
	v_dual_cndmask_b32 v22, v22, v9, s3 :: v_dual_cndmask_b32 v23, v23, v8, s3
	v_cmp_eq_u32_e64 s3, 4, v0
	s_delay_alu instid0(VALU_DEP_1) | instskip(SKIP_1) | instid1(VALU_DEP_1)
	v_dual_cndmask_b32 v22, v22, v11, s3 :: v_dual_cndmask_b32 v23, v23, v10, s3
	v_cmp_eq_u32_e64 s3, 5, v0
	v_dual_cndmask_b32 v22, v22, v13, s3 :: v_dual_cndmask_b32 v23, v23, v12, s3
	v_cmp_eq_u32_e64 s3, 6, v0
	s_delay_alu instid0(VALU_DEP_1) | instskip(SKIP_3) | instid1(VALU_DEP_1)
	v_dual_cndmask_b32 v24, v22, v15, s3 :: v_dual_cndmask_b32 v25, v23, v14, s3
	ds_load_b64 v[22:23], v26
	v_cmp_eq_u32_e64 s3, 8, v0
	v_dual_cndmask_b32 v24, v24, v17, s4 :: v_dual_cndmask_b32 v25, v25, v16, s4
	v_dual_cndmask_b32 v24, v24, v19, s3 :: v_dual_cndmask_b32 v27, v25, v18, s3
	v_cmp_eq_u32_e64 s3, 9, v0
	s_delay_alu instid0(VALU_DEP_1) | instskip(SKIP_1) | instid1(VALU_DEP_1)
	v_dual_cndmask_b32 v25, v24, v21, s3 :: v_dual_cndmask_b32 v24, v27, v20, s3
	s_wait_dscnt 0x0
	v_fma_f64 v[22:23], v[24:25], v[22:23], 0
	v_cmpx_ne_u32_e32 7, v0
	s_cbranch_execz .LBB9_58
; %bb.45:
	v_add_nc_u32_e32 v27, 1, v0
	s_delay_alu instid0(VALU_DEP_1) | instskip(NEXT) | instid1(VALU_DEP_1)
	v_cmp_eq_u32_e64 s3, 1, v27
	v_dual_cndmask_b32 v24, v3, v5, s3 :: v_dual_cndmask_b32 v25, v2, v4, s3
	v_cmp_eq_u32_e64 s3, 2, v27
	v_cmp_eq_u32_e64 s4, 7, v27
	s_delay_alu instid0(VALU_DEP_2) | instskip(SKIP_1) | instid1(VALU_DEP_1)
	v_dual_cndmask_b32 v24, v24, v7, s3 :: v_dual_cndmask_b32 v25, v25, v6, s3
	v_cmp_eq_u32_e64 s3, 3, v27
	v_dual_cndmask_b32 v24, v24, v9, s3 :: v_dual_cndmask_b32 v25, v25, v8, s3
	v_cmp_eq_u32_e64 s3, 4, v27
	s_delay_alu instid0(VALU_DEP_1) | instskip(SKIP_1) | instid1(VALU_DEP_1)
	v_dual_cndmask_b32 v24, v24, v11, s3 :: v_dual_cndmask_b32 v25, v25, v10, s3
	v_cmp_eq_u32_e64 s3, 5, v27
	v_dual_cndmask_b32 v24, v24, v13, s3 :: v_dual_cndmask_b32 v25, v25, v12, s3
	v_cmp_eq_u32_e64 s3, 6, v27
	s_delay_alu instid0(VALU_DEP_1) | instskip(SKIP_3) | instid1(VALU_DEP_1)
	v_dual_cndmask_b32 v28, v24, v15, s3 :: v_dual_cndmask_b32 v29, v25, v14, s3
	ds_load_b64 v[24:25], v26 offset:8
	v_cmp_eq_u32_e64 s3, 8, v27
	v_dual_cndmask_b32 v28, v28, v17, s4 :: v_dual_cndmask_b32 v29, v29, v16, s4
	v_dual_cndmask_b32 v28, v28, v19, s3 :: v_dual_cndmask_b32 v30, v29, v18, s3
	v_cmp_eq_u32_e64 s3, 9, v27
	s_delay_alu instid0(VALU_DEP_1) | instskip(SKIP_1) | instid1(VALU_DEP_1)
	v_dual_cndmask_b32 v29, v28, v21, s3 :: v_dual_cndmask_b32 v28, v30, v20, s3
	s_wait_dscnt 0x0
	v_fmac_f64_e32 v[22:23], v[28:29], v[24:25]
	s_and_saveexec_b32 s4, s2
	s_cbranch_execz .LBB9_57
; %bb.46:
	v_add_nc_u32_e32 v27, 2, v0
	s_mov_b32 s7, exec_lo
	s_delay_alu instid0(VALU_DEP_1) | instskip(NEXT) | instid1(VALU_DEP_1)
	v_cmp_eq_u32_e64 s2, 1, v27
	v_dual_cndmask_b32 v24, v3, v5, s2 :: v_dual_cndmask_b32 v25, v2, v4, s2
	v_cmp_eq_u32_e64 s2, 2, v27
	v_cmp_eq_u32_e64 s3, 7, v27
	s_delay_alu instid0(VALU_DEP_2) | instskip(SKIP_1) | instid1(VALU_DEP_1)
	v_dual_cndmask_b32 v24, v24, v7, s2 :: v_dual_cndmask_b32 v25, v25, v6, s2
	v_cmp_eq_u32_e64 s2, 3, v27
	v_dual_cndmask_b32 v24, v24, v9, s2 :: v_dual_cndmask_b32 v25, v25, v8, s2
	v_cmp_eq_u32_e64 s2, 4, v27
	s_delay_alu instid0(VALU_DEP_1) | instskip(SKIP_1) | instid1(VALU_DEP_1)
	v_dual_cndmask_b32 v24, v24, v11, s2 :: v_dual_cndmask_b32 v25, v25, v10, s2
	v_cmp_eq_u32_e64 s2, 5, v27
	v_dual_cndmask_b32 v24, v24, v13, s2 :: v_dual_cndmask_b32 v25, v25, v12, s2
	v_cmp_eq_u32_e64 s2, 6, v27
	s_delay_alu instid0(VALU_DEP_1) | instskip(SKIP_3) | instid1(VALU_DEP_1)
	v_dual_cndmask_b32 v28, v24, v15, s2 :: v_dual_cndmask_b32 v29, v25, v14, s2
	ds_load_b64 v[24:25], v26 offset:16
	v_cmp_eq_u32_e64 s2, 8, v27
	v_dual_cndmask_b32 v28, v28, v17, s3 :: v_dual_cndmask_b32 v29, v29, v16, s3
	v_dual_cndmask_b32 v28, v28, v19, s2 :: v_dual_cndmask_b32 v30, v29, v18, s2
	v_cmp_eq_u32_e64 s2, 9, v27
	s_delay_alu instid0(VALU_DEP_1) | instskip(SKIP_1) | instid1(VALU_DEP_1)
	v_dual_cndmask_b32 v29, v28, v21, s2 :: v_dual_cndmask_b32 v28, v30, v20, s2
	s_wait_dscnt 0x0
	v_fmac_f64_e32 v[22:23], v[28:29], v[24:25]
	v_cmpx_ne_u32_e32 5, v0
	s_cbranch_execz .LBB9_56
; %bb.47:
	v_add_nc_u32_e32 v27, 3, v0
	s_delay_alu instid0(VALU_DEP_1) | instskip(NEXT) | instid1(VALU_DEP_1)
	v_cmp_eq_u32_e64 s2, 1, v27
	v_dual_cndmask_b32 v24, v3, v5, s2 :: v_dual_cndmask_b32 v25, v2, v4, s2
	v_cmp_eq_u32_e64 s2, 2, v27
	v_cmp_eq_u32_e64 s3, 7, v27
	s_delay_alu instid0(VALU_DEP_2) | instskip(SKIP_1) | instid1(VALU_DEP_1)
	v_dual_cndmask_b32 v24, v24, v7, s2 :: v_dual_cndmask_b32 v25, v25, v6, s2
	v_cmp_eq_u32_e64 s2, 3, v27
	v_dual_cndmask_b32 v24, v24, v9, s2 :: v_dual_cndmask_b32 v25, v25, v8, s2
	v_cmp_eq_u32_e64 s2, 4, v27
	s_delay_alu instid0(VALU_DEP_1) | instskip(SKIP_1) | instid1(VALU_DEP_1)
	v_dual_cndmask_b32 v24, v24, v11, s2 :: v_dual_cndmask_b32 v25, v25, v10, s2
	v_cmp_eq_u32_e64 s2, 5, v27
	v_dual_cndmask_b32 v24, v24, v13, s2 :: v_dual_cndmask_b32 v25, v25, v12, s2
	v_cmp_eq_u32_e64 s2, 6, v27
	s_delay_alu instid0(VALU_DEP_1) | instskip(SKIP_3) | instid1(VALU_DEP_1)
	v_dual_cndmask_b32 v28, v24, v15, s2 :: v_dual_cndmask_b32 v29, v25, v14, s2
	ds_load_b64 v[24:25], v26 offset:24
	v_cmp_eq_u32_e64 s2, 8, v27
	v_dual_cndmask_b32 v28, v28, v17, s3 :: v_dual_cndmask_b32 v29, v29, v16, s3
	v_dual_cndmask_b32 v28, v28, v19, s2 :: v_dual_cndmask_b32 v30, v29, v18, s2
	v_cmp_eq_u32_e64 s2, 9, v27
	s_delay_alu instid0(VALU_DEP_1) | instskip(SKIP_1) | instid1(VALU_DEP_1)
	v_dual_cndmask_b32 v29, v28, v21, s2 :: v_dual_cndmask_b32 v28, v30, v20, s2
	s_wait_dscnt 0x0
	v_fmac_f64_e32 v[22:23], v[28:29], v[24:25]
	s_and_saveexec_b32 s3, s1
	s_cbranch_execz .LBB9_55
; %bb.48:
	v_or_b32_e32 v27, 4, v0
	s_mov_b32 s8, exec_lo
	s_delay_alu instid0(VALU_DEP_1) | instskip(NEXT) | instid1(VALU_DEP_1)
	v_cmp_eq_u32_e64 s1, 1, v27
	v_dual_cndmask_b32 v24, v3, v5, s1 :: v_dual_cndmask_b32 v25, v2, v4, s1
	v_cmp_eq_u32_e64 s1, 2, v27
	v_cmp_eq_u32_e64 s2, 7, v27
	s_delay_alu instid0(VALU_DEP_2) | instskip(SKIP_1) | instid1(VALU_DEP_1)
	v_dual_cndmask_b32 v24, v24, v7, s1 :: v_dual_cndmask_b32 v25, v25, v6, s1
	v_cmp_eq_u32_e64 s1, 3, v27
	v_dual_cndmask_b32 v24, v24, v9, s1 :: v_dual_cndmask_b32 v25, v25, v8, s1
	v_cmp_eq_u32_e64 s1, 4, v27
	s_delay_alu instid0(VALU_DEP_1) | instskip(SKIP_1) | instid1(VALU_DEP_1)
	v_dual_cndmask_b32 v24, v24, v11, s1 :: v_dual_cndmask_b32 v25, v25, v10, s1
	v_cmp_eq_u32_e64 s1, 5, v27
	v_dual_cndmask_b32 v24, v24, v13, s1 :: v_dual_cndmask_b32 v25, v25, v12, s1
	v_cmp_eq_u32_e64 s1, 6, v27
	s_delay_alu instid0(VALU_DEP_1) | instskip(SKIP_3) | instid1(VALU_DEP_1)
	v_dual_cndmask_b32 v28, v24, v15, s1 :: v_dual_cndmask_b32 v29, v25, v14, s1
	ds_load_b64 v[24:25], v26 offset:32
	v_cmp_eq_u32_e64 s1, 8, v27
	v_dual_cndmask_b32 v28, v28, v17, s2 :: v_dual_cndmask_b32 v29, v29, v16, s2
	v_dual_cndmask_b32 v28, v28, v19, s1 :: v_dual_cndmask_b32 v30, v29, v18, s1
	v_cmp_eq_u32_e64 s1, 9, v27
	s_delay_alu instid0(VALU_DEP_1) | instskip(SKIP_1) | instid1(VALU_DEP_1)
	v_dual_cndmask_b32 v29, v28, v21, s1 :: v_dual_cndmask_b32 v28, v30, v20, s1
	s_wait_dscnt 0x0
	v_fmac_f64_e32 v[22:23], v[28:29], v[24:25]
	v_cmpx_ne_u32_e32 3, v0
	s_cbranch_execz .LBB9_54
; %bb.49:
	v_add_nc_u32_e32 v27, 5, v0
	s_delay_alu instid0(VALU_DEP_1) | instskip(NEXT) | instid1(VALU_DEP_1)
	v_cmp_eq_u32_e64 s1, 1, v27
	v_dual_cndmask_b32 v24, v3, v5, s1 :: v_dual_cndmask_b32 v25, v2, v4, s1
	v_cmp_eq_u32_e64 s1, 2, v27
	v_cmp_eq_u32_e64 s2, 7, v27
	s_delay_alu instid0(VALU_DEP_2) | instskip(SKIP_1) | instid1(VALU_DEP_1)
	v_dual_cndmask_b32 v24, v24, v7, s1 :: v_dual_cndmask_b32 v25, v25, v6, s1
	v_cmp_eq_u32_e64 s1, 3, v27
	v_dual_cndmask_b32 v24, v24, v9, s1 :: v_dual_cndmask_b32 v25, v25, v8, s1
	v_cmp_eq_u32_e64 s1, 4, v27
	s_delay_alu instid0(VALU_DEP_1) | instskip(SKIP_1) | instid1(VALU_DEP_1)
	v_dual_cndmask_b32 v24, v24, v11, s1 :: v_dual_cndmask_b32 v25, v25, v10, s1
	v_cmp_eq_u32_e64 s1, 5, v27
	v_dual_cndmask_b32 v24, v24, v13, s1 :: v_dual_cndmask_b32 v25, v25, v12, s1
	v_cmp_eq_u32_e64 s1, 6, v27
	s_delay_alu instid0(VALU_DEP_1) | instskip(SKIP_3) | instid1(VALU_DEP_1)
	v_dual_cndmask_b32 v28, v24, v15, s1 :: v_dual_cndmask_b32 v29, v25, v14, s1
	ds_load_b64 v[24:25], v26 offset:40
	v_cmp_eq_u32_e64 s1, 8, v27
	v_dual_cndmask_b32 v28, v28, v17, s2 :: v_dual_cndmask_b32 v29, v29, v16, s2
	v_dual_cndmask_b32 v28, v28, v19, s1 :: v_dual_cndmask_b32 v30, v29, v18, s1
	v_cmp_eq_u32_e64 s1, 9, v27
	s_delay_alu instid0(VALU_DEP_1) | instskip(SKIP_1) | instid1(VALU_DEP_1)
	v_dual_cndmask_b32 v29, v28, v21, s1 :: v_dual_cndmask_b32 v28, v30, v20, s1
	s_wait_dscnt 0x0
	v_fmac_f64_e32 v[22:23], v[28:29], v[24:25]
	s_and_saveexec_b32 s2, vcc_lo
	s_cbranch_execz .LBB9_53
; %bb.50:
	v_or_b32_e32 v27, 6, v0
	s_delay_alu instid0(VALU_DEP_1) | instskip(SKIP_3) | instid1(VALU_DEP_3)
	v_cmp_eq_u32_e32 vcc_lo, 1, v27
	v_dual_cndmask_b32 v24, v3, v5 :: v_dual_cndmask_b32 v25, v2, v4
	v_cmp_eq_u32_e32 vcc_lo, 2, v27
	v_cmp_eq_u32_e64 s1, 7, v27
	v_dual_cndmask_b32 v24, v24, v7 :: v_dual_cndmask_b32 v25, v25, v6
	v_cmp_eq_u32_e32 vcc_lo, 3, v27
	s_delay_alu instid0(VALU_DEP_2) | instskip(SKIP_1) | instid1(VALU_DEP_2)
	v_dual_cndmask_b32 v24, v24, v9 :: v_dual_cndmask_b32 v25, v25, v8
	v_cmp_eq_u32_e32 vcc_lo, 4, v27
	v_dual_cndmask_b32 v24, v24, v11 :: v_dual_cndmask_b32 v25, v25, v10
	v_cmp_eq_u32_e32 vcc_lo, 5, v27
	s_delay_alu instid0(VALU_DEP_2) | instskip(SKIP_1) | instid1(VALU_DEP_2)
	v_dual_cndmask_b32 v24, v24, v13 :: v_dual_cndmask_b32 v25, v25, v12
	v_cmp_eq_u32_e32 vcc_lo, 6, v27
	v_dual_cndmask_b32 v28, v24, v15 :: v_dual_cndmask_b32 v29, v25, v14
	ds_load_b64 v[24:25], v26 offset:48
	v_cmp_eq_u32_e32 vcc_lo, 8, v27
	v_dual_cndmask_b32 v28, v28, v17, s1 :: v_dual_cndmask_b32 v29, v29, v16, s1
	s_delay_alu instid0(VALU_DEP_1) | instskip(SKIP_1) | instid1(VALU_DEP_2)
	v_dual_cndmask_b32 v19, v28, v19 :: v_dual_cndmask_b32 v18, v29, v18
	v_cmp_eq_u32_e32 vcc_lo, 9, v27
	v_dual_cndmask_b32 v19, v19, v21 :: v_dual_cndmask_b32 v18, v18, v20
	s_wait_dscnt 0x0
	s_delay_alu instid0(VALU_DEP_1)
	v_fmac_f64_e32 v[22:23], v[18:19], v[24:25]
	s_and_saveexec_b32 s1, s0
	s_cbranch_execz .LBB9_52
; %bb.51:
	ds_load_b64 v[18:19], v26 offset:56
	s_wait_dscnt 0x0
	v_fmac_f64_e32 v[22:23], v[16:17], v[18:19]
.LBB9_52:
	s_or_b32 exec_lo, exec_lo, s1
.LBB9_53:
	s_delay_alu instid0(SALU_CYCLE_1)
	s_or_b32 exec_lo, exec_lo, s2
.LBB9_54:
	s_delay_alu instid0(SALU_CYCLE_1)
	s_or_b32 exec_lo, exec_lo, s8
.LBB9_55:
	s_delay_alu instid0(SALU_CYCLE_1)
	s_or_b32 exec_lo, exec_lo, s3
.LBB9_56:
	s_delay_alu instid0(SALU_CYCLE_1)
	s_or_b32 exec_lo, exec_lo, s7
.LBB9_57:
	s_delay_alu instid0(SALU_CYCLE_1)
	s_or_b32 exec_lo, exec_lo, s4
.LBB9_58:
	s_delay_alu instid0(SALU_CYCLE_1)
	s_or_b32 exec_lo, exec_lo, s6
	v_mov_b32_e32 v18, 0
	ds_load_b64 v[18:19], v18 offset:64
	s_wait_dscnt 0x0
	v_mul_f64_e32 v[18:19], v[22:23], v[18:19]
.LBB9_59:
	s_or_b32 exec_lo, exec_lo, s5
	s_delay_alu instid0(SALU_CYCLE_1)
	s_mov_b32 s1, exec_lo
	s_barrier_signal -1
	s_barrier_wait -1
	ds_store_b64 v26, v[20:21]
	s_wait_dscnt 0x0
	s_barrier_signal -1
	s_barrier_wait -1
	v_cmpx_ne_u32_e32 9, v0
	s_cbranch_execz .LBB9_63
; %bb.60:
	v_mov_b64_e32 v[22:23], 0
	v_mov_b64_e32 v[24:25], v[0:1]
	v_lshl_add_u32 v26, v0, 3, 0x50
	s_mov_b32 s2, 0
.LBB9_61:                               ; =>This Inner Loop Header: Depth=1
	s_delay_alu instid0(VALU_DEP_2)
	v_cmp_eq_u32_e32 vcc_lo, 1, v24
	v_cmp_eq_u32_e64 s0, 2, v24
	ds_load_b64 v[28:29], v26
	v_dual_cndmask_b32 v1, v3, v5 :: v_dual_add_nc_u32 v26, 8, v26
	v_cndmask_b32_e32 v27, v2, v4, vcc_lo
	v_cmp_eq_u32_e32 vcc_lo, 3, v24
	s_delay_alu instid0(VALU_DEP_2) | instskip(SKIP_1) | instid1(VALU_DEP_2)
	v_dual_cndmask_b32 v1, v1, v7, s0 :: v_dual_cndmask_b32 v27, v27, v6, s0
	v_cmp_eq_u32_e64 s0, 4, v24
	v_dual_cndmask_b32 v1, v1, v9, vcc_lo :: v_dual_cndmask_b32 v27, v27, v8, vcc_lo
	v_cmp_eq_u32_e32 vcc_lo, 5, v24
	s_delay_alu instid0(VALU_DEP_2) | instskip(SKIP_1) | instid1(VALU_DEP_2)
	v_dual_cndmask_b32 v1, v1, v11, s0 :: v_dual_cndmask_b32 v27, v27, v10, s0
	v_cmp_eq_u32_e64 s0, 6, v24
	v_dual_cndmask_b32 v1, v1, v13, vcc_lo :: v_dual_cndmask_b32 v27, v27, v12, vcc_lo
	;; [unrolled: 5-line block ×3, first 2 shown]
	v_cmp_eq_u32_e32 vcc_lo, 9, v24
	v_add_nc_u64_e32 v[24:25], 1, v[24:25]
	s_delay_alu instid0(VALU_DEP_3) | instskip(NEXT) | instid1(VALU_DEP_1)
	v_dual_cndmask_b32 v1, v1, v19, s0 :: v_dual_cndmask_b32 v27, v27, v18, s0
	v_dual_cndmask_b32 v31, v1, v21 :: v_dual_cndmask_b32 v30, v27, v20
	s_delay_alu instid0(VALU_DEP_3) | instskip(SKIP_1) | instid1(VALU_DEP_2)
	v_add_nc_u32_e32 v1, -1, v24
	s_wait_dscnt 0x0
	v_fmac_f64_e32 v[22:23], v[30:31], v[28:29]
	s_delay_alu instid0(VALU_DEP_2) | instskip(SKIP_1) | instid1(SALU_CYCLE_1)
	v_cmp_lt_u32_e32 vcc_lo, 7, v1
	s_or_b32 s2, vcc_lo, s2
	s_and_not1_b32 exec_lo, exec_lo, s2
	s_cbranch_execnz .LBB9_61
; %bb.62:
	s_or_b32 exec_lo, exec_lo, s2
	v_mov_b32_e32 v1, 0
	ds_load_b64 v[20:21], v1 offset:72
	s_wait_dscnt 0x0
	v_mul_f64_e32 v[20:21], v[22:23], v[20:21]
.LBB9_63:
	s_or_b32 exec_lo, exec_lo, s1
	s_barrier_signal -1
	s_barrier_wait -1
	s_cbranch_execnz .LBB9_15
	s_branch .LBB9_16
.LBB9_64:
	s_wait_xcnt 0x0
	v_lshl_add_u32 v1, v0, 3, 0x50
	s_mov_b32 s0, exec_lo
	v_cmpx_eq_u32_e32 9, v0
	s_cbranch_execz .LBB9_66
; %bb.65:
	v_dual_mov_b32 v38, 0 :: v_dual_mov_b32 v36, v16
	v_dual_mov_b32 v22, v2 :: v_dual_mov_b32 v23, v3
	v_dual_mov_b32 v34, v14 :: v_dual_mov_b32 v35, v15
	v_dual_mov_b32 v37, v17 :: v_dual_mov_b32 v40, v20
	s_delay_alu instid0(VALU_DEP_4)
	v_dual_mov_b32 v41, v21 :: v_dual_mov_b32 v39, v38
	v_dual_mov_b32 v24, v4 :: v_dual_mov_b32 v25, v5
	;; [unrolled: 1-line block ×6, first 2 shown]
	ds_store_b64 v1, v[18:19]
	v_mov_b64_e32 v[2:3], v[22:23]
	v_mov_b64_e32 v[4:5], v[24:25]
	;; [unrolled: 1-line block ×16, first 2 shown]
.LBB9_66:
	s_or_b32 exec_lo, exec_lo, s0
	v_mov_b32_e32 v36, 0
	s_wait_storecnt_dscnt 0x0
	s_barrier_signal -1
	s_barrier_wait -1
	ds_load_b64 v[22:23], v36 offset:152
	s_mov_b32 s0, exec_lo
	s_wait_dscnt 0x0
	v_fma_f64 v[22:23], v[20:21], v[22:23], 0
	s_delay_alu instid0(VALU_DEP_1)
	v_add_f64_e64 v[18:19], v[18:19], -v[22:23]
	v_cmpx_lt_u32_e32 7, v0
	s_cbranch_execz .LBB9_68
; %bb.67:
	v_dual_mov_b32 v22, v2 :: v_dual_mov_b32 v23, v3
	v_dual_mov_b32 v34, v14 :: v_dual_mov_b32 v35, v15
	s_delay_alu instid0(VALU_DEP_4)
	v_dual_mov_b32 v37, v36 :: v_dual_mov_b32 v38, v18
	v_dual_mov_b32 v39, v19 :: v_dual_mov_b32 v40, v20
	;; [unrolled: 1-line block ×7, first 2 shown]
	v_mov_b32_e32 v33, v13
	ds_store_b64 v1, v[16:17]
	v_mov_b64_e32 v[2:3], v[22:23]
	v_mov_b64_e32 v[4:5], v[24:25]
	;; [unrolled: 1-line block ×16, first 2 shown]
.LBB9_68:
	s_or_b32 exec_lo, exec_lo, s0
	s_wait_dscnt 0x0
	s_barrier_signal -1
	s_barrier_wait -1
	ds_load_b128 v[22:25], v36 offset:144
	s_mov_b32 s0, exec_lo
	s_wait_dscnt 0x0
	v_fma_f64 v[22:23], v[18:19], v[22:23], 0
	s_delay_alu instid0(VALU_DEP_1) | instskip(NEXT) | instid1(VALU_DEP_1)
	v_fmac_f64_e32 v[22:23], v[20:21], v[24:25]
	v_add_f64_e64 v[16:17], v[16:17], -v[22:23]
	v_cmpx_lt_u32_e32 6, v0
	s_cbranch_execz .LBB9_70
; %bb.69:
	v_dual_mov_b32 v34, 0 :: v_dual_mov_b32 v22, v2
	v_dual_mov_b32 v23, v3 :: v_dual_mov_b32 v24, v4
	s_delay_alu instid0(VALU_DEP_2)
	v_dual_mov_b32 v33, v13 :: v_dual_mov_b32 v35, v34
	v_dual_mov_b32 v36, v16 :: v_dual_mov_b32 v37, v17
	;; [unrolled: 1-line block ×8, first 2 shown]
	ds_store_b64 v1, v[14:15]
	v_mov_b64_e32 v[2:3], v[22:23]
	v_mov_b64_e32 v[4:5], v[24:25]
	;; [unrolled: 1-line block ×16, first 2 shown]
.LBB9_70:
	s_or_b32 exec_lo, exec_lo, s0
	v_mov_b32_e32 v34, 0
	s_wait_dscnt 0x0
	s_barrier_signal -1
	s_barrier_wait -1
	ds_load_2addr_b64 v[22:25], v34 offset0:17 offset1:18
	ds_load_b64 v[26:27], v34 offset:152
	s_mov_b32 s0, exec_lo
	s_wait_dscnt 0x1
	v_fma_f64 v[22:23], v[16:17], v[22:23], 0
	s_delay_alu instid0(VALU_DEP_1) | instskip(SKIP_1) | instid1(VALU_DEP_1)
	v_fmac_f64_e32 v[22:23], v[18:19], v[24:25]
	s_wait_dscnt 0x0
	v_fmac_f64_e32 v[22:23], v[20:21], v[26:27]
	s_delay_alu instid0(VALU_DEP_1)
	v_add_f64_e64 v[14:15], v[14:15], -v[22:23]
	v_cmpx_lt_u32_e32 5, v0
	s_cbranch_execz .LBB9_72
; %bb.71:
	v_dual_mov_b32 v24, v2 :: v_dual_mov_b32 v25, v3
	s_delay_alu instid0(VALU_DEP_3) | instskip(NEXT) | instid1(VALU_DEP_4)
	v_dual_mov_b32 v35, v34 :: v_dual_mov_b32 v36, v14
	v_dual_mov_b32 v37, v15 :: v_dual_mov_b32 v38, v16
	;; [unrolled: 1-line block ×8, first 2 shown]
	v_mov_b32_e32 v33, v11
	ds_store_b64 v1, v[12:13]
	v_mov_b64_e32 v[2:3], v[24:25]
	v_mov_b64_e32 v[4:5], v[26:27]
	;; [unrolled: 1-line block ×16, first 2 shown]
.LBB9_72:
	s_or_b32 exec_lo, exec_lo, s0
	s_wait_dscnt 0x0
	s_barrier_signal -1
	s_barrier_wait -1
	ds_load_b128 v[22:25], v34 offset:128
	ds_load_b128 v[26:29], v34 offset:144
	s_mov_b32 s0, exec_lo
	s_wait_dscnt 0x1
	v_fma_f64 v[22:23], v[14:15], v[22:23], 0
	s_delay_alu instid0(VALU_DEP_1) | instskip(SKIP_1) | instid1(VALU_DEP_1)
	v_fmac_f64_e32 v[22:23], v[16:17], v[24:25]
	s_wait_dscnt 0x0
	v_fmac_f64_e32 v[22:23], v[18:19], v[26:27]
	s_delay_alu instid0(VALU_DEP_1) | instskip(NEXT) | instid1(VALU_DEP_1)
	v_fmac_f64_e32 v[22:23], v[20:21], v[28:29]
	v_add_f64_e64 v[12:13], v[12:13], -v[22:23]
	v_cmpx_lt_u32_e32 4, v0
	s_cbranch_execz .LBB9_74
; %bb.73:
	v_dual_mov_b32 v30, 0 :: v_dual_mov_b32 v22, v2
	v_dual_mov_b32 v23, v3 :: v_dual_mov_b32 v24, v4
	;; [unrolled: 1-line block ×10, first 2 shown]
	ds_store_b64 v1, v[10:11]
	v_mov_b64_e32 v[2:3], v[22:23]
	v_mov_b64_e32 v[4:5], v[24:25]
	;; [unrolled: 1-line block ×16, first 2 shown]
.LBB9_74:
	s_or_b32 exec_lo, exec_lo, s0
	v_mov_b32_e32 v34, 0
	s_wait_dscnt 0x0
	s_barrier_signal -1
	s_barrier_wait -1
	ds_load_2addr_b64 v[22:25], v34 offset0:15 offset1:16
	ds_load_2addr_b64 v[26:29], v34 offset0:17 offset1:18
	s_mov_b32 s0, exec_lo
	s_wait_dscnt 0x1
	v_fma_f64 v[22:23], v[12:13], v[22:23], 0
	s_delay_alu instid0(VALU_DEP_1) | instskip(SKIP_3) | instid1(VALU_DEP_1)
	v_fmac_f64_e32 v[22:23], v[14:15], v[24:25]
	ds_load_b64 v[24:25], v34 offset:152
	s_wait_dscnt 0x1
	v_fmac_f64_e32 v[22:23], v[16:17], v[26:27]
	v_fmac_f64_e32 v[22:23], v[18:19], v[28:29]
	s_wait_dscnt 0x0
	s_delay_alu instid0(VALU_DEP_1) | instskip(NEXT) | instid1(VALU_DEP_1)
	v_fmac_f64_e32 v[22:23], v[20:21], v[24:25]
	v_add_f64_e64 v[10:11], v[10:11], -v[22:23]
	v_cmpx_lt_u32_e32 3, v0
	s_cbranch_execz .LBB9_76
; %bb.75:
	v_dual_mov_b32 v28, v2 :: v_dual_mov_b32 v29, v3
	s_delay_alu instid0(VALU_DEP_3) | instskip(NEXT) | instid1(VALU_DEP_4)
	v_dual_mov_b32 v35, v34 :: v_dual_mov_b32 v36, v10
	v_dual_mov_b32 v37, v11 :: v_dual_mov_b32 v38, v12
	;; [unrolled: 1-line block ×8, first 2 shown]
	v_mov_b32_e32 v33, v7
	ds_store_b64 v1, v[8:9]
	v_mov_b64_e32 v[2:3], v[28:29]
	v_mov_b64_e32 v[4:5], v[30:31]
	;; [unrolled: 1-line block ×16, first 2 shown]
.LBB9_76:
	s_or_b32 exec_lo, exec_lo, s0
	s_wait_dscnt 0x0
	s_barrier_signal -1
	s_barrier_wait -1
	ds_load_b128 v[22:25], v34 offset:112
	ds_load_b128 v[26:29], v34 offset:128
	s_mov_b32 s0, exec_lo
	s_wait_dscnt 0x1
	v_fma_f64 v[30:31], v[10:11], v[22:23], 0
	s_delay_alu instid0(VALU_DEP_1) | instskip(SKIP_3) | instid1(VALU_DEP_1)
	v_fmac_f64_e32 v[30:31], v[12:13], v[24:25]
	ds_load_b128 v[22:25], v34 offset:144
	s_wait_dscnt 0x1
	v_fmac_f64_e32 v[30:31], v[14:15], v[26:27]
	v_fmac_f64_e32 v[30:31], v[16:17], v[28:29]
	s_wait_dscnt 0x0
	s_delay_alu instid0(VALU_DEP_1) | instskip(NEXT) | instid1(VALU_DEP_1)
	v_fmac_f64_e32 v[30:31], v[18:19], v[22:23]
	v_fmac_f64_e32 v[30:31], v[20:21], v[24:25]
	s_delay_alu instid0(VALU_DEP_1)
	v_add_f64_e64 v[8:9], v[8:9], -v[30:31]
	v_cmpx_lt_u32_e32 2, v0
	s_cbranch_execz .LBB9_78
; %bb.77:
	v_dual_mov_b32 v26, 0 :: v_dual_mov_b32 v22, v2
	v_dual_mov_b32 v23, v3 :: v_dual_mov_b32 v24, v4
	;; [unrolled: 1-line block ×10, first 2 shown]
	ds_store_b64 v1, v[6:7]
	v_mov_b64_e32 v[2:3], v[22:23]
	v_mov_b64_e32 v[4:5], v[24:25]
	;; [unrolled: 1-line block ×16, first 2 shown]
.LBB9_78:
	s_or_b32 exec_lo, exec_lo, s0
	v_mov_b32_e32 v34, 0
	s_wait_dscnt 0x0
	s_barrier_signal -1
	s_barrier_wait -1
	ds_load_2addr_b64 v[22:25], v34 offset0:13 offset1:14
	ds_load_2addr_b64 v[26:29], v34 offset0:15 offset1:16
	s_mov_b32 s0, exec_lo
	s_wait_dscnt 0x1
	v_fma_f64 v[30:31], v[8:9], v[22:23], 0
	s_delay_alu instid0(VALU_DEP_1) | instskip(SKIP_1) | instid1(VALU_DEP_1)
	v_fmac_f64_e32 v[30:31], v[10:11], v[24:25]
	s_wait_dscnt 0x0
	v_fmac_f64_e32 v[30:31], v[12:13], v[26:27]
	ds_load_2addr_b64 v[22:25], v34 offset0:17 offset1:18
	ds_load_b64 v[26:27], v34 offset:152
	v_fmac_f64_e32 v[30:31], v[14:15], v[28:29]
	s_wait_dscnt 0x1
	s_delay_alu instid0(VALU_DEP_1) | instskip(NEXT) | instid1(VALU_DEP_1)
	v_fmac_f64_e32 v[30:31], v[16:17], v[22:23]
	v_fmac_f64_e32 v[30:31], v[18:19], v[24:25]
	s_wait_dscnt 0x0
	s_delay_alu instid0(VALU_DEP_1) | instskip(NEXT) | instid1(VALU_DEP_1)
	v_fmac_f64_e32 v[30:31], v[20:21], v[26:27]
	v_add_f64_e64 v[6:7], v[6:7], -v[30:31]
	v_cmpx_lt_u32_e32 1, v0
	s_cbranch_execz .LBB9_80
; %bb.79:
	v_dual_mov_b32 v32, v2 :: v_dual_mov_b32 v33, v3
	s_delay_alu instid0(VALU_DEP_3) | instskip(NEXT) | instid1(VALU_DEP_4)
	v_dual_mov_b32 v35, v34 :: v_dual_mov_b32 v36, v6
	v_dual_mov_b32 v37, v7 :: v_dual_mov_b32 v38, v8
	;; [unrolled: 1-line block ×8, first 2 shown]
	v_mov_b32_e32 v51, v21
	ds_store_b64 v1, v[4:5]
	v_mov_b64_e32 v[2:3], v[32:33]
	v_mov_b64_e32 v[4:5], v[34:35]
	;; [unrolled: 1-line block ×16, first 2 shown]
.LBB9_80:
	s_or_b32 exec_lo, exec_lo, s0
	s_wait_dscnt 0x0
	s_barrier_signal -1
	s_barrier_wait -1
	ds_load_b128 v[22:25], v34 offset:96
	ds_load_b128 v[26:29], v34 offset:112
	v_dual_ashrrev_i32 v55, 31, v54 :: v_dual_ashrrev_i32 v57, 31, v56
	v_dual_ashrrev_i32 v63, 31, v62 :: v_dual_ashrrev_i32 v65, 31, v64
	;; [unrolled: 1-line block ×3, first 2 shown]
	v_ashrrev_i32_e32 v71, 31, v70
	s_mov_b32 s0, exec_lo
	v_ashrrev_i32_e32 v53, 31, v52
	s_wait_dscnt 0x1
	v_fma_f64 v[30:31], v[6:7], v[22:23], 0
	s_delay_alu instid0(VALU_DEP_1) | instskip(SKIP_1) | instid1(VALU_DEP_1)
	v_fmac_f64_e32 v[30:31], v[8:9], v[24:25]
	s_wait_dscnt 0x0
	v_fmac_f64_e32 v[30:31], v[10:11], v[26:27]
	s_delay_alu instid0(VALU_DEP_1) | instskip(SKIP_4) | instid1(VALU_DEP_1)
	v_fmac_f64_e32 v[30:31], v[12:13], v[28:29]
	ds_load_b128 v[22:25], v34 offset:128
	ds_load_b128 v[26:29], v34 offset:144
	s_wait_dscnt 0x1
	v_fmac_f64_e32 v[30:31], v[14:15], v[22:23]
	v_fmac_f64_e32 v[30:31], v[16:17], v[24:25]
	s_wait_dscnt 0x0
	s_delay_alu instid0(VALU_DEP_1) | instskip(NEXT) | instid1(VALU_DEP_1)
	v_fmac_f64_e32 v[30:31], v[18:19], v[26:27]
	v_fmac_f64_e32 v[30:31], v[20:21], v[28:29]
	s_delay_alu instid0(VALU_DEP_1)
	v_add_f64_e64 v[4:5], v[4:5], -v[30:31]
	v_cmpx_ne_u32_e32 0, v0
	s_cbranch_execz .LBB9_82
; %bb.81:
	s_delay_alu instid0(VALU_DEP_2) | instskip(SKIP_1) | instid1(VALU_DEP_2)
	v_dual_mov_b32 v22, 0 :: v_dual_mov_b32 v24, v4
	v_dual_mov_b32 v27, v7 :: v_dual_mov_b32 v34, v14
	;; [unrolled: 1-line block ×10, first 2 shown]
	ds_store_b64 v1, v[2:3]
	v_mov_b64_e32 v[2:3], v[22:23]
	v_mov_b64_e32 v[4:5], v[24:25]
	;; [unrolled: 1-line block ×16, first 2 shown]
.LBB9_82:
	s_or_b32 exec_lo, exec_lo, s0
	v_mov_b32_e32 v0, 0
	s_wait_dscnt 0x0
	s_barrier_signal -1
	s_barrier_wait -1
	ds_load_2addr_b64 v[22:25], v0 offset0:11 offset1:12
	ds_load_2addr_b64 v[26:29], v0 offset0:13 offset1:14
	s_and_b32 vcc_lo, exec_lo, s20
	s_wait_dscnt 0x1
	v_fma_f64 v[30:31], v[4:5], v[22:23], 0
	s_delay_alu instid0(VALU_DEP_1) | instskip(SKIP_1) | instid1(VALU_DEP_1)
	v_fmac_f64_e32 v[30:31], v[6:7], v[24:25]
	s_wait_dscnt 0x0
	v_fmac_f64_e32 v[30:31], v[8:9], v[26:27]
	s_delay_alu instid0(VALU_DEP_1)
	v_fmac_f64_e32 v[30:31], v[10:11], v[28:29]
	ds_load_2addr_b64 v[22:25], v0 offset0:15 offset1:16
	ds_load_2addr_b64 v[26:29], v0 offset0:17 offset1:18
	s_wait_dscnt 0x1
	v_fmac_f64_e32 v[30:31], v[12:13], v[22:23]
	ds_load_b64 v[22:23], v0 offset:152
	v_fmac_f64_e32 v[30:31], v[14:15], v[24:25]
	s_wait_dscnt 0x1
	s_delay_alu instid0(VALU_DEP_1) | instskip(NEXT) | instid1(VALU_DEP_1)
	v_fmac_f64_e32 v[30:31], v[16:17], v[26:27]
	v_fmac_f64_e32 v[30:31], v[18:19], v[28:29]
	s_wait_dscnt 0x0
	s_delay_alu instid0(VALU_DEP_1) | instskip(NEXT) | instid1(VALU_DEP_1)
	v_fmac_f64_e32 v[30:31], v[20:21], v[22:23]
	v_add_f64_e64 v[2:3], v[2:3], -v[30:31]
	s_cbranch_vccz .LBB9_101
; %bb.83:
	global_load_b32 v0, v0, s[16:17] offset:32
	s_wait_loadcnt 0x0
	v_readfirstlane_b32 s0, v0
	s_add_co_i32 s0, s0, -1
	s_delay_alu instid0(SALU_CYCLE_1)
	s_cmp_lg_u32 s0, 8
	s_cbranch_scc0 .LBB9_85
; %bb.84:
	s_lshl_b32 m0, s0, 1
	v_movrels_b32_e32 v0, v2
	v_movrels_b32_e32 v1, v3
	v_mov_b64_e32 v[50:51], v[32:33]
	v_mov_b64_e32 v[48:49], v[30:31]
	;; [unrolled: 1-line block ×16, first 2 shown]
	v_dual_mov_b32 v36, v0 :: v_dual_mov_b32 v37, v1
	s_delay_alu instid0(VALU_DEP_2) | instskip(NEXT) | instid1(VALU_DEP_3)
	v_movreld_b32_e32 v20, v18
	v_movreld_b32_e32 v21, v19
	v_mov_b64_e32 v[2:3], v[20:21]
	v_mov_b64_e32 v[4:5], v[22:23]
	;; [unrolled: 1-line block ×16, first 2 shown]
.LBB9_85:
	v_mov_b32_e32 v0, 0
	global_load_b32 v1, v0, s[16:17] offset:28
	s_wait_loadcnt 0x0
	v_readfirstlane_b32 s0, v1
	s_add_co_i32 s0, s0, -1
	s_delay_alu instid0(SALU_CYCLE_1)
	s_cmp_eq_u32 s0, 7
	s_cbranch_scc1 .LBB9_87
; %bb.86:
	s_lshl_b32 m0, s0, 1
	v_movrels_b32_e32 v1, v2
	v_movrels_b32_e32 v50, v3
	v_mov_b64_e32 v[48:49], v[32:33]
	v_mov_b64_e32 v[46:47], v[30:31]
	v_mov_b64_e32 v[44:45], v[28:29]
	v_mov_b64_e32 v[42:43], v[26:27]
	v_mov_b64_e32 v[40:41], v[24:25]
	v_mov_b64_e32 v[38:39], v[22:23]
	v_mov_b64_e32 v[36:37], v[20:21]
	v_mov_b64_e32 v[34:35], v[18:19]
	v_mov_b64_e32 v[32:33], v[16:17]
	v_mov_b64_e32 v[30:31], v[14:15]
	v_mov_b64_e32 v[28:29], v[12:13]
	v_mov_b64_e32 v[26:27], v[10:11]
	v_mov_b64_e32 v[24:25], v[8:9]
	v_mov_b64_e32 v[22:23], v[6:7]
	v_mov_b64_e32 v[20:21], v[4:5]
	v_mov_b64_e32 v[18:19], v[2:3]
	v_dual_mov_b32 v32, v1 :: v_dual_mov_b32 v33, v50
	s_delay_alu instid0(VALU_DEP_2) | instskip(NEXT) | instid1(VALU_DEP_3)
	v_movreld_b32_e32 v18, v16
	v_movreld_b32_e32 v19, v17
	v_mov_b64_e32 v[2:3], v[18:19]
	v_mov_b64_e32 v[4:5], v[20:21]
	;; [unrolled: 1-line block ×16, first 2 shown]
.LBB9_87:
	global_load_b32 v0, v0, s[16:17] offset:24
	s_wait_loadcnt 0x0
	v_readfirstlane_b32 s0, v0
	s_add_co_i32 s0, s0, -1
	s_delay_alu instid0(SALU_CYCLE_1)
	s_cmp_eq_u32 s0, 6
	s_cbranch_scc1 .LBB9_89
; %bb.88:
	s_lshl_b32 m0, s0, 1
	v_movrels_b32_e32 v0, v2
	v_movrels_b32_e32 v1, v3
	v_mov_b64_e32 v[46:47], v[32:33]
	v_mov_b64_e32 v[44:45], v[30:31]
	;; [unrolled: 1-line block ×16, first 2 shown]
	v_dual_mov_b32 v28, v0 :: v_dual_mov_b32 v29, v1
	s_delay_alu instid0(VALU_DEP_2) | instskip(NEXT) | instid1(VALU_DEP_3)
	v_movreld_b32_e32 v16, v14
	v_movreld_b32_e32 v17, v15
	v_mov_b64_e32 v[2:3], v[16:17]
	v_mov_b64_e32 v[4:5], v[18:19]
	;; [unrolled: 1-line block ×16, first 2 shown]
.LBB9_89:
	v_mov_b32_e32 v0, 0
	global_load_b32 v1, v0, s[16:17] offset:20
	s_wait_loadcnt 0x0
	v_readfirstlane_b32 s0, v1
	s_add_co_i32 s0, s0, -1
	s_delay_alu instid0(SALU_CYCLE_1)
	s_cmp_eq_u32 s0, 5
	s_cbranch_scc1 .LBB9_91
; %bb.90:
	s_lshl_b32 m0, s0, 1
	v_movrels_b32_e32 v1, v2
	v_movrels_b32_e32 v46, v3
	v_mov_b64_e32 v[44:45], v[32:33]
	v_mov_b64_e32 v[42:43], v[30:31]
	;; [unrolled: 1-line block ×16, first 2 shown]
	v_dual_mov_b32 v24, v1 :: v_dual_mov_b32 v25, v46
	s_delay_alu instid0(VALU_DEP_2) | instskip(NEXT) | instid1(VALU_DEP_3)
	v_movreld_b32_e32 v14, v12
	v_movreld_b32_e32 v15, v13
	v_mov_b64_e32 v[2:3], v[14:15]
	v_mov_b64_e32 v[4:5], v[16:17]
	;; [unrolled: 1-line block ×16, first 2 shown]
.LBB9_91:
	global_load_b32 v0, v0, s[16:17] offset:16
	s_wait_loadcnt 0x0
	v_readfirstlane_b32 s0, v0
	s_add_co_i32 s0, s0, -1
	s_delay_alu instid0(SALU_CYCLE_1)
	s_cmp_eq_u32 s0, 4
	s_cbranch_scc1 .LBB9_93
; %bb.92:
	s_lshl_b32 m0, s0, 1
	v_movrels_b32_e32 v0, v2
	v_movrels_b32_e32 v1, v3
	v_mov_b64_e32 v[42:43], v[32:33]
	v_mov_b64_e32 v[40:41], v[30:31]
	;; [unrolled: 1-line block ×16, first 2 shown]
	v_dual_mov_b32 v20, v0 :: v_dual_mov_b32 v21, v1
	s_delay_alu instid0(VALU_DEP_2) | instskip(NEXT) | instid1(VALU_DEP_3)
	v_movreld_b32_e32 v12, v10
	v_movreld_b32_e32 v13, v11
	v_mov_b64_e32 v[2:3], v[12:13]
	v_mov_b64_e32 v[4:5], v[14:15]
	;; [unrolled: 1-line block ×16, first 2 shown]
.LBB9_93:
	v_mov_b32_e32 v0, 0
	global_load_b32 v1, v0, s[16:17] offset:12
	s_wait_loadcnt 0x0
	v_readfirstlane_b32 s0, v1
	s_add_co_i32 s0, s0, -1
	s_delay_alu instid0(SALU_CYCLE_1)
	s_cmp_eq_u32 s0, 3
	s_cbranch_scc1 .LBB9_95
; %bb.94:
	s_lshl_b32 m0, s0, 1
	v_movrels_b32_e32 v1, v2
	v_movrels_b32_e32 v42, v3
	v_mov_b64_e32 v[40:41], v[32:33]
	v_mov_b64_e32 v[38:39], v[30:31]
	;; [unrolled: 1-line block ×16, first 2 shown]
	v_dual_mov_b32 v16, v1 :: v_dual_mov_b32 v17, v42
	s_delay_alu instid0(VALU_DEP_2) | instskip(NEXT) | instid1(VALU_DEP_3)
	v_movreld_b32_e32 v10, v8
	v_movreld_b32_e32 v11, v9
	v_mov_b64_e32 v[2:3], v[10:11]
	v_mov_b64_e32 v[4:5], v[12:13]
	v_mov_b64_e32 v[6:7], v[14:15]
	v_mov_b64_e32 v[8:9], v[16:17]
	v_mov_b64_e32 v[10:11], v[18:19]
	v_mov_b64_e32 v[12:13], v[20:21]
	v_mov_b64_e32 v[14:15], v[22:23]
	v_mov_b64_e32 v[16:17], v[24:25]
	v_mov_b64_e32 v[18:19], v[26:27]
	v_mov_b64_e32 v[20:21], v[28:29]
	v_mov_b64_e32 v[22:23], v[30:31]
	v_mov_b64_e32 v[24:25], v[32:33]
	v_mov_b64_e32 v[26:27], v[34:35]
	v_mov_b64_e32 v[28:29], v[36:37]
	v_mov_b64_e32 v[30:31], v[38:39]
	v_mov_b64_e32 v[32:33], v[40:41]
.LBB9_95:
	global_load_b32 v0, v0, s[16:17] offset:8
	s_wait_loadcnt 0x0
	v_readfirstlane_b32 s0, v0
	s_add_co_i32 s0, s0, -1
	s_delay_alu instid0(SALU_CYCLE_1)
	s_cmp_eq_u32 s0, 2
	s_cbranch_scc1 .LBB9_97
; %bb.96:
	s_lshl_b32 m0, s0, 1
	v_movrels_b32_e32 v0, v2
	v_movrels_b32_e32 v1, v3
	v_mov_b64_e32 v[38:39], v[32:33]
	v_mov_b64_e32 v[36:37], v[30:31]
	;; [unrolled: 1-line block ×16, first 2 shown]
	v_dual_mov_b32 v12, v0 :: v_dual_mov_b32 v13, v1
	s_delay_alu instid0(VALU_DEP_2) | instskip(NEXT) | instid1(VALU_DEP_3)
	v_movreld_b32_e32 v8, v6
	v_movreld_b32_e32 v9, v7
	v_mov_b64_e32 v[2:3], v[8:9]
	v_mov_b64_e32 v[4:5], v[10:11]
	;; [unrolled: 1-line block ×16, first 2 shown]
.LBB9_97:
	v_mov_b32_e32 v0, 0
	global_load_b32 v1, v0, s[16:17] offset:4
	s_wait_loadcnt 0x0
	v_readfirstlane_b32 s0, v1
	s_add_co_i32 s0, s0, -1
	s_delay_alu instid0(SALU_CYCLE_1)
	s_cmp_eq_u32 s0, 1
	s_cbranch_scc1 .LBB9_99
; %bb.98:
	s_lshl_b32 m0, s0, 1
	v_movrels_b32_e32 v1, v2
	v_movrels_b32_e32 v38, v3
	v_mov_b64_e32 v[36:37], v[32:33]
	v_mov_b64_e32 v[34:35], v[30:31]
	;; [unrolled: 1-line block ×16, first 2 shown]
	v_dual_mov_b32 v8, v1 :: v_dual_mov_b32 v9, v38
	s_delay_alu instid0(VALU_DEP_2) | instskip(NEXT) | instid1(VALU_DEP_3)
	v_movreld_b32_e32 v6, v4
	v_movreld_b32_e32 v7, v5
	v_mov_b64_e32 v[2:3], v[6:7]
	s_delay_alu instid0(VALU_DEP_4)
	v_mov_b64_e32 v[4:5], v[8:9]
	v_mov_b64_e32 v[6:7], v[10:11]
	;; [unrolled: 1-line block ×15, first 2 shown]
.LBB9_99:
	global_load_b32 v0, v0, s[16:17]
	s_wait_loadcnt 0x0
	v_readfirstlane_b32 s0, v0
	s_add_co_i32 s0, s0, -1
	s_delay_alu instid0(SALU_CYCLE_1)
	s_cmp_eq_u32 s0, 0
	s_cbranch_scc1 .LBB9_101
; %bb.100:
	s_lshl_b32 m0, s0, 1
	v_movrels_b32_e32 v0, v2
	v_movrels_b32_e32 v1, v3
	v_mov_b64_e32 v[34:35], v[32:33]
	v_mov_b64_e32 v[32:33], v[30:31]
	;; [unrolled: 1-line block ×16, first 2 shown]
	v_dual_mov_b32 v4, v0 :: v_dual_mov_b32 v5, v1
	s_delay_alu instid0(VALU_DEP_1) | instskip(NEXT) | instid1(VALU_DEP_2)
	v_movreld_b32_e32 v4, v2
	v_movreld_b32_e32 v5, v3
	v_mov_b64_e32 v[2:3], v[4:5]
	v_mov_b64_e32 v[4:5], v[6:7]
	;; [unrolled: 1-line block ×16, first 2 shown]
.LBB9_101:
	v_lshl_add_u64 v[34:35], v[52:53], 3, s[12:13]
	v_lshl_add_u64 v[32:33], v[54:55], 3, s[12:13]
	;; [unrolled: 1-line block ×8, first 2 shown]
	s_clause 0x9
	global_store_b64 v[58:59], v[2:3], off
	global_store_b64 v[60:61], v[4:5], off
	;; [unrolled: 1-line block ×10, first 2 shown]
	s_sendmsg sendmsg(MSG_DEALLOC_VGPRS)
	s_endpgm
	.section	.rodata,"a",@progbits
	.p2align	6, 0x0
	.amdhsa_kernel _ZN9rocsolver6v33100L18getri_kernel_smallILi10EdPdEEvT1_iilPiilS4_bb
		.amdhsa_group_segment_fixed_size 168
		.amdhsa_private_segment_fixed_size 0
		.amdhsa_kernarg_size 60
		.amdhsa_user_sgpr_count 2
		.amdhsa_user_sgpr_dispatch_ptr 0
		.amdhsa_user_sgpr_queue_ptr 0
		.amdhsa_user_sgpr_kernarg_segment_ptr 1
		.amdhsa_user_sgpr_dispatch_id 0
		.amdhsa_user_sgpr_kernarg_preload_length 0
		.amdhsa_user_sgpr_kernarg_preload_offset 0
		.amdhsa_user_sgpr_private_segment_size 0
		.amdhsa_wavefront_size32 1
		.amdhsa_uses_dynamic_stack 0
		.amdhsa_enable_private_segment 0
		.amdhsa_system_sgpr_workgroup_id_x 1
		.amdhsa_system_sgpr_workgroup_id_y 0
		.amdhsa_system_sgpr_workgroup_id_z 0
		.amdhsa_system_sgpr_workgroup_info 0
		.amdhsa_system_vgpr_workitem_id 0
		.amdhsa_next_free_vgpr 72
		.amdhsa_next_free_sgpr 21
		.amdhsa_named_barrier_count 0
		.amdhsa_reserve_vcc 1
		.amdhsa_float_round_mode_32 0
		.amdhsa_float_round_mode_16_64 0
		.amdhsa_float_denorm_mode_32 3
		.amdhsa_float_denorm_mode_16_64 3
		.amdhsa_fp16_overflow 0
		.amdhsa_memory_ordered 1
		.amdhsa_forward_progress 1
		.amdhsa_inst_pref_size 77
		.amdhsa_round_robin_scheduling 0
		.amdhsa_exception_fp_ieee_invalid_op 0
		.amdhsa_exception_fp_denorm_src 0
		.amdhsa_exception_fp_ieee_div_zero 0
		.amdhsa_exception_fp_ieee_overflow 0
		.amdhsa_exception_fp_ieee_underflow 0
		.amdhsa_exception_fp_ieee_inexact 0
		.amdhsa_exception_int_div_zero 0
	.end_amdhsa_kernel
	.section	.text._ZN9rocsolver6v33100L18getri_kernel_smallILi10EdPdEEvT1_iilPiilS4_bb,"axG",@progbits,_ZN9rocsolver6v33100L18getri_kernel_smallILi10EdPdEEvT1_iilPiilS4_bb,comdat
.Lfunc_end9:
	.size	_ZN9rocsolver6v33100L18getri_kernel_smallILi10EdPdEEvT1_iilPiilS4_bb, .Lfunc_end9-_ZN9rocsolver6v33100L18getri_kernel_smallILi10EdPdEEvT1_iilPiilS4_bb
                                        ; -- End function
	.set _ZN9rocsolver6v33100L18getri_kernel_smallILi10EdPdEEvT1_iilPiilS4_bb.num_vgpr, 72
	.set _ZN9rocsolver6v33100L18getri_kernel_smallILi10EdPdEEvT1_iilPiilS4_bb.num_agpr, 0
	.set _ZN9rocsolver6v33100L18getri_kernel_smallILi10EdPdEEvT1_iilPiilS4_bb.numbered_sgpr, 21
	.set _ZN9rocsolver6v33100L18getri_kernel_smallILi10EdPdEEvT1_iilPiilS4_bb.num_named_barrier, 0
	.set _ZN9rocsolver6v33100L18getri_kernel_smallILi10EdPdEEvT1_iilPiilS4_bb.private_seg_size, 0
	.set _ZN9rocsolver6v33100L18getri_kernel_smallILi10EdPdEEvT1_iilPiilS4_bb.uses_vcc, 1
	.set _ZN9rocsolver6v33100L18getri_kernel_smallILi10EdPdEEvT1_iilPiilS4_bb.uses_flat_scratch, 0
	.set _ZN9rocsolver6v33100L18getri_kernel_smallILi10EdPdEEvT1_iilPiilS4_bb.has_dyn_sized_stack, 0
	.set _ZN9rocsolver6v33100L18getri_kernel_smallILi10EdPdEEvT1_iilPiilS4_bb.has_recursion, 0
	.set _ZN9rocsolver6v33100L18getri_kernel_smallILi10EdPdEEvT1_iilPiilS4_bb.has_indirect_call, 0
	.section	.AMDGPU.csdata,"",@progbits
; Kernel info:
; codeLenInByte = 9768
; TotalNumSgprs: 23
; NumVgprs: 72
; ScratchSize: 0
; MemoryBound: 0
; FloatMode: 240
; IeeeMode: 1
; LDSByteSize: 168 bytes/workgroup (compile time only)
; SGPRBlocks: 0
; VGPRBlocks: 4
; NumSGPRsForWavesPerEU: 23
; NumVGPRsForWavesPerEU: 72
; NamedBarCnt: 0
; Occupancy: 12
; WaveLimiterHint : 0
; COMPUTE_PGM_RSRC2:SCRATCH_EN: 0
; COMPUTE_PGM_RSRC2:USER_SGPR: 2
; COMPUTE_PGM_RSRC2:TRAP_HANDLER: 0
; COMPUTE_PGM_RSRC2:TGID_X_EN: 1
; COMPUTE_PGM_RSRC2:TGID_Y_EN: 0
; COMPUTE_PGM_RSRC2:TGID_Z_EN: 0
; COMPUTE_PGM_RSRC2:TIDIG_COMP_CNT: 0
	.section	.text._ZN9rocsolver6v33100L18getri_kernel_smallILi11EdPdEEvT1_iilPiilS4_bb,"axG",@progbits,_ZN9rocsolver6v33100L18getri_kernel_smallILi11EdPdEEvT1_iilPiilS4_bb,comdat
	.globl	_ZN9rocsolver6v33100L18getri_kernel_smallILi11EdPdEEvT1_iilPiilS4_bb ; -- Begin function _ZN9rocsolver6v33100L18getri_kernel_smallILi11EdPdEEvT1_iilPiilS4_bb
	.p2align	8
	.type	_ZN9rocsolver6v33100L18getri_kernel_smallILi11EdPdEEvT1_iilPiilS4_bb,@function
_ZN9rocsolver6v33100L18getri_kernel_smallILi11EdPdEEvT1_iilPiilS4_bb: ; @_ZN9rocsolver6v33100L18getri_kernel_smallILi11EdPdEEvT1_iilPiilS4_bb
; %bb.0:
	s_mov_b32 s2, exec_lo
	v_cmpx_gt_u32_e32 11, v0
	s_cbranch_execz .LBB10_16
; %bb.1:
	s_clause 0x2
	s_load_b32 s2, s[0:1], 0x38
	s_load_b128 s[4:7], s[0:1], 0x10
	s_load_b128 s[12:15], s[0:1], 0x28
	s_getreg_b32 s9, hwreg(HW_REG_IB_STS2, 6, 4)
                                        ; implicit-def: $sgpr16_sgpr17
	s_wait_kmcnt 0x0
	s_bitcmp1_b32 s2, 8
	s_cselect_b32 s20, -1, 0
	s_bfe_u32 s3, ttmp6, 0x4000c
	s_and_b32 s8, ttmp6, 15
	s_add_co_i32 s3, s3, 1
	s_delay_alu instid0(SALU_CYCLE_1) | instskip(NEXT) | instid1(SALU_CYCLE_1)
	s_mul_i32 s3, ttmp9, s3
	s_add_co_i32 s8, s8, s3
	s_cmp_eq_u32 s9, 0
	s_cselect_b32 s18, ttmp9, s8
	s_bfe_u32 s2, s2, 0x10008
	s_ashr_i32 s19, s18, 31
	s_cmp_eq_u32 s2, 0
	s_cbranch_scc1 .LBB10_3
; %bb.2:
	s_load_b32 s2, s[0:1], 0x20
	s_mul_u64 s[8:9], s[12:13], s[18:19]
	s_delay_alu instid0(SALU_CYCLE_1) | instskip(NEXT) | instid1(SALU_CYCLE_1)
	s_lshl_b64 s[8:9], s[8:9], 2
	s_add_nc_u64 s[6:7], s[6:7], s[8:9]
	s_wait_kmcnt 0x0
	s_ashr_i32 s3, s2, 31
	s_delay_alu instid0(SALU_CYCLE_1) | instskip(NEXT) | instid1(SALU_CYCLE_1)
	s_lshl_b64 s[2:3], s[2:3], 2
	s_add_nc_u64 s[16:17], s[6:7], s[2:3]
.LBB10_3:
	s_clause 0x1
	s_load_b128 s[8:11], s[0:1], 0x0
	s_load_b32 s6, s[0:1], 0x38
	s_wait_xcnt 0x0
	s_mul_u64 s[0:1], s[4:5], s[18:19]
	v_mov_b32_e32 v1, 0
	s_lshl_b64 s[0:1], s[0:1], 3
	s_wait_kmcnt 0x0
	v_add3_u32 v56, s11, s11, v0
	s_ashr_i32 s3, s10, 31
	s_mov_b32 s2, s10
	s_add_nc_u64 s[0:1], s[8:9], s[0:1]
	s_lshl_b64 s[2:3], s[2:3], 3
	v_add_nc_u32_e32 v58, s11, v56
	v_lshlrev_b32_e32 v24, 3, v0
	s_add_nc_u64 s[12:13], s[0:1], s[2:3]
	s_ashr_i32 s1, s11, 31
	s_mov_b32 s0, s11
	v_dual_mov_b32 v25, v1 :: v_dual_add_nc_u32 v60, s11, v58
	s_bitcmp0_b32 s6, 0
	s_delay_alu instid0(VALU_DEP_1) | instskip(NEXT) | instid1(VALU_DEP_2)
	v_add_nc_u32_e32 v66, s11, v60
	v_add_nc_u64_e32 v[62:63], s[12:13], v[24:25]
	s_delay_alu instid0(VALU_DEP_2) | instskip(NEXT) | instid1(VALU_DEP_2)
	v_add_nc_u32_e32 v68, s11, v66
	v_lshl_add_u64 v[64:65], s[0:1], 3, v[62:63]
	s_mov_b32 s0, -1
	s_delay_alu instid0(VALU_DEP_2)
	v_add_nc_u32_e32 v70, s11, v68
	s_clause 0x4
	global_load_b64 v[4:5], v[64:65], off
	global_load_b64 v[6:7], v56, s[12:13] scale_offset
	global_load_b64 v[8:9], v58, s[12:13] scale_offset
	;; [unrolled: 1-line block ×4, first 2 shown]
	v_add_nc_u32_e32 v72, s11, v70
	s_delay_alu instid0(VALU_DEP_1) | instskip(NEXT) | instid1(VALU_DEP_1)
	v_add_nc_u32_e32 v74, s11, v72
	v_add_nc_u32_e32 v76, s11, v74
	s_clause 0x5
	global_load_b64 v[14:15], v68, s[12:13] scale_offset
	global_load_b64 v[16:17], v70, s[12:13] scale_offset
	;; [unrolled: 1-line block ×6, first 2 shown]
	s_cbranch_scc1 .LBB10_14
; %bb.4:
	v_cmp_eq_u32_e64 s0, 0, v0
	s_wait_xcnt 0x0
	s_and_saveexec_b32 s1, s0
; %bb.5:
	v_mov_b32_e32 v25, 0
	ds_store_b32 v25, v25 offset:88
; %bb.6:
	s_or_b32 exec_lo, exec_lo, s1
	v_cmp_eq_u32_e32 vcc_lo, 1, v0
	s_mov_b32 s2, exec_lo
	s_wait_loadcnt_dscnt 0x0
	s_barrier_signal -1
	s_barrier_wait -1
	v_dual_cndmask_b32 v25, v3, v5 :: v_dual_cndmask_b32 v26, v2, v4
	v_cmp_eq_u32_e32 vcc_lo, 2, v0
	s_delay_alu instid0(VALU_DEP_2) | instskip(SKIP_1) | instid1(VALU_DEP_2)
	v_dual_cndmask_b32 v25, v25, v7 :: v_dual_cndmask_b32 v26, v26, v6
	v_cmp_eq_u32_e32 vcc_lo, 3, v0
	v_dual_cndmask_b32 v25, v25, v9 :: v_dual_cndmask_b32 v26, v26, v8
	v_cmp_eq_u32_e32 vcc_lo, 4, v0
	s_delay_alu instid0(VALU_DEP_2) | instskip(SKIP_1) | instid1(VALU_DEP_2)
	v_dual_cndmask_b32 v25, v25, v11 :: v_dual_cndmask_b32 v26, v26, v10
	v_cmp_eq_u32_e32 vcc_lo, 5, v0
	;; [unrolled: 5-line block ×4, first 2 shown]
	v_dual_cndmask_b32 v25, v25, v21 :: v_dual_cndmask_b32 v26, v26, v20
	v_cmp_eq_u32_e32 vcc_lo, 10, v0
	s_delay_alu instid0(VALU_DEP_2) | instskip(NEXT) | instid1(VALU_DEP_1)
	v_dual_cndmask_b32 v27, v25, v23 :: v_dual_cndmask_b32 v26, v26, v22
	v_cmpx_eq_f64_e32 0, v[26:27]
	s_cbranch_execz .LBB10_10
; %bb.7:
	v_mov_b32_e32 v25, 0
	s_mov_b32 s3, 0
	ds_load_b32 v28, v25 offset:88
	s_wait_dscnt 0x0
	v_readfirstlane_b32 s1, v28
	v_add_nc_u32_e32 v28, 1, v0
	s_cmp_eq_u32 s1, 0
	s_delay_alu instid0(VALU_DEP_1) | instskip(SKIP_1) | instid1(SALU_CYCLE_1)
	v_cmp_gt_i32_e32 vcc_lo, s1, v28
	s_cselect_b32 s4, -1, 0
	s_or_b32 s4, s4, vcc_lo
	s_delay_alu instid0(SALU_CYCLE_1)
	s_and_b32 exec_lo, exec_lo, s4
	s_cbranch_execz .LBB10_10
; %bb.8:
	v_mov_b32_e32 v29, s1
.LBB10_9:                               ; =>This Inner Loop Header: Depth=1
	ds_cmpstore_rtn_b32 v29, v25, v28, v29 offset:88
	s_wait_dscnt 0x0
	v_cmp_ne_u32_e32 vcc_lo, 0, v29
	v_cmp_le_i32_e64 s1, v29, v28
	s_and_b32 s1, vcc_lo, s1
	s_delay_alu instid0(SALU_CYCLE_1) | instskip(NEXT) | instid1(SALU_CYCLE_1)
	s_and_b32 s1, exec_lo, s1
	s_or_b32 s3, s1, s3
	s_delay_alu instid0(SALU_CYCLE_1)
	s_and_not1_b32 exec_lo, exec_lo, s3
	s_cbranch_execnz .LBB10_9
.LBB10_10:
	s_or_b32 exec_lo, exec_lo, s2
	v_mov_b32_e32 v25, 0
	s_barrier_signal -1
	s_barrier_wait -1
	ds_load_b32 v28, v25 offset:88
	s_and_saveexec_b32 s1, s0
	s_cbranch_execz .LBB10_12
; %bb.11:
	s_lshl_b64 s[2:3], s[18:19], 2
	s_delay_alu instid0(SALU_CYCLE_1)
	s_add_nc_u64 s[2:3], s[14:15], s[2:3]
	s_wait_dscnt 0x0
	global_store_b32 v25, v28, s[2:3]
.LBB10_12:
	s_wait_xcnt 0x0
	s_or_b32 exec_lo, exec_lo, s1
	s_wait_dscnt 0x0
	v_cmp_ne_u32_e32 vcc_lo, 0, v28
	s_cbranch_vccz .LBB10_17
; %bb.13:
	s_mov_b32 s0, 0
                                        ; implicit-def: $vgpr2_vgpr3_vgpr4_vgpr5_vgpr6_vgpr7_vgpr8_vgpr9_vgpr10_vgpr11_vgpr12_vgpr13_vgpr14_vgpr15_vgpr16_vgpr17_vgpr18_vgpr19_vgpr20_vgpr21_vgpr22_vgpr23_vgpr24_vgpr25_vgpr26_vgpr27_vgpr28_vgpr29_vgpr30_vgpr31_vgpr32_vgpr33
.LBB10_14:
	s_delay_alu instid0(SALU_CYCLE_1)
	s_and_b32 vcc_lo, exec_lo, s0
	s_cbranch_vccz .LBB10_16
.LBB10_15:
	v_mov_b32_e32 v1, 0
	s_lshl_b64 s[0:1], s[18:19], 2
	s_delay_alu instid0(SALU_CYCLE_1)
	s_add_nc_u64 s[0:1], s[14:15], s[0:1]
	global_load_b32 v1, v1, s[0:1]
	s_wait_loadcnt 0x0
	v_cmp_ne_u32_e32 vcc_lo, 0, v1
	s_cbranch_vccz .LBB10_68
.LBB10_16:
	s_sendmsg sendmsg(MSG_DEALLOC_VGPRS)
	s_endpgm
.LBB10_17:
	v_div_scale_f64 v[28:29], null, v[26:27], v[26:27], 1.0
	v_div_scale_f64 v[34:35], vcc_lo, 1.0, v[26:27], 1.0
	v_cmp_eq_u32_e64 s1, 9, v0
	v_cmp_eq_u32_e64 s2, 8, v0
	;; [unrolled: 1-line block ×10, first 2 shown]
	v_rcp_f64_e32 v[30:31], v[28:29]
	v_nop
	s_delay_alu instid0(TRANS32_DEP_1) | instskip(NEXT) | instid1(VALU_DEP_1)
	v_fma_f64 v[32:33], -v[28:29], v[30:31], 1.0
	v_fmac_f64_e32 v[30:31], v[30:31], v[32:33]
	s_delay_alu instid0(VALU_DEP_1) | instskip(NEXT) | instid1(VALU_DEP_1)
	v_fma_f64 v[32:33], -v[28:29], v[30:31], 1.0
	v_fmac_f64_e32 v[30:31], v[30:31], v[32:33]
	s_delay_alu instid0(VALU_DEP_1) | instskip(NEXT) | instid1(VALU_DEP_1)
	v_mul_f64_e32 v[32:33], v[34:35], v[30:31]
	v_fma_f64 v[28:29], -v[28:29], v[32:33], v[34:35]
	s_delay_alu instid0(VALU_DEP_1) | instskip(SKIP_1) | instid1(VALU_DEP_2)
	v_div_fmas_f64 v[28:29], v[28:29], v[30:31], v[32:33]
	v_cmp_eq_u32_e32 vcc_lo, 10, v0
	v_div_fixup_f64 v[26:27], v[28:29], v[26:27], 1.0
	s_delay_alu instid0(VALU_DEP_1) | instskip(NEXT) | instid1(VALU_DEP_2)
	v_dual_cndmask_b32 v23, v23, v27 :: v_dual_add_nc_u32 v28, 0x60, v24
	v_dual_cndmask_b32 v22, v22, v26, vcc_lo :: v_dual_cndmask_b32 v21, v21, v27, s1
	v_dual_cndmask_b32 v20, v20, v26, s1 :: v_dual_cndmask_b32 v19, v19, v27, s2
	v_dual_cndmask_b32 v18, v18, v26, s2 :: v_dual_cndmask_b32 v17, v17, v27, s3
	;; [unrolled: 1-line block ×7, first 2 shown]
	v_dual_cndmask_b32 v4, v4, v26, s9 :: v_dual_mov_b32 v30, v26
	v_xor_b32_e32 v31, 0x80000000, v27
	v_dual_cndmask_b32 v7, v7, v27, s8 :: v_dual_cndmask_b32 v6, v6, v26, s8
	v_dual_cndmask_b32 v3, v3, v27, s10 :: v_dual_cndmask_b32 v2, v2, v26, s10
	ds_store_2addr_b64 v24, v[30:31], v[4:5] offset1:12
	s_wait_storecnt_dscnt 0x0
	s_barrier_signal -1
	s_barrier_wait -1
	s_and_saveexec_b32 s1, s0
	s_cbranch_execz .LBB10_19
; %bb.18:
	ds_load_b64 v[4:5], v28
	v_mov_b32_e32 v24, 0
	ds_load_b64 v[24:25], v24 offset:8
	s_wait_dscnt 0x1
	v_fma_f64 v[4:5], v[26:27], v[4:5], 0
	s_wait_dscnt 0x0
	s_delay_alu instid0(VALU_DEP_1)
	v_mul_f64_e32 v[4:5], v[4:5], v[24:25]
.LBB10_19:
	s_or_b32 exec_lo, exec_lo, s1
	v_cmp_gt_u32_e32 vcc_lo, 2, v0
	s_barrier_signal -1
	s_barrier_wait -1
	ds_store_b64 v28, v[6:7]
	s_wait_dscnt 0x0
	s_barrier_signal -1
	s_barrier_wait -1
	s_and_saveexec_b32 s3, vcc_lo
	s_cbranch_execz .LBB10_23
; %bb.20:
	v_cmp_eq_u32_e64 s1, 1, v0
	v_cmp_eq_u32_e64 s2, 8, v0
	s_delay_alu instid0(VALU_DEP_2) | instskip(SKIP_1) | instid1(VALU_DEP_1)
	v_dual_cndmask_b32 v24, v3, v5, s1 :: v_dual_cndmask_b32 v25, v2, v4, s1
	v_cmp_eq_u32_e64 s1, 2, v0
	v_dual_cndmask_b32 v7, v24, v7, s1 :: v_dual_cndmask_b32 v6, v25, v6, s1
	v_cmp_eq_u32_e64 s1, 3, v0
	s_delay_alu instid0(VALU_DEP_1) | instskip(SKIP_1) | instid1(VALU_DEP_1)
	v_dual_cndmask_b32 v7, v7, v9, s1 :: v_dual_cndmask_b32 v6, v6, v8, s1
	v_cmp_eq_u32_e64 s1, 4, v0
	v_dual_cndmask_b32 v7, v7, v11, s1 :: v_dual_cndmask_b32 v6, v6, v10, s1
	v_cmp_eq_u32_e64 s1, 5, v0
	s_delay_alu instid0(VALU_DEP_1) | instskip(SKIP_1) | instid1(VALU_DEP_1)
	v_dual_cndmask_b32 v7, v7, v13, s1 :: v_dual_cndmask_b32 v6, v6, v12, s1
	v_cmp_eq_u32_e64 s1, 6, v0
	v_dual_cndmask_b32 v7, v7, v15, s1 :: v_dual_cndmask_b32 v6, v6, v14, s1
	v_cmp_eq_u32_e64 s1, 7, v0
	s_delay_alu instid0(VALU_DEP_1) | instskip(SKIP_3) | instid1(VALU_DEP_1)
	v_dual_cndmask_b32 v24, v7, v17, s1 :: v_dual_cndmask_b32 v25, v6, v16, s1
	ds_load_b64 v[6:7], v28
	v_cmp_eq_u32_e64 s1, 9, v0
	v_dual_cndmask_b32 v24, v24, v19, s2 :: v_dual_cndmask_b32 v25, v25, v18, s2
	v_dual_cndmask_b32 v24, v24, v21, s1 :: v_dual_cndmask_b32 v26, v25, v20, s1
	v_cmp_eq_u32_e64 s1, 10, v0
	s_delay_alu instid0(VALU_DEP_1) | instskip(SKIP_1) | instid1(VALU_DEP_1)
	v_dual_cndmask_b32 v25, v24, v23, s1 :: v_dual_cndmask_b32 v24, v26, v22, s1
	s_wait_dscnt 0x0
	v_fma_f64 v[6:7], v[24:25], v[6:7], 0
	s_and_saveexec_b32 s1, s0
	s_cbranch_execz .LBB10_22
; %bb.21:
	v_mov_b32_e32 v24, 0
	ds_load_b64 v[24:25], v24 offset:104
	s_wait_dscnt 0x0
	v_fmac_f64_e32 v[6:7], v[4:5], v[24:25]
.LBB10_22:
	s_or_b32 exec_lo, exec_lo, s1
	v_mov_b32_e32 v24, 0
	ds_load_b64 v[24:25], v24 offset:16
	s_wait_dscnt 0x0
	v_mul_f64_e32 v[6:7], v[6:7], v[24:25]
.LBB10_23:
	s_or_b32 exec_lo, exec_lo, s3
	s_delay_alu instid0(SALU_CYCLE_1)
	s_mov_b32 s3, exec_lo
	s_barrier_signal -1
	s_barrier_wait -1
	ds_store_b64 v28, v[8:9]
	s_wait_dscnt 0x0
	s_barrier_signal -1
	s_barrier_wait -1
	v_cmpx_gt_u32_e32 3, v0
	s_cbranch_execz .LBB10_27
; %bb.24:
	v_mov_b64_e32 v[24:25], 0
	v_mov_b64_e32 v[26:27], v[0:1]
	v_lshl_add_u32 v29, v0, 3, 0x60
	s_mov_b32 s4, 0
.LBB10_25:                              ; =>This Inner Loop Header: Depth=1
	s_delay_alu instid0(VALU_DEP_2) | instskip(SKIP_1) | instid1(VALU_DEP_2)
	v_cmp_eq_u32_e64 s1, 1, v26
	v_cmp_eq_u32_e64 s2, 2, v26
	v_dual_cndmask_b32 v30, v3, v5, s1 :: v_dual_cndmask_b32 v31, v2, v4, s1
	v_cmp_eq_u32_e64 s1, 3, v26
	s_delay_alu instid0(VALU_DEP_2) | instskip(SKIP_1) | instid1(VALU_DEP_2)
	v_dual_cndmask_b32 v30, v30, v7, s2 :: v_dual_cndmask_b32 v31, v31, v6, s2
	v_cmp_eq_u32_e64 s2, 4, v26
	v_dual_cndmask_b32 v30, v30, v9, s1 :: v_dual_cndmask_b32 v31, v31, v8, s1
	v_cmp_eq_u32_e64 s1, 5, v26
	s_delay_alu instid0(VALU_DEP_2) | instskip(SKIP_1) | instid1(VALU_DEP_2)
	v_dual_cndmask_b32 v30, v30, v11, s2 :: v_dual_cndmask_b32 v31, v31, v10, s2
	v_cmp_eq_u32_e64 s2, 6, v26
	v_dual_cndmask_b32 v30, v30, v13, s1 :: v_dual_cndmask_b32 v31, v31, v12, s1
	v_cmp_eq_u32_e64 s1, 7, v26
	s_delay_alu instid0(VALU_DEP_2)
	v_dual_cndmask_b32 v32, v30, v15, s2 :: v_dual_cndmask_b32 v33, v31, v14, s2
	ds_load_b64 v[30:31], v29
	v_cmp_eq_u32_e64 s2, 8, v26
	v_add_nc_u32_e32 v29, 8, v29
	v_dual_cndmask_b32 v32, v32, v17, s1 :: v_dual_cndmask_b32 v33, v33, v16, s1
	v_cmp_eq_u32_e64 s1, 9, v26
	s_delay_alu instid0(VALU_DEP_2) | instskip(SKIP_2) | instid1(VALU_DEP_3)
	v_dual_cndmask_b32 v32, v32, v19, s2 :: v_dual_cndmask_b32 v33, v33, v18, s2
	v_cmp_eq_u32_e64 s2, 10, v26
	v_add_nc_u64_e32 v[26:27], 1, v[26:27]
	v_dual_cndmask_b32 v32, v32, v21, s1 :: v_dual_cndmask_b32 v34, v33, v20, s1
	s_delay_alu instid0(VALU_DEP_1) | instskip(SKIP_1) | instid1(VALU_DEP_1)
	v_dual_cndmask_b32 v33, v32, v23, s2 :: v_dual_cndmask_b32 v32, v34, v22, s2
	s_wait_dscnt 0x0
	v_fmac_f64_e32 v[24:25], v[32:33], v[30:31]
	s_delay_alu instid0(VALU_DEP_4) | instskip(NEXT) | instid1(VALU_DEP_1)
	v_add_nc_u32_e32 v30, -1, v26
	v_cmp_lt_u32_e64 s1, 1, v30
	s_or_b32 s4, s1, s4
	s_delay_alu instid0(SALU_CYCLE_1)
	s_and_not1_b32 exec_lo, exec_lo, s4
	s_cbranch_execnz .LBB10_25
; %bb.26:
	s_or_b32 exec_lo, exec_lo, s4
	v_mov_b32_e32 v8, 0
	ds_load_b64 v[8:9], v8 offset:24
	s_wait_dscnt 0x0
	v_mul_f64_e32 v[8:9], v[24:25], v[8:9]
.LBB10_27:
	s_or_b32 exec_lo, exec_lo, s3
	v_cmp_gt_u32_e64 s1, 4, v0
	s_barrier_signal -1
	s_barrier_wait -1
	ds_store_b64 v28, v[10:11]
	s_wait_dscnt 0x0
	s_barrier_signal -1
	s_barrier_wait -1
	s_and_saveexec_b32 s4, s1
	s_cbranch_execz .LBB10_31
; %bb.28:
	v_mov_b64_e32 v[24:25], 0
	v_mov_b64_e32 v[26:27], v[0:1]
	v_lshl_add_u32 v29, v0, 3, 0x60
	s_mov_b32 s5, 0
.LBB10_29:                              ; =>This Inner Loop Header: Depth=1
	s_delay_alu instid0(VALU_DEP_2) | instskip(SKIP_1) | instid1(VALU_DEP_2)
	v_cmp_eq_u32_e64 s2, 1, v26
	v_cmp_eq_u32_e64 s3, 2, v26
	v_dual_cndmask_b32 v30, v3, v5, s2 :: v_dual_cndmask_b32 v31, v2, v4, s2
	v_cmp_eq_u32_e64 s2, 3, v26
	s_delay_alu instid0(VALU_DEP_2) | instskip(SKIP_1) | instid1(VALU_DEP_2)
	v_dual_cndmask_b32 v30, v30, v7, s3 :: v_dual_cndmask_b32 v31, v31, v6, s3
	v_cmp_eq_u32_e64 s3, 4, v26
	v_dual_cndmask_b32 v30, v30, v9, s2 :: v_dual_cndmask_b32 v31, v31, v8, s2
	v_cmp_eq_u32_e64 s2, 5, v26
	s_delay_alu instid0(VALU_DEP_2) | instskip(SKIP_1) | instid1(VALU_DEP_2)
	v_dual_cndmask_b32 v30, v30, v11, s3 :: v_dual_cndmask_b32 v31, v31, v10, s3
	v_cmp_eq_u32_e64 s3, 6, v26
	v_dual_cndmask_b32 v30, v30, v13, s2 :: v_dual_cndmask_b32 v31, v31, v12, s2
	v_cmp_eq_u32_e64 s2, 7, v26
	s_delay_alu instid0(VALU_DEP_2)
	v_dual_cndmask_b32 v32, v30, v15, s3 :: v_dual_cndmask_b32 v33, v31, v14, s3
	ds_load_b64 v[30:31], v29
	v_cmp_eq_u32_e64 s3, 8, v26
	v_add_nc_u32_e32 v29, 8, v29
	v_dual_cndmask_b32 v32, v32, v17, s2 :: v_dual_cndmask_b32 v33, v33, v16, s2
	v_cmp_eq_u32_e64 s2, 9, v26
	s_delay_alu instid0(VALU_DEP_2) | instskip(SKIP_2) | instid1(VALU_DEP_3)
	v_dual_cndmask_b32 v32, v32, v19, s3 :: v_dual_cndmask_b32 v33, v33, v18, s3
	v_cmp_eq_u32_e64 s3, 10, v26
	v_add_nc_u64_e32 v[26:27], 1, v[26:27]
	v_dual_cndmask_b32 v32, v32, v21, s2 :: v_dual_cndmask_b32 v34, v33, v20, s2
	s_delay_alu instid0(VALU_DEP_1) | instskip(SKIP_1) | instid1(VALU_DEP_1)
	v_dual_cndmask_b32 v33, v32, v23, s3 :: v_dual_cndmask_b32 v32, v34, v22, s3
	s_wait_dscnt 0x0
	v_fmac_f64_e32 v[24:25], v[32:33], v[30:31]
	s_delay_alu instid0(VALU_DEP_4) | instskip(NEXT) | instid1(VALU_DEP_1)
	v_add_nc_u32_e32 v30, -1, v26
	v_cmp_lt_u32_e64 s2, 2, v30
	s_or_b32 s5, s2, s5
	s_delay_alu instid0(SALU_CYCLE_1)
	s_and_not1_b32 exec_lo, exec_lo, s5
	s_cbranch_execnz .LBB10_29
; %bb.30:
	s_or_b32 exec_lo, exec_lo, s5
	v_mov_b32_e32 v10, 0
	ds_load_b64 v[10:11], v10 offset:32
	s_wait_dscnt 0x0
	v_mul_f64_e32 v[10:11], v[24:25], v[10:11]
.LBB10_31:
	s_or_b32 exec_lo, exec_lo, s4
	s_delay_alu instid0(SALU_CYCLE_1)
	s_mov_b32 s4, exec_lo
	s_barrier_signal -1
	s_barrier_wait -1
	ds_store_b64 v28, v[12:13]
	s_wait_dscnt 0x0
	s_barrier_signal -1
	s_barrier_wait -1
	v_cmpx_gt_u32_e32 5, v0
	s_cbranch_execz .LBB10_35
; %bb.32:
	v_mov_b64_e32 v[24:25], 0
	v_mov_b64_e32 v[26:27], v[0:1]
	v_lshl_add_u32 v29, v0, 3, 0x60
	s_mov_b32 s5, 0
.LBB10_33:                              ; =>This Inner Loop Header: Depth=1
	s_delay_alu instid0(VALU_DEP_2) | instskip(SKIP_1) | instid1(VALU_DEP_2)
	v_cmp_eq_u32_e64 s2, 1, v26
	v_cmp_eq_u32_e64 s3, 2, v26
	v_dual_cndmask_b32 v30, v3, v5, s2 :: v_dual_cndmask_b32 v31, v2, v4, s2
	v_cmp_eq_u32_e64 s2, 3, v26
	s_delay_alu instid0(VALU_DEP_2) | instskip(SKIP_1) | instid1(VALU_DEP_2)
	v_dual_cndmask_b32 v30, v30, v7, s3 :: v_dual_cndmask_b32 v31, v31, v6, s3
	v_cmp_eq_u32_e64 s3, 4, v26
	v_dual_cndmask_b32 v30, v30, v9, s2 :: v_dual_cndmask_b32 v31, v31, v8, s2
	v_cmp_eq_u32_e64 s2, 5, v26
	s_delay_alu instid0(VALU_DEP_2) | instskip(SKIP_1) | instid1(VALU_DEP_2)
	v_dual_cndmask_b32 v30, v30, v11, s3 :: v_dual_cndmask_b32 v31, v31, v10, s3
	v_cmp_eq_u32_e64 s3, 6, v26
	v_dual_cndmask_b32 v30, v30, v13, s2 :: v_dual_cndmask_b32 v31, v31, v12, s2
	v_cmp_eq_u32_e64 s2, 7, v26
	s_delay_alu instid0(VALU_DEP_2)
	v_dual_cndmask_b32 v32, v30, v15, s3 :: v_dual_cndmask_b32 v33, v31, v14, s3
	ds_load_b64 v[30:31], v29
	v_cmp_eq_u32_e64 s3, 8, v26
	v_add_nc_u32_e32 v29, 8, v29
	v_dual_cndmask_b32 v32, v32, v17, s2 :: v_dual_cndmask_b32 v33, v33, v16, s2
	v_cmp_eq_u32_e64 s2, 9, v26
	s_delay_alu instid0(VALU_DEP_2) | instskip(SKIP_2) | instid1(VALU_DEP_3)
	v_dual_cndmask_b32 v32, v32, v19, s3 :: v_dual_cndmask_b32 v33, v33, v18, s3
	v_cmp_eq_u32_e64 s3, 10, v26
	v_add_nc_u64_e32 v[26:27], 1, v[26:27]
	v_dual_cndmask_b32 v32, v32, v21, s2 :: v_dual_cndmask_b32 v34, v33, v20, s2
	s_delay_alu instid0(VALU_DEP_1) | instskip(SKIP_1) | instid1(VALU_DEP_1)
	v_dual_cndmask_b32 v33, v32, v23, s3 :: v_dual_cndmask_b32 v32, v34, v22, s3
	s_wait_dscnt 0x0
	v_fmac_f64_e32 v[24:25], v[32:33], v[30:31]
	s_delay_alu instid0(VALU_DEP_4) | instskip(NEXT) | instid1(VALU_DEP_1)
	v_add_nc_u32_e32 v30, -1, v26
	v_cmp_lt_u32_e64 s2, 3, v30
	s_or_b32 s5, s2, s5
	s_delay_alu instid0(SALU_CYCLE_1)
	s_and_not1_b32 exec_lo, exec_lo, s5
	s_cbranch_execnz .LBB10_33
; %bb.34:
	s_or_b32 exec_lo, exec_lo, s5
	v_mov_b32_e32 v12, 0
	ds_load_b64 v[12:13], v12 offset:40
	s_wait_dscnt 0x0
	v_mul_f64_e32 v[12:13], v[24:25], v[12:13]
.LBB10_35:
	s_or_b32 exec_lo, exec_lo, s4
	v_cmp_gt_u32_e64 s2, 6, v0
	s_barrier_signal -1
	s_barrier_wait -1
	ds_store_b64 v28, v[14:15]
	s_wait_dscnt 0x0
	s_barrier_signal -1
	s_barrier_wait -1
	s_and_saveexec_b32 s5, s2
	s_cbranch_execz .LBB10_39
; %bb.36:
	v_mov_b64_e32 v[24:25], 0
	v_mov_b64_e32 v[26:27], v[0:1]
	v_lshl_add_u32 v29, v0, 3, 0x60
	s_mov_b32 s6, 0
.LBB10_37:                              ; =>This Inner Loop Header: Depth=1
	s_delay_alu instid0(VALU_DEP_2) | instskip(SKIP_1) | instid1(VALU_DEP_2)
	v_cmp_eq_u32_e64 s3, 1, v26
	v_cmp_eq_u32_e64 s4, 2, v26
	v_dual_cndmask_b32 v30, v3, v5, s3 :: v_dual_cndmask_b32 v31, v2, v4, s3
	v_cmp_eq_u32_e64 s3, 3, v26
	s_delay_alu instid0(VALU_DEP_2) | instskip(SKIP_1) | instid1(VALU_DEP_2)
	v_dual_cndmask_b32 v30, v30, v7, s4 :: v_dual_cndmask_b32 v31, v31, v6, s4
	v_cmp_eq_u32_e64 s4, 4, v26
	v_dual_cndmask_b32 v30, v30, v9, s3 :: v_dual_cndmask_b32 v31, v31, v8, s3
	v_cmp_eq_u32_e64 s3, 5, v26
	s_delay_alu instid0(VALU_DEP_2) | instskip(SKIP_1) | instid1(VALU_DEP_2)
	v_dual_cndmask_b32 v30, v30, v11, s4 :: v_dual_cndmask_b32 v31, v31, v10, s4
	v_cmp_eq_u32_e64 s4, 6, v26
	v_dual_cndmask_b32 v30, v30, v13, s3 :: v_dual_cndmask_b32 v31, v31, v12, s3
	v_cmp_eq_u32_e64 s3, 7, v26
	s_delay_alu instid0(VALU_DEP_2)
	v_dual_cndmask_b32 v32, v30, v15, s4 :: v_dual_cndmask_b32 v33, v31, v14, s4
	ds_load_b64 v[30:31], v29
	v_cmp_eq_u32_e64 s4, 8, v26
	v_add_nc_u32_e32 v29, 8, v29
	v_dual_cndmask_b32 v32, v32, v17, s3 :: v_dual_cndmask_b32 v33, v33, v16, s3
	v_cmp_eq_u32_e64 s3, 9, v26
	s_delay_alu instid0(VALU_DEP_2) | instskip(SKIP_2) | instid1(VALU_DEP_3)
	v_dual_cndmask_b32 v32, v32, v19, s4 :: v_dual_cndmask_b32 v33, v33, v18, s4
	v_cmp_eq_u32_e64 s4, 10, v26
	v_add_nc_u64_e32 v[26:27], 1, v[26:27]
	v_dual_cndmask_b32 v32, v32, v21, s3 :: v_dual_cndmask_b32 v34, v33, v20, s3
	s_delay_alu instid0(VALU_DEP_1) | instskip(SKIP_1) | instid1(VALU_DEP_1)
	v_dual_cndmask_b32 v33, v32, v23, s4 :: v_dual_cndmask_b32 v32, v34, v22, s4
	s_wait_dscnt 0x0
	v_fmac_f64_e32 v[24:25], v[32:33], v[30:31]
	s_delay_alu instid0(VALU_DEP_4) | instskip(NEXT) | instid1(VALU_DEP_1)
	v_add_nc_u32_e32 v30, -1, v26
	v_cmp_lt_u32_e64 s3, 4, v30
	s_or_b32 s6, s3, s6
	s_delay_alu instid0(SALU_CYCLE_1)
	s_and_not1_b32 exec_lo, exec_lo, s6
	s_cbranch_execnz .LBB10_37
; %bb.38:
	s_or_b32 exec_lo, exec_lo, s6
	v_mov_b32_e32 v14, 0
	ds_load_b64 v[14:15], v14 offset:48
	s_wait_dscnt 0x0
	v_mul_f64_e32 v[14:15], v[24:25], v[14:15]
.LBB10_39:
	s_or_b32 exec_lo, exec_lo, s5
	s_delay_alu instid0(SALU_CYCLE_1)
	s_mov_b32 s5, exec_lo
	s_barrier_signal -1
	s_barrier_wait -1
	ds_store_b64 v28, v[16:17]
	s_wait_dscnt 0x0
	s_barrier_signal -1
	s_barrier_wait -1
	v_cmpx_gt_u32_e32 7, v0
	s_cbranch_execz .LBB10_43
; %bb.40:
	v_mov_b64_e32 v[24:25], 0
	v_mov_b64_e32 v[26:27], v[0:1]
	v_lshl_add_u32 v29, v0, 3, 0x60
	s_mov_b32 s6, 0
.LBB10_41:                              ; =>This Inner Loop Header: Depth=1
	s_delay_alu instid0(VALU_DEP_2) | instskip(SKIP_1) | instid1(VALU_DEP_2)
	v_cmp_eq_u32_e64 s3, 1, v26
	v_cmp_eq_u32_e64 s4, 2, v26
	v_dual_cndmask_b32 v30, v3, v5, s3 :: v_dual_cndmask_b32 v31, v2, v4, s3
	v_cmp_eq_u32_e64 s3, 3, v26
	s_delay_alu instid0(VALU_DEP_2) | instskip(SKIP_1) | instid1(VALU_DEP_2)
	v_dual_cndmask_b32 v30, v30, v7, s4 :: v_dual_cndmask_b32 v31, v31, v6, s4
	v_cmp_eq_u32_e64 s4, 4, v26
	v_dual_cndmask_b32 v30, v30, v9, s3 :: v_dual_cndmask_b32 v31, v31, v8, s3
	v_cmp_eq_u32_e64 s3, 5, v26
	s_delay_alu instid0(VALU_DEP_2) | instskip(SKIP_1) | instid1(VALU_DEP_2)
	v_dual_cndmask_b32 v30, v30, v11, s4 :: v_dual_cndmask_b32 v31, v31, v10, s4
	v_cmp_eq_u32_e64 s4, 6, v26
	v_dual_cndmask_b32 v30, v30, v13, s3 :: v_dual_cndmask_b32 v31, v31, v12, s3
	v_cmp_eq_u32_e64 s3, 7, v26
	s_delay_alu instid0(VALU_DEP_2)
	v_dual_cndmask_b32 v32, v30, v15, s4 :: v_dual_cndmask_b32 v33, v31, v14, s4
	ds_load_b64 v[30:31], v29
	v_cmp_eq_u32_e64 s4, 8, v26
	v_add_nc_u32_e32 v29, 8, v29
	v_dual_cndmask_b32 v32, v32, v17, s3 :: v_dual_cndmask_b32 v33, v33, v16, s3
	v_cmp_eq_u32_e64 s3, 9, v26
	s_delay_alu instid0(VALU_DEP_2) | instskip(SKIP_2) | instid1(VALU_DEP_3)
	v_dual_cndmask_b32 v32, v32, v19, s4 :: v_dual_cndmask_b32 v33, v33, v18, s4
	v_cmp_eq_u32_e64 s4, 10, v26
	v_add_nc_u64_e32 v[26:27], 1, v[26:27]
	v_dual_cndmask_b32 v32, v32, v21, s3 :: v_dual_cndmask_b32 v34, v33, v20, s3
	s_delay_alu instid0(VALU_DEP_1) | instskip(SKIP_1) | instid1(VALU_DEP_1)
	v_dual_cndmask_b32 v33, v32, v23, s4 :: v_dual_cndmask_b32 v32, v34, v22, s4
	s_wait_dscnt 0x0
	v_fmac_f64_e32 v[24:25], v[32:33], v[30:31]
	s_delay_alu instid0(VALU_DEP_4) | instskip(NEXT) | instid1(VALU_DEP_1)
	v_add_nc_u32_e32 v30, -1, v26
	v_cmp_lt_u32_e64 s3, 5, v30
	s_or_b32 s6, s3, s6
	s_delay_alu instid0(SALU_CYCLE_1)
	s_and_not1_b32 exec_lo, exec_lo, s6
	s_cbranch_execnz .LBB10_41
; %bb.42:
	s_or_b32 exec_lo, exec_lo, s6
	v_mov_b32_e32 v16, 0
	ds_load_b64 v[16:17], v16 offset:56
	s_wait_dscnt 0x0
	v_mul_f64_e32 v[16:17], v[24:25], v[16:17]
.LBB10_43:
	s_or_b32 exec_lo, exec_lo, s5
	s_delay_alu instid0(SALU_CYCLE_1)
	s_mov_b32 s5, exec_lo
	s_barrier_signal -1
	s_barrier_wait -1
	ds_store_b64 v28, v[18:19]
	s_wait_dscnt 0x0
	s_barrier_signal -1
	s_barrier_wait -1
	v_cmpx_gt_u32_e32 8, v0
	s_cbranch_execz .LBB10_59
; %bb.44:
	v_cmp_eq_u32_e64 s3, 1, v0
	v_cmp_eq_u32_e64 s4, 8, v0
	s_mov_b32 s6, exec_lo
	v_dual_cndmask_b32 v24, v3, v5, s3 :: v_dual_cndmask_b32 v25, v2, v4, s3
	v_cmp_eq_u32_e64 s3, 2, v0
	s_delay_alu instid0(VALU_DEP_1) | instskip(SKIP_1) | instid1(VALU_DEP_1)
	v_dual_cndmask_b32 v24, v24, v7, s3 :: v_dual_cndmask_b32 v25, v25, v6, s3
	v_cmp_eq_u32_e64 s3, 3, v0
	v_dual_cndmask_b32 v24, v24, v9, s3 :: v_dual_cndmask_b32 v25, v25, v8, s3
	v_cmp_eq_u32_e64 s3, 4, v0
	s_delay_alu instid0(VALU_DEP_1) | instskip(SKIP_1) | instid1(VALU_DEP_1)
	v_dual_cndmask_b32 v24, v24, v11, s3 :: v_dual_cndmask_b32 v25, v25, v10, s3
	v_cmp_eq_u32_e64 s3, 5, v0
	;; [unrolled: 5-line block ×3, first 2 shown]
	v_dual_cndmask_b32 v26, v24, v17, s3 :: v_dual_cndmask_b32 v27, v25, v16, s3
	ds_load_b64 v[24:25], v28
	v_cmp_eq_u32_e64 s3, 9, v0
	v_dual_cndmask_b32 v26, v26, v19, s4 :: v_dual_cndmask_b32 v27, v27, v18, s4
	s_delay_alu instid0(VALU_DEP_1) | instskip(SKIP_1) | instid1(VALU_DEP_1)
	v_dual_cndmask_b32 v26, v26, v21, s3 :: v_dual_cndmask_b32 v29, v27, v20, s3
	v_cmp_eq_u32_e64 s3, 10, v0
	v_dual_cndmask_b32 v27, v26, v23, s3 :: v_dual_cndmask_b32 v26, v29, v22, s3
	s_wait_dscnt 0x0
	s_delay_alu instid0(VALU_DEP_1)
	v_fma_f64 v[24:25], v[26:27], v[24:25], 0
	v_cmpx_ne_u32_e32 7, v0
	s_cbranch_execz .LBB10_58
; %bb.45:
	v_add_nc_u32_e32 v29, 1, v0
	s_delay_alu instid0(VALU_DEP_1) | instskip(NEXT) | instid1(VALU_DEP_1)
	v_cmp_eq_u32_e64 s3, 1, v29
	v_cndmask_b32_e64 v26, v3, v5, s3
	v_cmp_eq_u32_e64 s4, 8, v29
	v_cndmask_b32_e64 v27, v2, v4, s3
	v_cmp_eq_u32_e64 s3, 2, v29
	s_delay_alu instid0(VALU_DEP_1) | instskip(SKIP_1) | instid1(VALU_DEP_1)
	v_dual_cndmask_b32 v26, v26, v7, s3 :: v_dual_cndmask_b32 v27, v27, v6, s3
	v_cmp_eq_u32_e64 s3, 3, v29
	v_dual_cndmask_b32 v26, v26, v9, s3 :: v_dual_cndmask_b32 v27, v27, v8, s3
	v_cmp_eq_u32_e64 s3, 4, v29
	s_delay_alu instid0(VALU_DEP_1) | instskip(SKIP_1) | instid1(VALU_DEP_1)
	v_dual_cndmask_b32 v26, v26, v11, s3 :: v_dual_cndmask_b32 v27, v27, v10, s3
	v_cmp_eq_u32_e64 s3, 5, v29
	v_dual_cndmask_b32 v26, v26, v13, s3 :: v_dual_cndmask_b32 v27, v27, v12, s3
	;; [unrolled: 5-line block ×3, first 2 shown]
	ds_load_b64 v[26:27], v28 offset:8
	v_cmp_eq_u32_e64 s3, 9, v29
	v_dual_cndmask_b32 v31, v31, v18, s4 :: v_dual_cndmask_b32 v30, v30, v19, s4
	s_delay_alu instid0(VALU_DEP_1) | instskip(SKIP_1) | instid1(VALU_DEP_1)
	v_dual_cndmask_b32 v32, v31, v20, s3 :: v_dual_cndmask_b32 v30, v30, v21, s3
	v_cmp_eq_u32_e64 s3, 10, v29
	v_dual_cndmask_b32 v31, v30, v23, s3 :: v_dual_cndmask_b32 v30, v32, v22, s3
	s_wait_dscnt 0x0
	s_delay_alu instid0(VALU_DEP_1)
	v_fmac_f64_e32 v[24:25], v[30:31], v[26:27]
	s_and_saveexec_b32 s4, s2
	s_cbranch_execz .LBB10_57
; %bb.46:
	v_add_nc_u32_e32 v29, 2, v0
	s_mov_b32 s7, exec_lo
	s_delay_alu instid0(VALU_DEP_1) | instskip(NEXT) | instid1(VALU_DEP_1)
	v_cmp_eq_u32_e64 s2, 1, v29
	v_cndmask_b32_e64 v26, v3, v5, s2
	v_cmp_eq_u32_e64 s3, 8, v29
	v_cndmask_b32_e64 v27, v2, v4, s2
	v_cmp_eq_u32_e64 s2, 2, v29
	s_delay_alu instid0(VALU_DEP_1) | instskip(SKIP_1) | instid1(VALU_DEP_1)
	v_dual_cndmask_b32 v26, v26, v7, s2 :: v_dual_cndmask_b32 v27, v27, v6, s2
	v_cmp_eq_u32_e64 s2, 3, v29
	v_dual_cndmask_b32 v26, v26, v9, s2 :: v_dual_cndmask_b32 v27, v27, v8, s2
	v_cmp_eq_u32_e64 s2, 4, v29
	s_delay_alu instid0(VALU_DEP_1) | instskip(SKIP_1) | instid1(VALU_DEP_1)
	v_dual_cndmask_b32 v26, v26, v11, s2 :: v_dual_cndmask_b32 v27, v27, v10, s2
	v_cmp_eq_u32_e64 s2, 5, v29
	v_dual_cndmask_b32 v26, v26, v13, s2 :: v_dual_cndmask_b32 v27, v27, v12, s2
	;; [unrolled: 5-line block ×3, first 2 shown]
	ds_load_b64 v[26:27], v28 offset:16
	v_cmp_eq_u32_e64 s2, 9, v29
	v_dual_cndmask_b32 v31, v31, v18, s3 :: v_dual_cndmask_b32 v30, v30, v19, s3
	s_delay_alu instid0(VALU_DEP_1) | instskip(SKIP_1) | instid1(VALU_DEP_1)
	v_dual_cndmask_b32 v32, v31, v20, s2 :: v_dual_cndmask_b32 v30, v30, v21, s2
	v_cmp_eq_u32_e64 s2, 10, v29
	v_dual_cndmask_b32 v31, v30, v23, s2 :: v_dual_cndmask_b32 v30, v32, v22, s2
	s_wait_dscnt 0x0
	s_delay_alu instid0(VALU_DEP_1)
	v_fmac_f64_e32 v[24:25], v[30:31], v[26:27]
	v_cmpx_ne_u32_e32 5, v0
	s_cbranch_execz .LBB10_56
; %bb.47:
	v_add_nc_u32_e32 v29, 3, v0
	s_delay_alu instid0(VALU_DEP_1) | instskip(NEXT) | instid1(VALU_DEP_1)
	v_cmp_eq_u32_e64 s2, 1, v29
	v_cndmask_b32_e64 v26, v3, v5, s2
	v_cmp_eq_u32_e64 s3, 8, v29
	v_cndmask_b32_e64 v27, v2, v4, s2
	v_cmp_eq_u32_e64 s2, 2, v29
	s_delay_alu instid0(VALU_DEP_1) | instskip(SKIP_1) | instid1(VALU_DEP_1)
	v_dual_cndmask_b32 v26, v26, v7, s2 :: v_dual_cndmask_b32 v27, v27, v6, s2
	v_cmp_eq_u32_e64 s2, 3, v29
	v_dual_cndmask_b32 v26, v26, v9, s2 :: v_dual_cndmask_b32 v27, v27, v8, s2
	v_cmp_eq_u32_e64 s2, 4, v29
	s_delay_alu instid0(VALU_DEP_1) | instskip(SKIP_1) | instid1(VALU_DEP_1)
	v_dual_cndmask_b32 v26, v26, v11, s2 :: v_dual_cndmask_b32 v27, v27, v10, s2
	v_cmp_eq_u32_e64 s2, 5, v29
	v_dual_cndmask_b32 v26, v26, v13, s2 :: v_dual_cndmask_b32 v27, v27, v12, s2
	;; [unrolled: 5-line block ×3, first 2 shown]
	ds_load_b64 v[26:27], v28 offset:24
	v_cmp_eq_u32_e64 s2, 9, v29
	v_dual_cndmask_b32 v31, v31, v18, s3 :: v_dual_cndmask_b32 v30, v30, v19, s3
	s_delay_alu instid0(VALU_DEP_1) | instskip(SKIP_1) | instid1(VALU_DEP_1)
	v_dual_cndmask_b32 v32, v31, v20, s2 :: v_dual_cndmask_b32 v30, v30, v21, s2
	v_cmp_eq_u32_e64 s2, 10, v29
	v_dual_cndmask_b32 v31, v30, v23, s2 :: v_dual_cndmask_b32 v30, v32, v22, s2
	s_wait_dscnt 0x0
	s_delay_alu instid0(VALU_DEP_1)
	v_fmac_f64_e32 v[24:25], v[30:31], v[26:27]
	s_and_saveexec_b32 s3, s1
	s_cbranch_execz .LBB10_55
; %bb.48:
	v_or_b32_e32 v29, 4, v0
	s_mov_b32 s8, exec_lo
	s_delay_alu instid0(VALU_DEP_1) | instskip(NEXT) | instid1(VALU_DEP_1)
	v_cmp_eq_u32_e64 s1, 1, v29
	v_cndmask_b32_e64 v26, v3, v5, s1
	v_cmp_eq_u32_e64 s2, 8, v29
	v_cndmask_b32_e64 v27, v2, v4, s1
	v_cmp_eq_u32_e64 s1, 2, v29
	s_delay_alu instid0(VALU_DEP_1) | instskip(SKIP_1) | instid1(VALU_DEP_1)
	v_dual_cndmask_b32 v26, v26, v7, s1 :: v_dual_cndmask_b32 v27, v27, v6, s1
	v_cmp_eq_u32_e64 s1, 3, v29
	v_dual_cndmask_b32 v26, v26, v9, s1 :: v_dual_cndmask_b32 v27, v27, v8, s1
	v_cmp_eq_u32_e64 s1, 4, v29
	s_delay_alu instid0(VALU_DEP_1) | instskip(SKIP_1) | instid1(VALU_DEP_1)
	v_dual_cndmask_b32 v26, v26, v11, s1 :: v_dual_cndmask_b32 v27, v27, v10, s1
	v_cmp_eq_u32_e64 s1, 5, v29
	v_dual_cndmask_b32 v26, v26, v13, s1 :: v_dual_cndmask_b32 v27, v27, v12, s1
	;; [unrolled: 5-line block ×3, first 2 shown]
	ds_load_b64 v[26:27], v28 offset:32
	v_cmp_eq_u32_e64 s1, 9, v29
	v_dual_cndmask_b32 v31, v31, v18, s2 :: v_dual_cndmask_b32 v30, v30, v19, s2
	s_delay_alu instid0(VALU_DEP_1) | instskip(SKIP_1) | instid1(VALU_DEP_1)
	v_dual_cndmask_b32 v32, v31, v20, s1 :: v_dual_cndmask_b32 v30, v30, v21, s1
	v_cmp_eq_u32_e64 s1, 10, v29
	v_dual_cndmask_b32 v31, v30, v23, s1 :: v_dual_cndmask_b32 v30, v32, v22, s1
	s_wait_dscnt 0x0
	s_delay_alu instid0(VALU_DEP_1)
	v_fmac_f64_e32 v[24:25], v[30:31], v[26:27]
	v_cmpx_ne_u32_e32 3, v0
	s_cbranch_execz .LBB10_54
; %bb.49:
	v_add_nc_u32_e32 v29, 5, v0
	s_delay_alu instid0(VALU_DEP_1) | instskip(NEXT) | instid1(VALU_DEP_1)
	v_cmp_eq_u32_e64 s1, 1, v29
	v_cndmask_b32_e64 v26, v3, v5, s1
	v_cmp_eq_u32_e64 s2, 8, v29
	v_cndmask_b32_e64 v27, v2, v4, s1
	v_cmp_eq_u32_e64 s1, 2, v29
	s_delay_alu instid0(VALU_DEP_1) | instskip(SKIP_1) | instid1(VALU_DEP_1)
	v_dual_cndmask_b32 v26, v26, v7, s1 :: v_dual_cndmask_b32 v27, v27, v6, s1
	v_cmp_eq_u32_e64 s1, 3, v29
	v_dual_cndmask_b32 v26, v26, v9, s1 :: v_dual_cndmask_b32 v27, v27, v8, s1
	v_cmp_eq_u32_e64 s1, 4, v29
	s_delay_alu instid0(VALU_DEP_1) | instskip(SKIP_1) | instid1(VALU_DEP_1)
	v_dual_cndmask_b32 v26, v26, v11, s1 :: v_dual_cndmask_b32 v27, v27, v10, s1
	v_cmp_eq_u32_e64 s1, 5, v29
	v_dual_cndmask_b32 v26, v26, v13, s1 :: v_dual_cndmask_b32 v27, v27, v12, s1
	;; [unrolled: 5-line block ×3, first 2 shown]
	ds_load_b64 v[26:27], v28 offset:40
	v_cmp_eq_u32_e64 s1, 9, v29
	v_dual_cndmask_b32 v31, v31, v18, s2 :: v_dual_cndmask_b32 v30, v30, v19, s2
	s_delay_alu instid0(VALU_DEP_1) | instskip(SKIP_1) | instid1(VALU_DEP_1)
	v_dual_cndmask_b32 v32, v31, v20, s1 :: v_dual_cndmask_b32 v30, v30, v21, s1
	v_cmp_eq_u32_e64 s1, 10, v29
	v_dual_cndmask_b32 v31, v30, v23, s1 :: v_dual_cndmask_b32 v30, v32, v22, s1
	s_wait_dscnt 0x0
	s_delay_alu instid0(VALU_DEP_1)
	v_fmac_f64_e32 v[24:25], v[30:31], v[26:27]
	s_and_saveexec_b32 s2, vcc_lo
	s_cbranch_execz .LBB10_53
; %bb.50:
	v_or_b32_e32 v29, 6, v0
	s_delay_alu instid0(VALU_DEP_1) | instskip(SKIP_4) | instid1(VALU_DEP_2)
	v_cmp_eq_u32_e32 vcc_lo, 1, v29
	v_cndmask_b32_e32 v26, v3, v5, vcc_lo
	v_cmp_eq_u32_e64 s1, 8, v29
	v_cndmask_b32_e32 v27, v2, v4, vcc_lo
	v_cmp_eq_u32_e32 vcc_lo, 2, v29
	v_dual_cndmask_b32 v26, v26, v7 :: v_dual_cndmask_b32 v27, v27, v6
	v_cmp_eq_u32_e32 vcc_lo, 3, v29
	s_delay_alu instid0(VALU_DEP_2) | instskip(SKIP_1) | instid1(VALU_DEP_2)
	v_dual_cndmask_b32 v26, v26, v9 :: v_dual_cndmask_b32 v27, v27, v8
	v_cmp_eq_u32_e32 vcc_lo, 4, v29
	v_dual_cndmask_b32 v26, v26, v11 :: v_dual_cndmask_b32 v27, v27, v10
	v_cmp_eq_u32_e32 vcc_lo, 5, v29
	s_delay_alu instid0(VALU_DEP_2) | instskip(SKIP_1) | instid1(VALU_DEP_2)
	v_dual_cndmask_b32 v26, v26, v13 :: v_dual_cndmask_b32 v27, v27, v12
	v_cmp_eq_u32_e32 vcc_lo, 6, v29
	v_dual_cndmask_b32 v26, v26, v15 :: v_dual_cndmask_b32 v27, v27, v14
	v_cmp_eq_u32_e32 vcc_lo, 7, v29
	s_delay_alu instid0(VALU_DEP_2) | instskip(SKIP_3) | instid1(VALU_DEP_1)
	v_dual_cndmask_b32 v30, v26, v17 :: v_dual_cndmask_b32 v31, v27, v16
	ds_load_b64 v[26:27], v28 offset:48
	v_cmp_eq_u32_e32 vcc_lo, 9, v29
	v_dual_cndmask_b32 v19, v30, v19, s1 :: v_dual_cndmask_b32 v18, v31, v18, s1
	v_dual_cndmask_b32 v19, v19, v21 :: v_dual_cndmask_b32 v18, v18, v20
	v_cmp_eq_u32_e32 vcc_lo, 10, v29
	s_delay_alu instid0(VALU_DEP_2) | instskip(SKIP_1) | instid1(VALU_DEP_1)
	v_dual_cndmask_b32 v19, v19, v23 :: v_dual_cndmask_b32 v18, v18, v22
	s_wait_dscnt 0x0
	v_fmac_f64_e32 v[24:25], v[18:19], v[26:27]
	s_and_saveexec_b32 s1, s0
	s_cbranch_execz .LBB10_52
; %bb.51:
	ds_load_b64 v[18:19], v28 offset:56
	s_wait_dscnt 0x0
	v_fmac_f64_e32 v[24:25], v[16:17], v[18:19]
.LBB10_52:
	s_or_b32 exec_lo, exec_lo, s1
.LBB10_53:
	s_delay_alu instid0(SALU_CYCLE_1)
	s_or_b32 exec_lo, exec_lo, s2
.LBB10_54:
	s_delay_alu instid0(SALU_CYCLE_1)
	s_or_b32 exec_lo, exec_lo, s8
.LBB10_55:
	s_delay_alu instid0(SALU_CYCLE_1)
	s_or_b32 exec_lo, exec_lo, s3
.LBB10_56:
	s_delay_alu instid0(SALU_CYCLE_1)
	s_or_b32 exec_lo, exec_lo, s7
.LBB10_57:
	s_delay_alu instid0(SALU_CYCLE_1)
	s_or_b32 exec_lo, exec_lo, s4
.LBB10_58:
	s_delay_alu instid0(SALU_CYCLE_1)
	s_or_b32 exec_lo, exec_lo, s6
	v_mov_b32_e32 v18, 0
	ds_load_b64 v[18:19], v18 offset:64
	s_wait_dscnt 0x0
	v_mul_f64_e32 v[18:19], v[24:25], v[18:19]
.LBB10_59:
	s_or_b32 exec_lo, exec_lo, s5
	s_delay_alu instid0(SALU_CYCLE_1)
	s_mov_b32 s1, exec_lo
	s_barrier_signal -1
	s_barrier_wait -1
	ds_store_b64 v28, v[20:21]
	s_wait_dscnt 0x0
	s_barrier_signal -1
	s_barrier_wait -1
	v_cmpx_gt_u32_e32 9, v0
	s_cbranch_execz .LBB10_63
; %bb.60:
	v_mov_b64_e32 v[24:25], 0
	v_mov_b64_e32 v[26:27], v[0:1]
	v_lshl_add_u32 v29, v0, 3, 0x60
	s_mov_b32 s2, 0
.LBB10_61:                              ; =>This Inner Loop Header: Depth=1
	s_delay_alu instid0(VALU_DEP_2) | instskip(SKIP_3) | instid1(VALU_DEP_2)
	v_cmp_eq_u32_e32 vcc_lo, 1, v26
	v_cmp_eq_u32_e64 s0, 2, v26
	v_dual_cndmask_b32 v30, v3, v5 :: v_dual_cndmask_b32 v31, v2, v4
	v_cmp_eq_u32_e32 vcc_lo, 3, v26
	v_dual_cndmask_b32 v30, v30, v7, s0 :: v_dual_cndmask_b32 v31, v31, v6, s0
	v_cmp_eq_u32_e64 s0, 4, v26
	s_delay_alu instid0(VALU_DEP_2) | instskip(SKIP_1) | instid1(VALU_DEP_2)
	v_dual_cndmask_b32 v30, v30, v9 :: v_dual_cndmask_b32 v31, v31, v8
	v_cmp_eq_u32_e32 vcc_lo, 5, v26
	v_dual_cndmask_b32 v30, v30, v11, s0 :: v_dual_cndmask_b32 v31, v31, v10, s0
	v_cmp_eq_u32_e64 s0, 6, v26
	s_delay_alu instid0(VALU_DEP_2) | instskip(SKIP_1) | instid1(VALU_DEP_2)
	v_dual_cndmask_b32 v30, v30, v13 :: v_dual_cndmask_b32 v31, v31, v12
	v_cmp_eq_u32_e32 vcc_lo, 7, v26
	v_dual_cndmask_b32 v32, v30, v15, s0 :: v_dual_cndmask_b32 v33, v31, v14, s0
	ds_load_b64 v[30:31], v29
	v_cmp_eq_u32_e64 s0, 8, v26
	v_add_nc_u32_e32 v29, 8, v29
	v_dual_cndmask_b32 v32, v32, v17 :: v_dual_cndmask_b32 v33, v33, v16
	v_cmp_eq_u32_e32 vcc_lo, 9, v26
	s_delay_alu instid0(VALU_DEP_2) | instskip(SKIP_2) | instid1(VALU_DEP_3)
	v_dual_cndmask_b32 v32, v32, v19, s0 :: v_dual_cndmask_b32 v33, v33, v18, s0
	v_cmp_eq_u32_e64 s0, 10, v26
	v_add_nc_u64_e32 v[26:27], 1, v[26:27]
	v_dual_cndmask_b32 v32, v32, v21, vcc_lo :: v_dual_cndmask_b32 v34, v33, v20, vcc_lo
	s_delay_alu instid0(VALU_DEP_1) | instskip(SKIP_1) | instid1(VALU_DEP_1)
	v_dual_cndmask_b32 v33, v32, v23, s0 :: v_dual_cndmask_b32 v32, v34, v22, s0
	s_wait_dscnt 0x0
	v_fmac_f64_e32 v[24:25], v[32:33], v[30:31]
	s_delay_alu instid0(VALU_DEP_4) | instskip(NEXT) | instid1(VALU_DEP_1)
	v_add_nc_u32_e32 v30, -1, v26
	v_cmp_lt_u32_e32 vcc_lo, 7, v30
	s_or_b32 s2, vcc_lo, s2
	s_delay_alu instid0(SALU_CYCLE_1)
	s_and_not1_b32 exec_lo, exec_lo, s2
	s_cbranch_execnz .LBB10_61
; %bb.62:
	s_or_b32 exec_lo, exec_lo, s2
	v_mov_b32_e32 v20, 0
	ds_load_b64 v[20:21], v20 offset:72
	s_wait_dscnt 0x0
	v_mul_f64_e32 v[20:21], v[24:25], v[20:21]
.LBB10_63:
	s_or_b32 exec_lo, exec_lo, s1
	s_delay_alu instid0(SALU_CYCLE_1)
	s_mov_b32 s1, exec_lo
	s_barrier_signal -1
	s_barrier_wait -1
	ds_store_b64 v28, v[22:23]
	s_wait_dscnt 0x0
	s_barrier_signal -1
	s_barrier_wait -1
	v_cmpx_ne_u32_e32 10, v0
	s_cbranch_execz .LBB10_67
; %bb.64:
	v_mov_b64_e32 v[24:25], 0
	v_mov_b64_e32 v[26:27], v[0:1]
	v_lshl_add_u32 v28, v0, 3, 0x60
	s_mov_b32 s2, 0
.LBB10_65:                              ; =>This Inner Loop Header: Depth=1
	s_delay_alu instid0(VALU_DEP_2)
	v_cmp_eq_u32_e32 vcc_lo, 1, v26
	v_cmp_eq_u32_e64 s0, 2, v26
	ds_load_b64 v[30:31], v28
	v_dual_cndmask_b32 v1, v3, v5 :: v_dual_add_nc_u32 v28, 8, v28
	v_cndmask_b32_e32 v29, v2, v4, vcc_lo
	v_cmp_eq_u32_e32 vcc_lo, 3, v26
	s_delay_alu instid0(VALU_DEP_3) | instskip(NEXT) | instid1(VALU_DEP_3)
	v_cndmask_b32_e64 v1, v1, v7, s0
	v_cndmask_b32_e64 v29, v29, v6, s0
	v_cmp_eq_u32_e64 s0, 4, v26
	s_delay_alu instid0(VALU_DEP_3) | instskip(NEXT) | instid1(VALU_DEP_3)
	v_cndmask_b32_e32 v1, v1, v9, vcc_lo
	v_cndmask_b32_e32 v29, v29, v8, vcc_lo
	v_cmp_eq_u32_e32 vcc_lo, 5, v26
	s_delay_alu instid0(VALU_DEP_3) | instskip(NEXT) | instid1(VALU_DEP_3)
	v_cndmask_b32_e64 v1, v1, v11, s0
	v_cndmask_b32_e64 v29, v29, v10, s0
	v_cmp_eq_u32_e64 s0, 6, v26
	s_delay_alu instid0(VALU_DEP_3) | instskip(NEXT) | instid1(VALU_DEP_3)
	v_cndmask_b32_e32 v1, v1, v13, vcc_lo
	;; [unrolled: 8-line block ×3, first 2 shown]
	v_cndmask_b32_e32 v29, v29, v16, vcc_lo
	v_cmp_eq_u32_e32 vcc_lo, 9, v26
	s_delay_alu instid0(VALU_DEP_3) | instskip(NEXT) | instid1(VALU_DEP_3)
	v_cndmask_b32_e64 v1, v1, v19, s0
	v_cndmask_b32_e64 v29, v29, v18, s0
	v_cmp_eq_u32_e64 s0, 10, v26
	v_add_nc_u64_e32 v[26:27], 1, v[26:27]
	s_delay_alu instid0(VALU_DEP_4) | instskip(NEXT) | instid1(VALU_DEP_4)
	v_cndmask_b32_e32 v1, v1, v21, vcc_lo
	v_cndmask_b32_e32 v29, v29, v20, vcc_lo
	s_delay_alu instid0(VALU_DEP_2) | instskip(NEXT) | instid1(VALU_DEP_2)
	v_cndmask_b32_e64 v33, v1, v23, s0
	v_cndmask_b32_e64 v32, v29, v22, s0
	v_add_nc_u32_e32 v1, -1, v26
	s_wait_dscnt 0x0
	s_delay_alu instid0(VALU_DEP_2) | instskip(NEXT) | instid1(VALU_DEP_2)
	v_fmac_f64_e32 v[24:25], v[32:33], v[30:31]
	v_cmp_lt_u32_e32 vcc_lo, 8, v1
	s_or_b32 s2, vcc_lo, s2
	s_delay_alu instid0(SALU_CYCLE_1)
	s_and_not1_b32 exec_lo, exec_lo, s2
	s_cbranch_execnz .LBB10_65
; %bb.66:
	s_or_b32 exec_lo, exec_lo, s2
	v_mov_b32_e32 v1, 0
	ds_load_b64 v[22:23], v1 offset:80
	s_wait_dscnt 0x0
	v_mul_f64_e32 v[22:23], v[24:25], v[22:23]
.LBB10_67:
	s_or_b32 exec_lo, exec_lo, s1
	s_barrier_signal -1
	s_barrier_wait -1
	s_cbranch_execnz .LBB10_15
	s_branch .LBB10_16
.LBB10_68:
	s_wait_xcnt 0x0
	v_lshl_add_u32 v1, v0, 3, 0x60
	s_mov_b32 s0, exec_lo
	v_cmpx_eq_u32_e32 10, v0
	s_cbranch_execz .LBB10_70
; %bb.69:
	v_dual_mov_b32 v42, 0 :: v_dual_mov_b32 v40, v18
	v_dual_mov_b32 v24, v2 :: v_dual_mov_b32 v25, v3
	;; [unrolled: 1-line block ×11, first 2 shown]
	ds_store_b64 v1, v[20:21]
	v_mov_b64_e32 v[2:3], v[24:25]
	v_mov_b64_e32 v[4:5], v[26:27]
	;; [unrolled: 1-line block ×16, first 2 shown]
.LBB10_70:
	s_or_b32 exec_lo, exec_lo, s0
	v_mov_b32_e32 v40, 0
	s_wait_storecnt_dscnt 0x0
	s_barrier_signal -1
	s_barrier_wait -1
	ds_load_b64 v[24:25], v40 offset:176
	s_mov_b32 s0, exec_lo
	s_wait_dscnt 0x0
	v_fma_f64 v[24:25], v[22:23], v[24:25], 0
	s_delay_alu instid0(VALU_DEP_1)
	v_add_f64_e64 v[20:21], v[20:21], -v[24:25]
	v_cmpx_lt_u32_e32 8, v0
	s_cbranch_execz .LBB10_72
; %bb.71:
	v_dual_mov_b32 v24, v2 :: v_dual_mov_b32 v25, v3
	v_dual_mov_b32 v34, v12 :: v_dual_mov_b32 v35, v13
	;; [unrolled: 1-line block ×10, first 2 shown]
	v_mov_b32_e32 v33, v11
	ds_store_b64 v1, v[18:19]
	v_mov_b64_e32 v[2:3], v[24:25]
	v_mov_b64_e32 v[4:5], v[26:27]
	;; [unrolled: 1-line block ×16, first 2 shown]
.LBB10_72:
	s_or_b32 exec_lo, exec_lo, s0
	s_wait_dscnt 0x0
	s_barrier_signal -1
	s_barrier_wait -1
	ds_load_2addr_b64 v[24:27], v40 offset0:21 offset1:22
	s_mov_b32 s0, exec_lo
	s_wait_dscnt 0x0
	v_fma_f64 v[24:25], v[20:21], v[24:25], 0
	s_delay_alu instid0(VALU_DEP_1) | instskip(NEXT) | instid1(VALU_DEP_1)
	v_fmac_f64_e32 v[24:25], v[22:23], v[26:27]
	v_add_f64_e64 v[18:19], v[18:19], -v[24:25]
	v_cmpx_lt_u32_e32 7, v0
	s_cbranch_execz .LBB10_74
; %bb.73:
	v_dual_mov_b32 v38, 0 :: v_dual_mov_b32 v24, v2
	v_dual_mov_b32 v25, v3 :: v_dual_mov_b32 v26, v4
	;; [unrolled: 1-line block ×4, first 2 shown]
	s_delay_alu instid0(VALU_DEP_4)
	v_dual_mov_b32 v37, v15 :: v_dual_mov_b32 v39, v38
	v_dual_mov_b32 v40, v18 :: v_dual_mov_b32 v41, v19
	;; [unrolled: 1-line block ×7, first 2 shown]
	ds_store_b64 v1, v[16:17]
	v_mov_b64_e32 v[2:3], v[24:25]
	v_mov_b64_e32 v[4:5], v[26:27]
	;; [unrolled: 1-line block ×16, first 2 shown]
.LBB10_74:
	s_or_b32 exec_lo, exec_lo, s0
	v_mov_b32_e32 v36, 0
	s_wait_dscnt 0x0
	s_barrier_signal -1
	s_barrier_wait -1
	ds_load_b128 v[24:27], v36 offset:160
	ds_load_b64 v[28:29], v36 offset:176
	s_mov_b32 s0, exec_lo
	s_wait_dscnt 0x1
	v_fma_f64 v[24:25], v[18:19], v[24:25], 0
	s_delay_alu instid0(VALU_DEP_1) | instskip(SKIP_1) | instid1(VALU_DEP_1)
	v_fmac_f64_e32 v[24:25], v[20:21], v[26:27]
	s_wait_dscnt 0x0
	v_fmac_f64_e32 v[24:25], v[22:23], v[28:29]
	s_delay_alu instid0(VALU_DEP_1)
	v_add_f64_e64 v[16:17], v[16:17], -v[24:25]
	v_cmpx_lt_u32_e32 6, v0
	s_cbranch_execz .LBB10_76
; %bb.75:
	v_dual_mov_b32 v24, v2 :: v_dual_mov_b32 v25, v3
	v_dual_mov_b32 v34, v12 :: v_dual_mov_b32 v35, v13
	s_delay_alu instid0(VALU_DEP_4)
	v_dual_mov_b32 v37, v36 :: v_dual_mov_b32 v38, v16
	v_dual_mov_b32 v39, v17 :: v_dual_mov_b32 v40, v18
	;; [unrolled: 1-line block ×8, first 2 shown]
	v_mov_b32_e32 v33, v11
	ds_store_b64 v1, v[14:15]
	v_mov_b64_e32 v[2:3], v[24:25]
	v_mov_b64_e32 v[4:5], v[26:27]
	;; [unrolled: 1-line block ×16, first 2 shown]
.LBB10_76:
	s_or_b32 exec_lo, exec_lo, s0
	s_wait_dscnt 0x0
	s_barrier_signal -1
	s_barrier_wait -1
	ds_load_2addr_b64 v[24:27], v36 offset0:19 offset1:20
	ds_load_2addr_b64 v[28:31], v36 offset0:21 offset1:22
	s_mov_b32 s0, exec_lo
	s_wait_dscnt 0x1
	v_fma_f64 v[24:25], v[16:17], v[24:25], 0
	s_delay_alu instid0(VALU_DEP_1) | instskip(SKIP_1) | instid1(VALU_DEP_1)
	v_fmac_f64_e32 v[24:25], v[18:19], v[26:27]
	s_wait_dscnt 0x0
	v_fmac_f64_e32 v[24:25], v[20:21], v[28:29]
	s_delay_alu instid0(VALU_DEP_1) | instskip(NEXT) | instid1(VALU_DEP_1)
	v_fmac_f64_e32 v[24:25], v[22:23], v[30:31]
	v_add_f64_e64 v[14:15], v[14:15], -v[24:25]
	v_cmpx_lt_u32_e32 5, v0
	s_cbranch_execz .LBB10_78
; %bb.77:
	v_dual_mov_b32 v34, 0 :: v_dual_mov_b32 v24, v2
	v_dual_mov_b32 v25, v3 :: v_dual_mov_b32 v26, v4
	s_delay_alu instid0(VALU_DEP_2)
	v_dual_mov_b32 v33, v11 :: v_dual_mov_b32 v35, v34
	v_dual_mov_b32 v36, v14 :: v_dual_mov_b32 v37, v15
	;; [unrolled: 1-line block ×9, first 2 shown]
	ds_store_b64 v1, v[12:13]
	v_mov_b64_e32 v[2:3], v[24:25]
	v_mov_b64_e32 v[4:5], v[26:27]
	;; [unrolled: 1-line block ×16, first 2 shown]
.LBB10_78:
	s_or_b32 exec_lo, exec_lo, s0
	v_mov_b32_e32 v34, 0
	s_wait_dscnt 0x0
	s_barrier_signal -1
	s_barrier_wait -1
	ds_load_b128 v[24:27], v34 offset:144
	ds_load_b128 v[28:31], v34 offset:160
	s_mov_b32 s0, exec_lo
	s_wait_dscnt 0x1
	v_fma_f64 v[24:25], v[14:15], v[24:25], 0
	s_delay_alu instid0(VALU_DEP_1) | instskip(SKIP_3) | instid1(VALU_DEP_1)
	v_fmac_f64_e32 v[24:25], v[16:17], v[26:27]
	ds_load_b64 v[26:27], v34 offset:176
	s_wait_dscnt 0x1
	v_fmac_f64_e32 v[24:25], v[18:19], v[28:29]
	v_fmac_f64_e32 v[24:25], v[20:21], v[30:31]
	s_wait_dscnt 0x0
	s_delay_alu instid0(VALU_DEP_1) | instskip(NEXT) | instid1(VALU_DEP_1)
	v_fmac_f64_e32 v[24:25], v[22:23], v[26:27]
	v_add_f64_e64 v[12:13], v[12:13], -v[24:25]
	v_cmpx_lt_u32_e32 4, v0
	s_cbranch_execz .LBB10_80
; %bb.79:
	v_dual_mov_b32 v26, v2 :: v_dual_mov_b32 v27, v3
	s_delay_alu instid0(VALU_DEP_3) | instskip(NEXT) | instid1(VALU_DEP_4)
	v_dual_mov_b32 v35, v34 :: v_dual_mov_b32 v36, v12
	v_dual_mov_b32 v37, v13 :: v_dual_mov_b32 v38, v14
	;; [unrolled: 1-line block ×9, first 2 shown]
	v_mov_b32_e32 v33, v9
	ds_store_b64 v1, v[10:11]
	v_mov_b64_e32 v[2:3], v[26:27]
	v_mov_b64_e32 v[4:5], v[28:29]
	;; [unrolled: 1-line block ×16, first 2 shown]
.LBB10_80:
	s_or_b32 exec_lo, exec_lo, s0
	s_wait_dscnt 0x0
	s_barrier_signal -1
	s_barrier_wait -1
	ds_load_2addr_b64 v[24:27], v34 offset0:17 offset1:18
	ds_load_2addr_b64 v[28:31], v34 offset0:19 offset1:20
	s_mov_b32 s0, exec_lo
	s_wait_dscnt 0x1
	v_fma_f64 v[32:33], v[12:13], v[24:25], 0
	s_delay_alu instid0(VALU_DEP_1) | instskip(SKIP_3) | instid1(VALU_DEP_1)
	v_fmac_f64_e32 v[32:33], v[14:15], v[26:27]
	ds_load_2addr_b64 v[24:27], v34 offset0:21 offset1:22
	s_wait_dscnt 0x1
	v_fmac_f64_e32 v[32:33], v[16:17], v[28:29]
	v_fmac_f64_e32 v[32:33], v[18:19], v[30:31]
	s_wait_dscnt 0x0
	s_delay_alu instid0(VALU_DEP_1) | instskip(NEXT) | instid1(VALU_DEP_1)
	v_fmac_f64_e32 v[32:33], v[20:21], v[24:25]
	v_fmac_f64_e32 v[32:33], v[22:23], v[26:27]
	s_delay_alu instid0(VALU_DEP_1)
	v_add_f64_e64 v[10:11], v[10:11], -v[32:33]
	v_cmpx_lt_u32_e32 3, v0
	s_cbranch_execz .LBB10_82
; %bb.81:
	v_dual_mov_b32 v30, 0 :: v_dual_mov_b32 v24, v2
	v_dual_mov_b32 v25, v3 :: v_dual_mov_b32 v26, v4
	;; [unrolled: 1-line block ×11, first 2 shown]
	ds_store_b64 v1, v[8:9]
	v_mov_b64_e32 v[2:3], v[24:25]
	v_mov_b64_e32 v[4:5], v[26:27]
	;; [unrolled: 1-line block ×16, first 2 shown]
.LBB10_82:
	s_or_b32 exec_lo, exec_lo, s0
	v_mov_b32_e32 v34, 0
	s_wait_dscnt 0x0
	s_barrier_signal -1
	s_barrier_wait -1
	ds_load_b128 v[24:27], v34 offset:128
	ds_load_b128 v[28:31], v34 offset:144
	s_mov_b32 s0, exec_lo
	s_wait_dscnt 0x1
	v_fma_f64 v[32:33], v[10:11], v[24:25], 0
	s_delay_alu instid0(VALU_DEP_1) | instskip(SKIP_1) | instid1(VALU_DEP_1)
	v_fmac_f64_e32 v[32:33], v[12:13], v[26:27]
	s_wait_dscnt 0x0
	v_fmac_f64_e32 v[32:33], v[14:15], v[28:29]
	ds_load_b128 v[24:27], v34 offset:160
	ds_load_b64 v[28:29], v34 offset:176
	v_fmac_f64_e32 v[32:33], v[16:17], v[30:31]
	s_wait_dscnt 0x1
	s_delay_alu instid0(VALU_DEP_1) | instskip(NEXT) | instid1(VALU_DEP_1)
	v_fmac_f64_e32 v[32:33], v[18:19], v[24:25]
	v_fmac_f64_e32 v[32:33], v[20:21], v[26:27]
	s_wait_dscnt 0x0
	s_delay_alu instid0(VALU_DEP_1) | instskip(NEXT) | instid1(VALU_DEP_1)
	v_fmac_f64_e32 v[32:33], v[22:23], v[28:29]
	v_add_f64_e64 v[8:9], v[8:9], -v[32:33]
	v_cmpx_lt_u32_e32 2, v0
	s_cbranch_execz .LBB10_84
; %bb.83:
	v_dual_mov_b32 v30, v2 :: v_dual_mov_b32 v31, v3
	s_delay_alu instid0(VALU_DEP_3) | instskip(NEXT) | instid1(VALU_DEP_4)
	v_dual_mov_b32 v35, v34 :: v_dual_mov_b32 v36, v8
	v_dual_mov_b32 v37, v9 :: v_dual_mov_b32 v38, v10
	;; [unrolled: 1-line block ×9, first 2 shown]
	v_mov_b32_e32 v33, v5
	ds_store_b64 v1, v[6:7]
	v_mov_b64_e32 v[2:3], v[30:31]
	v_mov_b64_e32 v[4:5], v[32:33]
	;; [unrolled: 1-line block ×16, first 2 shown]
.LBB10_84:
	s_or_b32 exec_lo, exec_lo, s0
	s_wait_dscnt 0x0
	s_barrier_signal -1
	s_barrier_wait -1
	ds_load_2addr_b64 v[24:27], v34 offset0:15 offset1:16
	ds_load_2addr_b64 v[28:31], v34 offset0:17 offset1:18
	s_mov_b32 s0, exec_lo
	s_wait_dscnt 0x1
	v_fma_f64 v[32:33], v[8:9], v[24:25], 0
	s_delay_alu instid0(VALU_DEP_1) | instskip(SKIP_1) | instid1(VALU_DEP_1)
	v_fmac_f64_e32 v[32:33], v[10:11], v[26:27]
	s_wait_dscnt 0x0
	v_fmac_f64_e32 v[32:33], v[12:13], v[28:29]
	s_delay_alu instid0(VALU_DEP_1) | instskip(SKIP_4) | instid1(VALU_DEP_1)
	v_fmac_f64_e32 v[32:33], v[14:15], v[30:31]
	ds_load_2addr_b64 v[24:27], v34 offset0:19 offset1:20
	ds_load_2addr_b64 v[28:31], v34 offset0:21 offset1:22
	s_wait_dscnt 0x1
	v_fmac_f64_e32 v[32:33], v[16:17], v[24:25]
	v_fmac_f64_e32 v[32:33], v[18:19], v[26:27]
	s_wait_dscnt 0x0
	s_delay_alu instid0(VALU_DEP_1) | instskip(NEXT) | instid1(VALU_DEP_1)
	v_fmac_f64_e32 v[32:33], v[20:21], v[28:29]
	v_fmac_f64_e32 v[32:33], v[22:23], v[30:31]
	s_delay_alu instid0(VALU_DEP_1)
	v_add_f64_e64 v[6:7], v[6:7], -v[32:33]
	v_cmpx_lt_u32_e32 1, v0
	s_cbranch_execz .LBB10_86
; %bb.85:
	v_dual_mov_b32 v26, 0 :: v_dual_mov_b32 v24, v2
	s_delay_alu instid0(VALU_DEP_3)
	v_dual_mov_b32 v25, v3 :: v_dual_mov_b32 v28, v6
	v_dual_mov_b32 v34, v12 :: v_dual_mov_b32 v35, v13
	;; [unrolled: 1-line block ×10, first 2 shown]
	ds_store_b64 v1, v[4:5]
	v_mov_b64_e32 v[2:3], v[24:25]
	v_mov_b64_e32 v[4:5], v[26:27]
	;; [unrolled: 1-line block ×16, first 2 shown]
.LBB10_86:
	s_or_b32 exec_lo, exec_lo, s0
	v_mov_b32_e32 v34, 0
	s_wait_dscnt 0x0
	s_barrier_signal -1
	s_barrier_wait -1
	ds_load_b128 v[24:27], v34 offset:112
	ds_load_b128 v[28:31], v34 offset:128
	v_dual_ashrrev_i32 v57, 31, v56 :: v_dual_ashrrev_i32 v59, 31, v58
	v_dual_ashrrev_i32 v61, 31, v60 :: v_dual_ashrrev_i32 v67, 31, v66
	;; [unrolled: 1-line block ×4, first 2 shown]
	v_ashrrev_i32_e32 v77, 31, v76
	s_mov_b32 s0, exec_lo
	s_wait_dscnt 0x1
	v_fma_f64 v[32:33], v[6:7], v[24:25], 0
	s_delay_alu instid0(VALU_DEP_1) | instskip(SKIP_1) | instid1(VALU_DEP_1)
	v_fmac_f64_e32 v[32:33], v[8:9], v[26:27]
	s_wait_dscnt 0x0
	v_fmac_f64_e32 v[32:33], v[10:11], v[28:29]
	s_delay_alu instid0(VALU_DEP_1)
	v_fmac_f64_e32 v[32:33], v[12:13], v[30:31]
	ds_load_b128 v[24:27], v34 offset:144
	ds_load_b128 v[28:31], v34 offset:160
	s_wait_dscnt 0x1
	v_fmac_f64_e32 v[32:33], v[14:15], v[24:25]
	ds_load_b64 v[24:25], v34 offset:176
	v_fmac_f64_e32 v[32:33], v[16:17], v[26:27]
	s_wait_dscnt 0x1
	s_delay_alu instid0(VALU_DEP_1) | instskip(NEXT) | instid1(VALU_DEP_1)
	v_fmac_f64_e32 v[32:33], v[18:19], v[28:29]
	v_fmac_f64_e32 v[32:33], v[20:21], v[30:31]
	s_wait_dscnt 0x0
	s_delay_alu instid0(VALU_DEP_1) | instskip(NEXT) | instid1(VALU_DEP_1)
	v_fmac_f64_e32 v[32:33], v[22:23], v[24:25]
	v_add_f64_e64 v[4:5], v[4:5], -v[32:33]
	v_cmpx_ne_u32_e32 0, v0
	s_cbranch_execz .LBB10_88
; %bb.87:
	s_delay_alu instid0(VALU_DEP_2) | instskip(NEXT) | instid1(VALU_DEP_3)
	v_dual_mov_b32 v35, v34 :: v_dual_mov_b32 v36, v4
	v_dual_mov_b32 v37, v5 :: v_dual_mov_b32 v38, v6
	;; [unrolled: 1-line block ×10, first 2 shown]
	v_mov_b32_e32 v55, v23
	ds_store_b64 v1, v[2:3]
	v_mov_b64_e32 v[2:3], v[34:35]
	v_mov_b64_e32 v[4:5], v[36:37]
	v_mov_b64_e32 v[6:7], v[38:39]
	v_mov_b64_e32 v[8:9], v[40:41]
	v_mov_b64_e32 v[10:11], v[42:43]
	v_mov_b64_e32 v[12:13], v[44:45]
	v_mov_b64_e32 v[14:15], v[46:47]
	v_mov_b64_e32 v[16:17], v[48:49]
	v_mov_b64_e32 v[18:19], v[50:51]
	v_mov_b64_e32 v[20:21], v[52:53]
	v_mov_b64_e32 v[22:23], v[54:55]
	v_mov_b64_e32 v[24:25], v[56:57]
	v_mov_b64_e32 v[26:27], v[58:59]
	v_mov_b64_e32 v[28:29], v[60:61]
	v_mov_b64_e32 v[30:31], v[62:63]
	v_mov_b64_e32 v[32:33], v[64:65]
.LBB10_88:
	s_or_b32 exec_lo, exec_lo, s0
	s_wait_dscnt 0x0
	s_barrier_signal -1
	s_barrier_wait -1
	ds_load_2addr_b64 v[24:27], v34 offset0:13 offset1:14
	ds_load_2addr_b64 v[28:31], v34 offset0:15 offset1:16
	s_and_b32 vcc_lo, exec_lo, s20
	s_wait_dscnt 0x1
	v_fma_f64 v[0:1], v[4:5], v[24:25], 0
	s_delay_alu instid0(VALU_DEP_1) | instskip(SKIP_1) | instid1(VALU_DEP_1)
	v_fmac_f64_e32 v[0:1], v[6:7], v[26:27]
	s_wait_dscnt 0x0
	v_fmac_f64_e32 v[0:1], v[8:9], v[28:29]
	s_delay_alu instid0(VALU_DEP_1) | instskip(SKIP_4) | instid1(VALU_DEP_1)
	v_fmac_f64_e32 v[0:1], v[10:11], v[30:31]
	ds_load_2addr_b64 v[24:27], v34 offset0:17 offset1:18
	ds_load_2addr_b64 v[28:31], v34 offset0:19 offset1:20
	s_wait_dscnt 0x1
	v_fmac_f64_e32 v[0:1], v[12:13], v[24:25]
	v_fmac_f64_e32 v[0:1], v[14:15], v[26:27]
	ds_load_2addr_b64 v[24:27], v34 offset0:21 offset1:22
	s_wait_dscnt 0x1
	v_fmac_f64_e32 v[0:1], v[16:17], v[28:29]
	s_delay_alu instid0(VALU_DEP_1) | instskip(SKIP_1) | instid1(VALU_DEP_1)
	v_fmac_f64_e32 v[0:1], v[18:19], v[30:31]
	s_wait_dscnt 0x0
	v_fmac_f64_e32 v[0:1], v[20:21], v[24:25]
	s_delay_alu instid0(VALU_DEP_1) | instskip(NEXT) | instid1(VALU_DEP_1)
	v_fmac_f64_e32 v[0:1], v[22:23], v[26:27]
	v_add_f64_e64 v[2:3], v[2:3], -v[0:1]
	s_cbranch_vccz .LBB10_109
; %bb.89:
	v_mov_b32_e32 v0, 0
	global_load_b32 v1, v0, s[16:17] offset:36
	s_wait_loadcnt 0x0
	v_readfirstlane_b32 s0, v1
	s_add_co_i32 s0, s0, -1
	s_delay_alu instid0(SALU_CYCLE_1)
	s_cmp_lg_u32 s0, 9
	s_cbranch_scc0 .LBB10_91
; %bb.90:
	s_lshl_b32 m0, s0, 1
	v_movrels_b32_e32 v1, v2
	v_movrels_b32_e32 v54, v3
	v_mov_b64_e32 v[52:53], v[32:33]
	v_mov_b64_e32 v[50:51], v[30:31]
	;; [unrolled: 1-line block ×16, first 2 shown]
	v_dual_mov_b32 v40, v1 :: v_dual_mov_b32 v41, v54
	s_delay_alu instid0(VALU_DEP_2) | instskip(NEXT) | instid1(VALU_DEP_3)
	v_movreld_b32_e32 v22, v20
	v_movreld_b32_e32 v23, v21
	v_mov_b64_e32 v[2:3], v[22:23]
	v_mov_b64_e32 v[4:5], v[24:25]
	;; [unrolled: 1-line block ×16, first 2 shown]
.LBB10_91:
	global_load_b32 v0, v0, s[16:17] offset:32
	s_wait_loadcnt 0x0
	v_readfirstlane_b32 s0, v0
	s_add_co_i32 s0, s0, -1
	s_delay_alu instid0(SALU_CYCLE_1)
	s_cmp_eq_u32 s0, 8
	s_cbranch_scc1 .LBB10_93
; %bb.92:
	s_lshl_b32 m0, s0, 1
	v_movrels_b32_e32 v0, v2
	v_movrels_b32_e32 v1, v3
	v_mov_b64_e32 v[50:51], v[32:33]
	v_mov_b64_e32 v[48:49], v[30:31]
	;; [unrolled: 1-line block ×16, first 2 shown]
	v_dual_mov_b32 v36, v0 :: v_dual_mov_b32 v37, v1
	s_delay_alu instid0(VALU_DEP_2) | instskip(NEXT) | instid1(VALU_DEP_3)
	v_movreld_b32_e32 v20, v18
	v_movreld_b32_e32 v21, v19
	v_mov_b64_e32 v[2:3], v[20:21]
	v_mov_b64_e32 v[4:5], v[22:23]
	;; [unrolled: 1-line block ×16, first 2 shown]
.LBB10_93:
	v_mov_b32_e32 v0, 0
	global_load_b32 v1, v0, s[16:17] offset:28
	s_wait_loadcnt 0x0
	v_readfirstlane_b32 s0, v1
	s_add_co_i32 s0, s0, -1
	s_delay_alu instid0(SALU_CYCLE_1)
	s_cmp_eq_u32 s0, 7
	s_cbranch_scc1 .LBB10_95
; %bb.94:
	s_lshl_b32 m0, s0, 1
	v_movrels_b32_e32 v1, v2
	v_movrels_b32_e32 v50, v3
	v_mov_b64_e32 v[48:49], v[32:33]
	v_mov_b64_e32 v[46:47], v[30:31]
	;; [unrolled: 1-line block ×16, first 2 shown]
	v_dual_mov_b32 v32, v1 :: v_dual_mov_b32 v33, v50
	s_delay_alu instid0(VALU_DEP_2) | instskip(NEXT) | instid1(VALU_DEP_3)
	v_movreld_b32_e32 v18, v16
	v_movreld_b32_e32 v19, v17
	v_mov_b64_e32 v[2:3], v[18:19]
	v_mov_b64_e32 v[4:5], v[20:21]
	;; [unrolled: 1-line block ×16, first 2 shown]
.LBB10_95:
	global_load_b32 v0, v0, s[16:17] offset:24
	s_wait_loadcnt 0x0
	v_readfirstlane_b32 s0, v0
	s_add_co_i32 s0, s0, -1
	s_delay_alu instid0(SALU_CYCLE_1)
	s_cmp_eq_u32 s0, 6
	s_cbranch_scc1 .LBB10_97
; %bb.96:
	s_lshl_b32 m0, s0, 1
	v_movrels_b32_e32 v0, v2
	v_movrels_b32_e32 v1, v3
	v_mov_b64_e32 v[46:47], v[32:33]
	v_mov_b64_e32 v[44:45], v[30:31]
	;; [unrolled: 1-line block ×16, first 2 shown]
	v_dual_mov_b32 v28, v0 :: v_dual_mov_b32 v29, v1
	s_delay_alu instid0(VALU_DEP_2) | instskip(NEXT) | instid1(VALU_DEP_3)
	v_movreld_b32_e32 v16, v14
	v_movreld_b32_e32 v17, v15
	v_mov_b64_e32 v[2:3], v[16:17]
	v_mov_b64_e32 v[4:5], v[18:19]
	;; [unrolled: 1-line block ×16, first 2 shown]
.LBB10_97:
	v_mov_b32_e32 v0, 0
	global_load_b32 v1, v0, s[16:17] offset:20
	s_wait_loadcnt 0x0
	v_readfirstlane_b32 s0, v1
	s_add_co_i32 s0, s0, -1
	s_delay_alu instid0(SALU_CYCLE_1)
	s_cmp_eq_u32 s0, 5
	s_cbranch_scc1 .LBB10_99
; %bb.98:
	s_lshl_b32 m0, s0, 1
	v_movrels_b32_e32 v1, v2
	v_movrels_b32_e32 v46, v3
	v_mov_b64_e32 v[44:45], v[32:33]
	v_mov_b64_e32 v[42:43], v[30:31]
	v_mov_b64_e32 v[40:41], v[28:29]
	v_mov_b64_e32 v[38:39], v[26:27]
	v_mov_b64_e32 v[36:37], v[24:25]
	v_mov_b64_e32 v[34:35], v[22:23]
	v_mov_b64_e32 v[32:33], v[20:21]
	v_mov_b64_e32 v[30:31], v[18:19]
	v_mov_b64_e32 v[28:29], v[16:17]
	v_mov_b64_e32 v[26:27], v[14:15]
	v_mov_b64_e32 v[24:25], v[12:13]
	v_mov_b64_e32 v[22:23], v[10:11]
	v_mov_b64_e32 v[20:21], v[8:9]
	v_mov_b64_e32 v[18:19], v[6:7]
	v_mov_b64_e32 v[16:17], v[4:5]
	v_mov_b64_e32 v[14:15], v[2:3]
	v_dual_mov_b32 v24, v1 :: v_dual_mov_b32 v25, v46
	s_delay_alu instid0(VALU_DEP_2) | instskip(NEXT) | instid1(VALU_DEP_3)
	v_movreld_b32_e32 v14, v12
	v_movreld_b32_e32 v15, v13
	v_mov_b64_e32 v[2:3], v[14:15]
	v_mov_b64_e32 v[4:5], v[16:17]
	;; [unrolled: 1-line block ×16, first 2 shown]
.LBB10_99:
	global_load_b32 v0, v0, s[16:17] offset:16
	s_wait_loadcnt 0x0
	v_readfirstlane_b32 s0, v0
	s_add_co_i32 s0, s0, -1
	s_delay_alu instid0(SALU_CYCLE_1)
	s_cmp_eq_u32 s0, 4
	s_cbranch_scc1 .LBB10_101
; %bb.100:
	s_lshl_b32 m0, s0, 1
	v_movrels_b32_e32 v0, v2
	v_movrels_b32_e32 v1, v3
	v_mov_b64_e32 v[42:43], v[32:33]
	v_mov_b64_e32 v[40:41], v[30:31]
	;; [unrolled: 1-line block ×16, first 2 shown]
	v_dual_mov_b32 v20, v0 :: v_dual_mov_b32 v21, v1
	s_delay_alu instid0(VALU_DEP_2) | instskip(NEXT) | instid1(VALU_DEP_3)
	v_movreld_b32_e32 v12, v10
	v_movreld_b32_e32 v13, v11
	v_mov_b64_e32 v[2:3], v[12:13]
	v_mov_b64_e32 v[4:5], v[14:15]
	;; [unrolled: 1-line block ×16, first 2 shown]
.LBB10_101:
	v_mov_b32_e32 v0, 0
	global_load_b32 v1, v0, s[16:17] offset:12
	s_wait_loadcnt 0x0
	v_readfirstlane_b32 s0, v1
	s_add_co_i32 s0, s0, -1
	s_delay_alu instid0(SALU_CYCLE_1)
	s_cmp_eq_u32 s0, 3
	s_cbranch_scc1 .LBB10_103
; %bb.102:
	s_lshl_b32 m0, s0, 1
	v_movrels_b32_e32 v1, v2
	v_movrels_b32_e32 v42, v3
	v_mov_b64_e32 v[40:41], v[32:33]
	v_mov_b64_e32 v[38:39], v[30:31]
	v_mov_b64_e32 v[36:37], v[28:29]
	v_mov_b64_e32 v[34:35], v[26:27]
	v_mov_b64_e32 v[32:33], v[24:25]
	v_mov_b64_e32 v[30:31], v[22:23]
	v_mov_b64_e32 v[28:29], v[20:21]
	v_mov_b64_e32 v[26:27], v[18:19]
	v_mov_b64_e32 v[24:25], v[16:17]
	v_mov_b64_e32 v[22:23], v[14:15]
	v_mov_b64_e32 v[20:21], v[12:13]
	v_mov_b64_e32 v[18:19], v[10:11]
	v_mov_b64_e32 v[16:17], v[8:9]
	v_mov_b64_e32 v[14:15], v[6:7]
	v_mov_b64_e32 v[12:13], v[4:5]
	v_mov_b64_e32 v[10:11], v[2:3]
	v_dual_mov_b32 v16, v1 :: v_dual_mov_b32 v17, v42
	s_delay_alu instid0(VALU_DEP_2) | instskip(NEXT) | instid1(VALU_DEP_3)
	v_movreld_b32_e32 v10, v8
	v_movreld_b32_e32 v11, v9
	v_mov_b64_e32 v[2:3], v[10:11]
	v_mov_b64_e32 v[4:5], v[12:13]
	;; [unrolled: 1-line block ×16, first 2 shown]
.LBB10_103:
	global_load_b32 v0, v0, s[16:17] offset:8
	s_wait_loadcnt 0x0
	v_readfirstlane_b32 s0, v0
	s_add_co_i32 s0, s0, -1
	s_delay_alu instid0(SALU_CYCLE_1)
	s_cmp_eq_u32 s0, 2
	s_cbranch_scc1 .LBB10_105
; %bb.104:
	s_lshl_b32 m0, s0, 1
	v_movrels_b32_e32 v0, v2
	v_movrels_b32_e32 v1, v3
	v_mov_b64_e32 v[38:39], v[32:33]
	v_mov_b64_e32 v[36:37], v[30:31]
	;; [unrolled: 1-line block ×16, first 2 shown]
	v_dual_mov_b32 v12, v0 :: v_dual_mov_b32 v13, v1
	s_delay_alu instid0(VALU_DEP_2) | instskip(NEXT) | instid1(VALU_DEP_3)
	v_movreld_b32_e32 v8, v6
	v_movreld_b32_e32 v9, v7
	v_mov_b64_e32 v[2:3], v[8:9]
	v_mov_b64_e32 v[4:5], v[10:11]
	;; [unrolled: 1-line block ×16, first 2 shown]
.LBB10_105:
	v_mov_b32_e32 v0, 0
	global_load_b32 v1, v0, s[16:17] offset:4
	s_wait_loadcnt 0x0
	v_readfirstlane_b32 s0, v1
	s_add_co_i32 s0, s0, -1
	s_delay_alu instid0(SALU_CYCLE_1)
	s_cmp_eq_u32 s0, 1
	s_cbranch_scc1 .LBB10_107
; %bb.106:
	s_lshl_b32 m0, s0, 1
	v_movrels_b32_e32 v1, v2
	v_movrels_b32_e32 v38, v3
	v_mov_b64_e32 v[36:37], v[32:33]
	v_mov_b64_e32 v[34:35], v[30:31]
	;; [unrolled: 1-line block ×16, first 2 shown]
	v_dual_mov_b32 v8, v1 :: v_dual_mov_b32 v9, v38
	s_delay_alu instid0(VALU_DEP_2) | instskip(NEXT) | instid1(VALU_DEP_3)
	v_movreld_b32_e32 v6, v4
	v_movreld_b32_e32 v7, v5
	v_mov_b64_e32 v[2:3], v[6:7]
	s_delay_alu instid0(VALU_DEP_4)
	v_mov_b64_e32 v[4:5], v[8:9]
	v_mov_b64_e32 v[6:7], v[10:11]
	;; [unrolled: 1-line block ×15, first 2 shown]
.LBB10_107:
	global_load_b32 v0, v0, s[16:17]
	s_wait_loadcnt 0x0
	v_readfirstlane_b32 s0, v0
	s_add_co_i32 s0, s0, -1
	s_delay_alu instid0(SALU_CYCLE_1)
	s_cmp_eq_u32 s0, 0
	s_cbranch_scc1 .LBB10_109
; %bb.108:
	s_lshl_b32 m0, s0, 1
	v_movrels_b32_e32 v0, v2
	v_movrels_b32_e32 v1, v3
	v_mov_b64_e32 v[34:35], v[32:33]
	v_mov_b64_e32 v[32:33], v[30:31]
	;; [unrolled: 1-line block ×16, first 2 shown]
	v_dual_mov_b32 v4, v0 :: v_dual_mov_b32 v5, v1
	s_delay_alu instid0(VALU_DEP_1) | instskip(NEXT) | instid1(VALU_DEP_2)
	v_movreld_b32_e32 v4, v2
	v_movreld_b32_e32 v5, v3
	v_mov_b64_e32 v[2:3], v[4:5]
	v_mov_b64_e32 v[4:5], v[6:7]
	v_mov_b64_e32 v[6:7], v[8:9]
	v_mov_b64_e32 v[8:9], v[10:11]
	v_mov_b64_e32 v[10:11], v[12:13]
	v_mov_b64_e32 v[12:13], v[14:15]
	v_mov_b64_e32 v[14:15], v[16:17]
	v_mov_b64_e32 v[16:17], v[18:19]
	v_mov_b64_e32 v[18:19], v[20:21]
	v_mov_b64_e32 v[20:21], v[22:23]
	v_mov_b64_e32 v[22:23], v[24:25]
	v_mov_b64_e32 v[24:25], v[26:27]
	v_mov_b64_e32 v[26:27], v[28:29]
	v_mov_b64_e32 v[28:29], v[30:31]
	v_mov_b64_e32 v[30:31], v[32:33]
	v_mov_b64_e32 v[32:33], v[34:35]
.LBB10_109:
	v_lshl_add_u64 v[38:39], v[56:57], 3, s[12:13]
	v_lshl_add_u64 v[36:37], v[58:59], 3, s[12:13]
	;; [unrolled: 1-line block ×9, first 2 shown]
	s_clause 0xa
	global_store_b64 v[62:63], v[2:3], off
	global_store_b64 v[64:65], v[4:5], off
	;; [unrolled: 1-line block ×11, first 2 shown]
	s_sendmsg sendmsg(MSG_DEALLOC_VGPRS)
	s_endpgm
	.section	.rodata,"a",@progbits
	.p2align	6, 0x0
	.amdhsa_kernel _ZN9rocsolver6v33100L18getri_kernel_smallILi11EdPdEEvT1_iilPiilS4_bb
		.amdhsa_group_segment_fixed_size 184
		.amdhsa_private_segment_fixed_size 0
		.amdhsa_kernarg_size 60
		.amdhsa_user_sgpr_count 2
		.amdhsa_user_sgpr_dispatch_ptr 0
		.amdhsa_user_sgpr_queue_ptr 0
		.amdhsa_user_sgpr_kernarg_segment_ptr 1
		.amdhsa_user_sgpr_dispatch_id 0
		.amdhsa_user_sgpr_kernarg_preload_length 0
		.amdhsa_user_sgpr_kernarg_preload_offset 0
		.amdhsa_user_sgpr_private_segment_size 0
		.amdhsa_wavefront_size32 1
		.amdhsa_uses_dynamic_stack 0
		.amdhsa_enable_private_segment 0
		.amdhsa_system_sgpr_workgroup_id_x 1
		.amdhsa_system_sgpr_workgroup_id_y 0
		.amdhsa_system_sgpr_workgroup_id_z 0
		.amdhsa_system_sgpr_workgroup_info 0
		.amdhsa_system_vgpr_workitem_id 0
		.amdhsa_next_free_vgpr 78
		.amdhsa_next_free_sgpr 21
		.amdhsa_named_barrier_count 0
		.amdhsa_reserve_vcc 1
		.amdhsa_float_round_mode_32 0
		.amdhsa_float_round_mode_16_64 0
		.amdhsa_float_denorm_mode_32 3
		.amdhsa_float_denorm_mode_16_64 3
		.amdhsa_fp16_overflow 0
		.amdhsa_memory_ordered 1
		.amdhsa_forward_progress 1
		.amdhsa_inst_pref_size 87
		.amdhsa_round_robin_scheduling 0
		.amdhsa_exception_fp_ieee_invalid_op 0
		.amdhsa_exception_fp_denorm_src 0
		.amdhsa_exception_fp_ieee_div_zero 0
		.amdhsa_exception_fp_ieee_overflow 0
		.amdhsa_exception_fp_ieee_underflow 0
		.amdhsa_exception_fp_ieee_inexact 0
		.amdhsa_exception_int_div_zero 0
	.end_amdhsa_kernel
	.section	.text._ZN9rocsolver6v33100L18getri_kernel_smallILi11EdPdEEvT1_iilPiilS4_bb,"axG",@progbits,_ZN9rocsolver6v33100L18getri_kernel_smallILi11EdPdEEvT1_iilPiilS4_bb,comdat
.Lfunc_end10:
	.size	_ZN9rocsolver6v33100L18getri_kernel_smallILi11EdPdEEvT1_iilPiilS4_bb, .Lfunc_end10-_ZN9rocsolver6v33100L18getri_kernel_smallILi11EdPdEEvT1_iilPiilS4_bb
                                        ; -- End function
	.set _ZN9rocsolver6v33100L18getri_kernel_smallILi11EdPdEEvT1_iilPiilS4_bb.num_vgpr, 78
	.set _ZN9rocsolver6v33100L18getri_kernel_smallILi11EdPdEEvT1_iilPiilS4_bb.num_agpr, 0
	.set _ZN9rocsolver6v33100L18getri_kernel_smallILi11EdPdEEvT1_iilPiilS4_bb.numbered_sgpr, 21
	.set _ZN9rocsolver6v33100L18getri_kernel_smallILi11EdPdEEvT1_iilPiilS4_bb.num_named_barrier, 0
	.set _ZN9rocsolver6v33100L18getri_kernel_smallILi11EdPdEEvT1_iilPiilS4_bb.private_seg_size, 0
	.set _ZN9rocsolver6v33100L18getri_kernel_smallILi11EdPdEEvT1_iilPiilS4_bb.uses_vcc, 1
	.set _ZN9rocsolver6v33100L18getri_kernel_smallILi11EdPdEEvT1_iilPiilS4_bb.uses_flat_scratch, 0
	.set _ZN9rocsolver6v33100L18getri_kernel_smallILi11EdPdEEvT1_iilPiilS4_bb.has_dyn_sized_stack, 0
	.set _ZN9rocsolver6v33100L18getri_kernel_smallILi11EdPdEEvT1_iilPiilS4_bb.has_recursion, 0
	.set _ZN9rocsolver6v33100L18getri_kernel_smallILi11EdPdEEvT1_iilPiilS4_bb.has_indirect_call, 0
	.section	.AMDGPU.csdata,"",@progbits
; Kernel info:
; codeLenInByte = 11128
; TotalNumSgprs: 23
; NumVgprs: 78
; ScratchSize: 0
; MemoryBound: 0
; FloatMode: 240
; IeeeMode: 1
; LDSByteSize: 184 bytes/workgroup (compile time only)
; SGPRBlocks: 0
; VGPRBlocks: 4
; NumSGPRsForWavesPerEU: 23
; NumVGPRsForWavesPerEU: 78
; NamedBarCnt: 0
; Occupancy: 12
; WaveLimiterHint : 0
; COMPUTE_PGM_RSRC2:SCRATCH_EN: 0
; COMPUTE_PGM_RSRC2:USER_SGPR: 2
; COMPUTE_PGM_RSRC2:TRAP_HANDLER: 0
; COMPUTE_PGM_RSRC2:TGID_X_EN: 1
; COMPUTE_PGM_RSRC2:TGID_Y_EN: 0
; COMPUTE_PGM_RSRC2:TGID_Z_EN: 0
; COMPUTE_PGM_RSRC2:TIDIG_COMP_CNT: 0
	.section	.text._ZN9rocsolver6v33100L18getri_kernel_smallILi12EdPdEEvT1_iilPiilS4_bb,"axG",@progbits,_ZN9rocsolver6v33100L18getri_kernel_smallILi12EdPdEEvT1_iilPiilS4_bb,comdat
	.globl	_ZN9rocsolver6v33100L18getri_kernel_smallILi12EdPdEEvT1_iilPiilS4_bb ; -- Begin function _ZN9rocsolver6v33100L18getri_kernel_smallILi12EdPdEEvT1_iilPiilS4_bb
	.p2align	8
	.type	_ZN9rocsolver6v33100L18getri_kernel_smallILi12EdPdEEvT1_iilPiilS4_bb,@function
_ZN9rocsolver6v33100L18getri_kernel_smallILi12EdPdEEvT1_iilPiilS4_bb: ; @_ZN9rocsolver6v33100L18getri_kernel_smallILi12EdPdEEvT1_iilPiilS4_bb
; %bb.0:
	s_mov_b32 s2, exec_lo
	v_cmpx_gt_u32_e32 12, v0
	s_cbranch_execz .LBB11_16
; %bb.1:
	s_clause 0x2
	s_load_b32 s2, s[0:1], 0x38
	s_load_b128 s[4:7], s[0:1], 0x10
	s_load_b128 s[12:15], s[0:1], 0x28
	s_getreg_b32 s9, hwreg(HW_REG_IB_STS2, 6, 4)
                                        ; implicit-def: $sgpr16_sgpr17
	s_wait_kmcnt 0x0
	s_bitcmp1_b32 s2, 8
	s_cselect_b32 s20, -1, 0
	s_bfe_u32 s3, ttmp6, 0x4000c
	s_and_b32 s8, ttmp6, 15
	s_add_co_i32 s3, s3, 1
	s_delay_alu instid0(SALU_CYCLE_1) | instskip(NEXT) | instid1(SALU_CYCLE_1)
	s_mul_i32 s3, ttmp9, s3
	s_add_co_i32 s8, s8, s3
	s_cmp_eq_u32 s9, 0
	s_cselect_b32 s18, ttmp9, s8
	s_bfe_u32 s2, s2, 0x10008
	s_ashr_i32 s19, s18, 31
	s_cmp_eq_u32 s2, 0
	s_cbranch_scc1 .LBB11_3
; %bb.2:
	s_load_b32 s2, s[0:1], 0x20
	s_mul_u64 s[8:9], s[12:13], s[18:19]
	s_delay_alu instid0(SALU_CYCLE_1) | instskip(NEXT) | instid1(SALU_CYCLE_1)
	s_lshl_b64 s[8:9], s[8:9], 2
	s_add_nc_u64 s[6:7], s[6:7], s[8:9]
	s_wait_kmcnt 0x0
	s_ashr_i32 s3, s2, 31
	s_delay_alu instid0(SALU_CYCLE_1) | instskip(NEXT) | instid1(SALU_CYCLE_1)
	s_lshl_b64 s[2:3], s[2:3], 2
	s_add_nc_u64 s[16:17], s[6:7], s[2:3]
.LBB11_3:
	s_clause 0x1
	s_load_b128 s[8:11], s[0:1], 0x0
	s_load_b32 s6, s[0:1], 0x38
	s_wait_xcnt 0x0
	s_mul_u64 s[0:1], s[4:5], s[18:19]
	v_mov_b32_e32 v1, 0
	s_lshl_b64 s[0:1], s[0:1], 3
	s_delay_alu instid0(VALU_DEP_1)
	v_dual_mov_b32 v27, v1 :: v_dual_lshlrev_b32 v26, 3, v0
	s_wait_kmcnt 0x0
	v_add3_u32 v56, s11, s11, v0
	s_ashr_i32 s3, s10, 31
	s_mov_b32 s2, s10
	s_add_nc_u64 s[0:1], s[8:9], s[0:1]
	s_lshl_b64 s[2:3], s[2:3], 3
	v_add_nc_u32_e32 v58, s11, v56
	s_add_nc_u64 s[12:13], s[0:1], s[2:3]
	s_ashr_i32 s1, s11, 31
	s_mov_b32 s0, s11
	s_bitcmp0_b32 s6, 0
	v_add_nc_u32_e32 v60, s11, v58
	v_add_nc_u64_e32 v[62:63], s[12:13], v[26:27]
	s_delay_alu instid0(VALU_DEP_2) | instskip(NEXT) | instid1(VALU_DEP_2)
	v_add_nc_u32_e32 v64, s11, v60
	v_lshl_add_u64 v[66:67], s[0:1], 3, v[62:63]
	s_mov_b32 s0, -1
	s_delay_alu instid0(VALU_DEP_2)
	v_add_nc_u32_e32 v68, s11, v64
	s_clause 0x4
	global_load_b64 v[4:5], v[66:67], off
	global_load_b64 v[6:7], v56, s[12:13] scale_offset
	global_load_b64 v[8:9], v58, s[12:13] scale_offset
	;; [unrolled: 1-line block ×4, first 2 shown]
	v_add_nc_u32_e32 v70, s11, v68
	s_delay_alu instid0(VALU_DEP_1) | instskip(NEXT) | instid1(VALU_DEP_1)
	v_add_nc_u32_e32 v72, s11, v70
	v_add_nc_u32_e32 v74, s11, v72
	s_delay_alu instid0(VALU_DEP_1) | instskip(NEXT) | instid1(VALU_DEP_1)
	v_add_nc_u32_e32 v76, s11, v74
	v_add_nc_u32_e32 v78, s11, v76
	s_clause 0x6
	global_load_b64 v[14:15], v68, s[12:13] scale_offset
	global_load_b64 v[16:17], v70, s[12:13] scale_offset
	;; [unrolled: 1-line block ×7, first 2 shown]
	s_cbranch_scc1 .LBB11_14
; %bb.4:
	v_cmp_eq_u32_e64 s0, 0, v0
	s_wait_xcnt 0x0
	s_and_saveexec_b32 s1, s0
; %bb.5:
	v_mov_b32_e32 v27, 0
	ds_store_b32 v27, v27 offset:192
; %bb.6:
	s_or_b32 exec_lo, exec_lo, s1
	v_cmp_eq_u32_e32 vcc_lo, 1, v0
	s_mov_b32 s2, exec_lo
	s_wait_loadcnt_dscnt 0x0
	s_barrier_signal -1
	s_barrier_wait -1
	v_dual_cndmask_b32 v27, v3, v5 :: v_dual_cndmask_b32 v28, v2, v4
	v_cmp_eq_u32_e32 vcc_lo, 2, v0
	s_delay_alu instid0(VALU_DEP_2) | instskip(SKIP_1) | instid1(VALU_DEP_2)
	v_dual_cndmask_b32 v27, v27, v7 :: v_dual_cndmask_b32 v28, v28, v6
	v_cmp_eq_u32_e32 vcc_lo, 3, v0
	v_dual_cndmask_b32 v27, v27, v9 :: v_dual_cndmask_b32 v28, v28, v8
	v_cmp_eq_u32_e32 vcc_lo, 4, v0
	s_delay_alu instid0(VALU_DEP_2) | instskip(SKIP_1) | instid1(VALU_DEP_2)
	v_dual_cndmask_b32 v27, v27, v11 :: v_dual_cndmask_b32 v28, v28, v10
	v_cmp_eq_u32_e32 vcc_lo, 5, v0
	;; [unrolled: 5-line block ×5, first 2 shown]
	v_dual_cndmask_b32 v29, v27, v25 :: v_dual_cndmask_b32 v28, v28, v24
	s_delay_alu instid0(VALU_DEP_1)
	v_cmpx_eq_f64_e32 0, v[28:29]
	s_cbranch_execz .LBB11_10
; %bb.7:
	v_mov_b32_e32 v27, 0
	s_mov_b32 s3, 0
	ds_load_b32 v30, v27 offset:192
	s_wait_dscnt 0x0
	v_readfirstlane_b32 s1, v30
	v_add_nc_u32_e32 v30, 1, v0
	s_cmp_eq_u32 s1, 0
	s_delay_alu instid0(VALU_DEP_1) | instskip(SKIP_1) | instid1(SALU_CYCLE_1)
	v_cmp_gt_i32_e32 vcc_lo, s1, v30
	s_cselect_b32 s4, -1, 0
	s_or_b32 s4, s4, vcc_lo
	s_delay_alu instid0(SALU_CYCLE_1)
	s_and_b32 exec_lo, exec_lo, s4
	s_cbranch_execz .LBB11_10
; %bb.8:
	v_mov_b32_e32 v31, s1
.LBB11_9:                               ; =>This Inner Loop Header: Depth=1
	ds_cmpstore_rtn_b32 v31, v27, v30, v31 offset:192
	s_wait_dscnt 0x0
	v_cmp_ne_u32_e32 vcc_lo, 0, v31
	v_cmp_le_i32_e64 s1, v31, v30
	s_and_b32 s1, vcc_lo, s1
	s_delay_alu instid0(SALU_CYCLE_1) | instskip(NEXT) | instid1(SALU_CYCLE_1)
	s_and_b32 s1, exec_lo, s1
	s_or_b32 s3, s1, s3
	s_delay_alu instid0(SALU_CYCLE_1)
	s_and_not1_b32 exec_lo, exec_lo, s3
	s_cbranch_execnz .LBB11_9
.LBB11_10:
	s_or_b32 exec_lo, exec_lo, s2
	v_mov_b32_e32 v27, 0
	s_barrier_signal -1
	s_barrier_wait -1
	ds_load_b32 v30, v27 offset:192
	s_and_saveexec_b32 s1, s0
	s_cbranch_execz .LBB11_12
; %bb.11:
	s_lshl_b64 s[2:3], s[18:19], 2
	s_delay_alu instid0(SALU_CYCLE_1)
	s_add_nc_u64 s[2:3], s[14:15], s[2:3]
	s_wait_dscnt 0x0
	global_store_b32 v27, v30, s[2:3]
.LBB11_12:
	s_wait_xcnt 0x0
	s_or_b32 exec_lo, exec_lo, s1
	s_wait_dscnt 0x0
	v_cmp_ne_u32_e32 vcc_lo, 0, v30
	s_cbranch_vccz .LBB11_17
; %bb.13:
	s_mov_b32 s0, 0
                                        ; implicit-def: $vgpr2_vgpr3_vgpr4_vgpr5_vgpr6_vgpr7_vgpr8_vgpr9_vgpr10_vgpr11_vgpr12_vgpr13_vgpr14_vgpr15_vgpr16_vgpr17_vgpr18_vgpr19_vgpr20_vgpr21_vgpr22_vgpr23_vgpr24_vgpr25_vgpr26_vgpr27_vgpr28_vgpr29_vgpr30_vgpr31_vgpr32_vgpr33
.LBB11_14:
	s_delay_alu instid0(SALU_CYCLE_1)
	s_and_b32 vcc_lo, exec_lo, s0
	s_cbranch_vccz .LBB11_16
.LBB11_15:
	v_mov_b32_e32 v1, 0
	s_lshl_b64 s[0:1], s[18:19], 2
	s_delay_alu instid0(SALU_CYCLE_1)
	s_add_nc_u64 s[0:1], s[14:15], s[0:1]
	global_load_b32 v1, v1, s[0:1]
	s_wait_loadcnt 0x0
	v_cmp_ne_u32_e32 vcc_lo, 0, v1
	s_cbranch_vccz .LBB11_72
.LBB11_16:
	s_sendmsg sendmsg(MSG_DEALLOC_VGPRS)
	s_endpgm
.LBB11_17:
	v_div_scale_f64 v[30:31], null, v[28:29], v[28:29], 1.0
	v_div_scale_f64 v[36:37], vcc_lo, 1.0, v[28:29], 1.0
	v_cmp_eq_u32_e64 s1, 10, v0
	v_cmp_eq_u32_e64 s2, 9, v0
	v_cmp_eq_u32_e64 s3, 8, v0
	v_cmp_eq_u32_e64 s4, 7, v0
	v_cmp_eq_u32_e64 s5, 6, v0
	v_cmp_eq_u32_e64 s6, 5, v0
	v_cmp_eq_u32_e64 s7, 4, v0
	v_cmp_eq_u32_e64 s8, 3, v0
	v_cmp_eq_u32_e64 s9, 2, v0
	v_cmp_eq_u32_e64 s10, 1, v0
	v_cmp_eq_u32_e64 s11, 0, v0
	v_rcp_f64_e32 v[32:33], v[30:31]
	v_nop
	s_delay_alu instid0(TRANS32_DEP_1) | instskip(NEXT) | instid1(VALU_DEP_1)
	v_fma_f64 v[34:35], -v[30:31], v[32:33], 1.0
	v_fmac_f64_e32 v[32:33], v[32:33], v[34:35]
	s_delay_alu instid0(VALU_DEP_1) | instskip(NEXT) | instid1(VALU_DEP_1)
	v_fma_f64 v[34:35], -v[30:31], v[32:33], 1.0
	v_fmac_f64_e32 v[32:33], v[32:33], v[34:35]
	s_delay_alu instid0(VALU_DEP_1) | instskip(NEXT) | instid1(VALU_DEP_1)
	v_mul_f64_e32 v[34:35], v[36:37], v[32:33]
	v_fma_f64 v[30:31], -v[30:31], v[34:35], v[36:37]
	s_delay_alu instid0(VALU_DEP_1) | instskip(SKIP_1) | instid1(VALU_DEP_2)
	v_div_fmas_f64 v[30:31], v[30:31], v[32:33], v[34:35]
	v_cmp_eq_u32_e32 vcc_lo, 11, v0
	v_div_fixup_f64 v[28:29], v[30:31], v[28:29], 1.0
	s_delay_alu instid0(VALU_DEP_1) | instskip(NEXT) | instid1(VALU_DEP_2)
	v_dual_cndmask_b32 v25, v25, v29 :: v_dual_add_nc_u32 v30, 0x60, v26
	v_dual_cndmask_b32 v24, v24, v28, vcc_lo :: v_dual_cndmask_b32 v23, v23, v29, s1
	v_dual_cndmask_b32 v22, v22, v28, s1 :: v_dual_cndmask_b32 v21, v21, v29, s2
	v_dual_cndmask_b32 v20, v20, v28, s2 :: v_dual_cndmask_b32 v19, v19, v29, s3
	;; [unrolled: 1-line block ×9, first 2 shown]
	v_xor_b32_e32 v33, 0x80000000, v29
	v_dual_mov_b32 v32, v28 :: v_dual_cndmask_b32 v6, v6, v28, s9
	v_dual_cndmask_b32 v3, v3, v29, s11 :: v_dual_cndmask_b32 v2, v2, v28, s11
	ds_store_2addr_b64 v26, v[32:33], v[4:5] offset1:12
	s_wait_storecnt_dscnt 0x0
	s_barrier_signal -1
	s_barrier_wait -1
	s_and_saveexec_b32 s1, s0
	s_cbranch_execz .LBB11_19
; %bb.18:
	ds_load_b64 v[4:5], v30
	v_mov_b32_e32 v26, 0
	ds_load_b64 v[26:27], v26 offset:8
	s_wait_dscnt 0x1
	v_fma_f64 v[4:5], v[28:29], v[4:5], 0
	s_wait_dscnt 0x0
	s_delay_alu instid0(VALU_DEP_1)
	v_mul_f64_e32 v[4:5], v[4:5], v[26:27]
.LBB11_19:
	s_or_b32 exec_lo, exec_lo, s1
	v_cmp_gt_u32_e32 vcc_lo, 2, v0
	s_barrier_signal -1
	s_barrier_wait -1
	ds_store_b64 v30, v[6:7]
	s_wait_dscnt 0x0
	s_barrier_signal -1
	s_barrier_wait -1
	s_and_saveexec_b32 s3, vcc_lo
	s_cbranch_execz .LBB11_23
; %bb.20:
	v_cmp_eq_u32_e64 s1, 1, v0
	v_cmp_eq_u32_e64 s2, 9, v0
	s_delay_alu instid0(VALU_DEP_2) | instskip(SKIP_1) | instid1(VALU_DEP_1)
	v_dual_cndmask_b32 v26, v3, v5, s1 :: v_dual_cndmask_b32 v27, v2, v4, s1
	v_cmp_eq_u32_e64 s1, 2, v0
	v_dual_cndmask_b32 v7, v26, v7, s1 :: v_dual_cndmask_b32 v6, v27, v6, s1
	v_cmp_eq_u32_e64 s1, 3, v0
	s_delay_alu instid0(VALU_DEP_1) | instskip(SKIP_1) | instid1(VALU_DEP_1)
	v_dual_cndmask_b32 v7, v7, v9, s1 :: v_dual_cndmask_b32 v6, v6, v8, s1
	v_cmp_eq_u32_e64 s1, 4, v0
	v_dual_cndmask_b32 v7, v7, v11, s1 :: v_dual_cndmask_b32 v6, v6, v10, s1
	v_cmp_eq_u32_e64 s1, 5, v0
	s_delay_alu instid0(VALU_DEP_1) | instskip(SKIP_1) | instid1(VALU_DEP_1)
	;; [unrolled: 5-line block ×3, first 2 shown]
	v_dual_cndmask_b32 v7, v7, v17, s1 :: v_dual_cndmask_b32 v6, v6, v16, s1
	v_cmp_eq_u32_e64 s1, 8, v0
	v_dual_cndmask_b32 v26, v7, v19, s1 :: v_dual_cndmask_b32 v27, v6, v18, s1
	ds_load_b64 v[6:7], v30
	v_cmp_eq_u32_e64 s1, 10, v0
	v_dual_cndmask_b32 v26, v26, v21, s2 :: v_dual_cndmask_b32 v27, v27, v20, s2
	s_delay_alu instid0(VALU_DEP_1) | instskip(SKIP_1) | instid1(VALU_DEP_1)
	v_dual_cndmask_b32 v26, v26, v23, s1 :: v_dual_cndmask_b32 v28, v27, v22, s1
	v_cmp_eq_u32_e64 s1, 11, v0
	v_dual_cndmask_b32 v27, v26, v25, s1 :: v_dual_cndmask_b32 v26, v28, v24, s1
	s_wait_dscnt 0x0
	s_delay_alu instid0(VALU_DEP_1)
	v_fma_f64 v[6:7], v[26:27], v[6:7], 0
	s_and_saveexec_b32 s1, s0
	s_cbranch_execz .LBB11_22
; %bb.21:
	v_mov_b32_e32 v26, 0
	ds_load_b64 v[26:27], v26 offset:104
	s_wait_dscnt 0x0
	v_fmac_f64_e32 v[6:7], v[4:5], v[26:27]
.LBB11_22:
	s_or_b32 exec_lo, exec_lo, s1
	v_mov_b32_e32 v26, 0
	ds_load_b64 v[26:27], v26 offset:16
	s_wait_dscnt 0x0
	v_mul_f64_e32 v[6:7], v[6:7], v[26:27]
.LBB11_23:
	s_or_b32 exec_lo, exec_lo, s3
	s_delay_alu instid0(SALU_CYCLE_1)
	s_mov_b32 s3, exec_lo
	s_barrier_signal -1
	s_barrier_wait -1
	ds_store_b64 v30, v[8:9]
	s_wait_dscnt 0x0
	s_barrier_signal -1
	s_barrier_wait -1
	v_cmpx_gt_u32_e32 3, v0
	s_cbranch_execz .LBB11_27
; %bb.24:
	v_mov_b64_e32 v[26:27], 0
	v_mov_b64_e32 v[28:29], v[0:1]
	v_lshl_add_u32 v31, v0, 3, 0x60
	s_mov_b32 s4, 0
.LBB11_25:                              ; =>This Inner Loop Header: Depth=1
	s_delay_alu instid0(VALU_DEP_2) | instskip(SKIP_1) | instid1(VALU_DEP_2)
	v_cmp_eq_u32_e64 s1, 1, v28
	v_cmp_eq_u32_e64 s2, 2, v28
	v_dual_cndmask_b32 v32, v3, v5, s1 :: v_dual_cndmask_b32 v33, v2, v4, s1
	v_cmp_eq_u32_e64 s1, 3, v28
	s_delay_alu instid0(VALU_DEP_2) | instskip(SKIP_1) | instid1(VALU_DEP_2)
	v_dual_cndmask_b32 v32, v32, v7, s2 :: v_dual_cndmask_b32 v33, v33, v6, s2
	v_cmp_eq_u32_e64 s2, 4, v28
	v_dual_cndmask_b32 v32, v32, v9, s1 :: v_dual_cndmask_b32 v33, v33, v8, s1
	v_cmp_eq_u32_e64 s1, 5, v28
	s_delay_alu instid0(VALU_DEP_2) | instskip(SKIP_1) | instid1(VALU_DEP_2)
	v_dual_cndmask_b32 v32, v32, v11, s2 :: v_dual_cndmask_b32 v33, v33, v10, s2
	;; [unrolled: 5-line block ×3, first 2 shown]
	v_cmp_eq_u32_e64 s2, 8, v28
	v_dual_cndmask_b32 v34, v32, v17, s1 :: v_dual_cndmask_b32 v35, v33, v16, s1
	ds_load_b64 v[32:33], v31
	v_cmp_eq_u32_e64 s1, 9, v28
	v_add_nc_u32_e32 v31, 8, v31
	v_dual_cndmask_b32 v34, v34, v19, s2 :: v_dual_cndmask_b32 v35, v35, v18, s2
	v_cmp_eq_u32_e64 s2, 10, v28
	s_delay_alu instid0(VALU_DEP_2) | instskip(SKIP_2) | instid1(VALU_DEP_3)
	v_dual_cndmask_b32 v34, v34, v21, s1 :: v_dual_cndmask_b32 v35, v35, v20, s1
	v_cmp_eq_u32_e64 s1, 11, v28
	v_add_nc_u64_e32 v[28:29], 1, v[28:29]
	v_dual_cndmask_b32 v34, v34, v23, s2 :: v_dual_cndmask_b32 v36, v35, v22, s2
	s_delay_alu instid0(VALU_DEP_1) | instskip(SKIP_1) | instid1(VALU_DEP_1)
	v_dual_cndmask_b32 v35, v34, v25, s1 :: v_dual_cndmask_b32 v34, v36, v24, s1
	s_wait_dscnt 0x0
	v_fmac_f64_e32 v[26:27], v[34:35], v[32:33]
	s_delay_alu instid0(VALU_DEP_4) | instskip(NEXT) | instid1(VALU_DEP_1)
	v_add_nc_u32_e32 v32, -1, v28
	v_cmp_lt_u32_e64 s1, 1, v32
	s_or_b32 s4, s1, s4
	s_delay_alu instid0(SALU_CYCLE_1)
	s_and_not1_b32 exec_lo, exec_lo, s4
	s_cbranch_execnz .LBB11_25
; %bb.26:
	s_or_b32 exec_lo, exec_lo, s4
	v_mov_b32_e32 v8, 0
	ds_load_b64 v[8:9], v8 offset:24
	s_wait_dscnt 0x0
	v_mul_f64_e32 v[8:9], v[26:27], v[8:9]
.LBB11_27:
	s_or_b32 exec_lo, exec_lo, s3
	v_cmp_gt_u32_e64 s1, 4, v0
	s_barrier_signal -1
	s_barrier_wait -1
	ds_store_b64 v30, v[10:11]
	s_wait_dscnt 0x0
	s_barrier_signal -1
	s_barrier_wait -1
	s_and_saveexec_b32 s4, s1
	s_cbranch_execz .LBB11_31
; %bb.28:
	v_mov_b64_e32 v[26:27], 0
	v_mov_b64_e32 v[28:29], v[0:1]
	v_lshl_add_u32 v31, v0, 3, 0x60
	s_mov_b32 s5, 0
.LBB11_29:                              ; =>This Inner Loop Header: Depth=1
	s_delay_alu instid0(VALU_DEP_2) | instskip(SKIP_1) | instid1(VALU_DEP_2)
	v_cmp_eq_u32_e64 s2, 1, v28
	v_cmp_eq_u32_e64 s3, 2, v28
	v_dual_cndmask_b32 v32, v3, v5, s2 :: v_dual_cndmask_b32 v33, v2, v4, s2
	v_cmp_eq_u32_e64 s2, 3, v28
	s_delay_alu instid0(VALU_DEP_2) | instskip(SKIP_1) | instid1(VALU_DEP_2)
	v_dual_cndmask_b32 v32, v32, v7, s3 :: v_dual_cndmask_b32 v33, v33, v6, s3
	v_cmp_eq_u32_e64 s3, 4, v28
	v_dual_cndmask_b32 v32, v32, v9, s2 :: v_dual_cndmask_b32 v33, v33, v8, s2
	v_cmp_eq_u32_e64 s2, 5, v28
	s_delay_alu instid0(VALU_DEP_2) | instskip(SKIP_1) | instid1(VALU_DEP_2)
	v_dual_cndmask_b32 v32, v32, v11, s3 :: v_dual_cndmask_b32 v33, v33, v10, s3
	;; [unrolled: 5-line block ×3, first 2 shown]
	v_cmp_eq_u32_e64 s3, 8, v28
	v_dual_cndmask_b32 v34, v32, v17, s2 :: v_dual_cndmask_b32 v35, v33, v16, s2
	ds_load_b64 v[32:33], v31
	v_cmp_eq_u32_e64 s2, 9, v28
	v_add_nc_u32_e32 v31, 8, v31
	v_dual_cndmask_b32 v34, v34, v19, s3 :: v_dual_cndmask_b32 v35, v35, v18, s3
	v_cmp_eq_u32_e64 s3, 10, v28
	s_delay_alu instid0(VALU_DEP_2) | instskip(SKIP_2) | instid1(VALU_DEP_3)
	v_dual_cndmask_b32 v34, v34, v21, s2 :: v_dual_cndmask_b32 v35, v35, v20, s2
	v_cmp_eq_u32_e64 s2, 11, v28
	v_add_nc_u64_e32 v[28:29], 1, v[28:29]
	v_dual_cndmask_b32 v34, v34, v23, s3 :: v_dual_cndmask_b32 v36, v35, v22, s3
	s_delay_alu instid0(VALU_DEP_1) | instskip(SKIP_1) | instid1(VALU_DEP_1)
	v_dual_cndmask_b32 v35, v34, v25, s2 :: v_dual_cndmask_b32 v34, v36, v24, s2
	s_wait_dscnt 0x0
	v_fmac_f64_e32 v[26:27], v[34:35], v[32:33]
	s_delay_alu instid0(VALU_DEP_4) | instskip(NEXT) | instid1(VALU_DEP_1)
	v_add_nc_u32_e32 v32, -1, v28
	v_cmp_lt_u32_e64 s2, 2, v32
	s_or_b32 s5, s2, s5
	s_delay_alu instid0(SALU_CYCLE_1)
	s_and_not1_b32 exec_lo, exec_lo, s5
	s_cbranch_execnz .LBB11_29
; %bb.30:
	s_or_b32 exec_lo, exec_lo, s5
	v_mov_b32_e32 v10, 0
	ds_load_b64 v[10:11], v10 offset:32
	s_wait_dscnt 0x0
	v_mul_f64_e32 v[10:11], v[26:27], v[10:11]
.LBB11_31:
	s_or_b32 exec_lo, exec_lo, s4
	s_delay_alu instid0(SALU_CYCLE_1)
	s_mov_b32 s4, exec_lo
	s_barrier_signal -1
	s_barrier_wait -1
	ds_store_b64 v30, v[12:13]
	s_wait_dscnt 0x0
	s_barrier_signal -1
	s_barrier_wait -1
	v_cmpx_gt_u32_e32 5, v0
	s_cbranch_execz .LBB11_35
; %bb.32:
	v_mov_b64_e32 v[26:27], 0
	v_mov_b64_e32 v[28:29], v[0:1]
	v_lshl_add_u32 v31, v0, 3, 0x60
	s_mov_b32 s5, 0
.LBB11_33:                              ; =>This Inner Loop Header: Depth=1
	s_delay_alu instid0(VALU_DEP_2) | instskip(SKIP_1) | instid1(VALU_DEP_2)
	v_cmp_eq_u32_e64 s2, 1, v28
	v_cmp_eq_u32_e64 s3, 2, v28
	v_dual_cndmask_b32 v32, v3, v5, s2 :: v_dual_cndmask_b32 v33, v2, v4, s2
	v_cmp_eq_u32_e64 s2, 3, v28
	s_delay_alu instid0(VALU_DEP_2) | instskip(SKIP_1) | instid1(VALU_DEP_2)
	v_dual_cndmask_b32 v32, v32, v7, s3 :: v_dual_cndmask_b32 v33, v33, v6, s3
	v_cmp_eq_u32_e64 s3, 4, v28
	v_dual_cndmask_b32 v32, v32, v9, s2 :: v_dual_cndmask_b32 v33, v33, v8, s2
	v_cmp_eq_u32_e64 s2, 5, v28
	s_delay_alu instid0(VALU_DEP_2) | instskip(SKIP_1) | instid1(VALU_DEP_2)
	v_dual_cndmask_b32 v32, v32, v11, s3 :: v_dual_cndmask_b32 v33, v33, v10, s3
	;; [unrolled: 5-line block ×3, first 2 shown]
	v_cmp_eq_u32_e64 s3, 8, v28
	v_dual_cndmask_b32 v34, v32, v17, s2 :: v_dual_cndmask_b32 v35, v33, v16, s2
	ds_load_b64 v[32:33], v31
	v_cmp_eq_u32_e64 s2, 9, v28
	v_add_nc_u32_e32 v31, 8, v31
	v_dual_cndmask_b32 v34, v34, v19, s3 :: v_dual_cndmask_b32 v35, v35, v18, s3
	v_cmp_eq_u32_e64 s3, 10, v28
	s_delay_alu instid0(VALU_DEP_2) | instskip(SKIP_2) | instid1(VALU_DEP_3)
	v_dual_cndmask_b32 v34, v34, v21, s2 :: v_dual_cndmask_b32 v35, v35, v20, s2
	v_cmp_eq_u32_e64 s2, 11, v28
	v_add_nc_u64_e32 v[28:29], 1, v[28:29]
	v_dual_cndmask_b32 v34, v34, v23, s3 :: v_dual_cndmask_b32 v36, v35, v22, s3
	s_delay_alu instid0(VALU_DEP_1) | instskip(SKIP_1) | instid1(VALU_DEP_1)
	v_dual_cndmask_b32 v35, v34, v25, s2 :: v_dual_cndmask_b32 v34, v36, v24, s2
	s_wait_dscnt 0x0
	v_fmac_f64_e32 v[26:27], v[34:35], v[32:33]
	s_delay_alu instid0(VALU_DEP_4) | instskip(NEXT) | instid1(VALU_DEP_1)
	v_add_nc_u32_e32 v32, -1, v28
	v_cmp_lt_u32_e64 s2, 3, v32
	s_or_b32 s5, s2, s5
	s_delay_alu instid0(SALU_CYCLE_1)
	s_and_not1_b32 exec_lo, exec_lo, s5
	s_cbranch_execnz .LBB11_33
; %bb.34:
	s_or_b32 exec_lo, exec_lo, s5
	v_mov_b32_e32 v12, 0
	ds_load_b64 v[12:13], v12 offset:40
	s_wait_dscnt 0x0
	v_mul_f64_e32 v[12:13], v[26:27], v[12:13]
.LBB11_35:
	s_or_b32 exec_lo, exec_lo, s4
	v_cmp_gt_u32_e64 s2, 6, v0
	s_barrier_signal -1
	s_barrier_wait -1
	ds_store_b64 v30, v[14:15]
	s_wait_dscnt 0x0
	s_barrier_signal -1
	s_barrier_wait -1
	s_and_saveexec_b32 s5, s2
	s_cbranch_execz .LBB11_39
; %bb.36:
	v_mov_b64_e32 v[26:27], 0
	v_mov_b64_e32 v[28:29], v[0:1]
	v_lshl_add_u32 v31, v0, 3, 0x60
	s_mov_b32 s6, 0
.LBB11_37:                              ; =>This Inner Loop Header: Depth=1
	s_delay_alu instid0(VALU_DEP_2) | instskip(SKIP_1) | instid1(VALU_DEP_2)
	v_cmp_eq_u32_e64 s3, 1, v28
	v_cmp_eq_u32_e64 s4, 2, v28
	v_dual_cndmask_b32 v32, v3, v5, s3 :: v_dual_cndmask_b32 v33, v2, v4, s3
	v_cmp_eq_u32_e64 s3, 3, v28
	s_delay_alu instid0(VALU_DEP_2) | instskip(SKIP_1) | instid1(VALU_DEP_2)
	v_dual_cndmask_b32 v32, v32, v7, s4 :: v_dual_cndmask_b32 v33, v33, v6, s4
	v_cmp_eq_u32_e64 s4, 4, v28
	v_dual_cndmask_b32 v32, v32, v9, s3 :: v_dual_cndmask_b32 v33, v33, v8, s3
	v_cmp_eq_u32_e64 s3, 5, v28
	s_delay_alu instid0(VALU_DEP_2) | instskip(SKIP_1) | instid1(VALU_DEP_2)
	v_dual_cndmask_b32 v32, v32, v11, s4 :: v_dual_cndmask_b32 v33, v33, v10, s4
	;; [unrolled: 5-line block ×3, first 2 shown]
	v_cmp_eq_u32_e64 s4, 8, v28
	v_dual_cndmask_b32 v34, v32, v17, s3 :: v_dual_cndmask_b32 v35, v33, v16, s3
	ds_load_b64 v[32:33], v31
	v_cmp_eq_u32_e64 s3, 9, v28
	v_add_nc_u32_e32 v31, 8, v31
	v_dual_cndmask_b32 v34, v34, v19, s4 :: v_dual_cndmask_b32 v35, v35, v18, s4
	v_cmp_eq_u32_e64 s4, 10, v28
	s_delay_alu instid0(VALU_DEP_2) | instskip(SKIP_2) | instid1(VALU_DEP_3)
	v_dual_cndmask_b32 v34, v34, v21, s3 :: v_dual_cndmask_b32 v35, v35, v20, s3
	v_cmp_eq_u32_e64 s3, 11, v28
	v_add_nc_u64_e32 v[28:29], 1, v[28:29]
	v_dual_cndmask_b32 v34, v34, v23, s4 :: v_dual_cndmask_b32 v36, v35, v22, s4
	s_delay_alu instid0(VALU_DEP_1) | instskip(SKIP_1) | instid1(VALU_DEP_1)
	v_dual_cndmask_b32 v35, v34, v25, s3 :: v_dual_cndmask_b32 v34, v36, v24, s3
	s_wait_dscnt 0x0
	v_fmac_f64_e32 v[26:27], v[34:35], v[32:33]
	s_delay_alu instid0(VALU_DEP_4) | instskip(NEXT) | instid1(VALU_DEP_1)
	v_add_nc_u32_e32 v32, -1, v28
	v_cmp_lt_u32_e64 s3, 4, v32
	s_or_b32 s6, s3, s6
	s_delay_alu instid0(SALU_CYCLE_1)
	s_and_not1_b32 exec_lo, exec_lo, s6
	s_cbranch_execnz .LBB11_37
; %bb.38:
	s_or_b32 exec_lo, exec_lo, s6
	v_mov_b32_e32 v14, 0
	ds_load_b64 v[14:15], v14 offset:48
	s_wait_dscnt 0x0
	v_mul_f64_e32 v[14:15], v[26:27], v[14:15]
.LBB11_39:
	s_or_b32 exec_lo, exec_lo, s5
	s_delay_alu instid0(SALU_CYCLE_1)
	s_mov_b32 s5, exec_lo
	s_barrier_signal -1
	s_barrier_wait -1
	ds_store_b64 v30, v[16:17]
	s_wait_dscnt 0x0
	s_barrier_signal -1
	s_barrier_wait -1
	v_cmpx_gt_u32_e32 7, v0
	s_cbranch_execz .LBB11_43
; %bb.40:
	v_mov_b64_e32 v[26:27], 0
	v_mov_b64_e32 v[28:29], v[0:1]
	v_lshl_add_u32 v31, v0, 3, 0x60
	s_mov_b32 s6, 0
.LBB11_41:                              ; =>This Inner Loop Header: Depth=1
	s_delay_alu instid0(VALU_DEP_2) | instskip(SKIP_1) | instid1(VALU_DEP_2)
	v_cmp_eq_u32_e64 s3, 1, v28
	v_cmp_eq_u32_e64 s4, 2, v28
	v_dual_cndmask_b32 v32, v3, v5, s3 :: v_dual_cndmask_b32 v33, v2, v4, s3
	v_cmp_eq_u32_e64 s3, 3, v28
	s_delay_alu instid0(VALU_DEP_2) | instskip(SKIP_1) | instid1(VALU_DEP_2)
	v_dual_cndmask_b32 v32, v32, v7, s4 :: v_dual_cndmask_b32 v33, v33, v6, s4
	v_cmp_eq_u32_e64 s4, 4, v28
	v_dual_cndmask_b32 v32, v32, v9, s3 :: v_dual_cndmask_b32 v33, v33, v8, s3
	v_cmp_eq_u32_e64 s3, 5, v28
	s_delay_alu instid0(VALU_DEP_2) | instskip(SKIP_1) | instid1(VALU_DEP_2)
	v_dual_cndmask_b32 v32, v32, v11, s4 :: v_dual_cndmask_b32 v33, v33, v10, s4
	;; [unrolled: 5-line block ×3, first 2 shown]
	v_cmp_eq_u32_e64 s4, 8, v28
	v_dual_cndmask_b32 v34, v32, v17, s3 :: v_dual_cndmask_b32 v35, v33, v16, s3
	ds_load_b64 v[32:33], v31
	v_cmp_eq_u32_e64 s3, 9, v28
	v_add_nc_u32_e32 v31, 8, v31
	v_dual_cndmask_b32 v34, v34, v19, s4 :: v_dual_cndmask_b32 v35, v35, v18, s4
	v_cmp_eq_u32_e64 s4, 10, v28
	s_delay_alu instid0(VALU_DEP_2) | instskip(SKIP_2) | instid1(VALU_DEP_3)
	v_dual_cndmask_b32 v34, v34, v21, s3 :: v_dual_cndmask_b32 v35, v35, v20, s3
	v_cmp_eq_u32_e64 s3, 11, v28
	v_add_nc_u64_e32 v[28:29], 1, v[28:29]
	v_dual_cndmask_b32 v34, v34, v23, s4 :: v_dual_cndmask_b32 v36, v35, v22, s4
	s_delay_alu instid0(VALU_DEP_1) | instskip(SKIP_1) | instid1(VALU_DEP_1)
	v_dual_cndmask_b32 v35, v34, v25, s3 :: v_dual_cndmask_b32 v34, v36, v24, s3
	s_wait_dscnt 0x0
	v_fmac_f64_e32 v[26:27], v[34:35], v[32:33]
	s_delay_alu instid0(VALU_DEP_4) | instskip(NEXT) | instid1(VALU_DEP_1)
	v_add_nc_u32_e32 v32, -1, v28
	v_cmp_lt_u32_e64 s3, 5, v32
	s_or_b32 s6, s3, s6
	s_delay_alu instid0(SALU_CYCLE_1)
	s_and_not1_b32 exec_lo, exec_lo, s6
	s_cbranch_execnz .LBB11_41
; %bb.42:
	s_or_b32 exec_lo, exec_lo, s6
	v_mov_b32_e32 v16, 0
	ds_load_b64 v[16:17], v16 offset:56
	s_wait_dscnt 0x0
	v_mul_f64_e32 v[16:17], v[26:27], v[16:17]
.LBB11_43:
	s_or_b32 exec_lo, exec_lo, s5
	s_delay_alu instid0(SALU_CYCLE_1)
	s_mov_b32 s5, exec_lo
	s_barrier_signal -1
	s_barrier_wait -1
	ds_store_b64 v30, v[18:19]
	s_wait_dscnt 0x0
	s_barrier_signal -1
	s_barrier_wait -1
	v_cmpx_gt_u32_e32 8, v0
	s_cbranch_execz .LBB11_59
; %bb.44:
	v_cmp_eq_u32_e64 s3, 1, v0
	v_cmp_eq_u32_e64 s4, 9, v0
	s_mov_b32 s6, exec_lo
	v_dual_cndmask_b32 v26, v3, v5, s3 :: v_dual_cndmask_b32 v27, v2, v4, s3
	v_cmp_eq_u32_e64 s3, 2, v0
	s_delay_alu instid0(VALU_DEP_1) | instskip(SKIP_1) | instid1(VALU_DEP_1)
	v_dual_cndmask_b32 v26, v26, v7, s3 :: v_dual_cndmask_b32 v27, v27, v6, s3
	v_cmp_eq_u32_e64 s3, 3, v0
	v_dual_cndmask_b32 v26, v26, v9, s3 :: v_dual_cndmask_b32 v27, v27, v8, s3
	v_cmp_eq_u32_e64 s3, 4, v0
	s_delay_alu instid0(VALU_DEP_1) | instskip(SKIP_1) | instid1(VALU_DEP_1)
	v_dual_cndmask_b32 v26, v26, v11, s3 :: v_dual_cndmask_b32 v27, v27, v10, s3
	v_cmp_eq_u32_e64 s3, 5, v0
	;; [unrolled: 5-line block ×3, first 2 shown]
	v_dual_cndmask_b32 v26, v26, v17, s3 :: v_dual_cndmask_b32 v27, v27, v16, s3
	v_cmp_eq_u32_e64 s3, 8, v0
	s_delay_alu instid0(VALU_DEP_1) | instskip(SKIP_3) | instid1(VALU_DEP_1)
	v_dual_cndmask_b32 v28, v26, v19, s3 :: v_dual_cndmask_b32 v29, v27, v18, s3
	ds_load_b64 v[26:27], v30
	v_cmp_eq_u32_e64 s3, 10, v0
	v_dual_cndmask_b32 v28, v28, v21, s4 :: v_dual_cndmask_b32 v29, v29, v20, s4
	v_dual_cndmask_b32 v28, v28, v23, s3 :: v_dual_cndmask_b32 v31, v29, v22, s3
	v_cmp_eq_u32_e64 s3, 11, v0
	s_delay_alu instid0(VALU_DEP_1) | instskip(SKIP_1) | instid1(VALU_DEP_1)
	v_dual_cndmask_b32 v29, v28, v25, s3 :: v_dual_cndmask_b32 v28, v31, v24, s3
	s_wait_dscnt 0x0
	v_fma_f64 v[26:27], v[28:29], v[26:27], 0
	v_cmpx_ne_u32_e32 7, v0
	s_cbranch_execz .LBB11_58
; %bb.45:
	v_add_nc_u32_e32 v31, 1, v0
	s_delay_alu instid0(VALU_DEP_1) | instskip(NEXT) | instid1(VALU_DEP_1)
	v_cmp_eq_u32_e64 s3, 1, v31
	v_dual_cndmask_b32 v28, v3, v5, s3 :: v_dual_cndmask_b32 v29, v2, v4, s3
	v_cmp_eq_u32_e64 s3, 2, v31
	v_cmp_eq_u32_e64 s4, 9, v31
	s_delay_alu instid0(VALU_DEP_2) | instskip(SKIP_1) | instid1(VALU_DEP_1)
	v_dual_cndmask_b32 v28, v28, v7, s3 :: v_dual_cndmask_b32 v29, v29, v6, s3
	v_cmp_eq_u32_e64 s3, 3, v31
	v_dual_cndmask_b32 v28, v28, v9, s3 :: v_dual_cndmask_b32 v29, v29, v8, s3
	v_cmp_eq_u32_e64 s3, 4, v31
	s_delay_alu instid0(VALU_DEP_1) | instskip(SKIP_1) | instid1(VALU_DEP_1)
	v_dual_cndmask_b32 v28, v28, v11, s3 :: v_dual_cndmask_b32 v29, v29, v10, s3
	v_cmp_eq_u32_e64 s3, 5, v31
	v_dual_cndmask_b32 v28, v28, v13, s3 :: v_dual_cndmask_b32 v29, v29, v12, s3
	v_cmp_eq_u32_e64 s3, 6, v31
	s_delay_alu instid0(VALU_DEP_1) | instskip(SKIP_1) | instid1(VALU_DEP_1)
	v_dual_cndmask_b32 v28, v28, v15, s3 :: v_dual_cndmask_b32 v29, v29, v14, s3
	v_cmp_eq_u32_e64 s3, 7, v31
	v_dual_cndmask_b32 v28, v28, v17, s3 :: v_dual_cndmask_b32 v29, v29, v16, s3
	v_cmp_eq_u32_e64 s3, 8, v31
	s_delay_alu instid0(VALU_DEP_1) | instskip(SKIP_3) | instid1(VALU_DEP_1)
	v_dual_cndmask_b32 v32, v28, v19, s3 :: v_dual_cndmask_b32 v33, v29, v18, s3
	ds_load_b64 v[28:29], v30 offset:8
	v_cmp_eq_u32_e64 s3, 10, v31
	v_dual_cndmask_b32 v32, v32, v21, s4 :: v_dual_cndmask_b32 v33, v33, v20, s4
	v_dual_cndmask_b32 v32, v32, v23, s3 :: v_dual_cndmask_b32 v34, v33, v22, s3
	v_cmp_eq_u32_e64 s3, 11, v31
	s_delay_alu instid0(VALU_DEP_1) | instskip(SKIP_1) | instid1(VALU_DEP_1)
	v_dual_cndmask_b32 v33, v32, v25, s3 :: v_dual_cndmask_b32 v32, v34, v24, s3
	s_wait_dscnt 0x0
	v_fmac_f64_e32 v[26:27], v[32:33], v[28:29]
	s_and_saveexec_b32 s4, s2
	s_cbranch_execz .LBB11_57
; %bb.46:
	v_add_nc_u32_e32 v31, 2, v0
	s_mov_b32 s7, exec_lo
	s_delay_alu instid0(VALU_DEP_1) | instskip(NEXT) | instid1(VALU_DEP_1)
	v_cmp_eq_u32_e64 s2, 1, v31
	v_dual_cndmask_b32 v28, v3, v5, s2 :: v_dual_cndmask_b32 v29, v2, v4, s2
	v_cmp_eq_u32_e64 s2, 2, v31
	v_cmp_eq_u32_e64 s3, 9, v31
	s_delay_alu instid0(VALU_DEP_2) | instskip(SKIP_1) | instid1(VALU_DEP_1)
	v_dual_cndmask_b32 v28, v28, v7, s2 :: v_dual_cndmask_b32 v29, v29, v6, s2
	v_cmp_eq_u32_e64 s2, 3, v31
	v_dual_cndmask_b32 v28, v28, v9, s2 :: v_dual_cndmask_b32 v29, v29, v8, s2
	v_cmp_eq_u32_e64 s2, 4, v31
	s_delay_alu instid0(VALU_DEP_1) | instskip(SKIP_1) | instid1(VALU_DEP_1)
	v_dual_cndmask_b32 v28, v28, v11, s2 :: v_dual_cndmask_b32 v29, v29, v10, s2
	v_cmp_eq_u32_e64 s2, 5, v31
	v_dual_cndmask_b32 v28, v28, v13, s2 :: v_dual_cndmask_b32 v29, v29, v12, s2
	v_cmp_eq_u32_e64 s2, 6, v31
	s_delay_alu instid0(VALU_DEP_1) | instskip(SKIP_1) | instid1(VALU_DEP_1)
	v_dual_cndmask_b32 v28, v28, v15, s2 :: v_dual_cndmask_b32 v29, v29, v14, s2
	v_cmp_eq_u32_e64 s2, 7, v31
	v_dual_cndmask_b32 v28, v28, v17, s2 :: v_dual_cndmask_b32 v29, v29, v16, s2
	v_cmp_eq_u32_e64 s2, 8, v31
	s_delay_alu instid0(VALU_DEP_1) | instskip(SKIP_3) | instid1(VALU_DEP_1)
	v_dual_cndmask_b32 v32, v28, v19, s2 :: v_dual_cndmask_b32 v33, v29, v18, s2
	ds_load_b64 v[28:29], v30 offset:16
	v_cmp_eq_u32_e64 s2, 10, v31
	v_dual_cndmask_b32 v32, v32, v21, s3 :: v_dual_cndmask_b32 v33, v33, v20, s3
	v_dual_cndmask_b32 v32, v32, v23, s2 :: v_dual_cndmask_b32 v34, v33, v22, s2
	v_cmp_eq_u32_e64 s2, 11, v31
	s_delay_alu instid0(VALU_DEP_1) | instskip(SKIP_1) | instid1(VALU_DEP_1)
	v_dual_cndmask_b32 v33, v32, v25, s2 :: v_dual_cndmask_b32 v32, v34, v24, s2
	s_wait_dscnt 0x0
	v_fmac_f64_e32 v[26:27], v[32:33], v[28:29]
	v_cmpx_ne_u32_e32 5, v0
	s_cbranch_execz .LBB11_56
; %bb.47:
	v_add_nc_u32_e32 v31, 3, v0
	s_delay_alu instid0(VALU_DEP_1) | instskip(NEXT) | instid1(VALU_DEP_1)
	v_cmp_eq_u32_e64 s2, 1, v31
	v_dual_cndmask_b32 v28, v3, v5, s2 :: v_dual_cndmask_b32 v29, v2, v4, s2
	v_cmp_eq_u32_e64 s2, 2, v31
	v_cmp_eq_u32_e64 s3, 9, v31
	s_delay_alu instid0(VALU_DEP_2) | instskip(SKIP_1) | instid1(VALU_DEP_1)
	v_dual_cndmask_b32 v28, v28, v7, s2 :: v_dual_cndmask_b32 v29, v29, v6, s2
	v_cmp_eq_u32_e64 s2, 3, v31
	v_dual_cndmask_b32 v28, v28, v9, s2 :: v_dual_cndmask_b32 v29, v29, v8, s2
	v_cmp_eq_u32_e64 s2, 4, v31
	s_delay_alu instid0(VALU_DEP_1) | instskip(SKIP_1) | instid1(VALU_DEP_1)
	v_dual_cndmask_b32 v28, v28, v11, s2 :: v_dual_cndmask_b32 v29, v29, v10, s2
	v_cmp_eq_u32_e64 s2, 5, v31
	v_dual_cndmask_b32 v28, v28, v13, s2 :: v_dual_cndmask_b32 v29, v29, v12, s2
	v_cmp_eq_u32_e64 s2, 6, v31
	s_delay_alu instid0(VALU_DEP_1) | instskip(SKIP_1) | instid1(VALU_DEP_1)
	v_dual_cndmask_b32 v28, v28, v15, s2 :: v_dual_cndmask_b32 v29, v29, v14, s2
	v_cmp_eq_u32_e64 s2, 7, v31
	v_dual_cndmask_b32 v28, v28, v17, s2 :: v_dual_cndmask_b32 v29, v29, v16, s2
	v_cmp_eq_u32_e64 s2, 8, v31
	s_delay_alu instid0(VALU_DEP_1) | instskip(SKIP_3) | instid1(VALU_DEP_1)
	v_dual_cndmask_b32 v32, v28, v19, s2 :: v_dual_cndmask_b32 v33, v29, v18, s2
	ds_load_b64 v[28:29], v30 offset:24
	v_cmp_eq_u32_e64 s2, 10, v31
	v_dual_cndmask_b32 v32, v32, v21, s3 :: v_dual_cndmask_b32 v33, v33, v20, s3
	v_dual_cndmask_b32 v32, v32, v23, s2 :: v_dual_cndmask_b32 v34, v33, v22, s2
	v_cmp_eq_u32_e64 s2, 11, v31
	s_delay_alu instid0(VALU_DEP_1) | instskip(SKIP_1) | instid1(VALU_DEP_1)
	v_dual_cndmask_b32 v33, v32, v25, s2 :: v_dual_cndmask_b32 v32, v34, v24, s2
	s_wait_dscnt 0x0
	v_fmac_f64_e32 v[26:27], v[32:33], v[28:29]
	s_and_saveexec_b32 s3, s1
	s_cbranch_execz .LBB11_55
; %bb.48:
	v_or_b32_e32 v31, 4, v0
	s_mov_b32 s8, exec_lo
	s_delay_alu instid0(VALU_DEP_1) | instskip(NEXT) | instid1(VALU_DEP_1)
	v_cmp_eq_u32_e64 s1, 1, v31
	v_dual_cndmask_b32 v28, v3, v5, s1 :: v_dual_cndmask_b32 v29, v2, v4, s1
	v_cmp_eq_u32_e64 s1, 2, v31
	v_cmp_eq_u32_e64 s2, 9, v31
	s_delay_alu instid0(VALU_DEP_2) | instskip(SKIP_1) | instid1(VALU_DEP_1)
	v_dual_cndmask_b32 v28, v28, v7, s1 :: v_dual_cndmask_b32 v29, v29, v6, s1
	v_cmp_eq_u32_e64 s1, 3, v31
	v_dual_cndmask_b32 v28, v28, v9, s1 :: v_dual_cndmask_b32 v29, v29, v8, s1
	v_cmp_eq_u32_e64 s1, 4, v31
	s_delay_alu instid0(VALU_DEP_1) | instskip(SKIP_1) | instid1(VALU_DEP_1)
	v_dual_cndmask_b32 v28, v28, v11, s1 :: v_dual_cndmask_b32 v29, v29, v10, s1
	v_cmp_eq_u32_e64 s1, 5, v31
	v_dual_cndmask_b32 v28, v28, v13, s1 :: v_dual_cndmask_b32 v29, v29, v12, s1
	v_cmp_eq_u32_e64 s1, 6, v31
	s_delay_alu instid0(VALU_DEP_1) | instskip(SKIP_1) | instid1(VALU_DEP_1)
	v_dual_cndmask_b32 v28, v28, v15, s1 :: v_dual_cndmask_b32 v29, v29, v14, s1
	v_cmp_eq_u32_e64 s1, 7, v31
	v_dual_cndmask_b32 v28, v28, v17, s1 :: v_dual_cndmask_b32 v29, v29, v16, s1
	v_cmp_eq_u32_e64 s1, 8, v31
	s_delay_alu instid0(VALU_DEP_1) | instskip(SKIP_3) | instid1(VALU_DEP_1)
	v_dual_cndmask_b32 v32, v28, v19, s1 :: v_dual_cndmask_b32 v33, v29, v18, s1
	ds_load_b64 v[28:29], v30 offset:32
	v_cmp_eq_u32_e64 s1, 10, v31
	v_dual_cndmask_b32 v32, v32, v21, s2 :: v_dual_cndmask_b32 v33, v33, v20, s2
	v_dual_cndmask_b32 v32, v32, v23, s1 :: v_dual_cndmask_b32 v34, v33, v22, s1
	v_cmp_eq_u32_e64 s1, 11, v31
	s_delay_alu instid0(VALU_DEP_1) | instskip(SKIP_1) | instid1(VALU_DEP_1)
	v_dual_cndmask_b32 v33, v32, v25, s1 :: v_dual_cndmask_b32 v32, v34, v24, s1
	s_wait_dscnt 0x0
	v_fmac_f64_e32 v[26:27], v[32:33], v[28:29]
	v_cmpx_ne_u32_e32 3, v0
	s_cbranch_execz .LBB11_54
; %bb.49:
	v_add_nc_u32_e32 v31, 5, v0
	s_delay_alu instid0(VALU_DEP_1) | instskip(NEXT) | instid1(VALU_DEP_1)
	v_cmp_eq_u32_e64 s1, 1, v31
	v_dual_cndmask_b32 v28, v3, v5, s1 :: v_dual_cndmask_b32 v29, v2, v4, s1
	v_cmp_eq_u32_e64 s1, 2, v31
	v_cmp_eq_u32_e64 s2, 9, v31
	s_delay_alu instid0(VALU_DEP_2) | instskip(SKIP_1) | instid1(VALU_DEP_1)
	v_dual_cndmask_b32 v28, v28, v7, s1 :: v_dual_cndmask_b32 v29, v29, v6, s1
	v_cmp_eq_u32_e64 s1, 3, v31
	v_dual_cndmask_b32 v28, v28, v9, s1 :: v_dual_cndmask_b32 v29, v29, v8, s1
	v_cmp_eq_u32_e64 s1, 4, v31
	s_delay_alu instid0(VALU_DEP_1) | instskip(SKIP_1) | instid1(VALU_DEP_1)
	v_dual_cndmask_b32 v28, v28, v11, s1 :: v_dual_cndmask_b32 v29, v29, v10, s1
	v_cmp_eq_u32_e64 s1, 5, v31
	v_dual_cndmask_b32 v28, v28, v13, s1 :: v_dual_cndmask_b32 v29, v29, v12, s1
	v_cmp_eq_u32_e64 s1, 6, v31
	s_delay_alu instid0(VALU_DEP_1) | instskip(SKIP_1) | instid1(VALU_DEP_1)
	v_dual_cndmask_b32 v28, v28, v15, s1 :: v_dual_cndmask_b32 v29, v29, v14, s1
	v_cmp_eq_u32_e64 s1, 7, v31
	v_dual_cndmask_b32 v28, v28, v17, s1 :: v_dual_cndmask_b32 v29, v29, v16, s1
	v_cmp_eq_u32_e64 s1, 8, v31
	s_delay_alu instid0(VALU_DEP_1) | instskip(SKIP_3) | instid1(VALU_DEP_1)
	v_dual_cndmask_b32 v32, v28, v19, s1 :: v_dual_cndmask_b32 v33, v29, v18, s1
	ds_load_b64 v[28:29], v30 offset:40
	v_cmp_eq_u32_e64 s1, 10, v31
	v_dual_cndmask_b32 v32, v32, v21, s2 :: v_dual_cndmask_b32 v33, v33, v20, s2
	v_dual_cndmask_b32 v32, v32, v23, s1 :: v_dual_cndmask_b32 v34, v33, v22, s1
	v_cmp_eq_u32_e64 s1, 11, v31
	s_delay_alu instid0(VALU_DEP_1) | instskip(SKIP_1) | instid1(VALU_DEP_1)
	v_dual_cndmask_b32 v33, v32, v25, s1 :: v_dual_cndmask_b32 v32, v34, v24, s1
	s_wait_dscnt 0x0
	v_fmac_f64_e32 v[26:27], v[32:33], v[28:29]
	s_and_saveexec_b32 s2, vcc_lo
	s_cbranch_execz .LBB11_53
; %bb.50:
	v_or_b32_e32 v28, 6, v0
	s_delay_alu instid0(VALU_DEP_1) | instskip(SKIP_3) | instid1(VALU_DEP_3)
	v_cmp_eq_u32_e32 vcc_lo, 1, v28
	v_dual_cndmask_b32 v29, v3, v5, vcc_lo :: v_dual_cndmask_b32 v31, v2, v4, vcc_lo
	v_cmp_eq_u32_e32 vcc_lo, 2, v28
	v_cmp_eq_u32_e64 s1, 9, v28
	v_dual_cndmask_b32 v29, v29, v7, vcc_lo :: v_dual_cndmask_b32 v31, v31, v6, vcc_lo
	v_cmp_eq_u32_e32 vcc_lo, 3, v28
	s_delay_alu instid0(VALU_DEP_2) | instskip(SKIP_1) | instid1(VALU_DEP_2)
	v_dual_cndmask_b32 v29, v29, v9, vcc_lo :: v_dual_cndmask_b32 v31, v31, v8, vcc_lo
	v_cmp_eq_u32_e32 vcc_lo, 4, v28
	v_dual_cndmask_b32 v29, v29, v11, vcc_lo :: v_dual_cndmask_b32 v31, v31, v10, vcc_lo
	v_cmp_eq_u32_e32 vcc_lo, 5, v28
	s_delay_alu instid0(VALU_DEP_2) | instskip(SKIP_1) | instid1(VALU_DEP_2)
	v_dual_cndmask_b32 v29, v29, v13, vcc_lo :: v_dual_cndmask_b32 v31, v31, v12, vcc_lo
	v_cmp_eq_u32_e32 vcc_lo, 6, v28
	;; [unrolled: 5-line block ×3, first 2 shown]
	v_dual_cndmask_b32 v29, v29, v19, vcc_lo :: v_dual_cndmask_b32 v31, v31, v18, vcc_lo
	ds_load_b64 v[18:19], v30 offset:48
	v_cmp_eq_u32_e32 vcc_lo, 10, v28
	v_dual_cndmask_b32 v29, v29, v21, s1 :: v_dual_cndmask_b32 v31, v31, v20, s1
	s_delay_alu instid0(VALU_DEP_1) | instskip(SKIP_1) | instid1(VALU_DEP_2)
	v_dual_cndmask_b32 v29, v29, v23, vcc_lo :: v_dual_cndmask_b32 v31, v31, v22, vcc_lo
	v_cmp_eq_u32_e32 vcc_lo, 11, v28
	v_dual_cndmask_b32 v29, v29, v25 :: v_dual_cndmask_b32 v28, v31, v24
	s_wait_dscnt 0x0
	s_delay_alu instid0(VALU_DEP_1)
	v_fmac_f64_e32 v[26:27], v[28:29], v[18:19]
	s_and_saveexec_b32 s1, s0
	s_cbranch_execz .LBB11_52
; %bb.51:
	ds_load_b64 v[18:19], v30 offset:56
	s_wait_dscnt 0x0
	v_fmac_f64_e32 v[26:27], v[16:17], v[18:19]
.LBB11_52:
	s_or_b32 exec_lo, exec_lo, s1
.LBB11_53:
	s_delay_alu instid0(SALU_CYCLE_1)
	s_or_b32 exec_lo, exec_lo, s2
.LBB11_54:
	s_delay_alu instid0(SALU_CYCLE_1)
	s_or_b32 exec_lo, exec_lo, s8
.LBB11_55:
	s_delay_alu instid0(SALU_CYCLE_1)
	s_or_b32 exec_lo, exec_lo, s3
.LBB11_56:
	s_delay_alu instid0(SALU_CYCLE_1)
	s_or_b32 exec_lo, exec_lo, s7
.LBB11_57:
	s_delay_alu instid0(SALU_CYCLE_1)
	s_or_b32 exec_lo, exec_lo, s4
.LBB11_58:
	s_delay_alu instid0(SALU_CYCLE_1)
	s_or_b32 exec_lo, exec_lo, s6
	v_mov_b32_e32 v18, 0
	ds_load_b64 v[18:19], v18 offset:64
	s_wait_dscnt 0x0
	v_mul_f64_e32 v[18:19], v[26:27], v[18:19]
.LBB11_59:
	s_or_b32 exec_lo, exec_lo, s5
	s_delay_alu instid0(SALU_CYCLE_1)
	s_mov_b32 s1, exec_lo
	s_barrier_signal -1
	s_barrier_wait -1
	ds_store_b64 v30, v[20:21]
	s_wait_dscnt 0x0
	s_barrier_signal -1
	s_barrier_wait -1
	v_cmpx_gt_u32_e32 9, v0
	s_cbranch_execz .LBB11_63
; %bb.60:
	v_mov_b64_e32 v[26:27], 0
	v_mov_b64_e32 v[28:29], v[0:1]
	v_lshl_add_u32 v31, v0, 3, 0x60
	s_mov_b32 s2, 0
.LBB11_61:                              ; =>This Inner Loop Header: Depth=1
	s_delay_alu instid0(VALU_DEP_2) | instskip(SKIP_3) | instid1(VALU_DEP_2)
	v_cmp_eq_u32_e32 vcc_lo, 1, v28
	v_cmp_eq_u32_e64 s0, 2, v28
	v_dual_cndmask_b32 v32, v3, v5 :: v_dual_cndmask_b32 v33, v2, v4
	v_cmp_eq_u32_e32 vcc_lo, 3, v28
	v_dual_cndmask_b32 v32, v32, v7, s0 :: v_dual_cndmask_b32 v33, v33, v6, s0
	v_cmp_eq_u32_e64 s0, 4, v28
	s_delay_alu instid0(VALU_DEP_2) | instskip(SKIP_1) | instid1(VALU_DEP_2)
	v_dual_cndmask_b32 v32, v32, v9 :: v_dual_cndmask_b32 v33, v33, v8
	v_cmp_eq_u32_e32 vcc_lo, 5, v28
	v_dual_cndmask_b32 v32, v32, v11, s0 :: v_dual_cndmask_b32 v33, v33, v10, s0
	v_cmp_eq_u32_e64 s0, 6, v28
	s_delay_alu instid0(VALU_DEP_2) | instskip(SKIP_1) | instid1(VALU_DEP_2)
	v_dual_cndmask_b32 v32, v32, v13 :: v_dual_cndmask_b32 v33, v33, v12
	v_cmp_eq_u32_e32 vcc_lo, 7, v28
	v_dual_cndmask_b32 v32, v32, v15, s0 :: v_dual_cndmask_b32 v33, v33, v14, s0
	v_cmp_eq_u32_e64 s0, 8, v28
	s_delay_alu instid0(VALU_DEP_2)
	v_dual_cndmask_b32 v34, v32, v17 :: v_dual_cndmask_b32 v35, v33, v16
	ds_load_b64 v[32:33], v31
	v_cmp_eq_u32_e32 vcc_lo, 9, v28
	v_add_nc_u32_e32 v31, 8, v31
	v_dual_cndmask_b32 v34, v34, v19, s0 :: v_dual_cndmask_b32 v35, v35, v18, s0
	v_cmp_eq_u32_e64 s0, 10, v28
	s_delay_alu instid0(VALU_DEP_2) | instskip(SKIP_2) | instid1(VALU_DEP_3)
	v_dual_cndmask_b32 v34, v34, v21 :: v_dual_cndmask_b32 v35, v35, v20
	v_cmp_eq_u32_e32 vcc_lo, 11, v28
	v_add_nc_u64_e32 v[28:29], 1, v[28:29]
	v_dual_cndmask_b32 v34, v34, v23, s0 :: v_dual_cndmask_b32 v36, v35, v22, s0
	s_delay_alu instid0(VALU_DEP_1) | instskip(SKIP_1) | instid1(VALU_DEP_1)
	v_dual_cndmask_b32 v35, v34, v25 :: v_dual_cndmask_b32 v34, v36, v24
	s_wait_dscnt 0x0
	v_fmac_f64_e32 v[26:27], v[34:35], v[32:33]
	s_delay_alu instid0(VALU_DEP_4) | instskip(NEXT) | instid1(VALU_DEP_1)
	v_add_nc_u32_e32 v32, -1, v28
	v_cmp_lt_u32_e32 vcc_lo, 7, v32
	s_or_b32 s2, vcc_lo, s2
	s_delay_alu instid0(SALU_CYCLE_1)
	s_and_not1_b32 exec_lo, exec_lo, s2
	s_cbranch_execnz .LBB11_61
; %bb.62:
	s_or_b32 exec_lo, exec_lo, s2
	v_mov_b32_e32 v20, 0
	ds_load_b64 v[20:21], v20 offset:72
	s_wait_dscnt 0x0
	v_mul_f64_e32 v[20:21], v[26:27], v[20:21]
.LBB11_63:
	s_or_b32 exec_lo, exec_lo, s1
	s_delay_alu instid0(SALU_CYCLE_1)
	s_mov_b32 s1, exec_lo
	s_barrier_signal -1
	s_barrier_wait -1
	ds_store_b64 v30, v[22:23]
	s_wait_dscnt 0x0
	s_barrier_signal -1
	s_barrier_wait -1
	v_cmpx_gt_u32_e32 10, v0
	s_cbranch_execz .LBB11_67
; %bb.64:
	v_mov_b64_e32 v[26:27], 0
	v_mov_b64_e32 v[28:29], v[0:1]
	v_lshl_add_u32 v31, v0, 3, 0x60
	s_mov_b32 s2, 0
.LBB11_65:                              ; =>This Inner Loop Header: Depth=1
	s_delay_alu instid0(VALU_DEP_2) | instskip(SKIP_3) | instid1(VALU_DEP_2)
	v_cmp_eq_u32_e32 vcc_lo, 1, v28
	v_cmp_eq_u32_e64 s0, 2, v28
	v_dual_cndmask_b32 v32, v3, v5 :: v_dual_cndmask_b32 v33, v2, v4
	v_cmp_eq_u32_e32 vcc_lo, 3, v28
	v_dual_cndmask_b32 v32, v32, v7, s0 :: v_dual_cndmask_b32 v33, v33, v6, s0
	v_cmp_eq_u32_e64 s0, 4, v28
	s_delay_alu instid0(VALU_DEP_2) | instskip(SKIP_1) | instid1(VALU_DEP_2)
	v_dual_cndmask_b32 v32, v32, v9 :: v_dual_cndmask_b32 v33, v33, v8
	v_cmp_eq_u32_e32 vcc_lo, 5, v28
	v_dual_cndmask_b32 v32, v32, v11, s0 :: v_dual_cndmask_b32 v33, v33, v10, s0
	v_cmp_eq_u32_e64 s0, 6, v28
	s_delay_alu instid0(VALU_DEP_2) | instskip(SKIP_1) | instid1(VALU_DEP_2)
	v_dual_cndmask_b32 v32, v32, v13 :: v_dual_cndmask_b32 v33, v33, v12
	v_cmp_eq_u32_e32 vcc_lo, 7, v28
	v_dual_cndmask_b32 v32, v32, v15, s0 :: v_dual_cndmask_b32 v33, v33, v14, s0
	v_cmp_eq_u32_e64 s0, 8, v28
	s_delay_alu instid0(VALU_DEP_2)
	v_dual_cndmask_b32 v34, v32, v17 :: v_dual_cndmask_b32 v35, v33, v16
	ds_load_b64 v[32:33], v31
	v_cmp_eq_u32_e32 vcc_lo, 9, v28
	v_add_nc_u32_e32 v31, 8, v31
	v_dual_cndmask_b32 v34, v34, v19, s0 :: v_dual_cndmask_b32 v35, v35, v18, s0
	v_cmp_eq_u32_e64 s0, 10, v28
	s_delay_alu instid0(VALU_DEP_2) | instskip(SKIP_2) | instid1(VALU_DEP_3)
	v_dual_cndmask_b32 v34, v34, v21 :: v_dual_cndmask_b32 v35, v35, v20
	v_cmp_eq_u32_e32 vcc_lo, 11, v28
	v_add_nc_u64_e32 v[28:29], 1, v[28:29]
	v_dual_cndmask_b32 v34, v34, v23, s0 :: v_dual_cndmask_b32 v36, v35, v22, s0
	s_delay_alu instid0(VALU_DEP_1) | instskip(SKIP_1) | instid1(VALU_DEP_1)
	v_dual_cndmask_b32 v35, v34, v25 :: v_dual_cndmask_b32 v34, v36, v24
	s_wait_dscnt 0x0
	v_fmac_f64_e32 v[26:27], v[34:35], v[32:33]
	s_delay_alu instid0(VALU_DEP_4) | instskip(NEXT) | instid1(VALU_DEP_1)
	v_add_nc_u32_e32 v32, -1, v28
	v_cmp_lt_u32_e32 vcc_lo, 8, v32
	s_or_b32 s2, vcc_lo, s2
	s_delay_alu instid0(SALU_CYCLE_1)
	s_and_not1_b32 exec_lo, exec_lo, s2
	s_cbranch_execnz .LBB11_65
; %bb.66:
	s_or_b32 exec_lo, exec_lo, s2
	v_mov_b32_e32 v22, 0
	ds_load_b64 v[22:23], v22 offset:80
	s_wait_dscnt 0x0
	v_mul_f64_e32 v[22:23], v[26:27], v[22:23]
.LBB11_67:
	s_or_b32 exec_lo, exec_lo, s1
	s_delay_alu instid0(SALU_CYCLE_1)
	s_mov_b32 s1, exec_lo
	s_barrier_signal -1
	s_barrier_wait -1
	ds_store_b64 v30, v[24:25]
	s_wait_dscnt 0x0
	s_barrier_signal -1
	s_barrier_wait -1
	v_cmpx_ne_u32_e32 11, v0
	s_cbranch_execz .LBB11_71
; %bb.68:
	v_mov_b64_e32 v[26:27], 0
	v_mov_b64_e32 v[28:29], v[0:1]
	v_lshl_add_u32 v30, v0, 3, 0x60
	s_mov_b32 s2, 0
.LBB11_69:                              ; =>This Inner Loop Header: Depth=1
	s_delay_alu instid0(VALU_DEP_2)
	v_cmp_eq_u32_e32 vcc_lo, 1, v28
	v_cmp_eq_u32_e64 s0, 2, v28
	ds_load_b64 v[32:33], v30
	v_dual_cndmask_b32 v1, v3, v5 :: v_dual_add_nc_u32 v30, 8, v30
	v_cndmask_b32_e32 v31, v2, v4, vcc_lo
	v_cmp_eq_u32_e32 vcc_lo, 3, v28
	s_delay_alu instid0(VALU_DEP_2) | instskip(SKIP_1) | instid1(VALU_DEP_2)
	v_dual_cndmask_b32 v1, v1, v7, s0 :: v_dual_cndmask_b32 v31, v31, v6, s0
	v_cmp_eq_u32_e64 s0, 4, v28
	v_dual_cndmask_b32 v1, v1, v9, vcc_lo :: v_dual_cndmask_b32 v31, v31, v8, vcc_lo
	v_cmp_eq_u32_e32 vcc_lo, 5, v28
	s_delay_alu instid0(VALU_DEP_2) | instskip(SKIP_1) | instid1(VALU_DEP_2)
	v_dual_cndmask_b32 v1, v1, v11, s0 :: v_dual_cndmask_b32 v31, v31, v10, s0
	v_cmp_eq_u32_e64 s0, 6, v28
	v_dual_cndmask_b32 v1, v1, v13, vcc_lo :: v_dual_cndmask_b32 v31, v31, v12, vcc_lo
	;; [unrolled: 5-line block ×4, first 2 shown]
	v_cmp_eq_u32_e32 vcc_lo, 11, v28
	v_add_nc_u64_e32 v[28:29], 1, v[28:29]
	s_delay_alu instid0(VALU_DEP_3) | instskip(NEXT) | instid1(VALU_DEP_1)
	v_dual_cndmask_b32 v1, v1, v23, s0 :: v_dual_cndmask_b32 v31, v31, v22, s0
	v_dual_cndmask_b32 v35, v1, v25 :: v_dual_cndmask_b32 v34, v31, v24
	s_delay_alu instid0(VALU_DEP_3) | instskip(SKIP_1) | instid1(VALU_DEP_2)
	v_add_nc_u32_e32 v1, -1, v28
	s_wait_dscnt 0x0
	v_fmac_f64_e32 v[26:27], v[34:35], v[32:33]
	s_delay_alu instid0(VALU_DEP_2) | instskip(SKIP_1) | instid1(SALU_CYCLE_1)
	v_cmp_lt_u32_e32 vcc_lo, 9, v1
	s_or_b32 s2, vcc_lo, s2
	s_and_not1_b32 exec_lo, exec_lo, s2
	s_cbranch_execnz .LBB11_69
; %bb.70:
	s_or_b32 exec_lo, exec_lo, s2
	v_mov_b32_e32 v1, 0
	ds_load_b64 v[24:25], v1 offset:88
	s_wait_dscnt 0x0
	v_mul_f64_e32 v[24:25], v[26:27], v[24:25]
.LBB11_71:
	s_or_b32 exec_lo, exec_lo, s1
	s_barrier_signal -1
	s_barrier_wait -1
	s_cbranch_execnz .LBB11_15
	s_branch .LBB11_16
.LBB11_72:
	s_wait_xcnt 0x0
	v_lshl_add_u32 v1, v0, 3, 0x60
	s_mov_b32 s0, exec_lo
	v_cmpx_eq_u32_e32 11, v0
	s_cbranch_execz .LBB11_74
; %bb.73:
	v_dual_mov_b32 v46, 0 :: v_dual_mov_b32 v44, v20
	v_dual_mov_b32 v26, v2 :: v_dual_mov_b32 v27, v3
	;; [unrolled: 1-line block ×12, first 2 shown]
	ds_store_b64 v1, v[22:23]
	v_mov_b64_e32 v[2:3], v[26:27]
	v_mov_b64_e32 v[4:5], v[28:29]
	;; [unrolled: 1-line block ×16, first 2 shown]
.LBB11_74:
	s_or_b32 exec_lo, exec_lo, s0
	v_mov_b32_e32 v44, 0
	s_wait_storecnt_dscnt 0x0
	s_barrier_signal -1
	s_barrier_wait -1
	ds_load_b64 v[26:27], v44 offset:184
	s_mov_b32 s0, exec_lo
	s_wait_dscnt 0x0
	v_fma_f64 v[26:27], v[24:25], v[26:27], 0
	s_delay_alu instid0(VALU_DEP_1)
	v_add_f64_e64 v[22:23], v[22:23], -v[26:27]
	v_cmpx_lt_u32_e32 9, v0
	s_cbranch_execz .LBB11_76
; %bb.75:
	v_dual_mov_b32 v26, v2 :: v_dual_mov_b32 v27, v3
	v_dual_mov_b32 v34, v10 :: v_dual_mov_b32 v35, v11
	;; [unrolled: 1-line block ×11, first 2 shown]
	v_mov_b32_e32 v33, v9
	ds_store_b64 v1, v[20:21]
	v_mov_b64_e32 v[2:3], v[26:27]
	v_mov_b64_e32 v[4:5], v[28:29]
	;; [unrolled: 1-line block ×16, first 2 shown]
.LBB11_76:
	s_or_b32 exec_lo, exec_lo, s0
	s_wait_dscnt 0x0
	s_barrier_signal -1
	s_barrier_wait -1
	ds_load_b128 v[26:29], v44 offset:176
	s_mov_b32 s0, exec_lo
	s_wait_dscnt 0x0
	v_fma_f64 v[26:27], v[22:23], v[26:27], 0
	s_delay_alu instid0(VALU_DEP_1) | instskip(NEXT) | instid1(VALU_DEP_1)
	v_fmac_f64_e32 v[26:27], v[24:25], v[28:29]
	v_add_f64_e64 v[20:21], v[20:21], -v[26:27]
	v_cmpx_lt_u32_e32 8, v0
	s_cbranch_execz .LBB11_78
; %bb.77:
	v_dual_mov_b32 v42, 0 :: v_dual_mov_b32 v26, v2
	v_dual_mov_b32 v27, v3 :: v_dual_mov_b32 v28, v4
	;; [unrolled: 1-line block ×12, first 2 shown]
	ds_store_b64 v1, v[18:19]
	v_mov_b64_e32 v[2:3], v[26:27]
	v_mov_b64_e32 v[4:5], v[28:29]
	;; [unrolled: 1-line block ×16, first 2 shown]
.LBB11_78:
	s_or_b32 exec_lo, exec_lo, s0
	v_mov_b32_e32 v40, 0
	s_wait_dscnt 0x0
	s_barrier_signal -1
	s_barrier_wait -1
	ds_load_2addr_b64 v[26:29], v40 offset0:21 offset1:22
	ds_load_b64 v[30:31], v40 offset:184
	s_mov_b32 s0, exec_lo
	s_wait_dscnt 0x1
	v_fma_f64 v[26:27], v[20:21], v[26:27], 0
	s_delay_alu instid0(VALU_DEP_1) | instskip(SKIP_1) | instid1(VALU_DEP_1)
	v_fmac_f64_e32 v[26:27], v[22:23], v[28:29]
	s_wait_dscnt 0x0
	v_fmac_f64_e32 v[26:27], v[24:25], v[30:31]
	s_delay_alu instid0(VALU_DEP_1)
	v_add_f64_e64 v[18:19], v[18:19], -v[26:27]
	v_cmpx_lt_u32_e32 7, v0
	s_cbranch_execz .LBB11_80
; %bb.79:
	v_dual_mov_b32 v26, v2 :: v_dual_mov_b32 v27, v3
	v_dual_mov_b32 v34, v10 :: v_dual_mov_b32 v35, v11
	;; [unrolled: 1-line block ×11, first 2 shown]
	v_mov_b32_e32 v33, v9
	ds_store_b64 v1, v[16:17]
	v_mov_b64_e32 v[2:3], v[26:27]
	v_mov_b64_e32 v[4:5], v[28:29]
	;; [unrolled: 1-line block ×16, first 2 shown]
.LBB11_80:
	s_or_b32 exec_lo, exec_lo, s0
	s_wait_dscnt 0x0
	s_barrier_signal -1
	s_barrier_wait -1
	ds_load_b128 v[26:29], v40 offset:160
	ds_load_b128 v[30:33], v40 offset:176
	s_mov_b32 s0, exec_lo
	s_wait_dscnt 0x1
	v_fma_f64 v[26:27], v[18:19], v[26:27], 0
	s_delay_alu instid0(VALU_DEP_1) | instskip(SKIP_1) | instid1(VALU_DEP_1)
	v_fmac_f64_e32 v[26:27], v[20:21], v[28:29]
	s_wait_dscnt 0x0
	v_fmac_f64_e32 v[26:27], v[22:23], v[30:31]
	s_delay_alu instid0(VALU_DEP_1) | instskip(NEXT) | instid1(VALU_DEP_1)
	v_fmac_f64_e32 v[26:27], v[24:25], v[32:33]
	v_add_f64_e64 v[16:17], v[16:17], -v[26:27]
	v_cmpx_lt_u32_e32 6, v0
	s_cbranch_execz .LBB11_82
; %bb.81:
	v_dual_mov_b32 v38, 0 :: v_dual_mov_b32 v26, v2
	v_dual_mov_b32 v27, v3 :: v_dual_mov_b32 v28, v4
	;; [unrolled: 1-line block ×4, first 2 shown]
	s_delay_alu instid0(VALU_DEP_4)
	v_dual_mov_b32 v37, v13 :: v_dual_mov_b32 v39, v38
	v_dual_mov_b32 v40, v16 :: v_dual_mov_b32 v41, v17
	;; [unrolled: 1-line block ×8, first 2 shown]
	ds_store_b64 v1, v[14:15]
	v_mov_b64_e32 v[2:3], v[26:27]
	v_mov_b64_e32 v[4:5], v[28:29]
	;; [unrolled: 1-line block ×16, first 2 shown]
.LBB11_82:
	s_or_b32 exec_lo, exec_lo, s0
	v_mov_b32_e32 v36, 0
	s_wait_dscnt 0x0
	s_barrier_signal -1
	s_barrier_wait -1
	ds_load_2addr_b64 v[26:29], v36 offset0:19 offset1:20
	ds_load_2addr_b64 v[30:33], v36 offset0:21 offset1:22
	s_mov_b32 s0, exec_lo
	s_wait_dscnt 0x1
	v_fma_f64 v[26:27], v[16:17], v[26:27], 0
	s_delay_alu instid0(VALU_DEP_1) | instskip(SKIP_3) | instid1(VALU_DEP_1)
	v_fmac_f64_e32 v[26:27], v[18:19], v[28:29]
	ds_load_b64 v[28:29], v36 offset:184
	s_wait_dscnt 0x1
	v_fmac_f64_e32 v[26:27], v[20:21], v[30:31]
	v_fmac_f64_e32 v[26:27], v[22:23], v[32:33]
	s_wait_dscnt 0x0
	s_delay_alu instid0(VALU_DEP_1) | instskip(NEXT) | instid1(VALU_DEP_1)
	v_fmac_f64_e32 v[26:27], v[24:25], v[28:29]
	v_add_f64_e64 v[14:15], v[14:15], -v[26:27]
	v_cmpx_lt_u32_e32 5, v0
	s_cbranch_execz .LBB11_84
; %bb.83:
	v_dual_mov_b32 v26, v2 :: v_dual_mov_b32 v27, v3
	v_dual_mov_b32 v34, v10 :: v_dual_mov_b32 v35, v11
	s_delay_alu instid0(VALU_DEP_4)
	v_dual_mov_b32 v37, v36 :: v_dual_mov_b32 v38, v14
	v_dual_mov_b32 v39, v15 :: v_dual_mov_b32 v40, v16
	;; [unrolled: 1-line block ×9, first 2 shown]
	v_mov_b32_e32 v33, v9
	ds_store_b64 v1, v[12:13]
	v_mov_b64_e32 v[2:3], v[26:27]
	v_mov_b64_e32 v[4:5], v[28:29]
	;; [unrolled: 1-line block ×16, first 2 shown]
.LBB11_84:
	s_or_b32 exec_lo, exec_lo, s0
	s_wait_dscnt 0x0
	s_barrier_signal -1
	s_barrier_wait -1
	ds_load_b128 v[26:29], v36 offset:144
	ds_load_b128 v[30:33], v36 offset:160
	s_mov_b32 s0, exec_lo
	s_wait_dscnt 0x1
	v_fma_f64 v[34:35], v[14:15], v[26:27], 0
	s_delay_alu instid0(VALU_DEP_1) | instskip(SKIP_3) | instid1(VALU_DEP_1)
	v_fmac_f64_e32 v[34:35], v[16:17], v[28:29]
	ds_load_b128 v[26:29], v36 offset:176
	s_wait_dscnt 0x1
	v_fmac_f64_e32 v[34:35], v[18:19], v[30:31]
	v_fmac_f64_e32 v[34:35], v[20:21], v[32:33]
	s_wait_dscnt 0x0
	s_delay_alu instid0(VALU_DEP_1) | instskip(NEXT) | instid1(VALU_DEP_1)
	v_fmac_f64_e32 v[34:35], v[22:23], v[26:27]
	v_fmac_f64_e32 v[34:35], v[24:25], v[28:29]
	s_delay_alu instid0(VALU_DEP_1)
	v_add_f64_e64 v[12:13], v[12:13], -v[34:35]
	v_cmpx_lt_u32_e32 4, v0
	s_cbranch_execz .LBB11_86
; %bb.85:
	v_dual_mov_b32 v34, 0 :: v_dual_mov_b32 v26, v2
	v_dual_mov_b32 v27, v3 :: v_dual_mov_b32 v28, v4
	s_delay_alu instid0(VALU_DEP_2)
	v_dual_mov_b32 v33, v9 :: v_dual_mov_b32 v35, v34
	v_dual_mov_b32 v36, v12 :: v_dual_mov_b32 v37, v13
	;; [unrolled: 1-line block ×10, first 2 shown]
	ds_store_b64 v1, v[10:11]
	v_mov_b64_e32 v[2:3], v[26:27]
	v_mov_b64_e32 v[4:5], v[28:29]
	;; [unrolled: 1-line block ×16, first 2 shown]
.LBB11_86:
	s_or_b32 exec_lo, exec_lo, s0
	v_mov_b32_e32 v34, 0
	s_wait_dscnt 0x0
	s_barrier_signal -1
	s_barrier_wait -1
	ds_load_2addr_b64 v[26:29], v34 offset0:17 offset1:18
	ds_load_2addr_b64 v[30:33], v34 offset0:19 offset1:20
	s_mov_b32 s0, exec_lo
	s_wait_dscnt 0x1
	v_fma_f64 v[36:37], v[12:13], v[26:27], 0
	s_delay_alu instid0(VALU_DEP_1) | instskip(SKIP_1) | instid1(VALU_DEP_1)
	v_fmac_f64_e32 v[36:37], v[14:15], v[28:29]
	s_wait_dscnt 0x0
	v_fmac_f64_e32 v[36:37], v[16:17], v[30:31]
	ds_load_2addr_b64 v[26:29], v34 offset0:21 offset1:22
	ds_load_b64 v[30:31], v34 offset:184
	v_fmac_f64_e32 v[36:37], v[18:19], v[32:33]
	s_wait_dscnt 0x1
	s_delay_alu instid0(VALU_DEP_1) | instskip(NEXT) | instid1(VALU_DEP_1)
	v_fmac_f64_e32 v[36:37], v[20:21], v[26:27]
	v_fmac_f64_e32 v[36:37], v[22:23], v[28:29]
	s_wait_dscnt 0x0
	s_delay_alu instid0(VALU_DEP_1) | instskip(NEXT) | instid1(VALU_DEP_1)
	v_fmac_f64_e32 v[36:37], v[24:25], v[30:31]
	v_add_f64_e64 v[10:11], v[10:11], -v[36:37]
	v_cmpx_lt_u32_e32 3, v0
	s_cbranch_execz .LBB11_88
; %bb.87:
	v_dual_mov_b32 v28, v2 :: v_dual_mov_b32 v29, v3
	s_delay_alu instid0(VALU_DEP_3) | instskip(NEXT) | instid1(VALU_DEP_4)
	v_dual_mov_b32 v35, v34 :: v_dual_mov_b32 v36, v10
	v_dual_mov_b32 v37, v11 :: v_dual_mov_b32 v38, v12
	v_dual_mov_b32 v39, v13 :: v_dual_mov_b32 v40, v14
	v_dual_mov_b32 v41, v15 :: v_dual_mov_b32 v42, v16
	v_dual_mov_b32 v43, v17 :: v_dual_mov_b32 v44, v18
	v_dual_mov_b32 v45, v19 :: v_dual_mov_b32 v46, v20
	v_dual_mov_b32 v47, v21 :: v_dual_mov_b32 v48, v22
	v_dual_mov_b32 v49, v23 :: v_dual_mov_b32 v50, v24
	v_dual_mov_b32 v51, v25 :: v_dual_mov_b32 v30, v4
	v_dual_mov_b32 v31, v5 :: v_dual_mov_b32 v32, v6
	v_mov_b32_e32 v33, v7
	ds_store_b64 v1, v[8:9]
	v_mov_b64_e32 v[2:3], v[28:29]
	v_mov_b64_e32 v[4:5], v[30:31]
	v_mov_b64_e32 v[6:7], v[32:33]
	v_mov_b64_e32 v[8:9], v[34:35]
	v_mov_b64_e32 v[10:11], v[36:37]
	v_mov_b64_e32 v[12:13], v[38:39]
	v_mov_b64_e32 v[14:15], v[40:41]
	v_mov_b64_e32 v[16:17], v[42:43]
	v_mov_b64_e32 v[18:19], v[44:45]
	v_mov_b64_e32 v[20:21], v[46:47]
	v_mov_b64_e32 v[22:23], v[48:49]
	v_mov_b64_e32 v[24:25], v[50:51]
	v_mov_b64_e32 v[26:27], v[52:53]
	v_mov_b64_e32 v[28:29], v[54:55]
	v_mov_b64_e32 v[30:31], v[56:57]
	v_mov_b64_e32 v[32:33], v[58:59]
.LBB11_88:
	s_or_b32 exec_lo, exec_lo, s0
	s_wait_dscnt 0x0
	s_barrier_signal -1
	s_barrier_wait -1
	ds_load_b128 v[26:29], v34 offset:128
	ds_load_b128 v[30:33], v34 offset:144
	s_mov_b32 s0, exec_lo
	s_wait_dscnt 0x1
	v_fma_f64 v[36:37], v[10:11], v[26:27], 0
	s_delay_alu instid0(VALU_DEP_1) | instskip(SKIP_1) | instid1(VALU_DEP_1)
	v_fmac_f64_e32 v[36:37], v[12:13], v[28:29]
	s_wait_dscnt 0x0
	v_fmac_f64_e32 v[36:37], v[14:15], v[30:31]
	s_delay_alu instid0(VALU_DEP_1) | instskip(SKIP_4) | instid1(VALU_DEP_1)
	v_fmac_f64_e32 v[36:37], v[16:17], v[32:33]
	ds_load_b128 v[26:29], v34 offset:160
	ds_load_b128 v[30:33], v34 offset:176
	s_wait_dscnt 0x1
	v_fmac_f64_e32 v[36:37], v[18:19], v[26:27]
	v_fmac_f64_e32 v[36:37], v[20:21], v[28:29]
	s_wait_dscnt 0x0
	s_delay_alu instid0(VALU_DEP_1) | instskip(NEXT) | instid1(VALU_DEP_1)
	v_fmac_f64_e32 v[36:37], v[22:23], v[30:31]
	v_fmac_f64_e32 v[36:37], v[24:25], v[32:33]
	s_delay_alu instid0(VALU_DEP_1)
	v_add_f64_e64 v[8:9], v[8:9], -v[36:37]
	v_cmpx_lt_u32_e32 2, v0
	s_cbranch_execz .LBB11_90
; %bb.89:
	v_dual_mov_b32 v30, 0 :: v_dual_mov_b32 v26, v2
	v_dual_mov_b32 v27, v3 :: v_dual_mov_b32 v28, v4
	;; [unrolled: 1-line block ×12, first 2 shown]
	ds_store_b64 v1, v[6:7]
	v_mov_b64_e32 v[2:3], v[26:27]
	v_mov_b64_e32 v[4:5], v[28:29]
	;; [unrolled: 1-line block ×16, first 2 shown]
.LBB11_90:
	s_or_b32 exec_lo, exec_lo, s0
	v_mov_b32_e32 v34, 0
	s_wait_dscnt 0x0
	s_barrier_signal -1
	s_barrier_wait -1
	ds_load_2addr_b64 v[26:29], v34 offset0:15 offset1:16
	ds_load_2addr_b64 v[30:33], v34 offset0:17 offset1:18
	s_mov_b32 s0, exec_lo
	s_wait_dscnt 0x1
	v_fma_f64 v[36:37], v[8:9], v[26:27], 0
	s_delay_alu instid0(VALU_DEP_1) | instskip(SKIP_1) | instid1(VALU_DEP_1)
	v_fmac_f64_e32 v[36:37], v[10:11], v[28:29]
	s_wait_dscnt 0x0
	v_fmac_f64_e32 v[36:37], v[12:13], v[30:31]
	s_delay_alu instid0(VALU_DEP_1)
	v_fmac_f64_e32 v[36:37], v[14:15], v[32:33]
	ds_load_2addr_b64 v[26:29], v34 offset0:19 offset1:20
	ds_load_2addr_b64 v[30:33], v34 offset0:21 offset1:22
	s_wait_dscnt 0x1
	v_fmac_f64_e32 v[36:37], v[16:17], v[26:27]
	ds_load_b64 v[26:27], v34 offset:184
	v_fmac_f64_e32 v[36:37], v[18:19], v[28:29]
	s_wait_dscnt 0x1
	s_delay_alu instid0(VALU_DEP_1) | instskip(NEXT) | instid1(VALU_DEP_1)
	v_fmac_f64_e32 v[36:37], v[20:21], v[30:31]
	v_fmac_f64_e32 v[36:37], v[22:23], v[32:33]
	s_wait_dscnt 0x0
	s_delay_alu instid0(VALU_DEP_1) | instskip(NEXT) | instid1(VALU_DEP_1)
	v_fmac_f64_e32 v[36:37], v[24:25], v[26:27]
	v_add_f64_e64 v[6:7], v[6:7], -v[36:37]
	v_cmpx_lt_u32_e32 1, v0
	s_cbranch_execz .LBB11_92
; %bb.91:
	v_dual_mov_b32 v32, v2 :: v_dual_mov_b32 v33, v3
	s_delay_alu instid0(VALU_DEP_3) | instskip(NEXT) | instid1(VALU_DEP_4)
	v_dual_mov_b32 v35, v34 :: v_dual_mov_b32 v36, v6
	v_dual_mov_b32 v37, v7 :: v_dual_mov_b32 v38, v8
	;; [unrolled: 1-line block ×10, first 2 shown]
	v_mov_b32_e32 v55, v25
	ds_store_b64 v1, v[4:5]
	v_mov_b64_e32 v[2:3], v[32:33]
	v_mov_b64_e32 v[4:5], v[34:35]
	;; [unrolled: 1-line block ×16, first 2 shown]
.LBB11_92:
	s_or_b32 exec_lo, exec_lo, s0
	s_wait_dscnt 0x0
	s_barrier_signal -1
	s_barrier_wait -1
	ds_load_b128 v[26:29], v34 offset:112
	ds_load_b128 v[30:33], v34 offset:128
	v_dual_ashrrev_i32 v57, 31, v56 :: v_dual_ashrrev_i32 v71, 31, v70
	v_dual_ashrrev_i32 v61, 31, v60 :: v_dual_ashrrev_i32 v75, 31, v74
	;; [unrolled: 1-line block ×3, first 2 shown]
	v_ashrrev_i32_e32 v69, 31, v68
	v_ashrrev_i32_e32 v73, 31, v72
	;; [unrolled: 1-line block ×3, first 2 shown]
	s_mov_b32 s0, exec_lo
	v_ashrrev_i32_e32 v59, 31, v58
	s_wait_dscnt 0x1
	v_fma_f64 v[36:37], v[6:7], v[26:27], 0
	s_delay_alu instid0(VALU_DEP_1) | instskip(SKIP_1) | instid1(VALU_DEP_1)
	v_fmac_f64_e32 v[36:37], v[8:9], v[28:29]
	s_wait_dscnt 0x0
	v_fmac_f64_e32 v[36:37], v[10:11], v[30:31]
	s_delay_alu instid0(VALU_DEP_1) | instskip(SKIP_4) | instid1(VALU_DEP_1)
	v_fmac_f64_e32 v[36:37], v[12:13], v[32:33]
	ds_load_b128 v[26:29], v34 offset:144
	ds_load_b128 v[30:33], v34 offset:160
	s_wait_dscnt 0x1
	v_fmac_f64_e32 v[36:37], v[14:15], v[26:27]
	v_fmac_f64_e32 v[36:37], v[16:17], v[28:29]
	ds_load_b128 v[26:29], v34 offset:176
	s_wait_dscnt 0x1
	v_fmac_f64_e32 v[36:37], v[18:19], v[30:31]
	s_delay_alu instid0(VALU_DEP_1) | instskip(SKIP_1) | instid1(VALU_DEP_1)
	v_fmac_f64_e32 v[36:37], v[20:21], v[32:33]
	s_wait_dscnt 0x0
	v_fmac_f64_e32 v[36:37], v[22:23], v[26:27]
	s_delay_alu instid0(VALU_DEP_1) | instskip(NEXT) | instid1(VALU_DEP_1)
	v_fmac_f64_e32 v[36:37], v[24:25], v[28:29]
	v_add_f64_e64 v[4:5], v[4:5], -v[36:37]
	v_cmpx_ne_u32_e32 0, v0
	s_cbranch_execz .LBB11_94
; %bb.93:
	s_delay_alu instid0(VALU_DEP_2) | instskip(SKIP_2) | instid1(VALU_DEP_3)
	v_dual_mov_b32 v26, 0 :: v_dual_mov_b32 v28, v4
	v_dual_mov_b32 v34, v10 :: v_dual_mov_b32 v35, v11
	;; [unrolled: 1-line block ×12, first 2 shown]
	ds_store_b64 v1, v[2:3]
	v_mov_b64_e32 v[2:3], v[26:27]
	v_mov_b64_e32 v[4:5], v[28:29]
	;; [unrolled: 1-line block ×16, first 2 shown]
.LBB11_94:
	s_or_b32 exec_lo, exec_lo, s0
	v_mov_b32_e32 v0, 0
	s_wait_dscnt 0x0
	s_barrier_signal -1
	s_barrier_wait -1
	ds_load_2addr_b64 v[26:29], v0 offset0:13 offset1:14
	ds_load_2addr_b64 v[30:33], v0 offset0:15 offset1:16
	s_and_b32 vcc_lo, exec_lo, s20
	s_wait_dscnt 0x1
	v_fma_f64 v[34:35], v[4:5], v[26:27], 0
	s_delay_alu instid0(VALU_DEP_1) | instskip(SKIP_1) | instid1(VALU_DEP_1)
	v_fmac_f64_e32 v[34:35], v[6:7], v[28:29]
	s_wait_dscnt 0x0
	v_fmac_f64_e32 v[34:35], v[8:9], v[30:31]
	s_delay_alu instid0(VALU_DEP_1) | instskip(SKIP_4) | instid1(VALU_DEP_1)
	v_fmac_f64_e32 v[34:35], v[10:11], v[32:33]
	ds_load_2addr_b64 v[26:29], v0 offset0:17 offset1:18
	ds_load_2addr_b64 v[30:33], v0 offset0:19 offset1:20
	s_wait_dscnt 0x1
	v_fmac_f64_e32 v[34:35], v[12:13], v[26:27]
	v_fmac_f64_e32 v[34:35], v[14:15], v[28:29]
	s_wait_dscnt 0x0
	s_delay_alu instid0(VALU_DEP_1) | instskip(SKIP_4) | instid1(VALU_DEP_1)
	v_fmac_f64_e32 v[34:35], v[16:17], v[30:31]
	ds_load_2addr_b64 v[26:29], v0 offset0:21 offset1:22
	ds_load_b64 v[30:31], v0 offset:184
	v_fmac_f64_e32 v[34:35], v[18:19], v[32:33]
	s_wait_dscnt 0x1
	v_fmac_f64_e32 v[34:35], v[20:21], v[26:27]
	s_delay_alu instid0(VALU_DEP_1) | instskip(SKIP_1) | instid1(VALU_DEP_1)
	v_fmac_f64_e32 v[34:35], v[22:23], v[28:29]
	s_wait_dscnt 0x0
	v_fmac_f64_e32 v[34:35], v[24:25], v[30:31]
	s_delay_alu instid0(VALU_DEP_1)
	v_add_f64_e64 v[2:3], v[2:3], -v[34:35]
	s_cbranch_vccz .LBB11_117
; %bb.95:
	global_load_b32 v0, v0, s[16:17] offset:40
	s_wait_loadcnt 0x0
	v_readfirstlane_b32 s0, v0
	s_add_co_i32 s0, s0, -1
	s_delay_alu instid0(SALU_CYCLE_1)
	s_cmp_lg_u32 s0, 10
	s_cbranch_scc0 .LBB11_97
; %bb.96:
	s_lshl_b32 m0, s0, 1
	v_movrels_b32_e32 v0, v2
	v_movrels_b32_e32 v1, v3
	v_mov_b64_e32 v[54:55], v[32:33]
	v_mov_b64_e32 v[52:53], v[30:31]
	;; [unrolled: 1-line block ×16, first 2 shown]
	v_dual_mov_b32 v44, v0 :: v_dual_mov_b32 v45, v1
	s_delay_alu instid0(VALU_DEP_2) | instskip(NEXT) | instid1(VALU_DEP_3)
	v_movreld_b32_e32 v24, v22
	v_movreld_b32_e32 v25, v23
	v_mov_b64_e32 v[2:3], v[24:25]
	v_mov_b64_e32 v[4:5], v[26:27]
	v_mov_b64_e32 v[6:7], v[28:29]
	v_mov_b64_e32 v[8:9], v[30:31]
	v_mov_b64_e32 v[10:11], v[32:33]
	v_mov_b64_e32 v[12:13], v[34:35]
	v_mov_b64_e32 v[14:15], v[36:37]
	v_mov_b64_e32 v[16:17], v[38:39]
	v_mov_b64_e32 v[18:19], v[40:41]
	v_mov_b64_e32 v[20:21], v[42:43]
	v_mov_b64_e32 v[22:23], v[44:45]
	v_mov_b64_e32 v[24:25], v[46:47]
	v_mov_b64_e32 v[26:27], v[48:49]
	v_mov_b64_e32 v[28:29], v[50:51]
	v_mov_b64_e32 v[30:31], v[52:53]
	v_mov_b64_e32 v[32:33], v[54:55]
.LBB11_97:
	v_mov_b32_e32 v0, 0
	global_load_b32 v1, v0, s[16:17] offset:36
	s_wait_loadcnt 0x0
	v_readfirstlane_b32 s0, v1
	s_add_co_i32 s0, s0, -1
	s_delay_alu instid0(SALU_CYCLE_1)
	s_cmp_eq_u32 s0, 9
	s_cbranch_scc1 .LBB11_99
; %bb.98:
	s_lshl_b32 m0, s0, 1
	v_movrels_b32_e32 v1, v2
	v_movrels_b32_e32 v54, v3
	v_mov_b64_e32 v[52:53], v[32:33]
	v_mov_b64_e32 v[50:51], v[30:31]
	;; [unrolled: 1-line block ×16, first 2 shown]
	v_dual_mov_b32 v40, v1 :: v_dual_mov_b32 v41, v54
	s_delay_alu instid0(VALU_DEP_2) | instskip(NEXT) | instid1(VALU_DEP_3)
	v_movreld_b32_e32 v22, v20
	v_movreld_b32_e32 v23, v21
	v_mov_b64_e32 v[2:3], v[22:23]
	v_mov_b64_e32 v[4:5], v[24:25]
	;; [unrolled: 1-line block ×16, first 2 shown]
.LBB11_99:
	global_load_b32 v0, v0, s[16:17] offset:32
	s_wait_loadcnt 0x0
	v_readfirstlane_b32 s0, v0
	s_add_co_i32 s0, s0, -1
	s_delay_alu instid0(SALU_CYCLE_1)
	s_cmp_eq_u32 s0, 8
	s_cbranch_scc1 .LBB11_101
; %bb.100:
	s_lshl_b32 m0, s0, 1
	v_movrels_b32_e32 v0, v2
	v_movrels_b32_e32 v1, v3
	v_mov_b64_e32 v[50:51], v[32:33]
	v_mov_b64_e32 v[48:49], v[30:31]
	;; [unrolled: 1-line block ×16, first 2 shown]
	v_dual_mov_b32 v36, v0 :: v_dual_mov_b32 v37, v1
	s_delay_alu instid0(VALU_DEP_2) | instskip(NEXT) | instid1(VALU_DEP_3)
	v_movreld_b32_e32 v20, v18
	v_movreld_b32_e32 v21, v19
	v_mov_b64_e32 v[2:3], v[20:21]
	v_mov_b64_e32 v[4:5], v[22:23]
	;; [unrolled: 1-line block ×16, first 2 shown]
.LBB11_101:
	v_mov_b32_e32 v0, 0
	global_load_b32 v1, v0, s[16:17] offset:28
	s_wait_loadcnt 0x0
	v_readfirstlane_b32 s0, v1
	s_add_co_i32 s0, s0, -1
	s_delay_alu instid0(SALU_CYCLE_1)
	s_cmp_eq_u32 s0, 7
	s_cbranch_scc1 .LBB11_103
; %bb.102:
	s_lshl_b32 m0, s0, 1
	v_movrels_b32_e32 v1, v2
	v_movrels_b32_e32 v50, v3
	v_mov_b64_e32 v[48:49], v[32:33]
	v_mov_b64_e32 v[46:47], v[30:31]
	;; [unrolled: 1-line block ×16, first 2 shown]
	v_dual_mov_b32 v32, v1 :: v_dual_mov_b32 v33, v50
	s_delay_alu instid0(VALU_DEP_2) | instskip(NEXT) | instid1(VALU_DEP_3)
	v_movreld_b32_e32 v18, v16
	v_movreld_b32_e32 v19, v17
	v_mov_b64_e32 v[2:3], v[18:19]
	v_mov_b64_e32 v[4:5], v[20:21]
	;; [unrolled: 1-line block ×16, first 2 shown]
.LBB11_103:
	global_load_b32 v0, v0, s[16:17] offset:24
	s_wait_loadcnt 0x0
	v_readfirstlane_b32 s0, v0
	s_add_co_i32 s0, s0, -1
	s_delay_alu instid0(SALU_CYCLE_1)
	s_cmp_eq_u32 s0, 6
	s_cbranch_scc1 .LBB11_105
; %bb.104:
	s_lshl_b32 m0, s0, 1
	v_movrels_b32_e32 v0, v2
	v_movrels_b32_e32 v1, v3
	v_mov_b64_e32 v[46:47], v[32:33]
	v_mov_b64_e32 v[44:45], v[30:31]
	;; [unrolled: 1-line block ×16, first 2 shown]
	v_dual_mov_b32 v28, v0 :: v_dual_mov_b32 v29, v1
	s_delay_alu instid0(VALU_DEP_2) | instskip(NEXT) | instid1(VALU_DEP_3)
	v_movreld_b32_e32 v16, v14
	v_movreld_b32_e32 v17, v15
	v_mov_b64_e32 v[2:3], v[16:17]
	v_mov_b64_e32 v[4:5], v[18:19]
	;; [unrolled: 1-line block ×16, first 2 shown]
.LBB11_105:
	v_mov_b32_e32 v0, 0
	global_load_b32 v1, v0, s[16:17] offset:20
	s_wait_loadcnt 0x0
	v_readfirstlane_b32 s0, v1
	s_add_co_i32 s0, s0, -1
	s_delay_alu instid0(SALU_CYCLE_1)
	s_cmp_eq_u32 s0, 5
	s_cbranch_scc1 .LBB11_107
; %bb.106:
	s_lshl_b32 m0, s0, 1
	v_movrels_b32_e32 v1, v2
	v_movrels_b32_e32 v46, v3
	v_mov_b64_e32 v[44:45], v[32:33]
	v_mov_b64_e32 v[42:43], v[30:31]
	;; [unrolled: 1-line block ×16, first 2 shown]
	v_dual_mov_b32 v24, v1 :: v_dual_mov_b32 v25, v46
	s_delay_alu instid0(VALU_DEP_2) | instskip(NEXT) | instid1(VALU_DEP_3)
	v_movreld_b32_e32 v14, v12
	v_movreld_b32_e32 v15, v13
	v_mov_b64_e32 v[2:3], v[14:15]
	v_mov_b64_e32 v[4:5], v[16:17]
	;; [unrolled: 1-line block ×16, first 2 shown]
.LBB11_107:
	global_load_b32 v0, v0, s[16:17] offset:16
	s_wait_loadcnt 0x0
	v_readfirstlane_b32 s0, v0
	s_add_co_i32 s0, s0, -1
	s_delay_alu instid0(SALU_CYCLE_1)
	s_cmp_eq_u32 s0, 4
	s_cbranch_scc1 .LBB11_109
; %bb.108:
	s_lshl_b32 m0, s0, 1
	v_movrels_b32_e32 v0, v2
	v_movrels_b32_e32 v1, v3
	v_mov_b64_e32 v[42:43], v[32:33]
	v_mov_b64_e32 v[40:41], v[30:31]
	v_mov_b64_e32 v[38:39], v[28:29]
	v_mov_b64_e32 v[36:37], v[26:27]
	v_mov_b64_e32 v[34:35], v[24:25]
	v_mov_b64_e32 v[32:33], v[22:23]
	v_mov_b64_e32 v[30:31], v[20:21]
	v_mov_b64_e32 v[28:29], v[18:19]
	v_mov_b64_e32 v[26:27], v[16:17]
	v_mov_b64_e32 v[24:25], v[14:15]
	v_mov_b64_e32 v[22:23], v[12:13]
	v_mov_b64_e32 v[20:21], v[10:11]
	v_mov_b64_e32 v[18:19], v[8:9]
	v_mov_b64_e32 v[16:17], v[6:7]
	v_mov_b64_e32 v[14:15], v[4:5]
	v_mov_b64_e32 v[12:13], v[2:3]
	v_dual_mov_b32 v20, v0 :: v_dual_mov_b32 v21, v1
	s_delay_alu instid0(VALU_DEP_2) | instskip(NEXT) | instid1(VALU_DEP_3)
	v_movreld_b32_e32 v12, v10
	v_movreld_b32_e32 v13, v11
	v_mov_b64_e32 v[2:3], v[12:13]
	v_mov_b64_e32 v[4:5], v[14:15]
	;; [unrolled: 1-line block ×16, first 2 shown]
.LBB11_109:
	v_mov_b32_e32 v0, 0
	global_load_b32 v1, v0, s[16:17] offset:12
	s_wait_loadcnt 0x0
	v_readfirstlane_b32 s0, v1
	s_add_co_i32 s0, s0, -1
	s_delay_alu instid0(SALU_CYCLE_1)
	s_cmp_eq_u32 s0, 3
	s_cbranch_scc1 .LBB11_111
; %bb.110:
	s_lshl_b32 m0, s0, 1
	v_movrels_b32_e32 v1, v2
	v_movrels_b32_e32 v42, v3
	v_mov_b64_e32 v[40:41], v[32:33]
	v_mov_b64_e32 v[38:39], v[30:31]
	;; [unrolled: 1-line block ×16, first 2 shown]
	v_dual_mov_b32 v16, v1 :: v_dual_mov_b32 v17, v42
	s_delay_alu instid0(VALU_DEP_2) | instskip(NEXT) | instid1(VALU_DEP_3)
	v_movreld_b32_e32 v10, v8
	v_movreld_b32_e32 v11, v9
	v_mov_b64_e32 v[2:3], v[10:11]
	v_mov_b64_e32 v[4:5], v[12:13]
	;; [unrolled: 1-line block ×16, first 2 shown]
.LBB11_111:
	global_load_b32 v0, v0, s[16:17] offset:8
	s_wait_loadcnt 0x0
	v_readfirstlane_b32 s0, v0
	s_add_co_i32 s0, s0, -1
	s_delay_alu instid0(SALU_CYCLE_1)
	s_cmp_eq_u32 s0, 2
	s_cbranch_scc1 .LBB11_113
; %bb.112:
	s_lshl_b32 m0, s0, 1
	v_movrels_b32_e32 v0, v2
	v_movrels_b32_e32 v1, v3
	v_mov_b64_e32 v[38:39], v[32:33]
	v_mov_b64_e32 v[36:37], v[30:31]
	;; [unrolled: 1-line block ×16, first 2 shown]
	v_dual_mov_b32 v12, v0 :: v_dual_mov_b32 v13, v1
	s_delay_alu instid0(VALU_DEP_2) | instskip(NEXT) | instid1(VALU_DEP_3)
	v_movreld_b32_e32 v8, v6
	v_movreld_b32_e32 v9, v7
	v_mov_b64_e32 v[2:3], v[8:9]
	v_mov_b64_e32 v[4:5], v[10:11]
	;; [unrolled: 1-line block ×16, first 2 shown]
.LBB11_113:
	v_mov_b32_e32 v0, 0
	global_load_b32 v1, v0, s[16:17] offset:4
	s_wait_loadcnt 0x0
	v_readfirstlane_b32 s0, v1
	s_add_co_i32 s0, s0, -1
	s_delay_alu instid0(SALU_CYCLE_1)
	s_cmp_eq_u32 s0, 1
	s_cbranch_scc1 .LBB11_115
; %bb.114:
	s_lshl_b32 m0, s0, 1
	v_movrels_b32_e32 v1, v2
	v_movrels_b32_e32 v38, v3
	v_mov_b64_e32 v[36:37], v[32:33]
	v_mov_b64_e32 v[34:35], v[30:31]
	;; [unrolled: 1-line block ×16, first 2 shown]
	v_dual_mov_b32 v8, v1 :: v_dual_mov_b32 v9, v38
	s_delay_alu instid0(VALU_DEP_2) | instskip(NEXT) | instid1(VALU_DEP_3)
	v_movreld_b32_e32 v6, v4
	v_movreld_b32_e32 v7, v5
	v_mov_b64_e32 v[2:3], v[6:7]
	s_delay_alu instid0(VALU_DEP_4)
	v_mov_b64_e32 v[4:5], v[8:9]
	v_mov_b64_e32 v[6:7], v[10:11]
	v_mov_b64_e32 v[8:9], v[12:13]
	v_mov_b64_e32 v[10:11], v[14:15]
	v_mov_b64_e32 v[12:13], v[16:17]
	v_mov_b64_e32 v[14:15], v[18:19]
	v_mov_b64_e32 v[16:17], v[20:21]
	v_mov_b64_e32 v[18:19], v[22:23]
	v_mov_b64_e32 v[20:21], v[24:25]
	v_mov_b64_e32 v[22:23], v[26:27]
	v_mov_b64_e32 v[24:25], v[28:29]
	v_mov_b64_e32 v[26:27], v[30:31]
	v_mov_b64_e32 v[28:29], v[32:33]
	v_mov_b64_e32 v[30:31], v[34:35]
	v_mov_b64_e32 v[32:33], v[36:37]
.LBB11_115:
	global_load_b32 v0, v0, s[16:17]
	s_wait_loadcnt 0x0
	v_readfirstlane_b32 s0, v0
	s_add_co_i32 s0, s0, -1
	s_delay_alu instid0(SALU_CYCLE_1)
	s_cmp_eq_u32 s0, 0
	s_cbranch_scc1 .LBB11_117
; %bb.116:
	s_lshl_b32 m0, s0, 1
	v_movrels_b32_e32 v0, v2
	v_movrels_b32_e32 v1, v3
	v_mov_b64_e32 v[34:35], v[32:33]
	v_mov_b64_e32 v[32:33], v[30:31]
	;; [unrolled: 1-line block ×16, first 2 shown]
	v_dual_mov_b32 v4, v0 :: v_dual_mov_b32 v5, v1
	s_delay_alu instid0(VALU_DEP_1) | instskip(NEXT) | instid1(VALU_DEP_2)
	v_movreld_b32_e32 v4, v2
	v_movreld_b32_e32 v5, v3
	v_mov_b64_e32 v[2:3], v[4:5]
	v_mov_b64_e32 v[4:5], v[6:7]
	;; [unrolled: 1-line block ×16, first 2 shown]
.LBB11_117:
	v_lshl_add_u64 v[34:35], v[56:57], 3, s[12:13]
	s_clause 0x1
	global_store_b64 v[62:63], v[2:3], off
	global_store_b64 v[66:67], v[4:5], off
	s_wait_xcnt 0x1
	v_dual_mov_b32 v2, v6 :: v_dual_mov_b32 v3, v7
	v_lshl_add_u64 v[36:37], v[58:59], 3, s[12:13]
	s_wait_xcnt 0x0
	v_dual_mov_b32 v4, v8 :: v_dual_mov_b32 v5, v9
	v_lshl_add_u64 v[38:39], v[60:61], 3, s[12:13]
	v_dual_mov_b32 v6, v10 :: v_dual_mov_b32 v7, v11
	v_lshl_add_u64 v[40:41], v[64:65], 3, s[12:13]
	;; [unrolled: 2-line block ×4, first 2 shown]
	s_clause 0x4
	global_store_b64 v[34:35], v[2:3], off
	global_store_b64 v[36:37], v[4:5], off
	;; [unrolled: 1-line block ×5, first 2 shown]
	s_wait_xcnt 0x4
	v_dual_mov_b32 v2, v16 :: v_dual_mov_b32 v3, v17
	v_lshl_add_u64 v[26:27], v[72:73], 3, s[12:13]
	s_wait_xcnt 0x3
	v_dual_mov_b32 v4, v18 :: v_dual_mov_b32 v5, v19
	v_lshl_add_u64 v[28:29], v[74:75], 3, s[12:13]
	;; [unrolled: 3-line block ×4, first 2 shown]
	s_wait_xcnt 0x0
	v_dual_mov_b32 v10, v24 :: v_dual_mov_b32 v11, v25
	s_clause 0x4
	global_store_b64 v[0:1], v[2:3], off
	global_store_b64 v[26:27], v[4:5], off
	;; [unrolled: 1-line block ×5, first 2 shown]
	s_sendmsg sendmsg(MSG_DEALLOC_VGPRS)
	s_endpgm
	.section	.rodata,"a",@progbits
	.p2align	6, 0x0
	.amdhsa_kernel _ZN9rocsolver6v33100L18getri_kernel_smallILi12EdPdEEvT1_iilPiilS4_bb
		.amdhsa_group_segment_fixed_size 200
		.amdhsa_private_segment_fixed_size 0
		.amdhsa_kernarg_size 60
		.amdhsa_user_sgpr_count 2
		.amdhsa_user_sgpr_dispatch_ptr 0
		.amdhsa_user_sgpr_queue_ptr 0
		.amdhsa_user_sgpr_kernarg_segment_ptr 1
		.amdhsa_user_sgpr_dispatch_id 0
		.amdhsa_user_sgpr_kernarg_preload_length 0
		.amdhsa_user_sgpr_kernarg_preload_offset 0
		.amdhsa_user_sgpr_private_segment_size 0
		.amdhsa_wavefront_size32 1
		.amdhsa_uses_dynamic_stack 0
		.amdhsa_enable_private_segment 0
		.amdhsa_system_sgpr_workgroup_id_x 1
		.amdhsa_system_sgpr_workgroup_id_y 0
		.amdhsa_system_sgpr_workgroup_id_z 0
		.amdhsa_system_sgpr_workgroup_info 0
		.amdhsa_system_vgpr_workitem_id 0
		.amdhsa_next_free_vgpr 80
		.amdhsa_next_free_sgpr 21
		.amdhsa_named_barrier_count 0
		.amdhsa_reserve_vcc 1
		.amdhsa_float_round_mode_32 0
		.amdhsa_float_round_mode_16_64 0
		.amdhsa_float_denorm_mode_32 3
		.amdhsa_float_denorm_mode_16_64 3
		.amdhsa_fp16_overflow 0
		.amdhsa_memory_ordered 1
		.amdhsa_forward_progress 1
		.amdhsa_inst_pref_size 99
		.amdhsa_round_robin_scheduling 0
		.amdhsa_exception_fp_ieee_invalid_op 0
		.amdhsa_exception_fp_denorm_src 0
		.amdhsa_exception_fp_ieee_div_zero 0
		.amdhsa_exception_fp_ieee_overflow 0
		.amdhsa_exception_fp_ieee_underflow 0
		.amdhsa_exception_fp_ieee_inexact 0
		.amdhsa_exception_int_div_zero 0
	.end_amdhsa_kernel
	.section	.text._ZN9rocsolver6v33100L18getri_kernel_smallILi12EdPdEEvT1_iilPiilS4_bb,"axG",@progbits,_ZN9rocsolver6v33100L18getri_kernel_smallILi12EdPdEEvT1_iilPiilS4_bb,comdat
.Lfunc_end11:
	.size	_ZN9rocsolver6v33100L18getri_kernel_smallILi12EdPdEEvT1_iilPiilS4_bb, .Lfunc_end11-_ZN9rocsolver6v33100L18getri_kernel_smallILi12EdPdEEvT1_iilPiilS4_bb
                                        ; -- End function
	.set _ZN9rocsolver6v33100L18getri_kernel_smallILi12EdPdEEvT1_iilPiilS4_bb.num_vgpr, 80
	.set _ZN9rocsolver6v33100L18getri_kernel_smallILi12EdPdEEvT1_iilPiilS4_bb.num_agpr, 0
	.set _ZN9rocsolver6v33100L18getri_kernel_smallILi12EdPdEEvT1_iilPiilS4_bb.numbered_sgpr, 21
	.set _ZN9rocsolver6v33100L18getri_kernel_smallILi12EdPdEEvT1_iilPiilS4_bb.num_named_barrier, 0
	.set _ZN9rocsolver6v33100L18getri_kernel_smallILi12EdPdEEvT1_iilPiilS4_bb.private_seg_size, 0
	.set _ZN9rocsolver6v33100L18getri_kernel_smallILi12EdPdEEvT1_iilPiilS4_bb.uses_vcc, 1
	.set _ZN9rocsolver6v33100L18getri_kernel_smallILi12EdPdEEvT1_iilPiilS4_bb.uses_flat_scratch, 0
	.set _ZN9rocsolver6v33100L18getri_kernel_smallILi12EdPdEEvT1_iilPiilS4_bb.has_dyn_sized_stack, 0
	.set _ZN9rocsolver6v33100L18getri_kernel_smallILi12EdPdEEvT1_iilPiilS4_bb.has_recursion, 0
	.set _ZN9rocsolver6v33100L18getri_kernel_smallILi12EdPdEEvT1_iilPiilS4_bb.has_indirect_call, 0
	.section	.AMDGPU.csdata,"",@progbits
; Kernel info:
; codeLenInByte = 12572
; TotalNumSgprs: 23
; NumVgprs: 80
; ScratchSize: 0
; MemoryBound: 0
; FloatMode: 240
; IeeeMode: 1
; LDSByteSize: 200 bytes/workgroup (compile time only)
; SGPRBlocks: 0
; VGPRBlocks: 4
; NumSGPRsForWavesPerEU: 23
; NumVGPRsForWavesPerEU: 80
; NamedBarCnt: 0
; Occupancy: 12
; WaveLimiterHint : 0
; COMPUTE_PGM_RSRC2:SCRATCH_EN: 0
; COMPUTE_PGM_RSRC2:USER_SGPR: 2
; COMPUTE_PGM_RSRC2:TRAP_HANDLER: 0
; COMPUTE_PGM_RSRC2:TGID_X_EN: 1
; COMPUTE_PGM_RSRC2:TGID_Y_EN: 0
; COMPUTE_PGM_RSRC2:TGID_Z_EN: 0
; COMPUTE_PGM_RSRC2:TIDIG_COMP_CNT: 0
	.section	.text._ZN9rocsolver6v33100L18getri_kernel_smallILi13EdPdEEvT1_iilPiilS4_bb,"axG",@progbits,_ZN9rocsolver6v33100L18getri_kernel_smallILi13EdPdEEvT1_iilPiilS4_bb,comdat
	.globl	_ZN9rocsolver6v33100L18getri_kernel_smallILi13EdPdEEvT1_iilPiilS4_bb ; -- Begin function _ZN9rocsolver6v33100L18getri_kernel_smallILi13EdPdEEvT1_iilPiilS4_bb
	.p2align	8
	.type	_ZN9rocsolver6v33100L18getri_kernel_smallILi13EdPdEEvT1_iilPiilS4_bb,@function
_ZN9rocsolver6v33100L18getri_kernel_smallILi13EdPdEEvT1_iilPiilS4_bb: ; @_ZN9rocsolver6v33100L18getri_kernel_smallILi13EdPdEEvT1_iilPiilS4_bb
; %bb.0:
	s_mov_b32 s2, exec_lo
	v_cmpx_gt_u32_e32 13, v0
	s_cbranch_execz .LBB12_16
; %bb.1:
	s_clause 0x2
	s_load_b32 s2, s[0:1], 0x38
	s_load_b128 s[8:11], s[0:1], 0x10
	s_load_b128 s[12:15], s[0:1], 0x28
	s_getreg_b32 s5, hwreg(HW_REG_IB_STS2, 6, 4)
                                        ; implicit-def: $sgpr16_sgpr17
	s_wait_kmcnt 0x0
	s_bitcmp1_b32 s2, 8
	s_cselect_b32 s22, -1, 0
	s_bfe_u32 s3, ttmp6, 0x4000c
	s_and_b32 s4, ttmp6, 15
	s_add_co_i32 s3, s3, 1
	s_delay_alu instid0(SALU_CYCLE_1) | instskip(NEXT) | instid1(SALU_CYCLE_1)
	s_mul_i32 s3, ttmp9, s3
	s_add_co_i32 s4, s4, s3
	s_cmp_eq_u32 s5, 0
	s_cselect_b32 s20, ttmp9, s4
	s_bfe_u32 s2, s2, 0x10008
	s_ashr_i32 s21, s20, 31
	s_cmp_eq_u32 s2, 0
	s_cbranch_scc1 .LBB12_3
; %bb.2:
	s_load_b32 s2, s[0:1], 0x20
	s_mul_u64 s[4:5], s[12:13], s[20:21]
	s_delay_alu instid0(SALU_CYCLE_1) | instskip(NEXT) | instid1(SALU_CYCLE_1)
	s_lshl_b64 s[4:5], s[4:5], 2
	s_add_nc_u64 s[4:5], s[10:11], s[4:5]
	s_wait_kmcnt 0x0
	s_ashr_i32 s3, s2, 31
	s_delay_alu instid0(SALU_CYCLE_1) | instskip(NEXT) | instid1(SALU_CYCLE_1)
	s_lshl_b64 s[2:3], s[2:3], 2
	s_add_nc_u64 s[16:17], s[4:5], s[2:3]
.LBB12_3:
	s_clause 0x1
	s_load_b128 s[4:7], s[0:1], 0x0
	s_load_b32 s10, s[0:1], 0x38
	s_wait_xcnt 0x0
	s_mul_u64 s[0:1], s[8:9], s[20:21]
	v_mov_b32_e32 v1, 0
	s_lshl_b64 s[0:1], s[0:1], 3
	s_delay_alu instid0(VALU_DEP_1)
	v_dual_mov_b32 v29, v1 :: v_dual_lshlrev_b32 v28, 3, v0
	s_wait_kmcnt 0x0
	v_add3_u32 v60, s7, s7, v0
	s_ashr_i32 s3, s6, 31
	s_mov_b32 s2, s6
	s_add_nc_u64 s[0:1], s[4:5], s[0:1]
	s_lshl_b64 s[2:3], s[2:3], 3
	v_add_nc_u32_e32 v62, s7, v60
	s_add_nc_u64 s[18:19], s[0:1], s[2:3]
	s_ashr_i32 s1, s7, 31
	s_mov_b32 s0, s7
	s_bitcmp0_b32 s10, 0
	v_add_nc_u32_e32 v64, s7, v62
	v_add_nc_u64_e32 v[68:69], s[18:19], v[28:29]
	s_delay_alu instid0(VALU_DEP_2) | instskip(NEXT) | instid1(VALU_DEP_2)
	v_add_nc_u32_e32 v66, s7, v64
	v_lshl_add_u64 v[72:73], s[0:1], 3, v[68:69]
	s_mov_b32 s0, -1
	s_delay_alu instid0(VALU_DEP_2)
	v_add_nc_u32_e32 v70, s7, v66
	s_clause 0x4
	global_load_b64 v[4:5], v[72:73], off
	global_load_b64 v[6:7], v60, s[18:19] scale_offset
	global_load_b64 v[8:9], v62, s[18:19] scale_offset
	;; [unrolled: 1-line block ×4, first 2 shown]
	v_add_nc_u32_e32 v74, s7, v70
	s_delay_alu instid0(VALU_DEP_1) | instskip(NEXT) | instid1(VALU_DEP_1)
	v_add_nc_u32_e32 v76, s7, v74
	v_add_nc_u32_e32 v78, s7, v76
	s_delay_alu instid0(VALU_DEP_1) | instskip(NEXT) | instid1(VALU_DEP_1)
	v_add_nc_u32_e32 v80, s7, v78
	v_add_nc_u32_e32 v82, s7, v80
	s_delay_alu instid0(VALU_DEP_1)
	v_add_nc_u32_e32 v84, s7, v82
	s_clause 0x7
	global_load_b64 v[14:15], v70, s[18:19] scale_offset
	global_load_b64 v[16:17], v74, s[18:19] scale_offset
	;; [unrolled: 1-line block ×8, first 2 shown]
	s_cbranch_scc1 .LBB12_14
; %bb.4:
	v_cmp_eq_u32_e64 s0, 0, v0
	s_wait_xcnt 0x0
	s_and_saveexec_b32 s1, s0
; %bb.5:
	v_mov_b32_e32 v29, 0
	ds_store_b32 v29, v29 offset:104
; %bb.6:
	s_or_b32 exec_lo, exec_lo, s1
	v_cmp_eq_u32_e32 vcc_lo, 1, v0
	s_mov_b32 s2, exec_lo
	s_wait_loadcnt_dscnt 0x0
	s_barrier_signal -1
	s_barrier_wait -1
	v_dual_cndmask_b32 v29, v3, v5 :: v_dual_cndmask_b32 v30, v2, v4
	v_cmp_eq_u32_e32 vcc_lo, 2, v0
	s_delay_alu instid0(VALU_DEP_2) | instskip(SKIP_1) | instid1(VALU_DEP_2)
	v_dual_cndmask_b32 v29, v29, v7 :: v_dual_cndmask_b32 v30, v30, v6
	v_cmp_eq_u32_e32 vcc_lo, 3, v0
	v_dual_cndmask_b32 v29, v29, v9 :: v_dual_cndmask_b32 v30, v30, v8
	v_cmp_eq_u32_e32 vcc_lo, 4, v0
	s_delay_alu instid0(VALU_DEP_2) | instskip(SKIP_1) | instid1(VALU_DEP_2)
	v_dual_cndmask_b32 v29, v29, v11 :: v_dual_cndmask_b32 v30, v30, v10
	v_cmp_eq_u32_e32 vcc_lo, 5, v0
	;; [unrolled: 5-line block ×5, first 2 shown]
	v_dual_cndmask_b32 v29, v29, v25 :: v_dual_cndmask_b32 v30, v30, v24
	v_cmp_eq_u32_e32 vcc_lo, 12, v0
	s_delay_alu instid0(VALU_DEP_2) | instskip(NEXT) | instid1(VALU_DEP_1)
	v_dual_cndmask_b32 v31, v29, v27 :: v_dual_cndmask_b32 v30, v30, v26
	v_cmpx_eq_f64_e32 0, v[30:31]
	s_cbranch_execz .LBB12_10
; %bb.7:
	v_mov_b32_e32 v29, 0
	s_mov_b32 s3, 0
	ds_load_b32 v32, v29 offset:104
	s_wait_dscnt 0x0
	v_readfirstlane_b32 s1, v32
	v_add_nc_u32_e32 v32, 1, v0
	s_cmp_eq_u32 s1, 0
	s_delay_alu instid0(VALU_DEP_1) | instskip(SKIP_1) | instid1(SALU_CYCLE_1)
	v_cmp_gt_i32_e32 vcc_lo, s1, v32
	s_cselect_b32 s4, -1, 0
	s_or_b32 s4, s4, vcc_lo
	s_delay_alu instid0(SALU_CYCLE_1)
	s_and_b32 exec_lo, exec_lo, s4
	s_cbranch_execz .LBB12_10
; %bb.8:
	v_mov_b32_e32 v33, s1
.LBB12_9:                               ; =>This Inner Loop Header: Depth=1
	ds_cmpstore_rtn_b32 v33, v29, v32, v33 offset:104
	s_wait_dscnt 0x0
	v_cmp_ne_u32_e32 vcc_lo, 0, v33
	v_cmp_le_i32_e64 s1, v33, v32
	s_and_b32 s1, vcc_lo, s1
	s_delay_alu instid0(SALU_CYCLE_1) | instskip(NEXT) | instid1(SALU_CYCLE_1)
	s_and_b32 s1, exec_lo, s1
	s_or_b32 s3, s1, s3
	s_delay_alu instid0(SALU_CYCLE_1)
	s_and_not1_b32 exec_lo, exec_lo, s3
	s_cbranch_execnz .LBB12_9
.LBB12_10:
	s_or_b32 exec_lo, exec_lo, s2
	v_mov_b32_e32 v29, 0
	s_barrier_signal -1
	s_barrier_wait -1
	ds_load_b32 v32, v29 offset:104
	s_and_saveexec_b32 s1, s0
	s_cbranch_execz .LBB12_12
; %bb.11:
	s_lshl_b64 s[2:3], s[20:21], 2
	s_delay_alu instid0(SALU_CYCLE_1)
	s_add_nc_u64 s[2:3], s[14:15], s[2:3]
	s_wait_dscnt 0x0
	global_store_b32 v29, v32, s[2:3]
.LBB12_12:
	s_wait_xcnt 0x0
	s_or_b32 exec_lo, exec_lo, s1
	s_wait_dscnt 0x0
	v_cmp_ne_u32_e32 vcc_lo, 0, v32
	s_cbranch_vccz .LBB12_17
; %bb.13:
	s_mov_b32 s0, 0
                                        ; implicit-def: $vgpr2_vgpr3_vgpr4_vgpr5_vgpr6_vgpr7_vgpr8_vgpr9_vgpr10_vgpr11_vgpr12_vgpr13_vgpr14_vgpr15_vgpr16_vgpr17_vgpr18_vgpr19_vgpr20_vgpr21_vgpr22_vgpr23_vgpr24_vgpr25_vgpr26_vgpr27_vgpr28_vgpr29_vgpr30_vgpr31_vgpr32_vgpr33
.LBB12_14:
	s_delay_alu instid0(SALU_CYCLE_1)
	s_and_b32 vcc_lo, exec_lo, s0
	s_cbranch_vccz .LBB12_16
.LBB12_15:
	v_mov_b32_e32 v1, 0
	s_lshl_b64 s[0:1], s[20:21], 2
	s_delay_alu instid0(SALU_CYCLE_1)
	s_add_nc_u64 s[0:1], s[14:15], s[0:1]
	global_load_b32 v1, v1, s[0:1]
	s_wait_loadcnt 0x0
	v_cmp_ne_u32_e32 vcc_lo, 0, v1
	s_cbranch_vccz .LBB12_76
.LBB12_16:
	s_sendmsg sendmsg(MSG_DEALLOC_VGPRS)
	s_endpgm
.LBB12_17:
	v_div_scale_f64 v[32:33], null, v[30:31], v[30:31], 1.0
	v_div_scale_f64 v[38:39], vcc_lo, 1.0, v[30:31], 1.0
	v_cmp_eq_u32_e64 s1, 11, v0
	v_cmp_eq_u32_e64 s2, 10, v0
	;; [unrolled: 1-line block ×12, first 2 shown]
	v_rcp_f64_e32 v[34:35], v[32:33]
	v_nop
	s_delay_alu instid0(TRANS32_DEP_1) | instskip(NEXT) | instid1(VALU_DEP_1)
	v_fma_f64 v[36:37], -v[32:33], v[34:35], 1.0
	v_fmac_f64_e32 v[34:35], v[34:35], v[36:37]
	s_delay_alu instid0(VALU_DEP_1) | instskip(NEXT) | instid1(VALU_DEP_1)
	v_fma_f64 v[36:37], -v[32:33], v[34:35], 1.0
	v_fmac_f64_e32 v[34:35], v[34:35], v[36:37]
	s_delay_alu instid0(VALU_DEP_1) | instskip(NEXT) | instid1(VALU_DEP_1)
	v_mul_f64_e32 v[36:37], v[38:39], v[34:35]
	v_fma_f64 v[32:33], -v[32:33], v[36:37], v[38:39]
	s_delay_alu instid0(VALU_DEP_1) | instskip(SKIP_1) | instid1(VALU_DEP_2)
	v_div_fmas_f64 v[32:33], v[32:33], v[34:35], v[36:37]
	v_cmp_eq_u32_e32 vcc_lo, 12, v0
	v_div_fixup_f64 v[30:31], v[32:33], v[30:31], 1.0
	s_delay_alu instid0(VALU_DEP_1) | instskip(NEXT) | instid1(VALU_DEP_2)
	v_dual_cndmask_b32 v27, v27, v31 :: v_dual_add_nc_u32 v32, 0x70, v28
	v_dual_cndmask_b32 v26, v26, v30, vcc_lo :: v_dual_cndmask_b32 v25, v25, v31, s1
	v_dual_cndmask_b32 v24, v24, v30, s1 :: v_dual_cndmask_b32 v23, v23, v31, s2
	v_dual_cndmask_b32 v22, v22, v30, s2 :: v_dual_cndmask_b32 v21, v21, v31, s3
	v_dual_cndmask_b32 v20, v20, v30, s3 :: v_dual_cndmask_b32 v19, v19, v31, s4
	v_dual_cndmask_b32 v18, v18, v30, s4 :: v_dual_cndmask_b32 v17, v17, v31, s5
	v_dual_cndmask_b32 v16, v16, v30, s5 :: v_dual_cndmask_b32 v15, v15, v31, s6
	v_dual_cndmask_b32 v14, v14, v30, s6 :: v_dual_cndmask_b32 v13, v13, v31, s7
	v_dual_cndmask_b32 v12, v12, v30, s7 :: v_dual_cndmask_b32 v11, v11, v31, s8
	v_dual_cndmask_b32 v10, v10, v30, s8 :: v_dual_cndmask_b32 v9, v9, v31, s9
	v_dual_cndmask_b32 v8, v8, v30, s9 :: v_dual_cndmask_b32 v5, v5, v31, s11
	v_dual_cndmask_b32 v4, v4, v30, s11 :: v_dual_mov_b32 v34, v30
	v_xor_b32_e32 v35, 0x80000000, v31
	v_dual_cndmask_b32 v7, v7, v31, s10 :: v_dual_cndmask_b32 v6, v6, v30, s10
	v_dual_cndmask_b32 v3, v3, v31, s12 :: v_dual_cndmask_b32 v2, v2, v30, s12
	ds_store_2addr_b64 v28, v[34:35], v[4:5] offset1:14
	s_wait_storecnt_dscnt 0x0
	s_barrier_signal -1
	s_barrier_wait -1
	s_and_saveexec_b32 s1, s0
	s_cbranch_execz .LBB12_19
; %bb.18:
	ds_load_b64 v[4:5], v32
	v_mov_b32_e32 v28, 0
	ds_load_b64 v[28:29], v28 offset:8
	s_wait_dscnt 0x1
	v_fma_f64 v[4:5], v[30:31], v[4:5], 0
	s_wait_dscnt 0x0
	s_delay_alu instid0(VALU_DEP_1)
	v_mul_f64_e32 v[4:5], v[4:5], v[28:29]
.LBB12_19:
	s_or_b32 exec_lo, exec_lo, s1
	v_cmp_gt_u32_e32 vcc_lo, 2, v0
	s_barrier_signal -1
	s_barrier_wait -1
	ds_store_b64 v32, v[6:7]
	s_wait_dscnt 0x0
	s_barrier_signal -1
	s_barrier_wait -1
	s_and_saveexec_b32 s3, vcc_lo
	s_cbranch_execz .LBB12_23
; %bb.20:
	v_cmp_eq_u32_e64 s1, 1, v0
	v_cmp_eq_u32_e64 s2, 10, v0
	s_delay_alu instid0(VALU_DEP_2) | instskip(SKIP_1) | instid1(VALU_DEP_1)
	v_dual_cndmask_b32 v28, v3, v5, s1 :: v_dual_cndmask_b32 v29, v2, v4, s1
	v_cmp_eq_u32_e64 s1, 2, v0
	v_dual_cndmask_b32 v7, v28, v7, s1 :: v_dual_cndmask_b32 v6, v29, v6, s1
	v_cmp_eq_u32_e64 s1, 3, v0
	s_delay_alu instid0(VALU_DEP_1) | instskip(SKIP_1) | instid1(VALU_DEP_1)
	v_dual_cndmask_b32 v7, v7, v9, s1 :: v_dual_cndmask_b32 v6, v6, v8, s1
	v_cmp_eq_u32_e64 s1, 4, v0
	v_dual_cndmask_b32 v7, v7, v11, s1 :: v_dual_cndmask_b32 v6, v6, v10, s1
	v_cmp_eq_u32_e64 s1, 5, v0
	s_delay_alu instid0(VALU_DEP_1) | instskip(SKIP_1) | instid1(VALU_DEP_1)
	;; [unrolled: 5-line block ×3, first 2 shown]
	v_dual_cndmask_b32 v7, v7, v17, s1 :: v_dual_cndmask_b32 v6, v6, v16, s1
	v_cmp_eq_u32_e64 s1, 8, v0
	v_dual_cndmask_b32 v7, v7, v19, s1 :: v_dual_cndmask_b32 v6, v6, v18, s1
	v_cmp_eq_u32_e64 s1, 9, v0
	s_delay_alu instid0(VALU_DEP_1) | instskip(SKIP_3) | instid1(VALU_DEP_1)
	v_dual_cndmask_b32 v28, v7, v21, s1 :: v_dual_cndmask_b32 v29, v6, v20, s1
	ds_load_b64 v[6:7], v32
	v_cmp_eq_u32_e64 s1, 11, v0
	v_dual_cndmask_b32 v28, v28, v23, s2 :: v_dual_cndmask_b32 v29, v29, v22, s2
	v_dual_cndmask_b32 v28, v28, v25, s1 :: v_dual_cndmask_b32 v30, v29, v24, s1
	v_cmp_eq_u32_e64 s1, 12, v0
	s_delay_alu instid0(VALU_DEP_1) | instskip(SKIP_1) | instid1(VALU_DEP_1)
	v_dual_cndmask_b32 v29, v28, v27, s1 :: v_dual_cndmask_b32 v28, v30, v26, s1
	s_wait_dscnt 0x0
	v_fma_f64 v[6:7], v[28:29], v[6:7], 0
	s_and_saveexec_b32 s1, s0
	s_cbranch_execz .LBB12_22
; %bb.21:
	v_mov_b32_e32 v28, 0
	ds_load_b64 v[28:29], v28 offset:120
	s_wait_dscnt 0x0
	v_fmac_f64_e32 v[6:7], v[4:5], v[28:29]
.LBB12_22:
	s_or_b32 exec_lo, exec_lo, s1
	v_mov_b32_e32 v28, 0
	ds_load_b64 v[28:29], v28 offset:16
	s_wait_dscnt 0x0
	v_mul_f64_e32 v[6:7], v[6:7], v[28:29]
.LBB12_23:
	s_or_b32 exec_lo, exec_lo, s3
	s_delay_alu instid0(SALU_CYCLE_1)
	s_mov_b32 s3, exec_lo
	s_barrier_signal -1
	s_barrier_wait -1
	ds_store_b64 v32, v[8:9]
	s_wait_dscnt 0x0
	s_barrier_signal -1
	s_barrier_wait -1
	v_cmpx_gt_u32_e32 3, v0
	s_cbranch_execz .LBB12_27
; %bb.24:
	v_mov_b64_e32 v[28:29], 0
	v_mov_b64_e32 v[30:31], v[0:1]
	v_lshl_add_u32 v33, v0, 3, 0x70
	s_mov_b32 s4, 0
.LBB12_25:                              ; =>This Inner Loop Header: Depth=1
	s_delay_alu instid0(VALU_DEP_2) | instskip(SKIP_1) | instid1(VALU_DEP_2)
	v_cmp_eq_u32_e64 s1, 1, v30
	v_cmp_eq_u32_e64 s2, 2, v30
	v_dual_cndmask_b32 v34, v3, v5, s1 :: v_dual_cndmask_b32 v35, v2, v4, s1
	v_cmp_eq_u32_e64 s1, 3, v30
	s_delay_alu instid0(VALU_DEP_2) | instskip(SKIP_1) | instid1(VALU_DEP_2)
	v_dual_cndmask_b32 v34, v34, v7, s2 :: v_dual_cndmask_b32 v35, v35, v6, s2
	v_cmp_eq_u32_e64 s2, 4, v30
	v_dual_cndmask_b32 v34, v34, v9, s1 :: v_dual_cndmask_b32 v35, v35, v8, s1
	v_cmp_eq_u32_e64 s1, 5, v30
	s_delay_alu instid0(VALU_DEP_2) | instskip(SKIP_1) | instid1(VALU_DEP_2)
	v_dual_cndmask_b32 v34, v34, v11, s2 :: v_dual_cndmask_b32 v35, v35, v10, s2
	;; [unrolled: 5-line block ×3, first 2 shown]
	v_cmp_eq_u32_e64 s2, 8, v30
	v_dual_cndmask_b32 v34, v34, v17, s1 :: v_dual_cndmask_b32 v35, v35, v16, s1
	v_cmp_eq_u32_e64 s1, 9, v30
	s_delay_alu instid0(VALU_DEP_2)
	v_dual_cndmask_b32 v36, v34, v19, s2 :: v_dual_cndmask_b32 v37, v35, v18, s2
	ds_load_b64 v[34:35], v33
	v_cmp_eq_u32_e64 s2, 10, v30
	v_add_nc_u32_e32 v33, 8, v33
	v_dual_cndmask_b32 v36, v36, v21, s1 :: v_dual_cndmask_b32 v37, v37, v20, s1
	v_cmp_eq_u32_e64 s1, 11, v30
	s_delay_alu instid0(VALU_DEP_2) | instskip(SKIP_2) | instid1(VALU_DEP_3)
	v_dual_cndmask_b32 v36, v36, v23, s2 :: v_dual_cndmask_b32 v37, v37, v22, s2
	v_cmp_eq_u32_e64 s2, 12, v30
	v_add_nc_u64_e32 v[30:31], 1, v[30:31]
	v_dual_cndmask_b32 v36, v36, v25, s1 :: v_dual_cndmask_b32 v38, v37, v24, s1
	s_delay_alu instid0(VALU_DEP_1) | instskip(SKIP_1) | instid1(VALU_DEP_1)
	v_dual_cndmask_b32 v37, v36, v27, s2 :: v_dual_cndmask_b32 v36, v38, v26, s2
	s_wait_dscnt 0x0
	v_fmac_f64_e32 v[28:29], v[36:37], v[34:35]
	s_delay_alu instid0(VALU_DEP_4) | instskip(NEXT) | instid1(VALU_DEP_1)
	v_add_nc_u32_e32 v34, -1, v30
	v_cmp_lt_u32_e64 s1, 1, v34
	s_or_b32 s4, s1, s4
	s_delay_alu instid0(SALU_CYCLE_1)
	s_and_not1_b32 exec_lo, exec_lo, s4
	s_cbranch_execnz .LBB12_25
; %bb.26:
	s_or_b32 exec_lo, exec_lo, s4
	v_mov_b32_e32 v8, 0
	ds_load_b64 v[8:9], v8 offset:24
	s_wait_dscnt 0x0
	v_mul_f64_e32 v[8:9], v[28:29], v[8:9]
.LBB12_27:
	s_or_b32 exec_lo, exec_lo, s3
	v_cmp_gt_u32_e64 s1, 4, v0
	s_barrier_signal -1
	s_barrier_wait -1
	ds_store_b64 v32, v[10:11]
	s_wait_dscnt 0x0
	s_barrier_signal -1
	s_barrier_wait -1
	s_and_saveexec_b32 s4, s1
	s_cbranch_execz .LBB12_31
; %bb.28:
	v_mov_b64_e32 v[28:29], 0
	v_mov_b64_e32 v[30:31], v[0:1]
	v_lshl_add_u32 v33, v0, 3, 0x70
	s_mov_b32 s5, 0
.LBB12_29:                              ; =>This Inner Loop Header: Depth=1
	s_delay_alu instid0(VALU_DEP_2) | instskip(SKIP_1) | instid1(VALU_DEP_2)
	v_cmp_eq_u32_e64 s2, 1, v30
	v_cmp_eq_u32_e64 s3, 2, v30
	v_dual_cndmask_b32 v34, v3, v5, s2 :: v_dual_cndmask_b32 v35, v2, v4, s2
	v_cmp_eq_u32_e64 s2, 3, v30
	s_delay_alu instid0(VALU_DEP_2) | instskip(SKIP_1) | instid1(VALU_DEP_2)
	v_dual_cndmask_b32 v34, v34, v7, s3 :: v_dual_cndmask_b32 v35, v35, v6, s3
	v_cmp_eq_u32_e64 s3, 4, v30
	v_dual_cndmask_b32 v34, v34, v9, s2 :: v_dual_cndmask_b32 v35, v35, v8, s2
	v_cmp_eq_u32_e64 s2, 5, v30
	s_delay_alu instid0(VALU_DEP_2) | instskip(SKIP_1) | instid1(VALU_DEP_2)
	v_dual_cndmask_b32 v34, v34, v11, s3 :: v_dual_cndmask_b32 v35, v35, v10, s3
	v_cmp_eq_u32_e64 s3, 6, v30
	v_dual_cndmask_b32 v34, v34, v13, s2 :: v_dual_cndmask_b32 v35, v35, v12, s2
	v_cmp_eq_u32_e64 s2, 7, v30
	s_delay_alu instid0(VALU_DEP_2) | instskip(SKIP_1) | instid1(VALU_DEP_2)
	v_dual_cndmask_b32 v34, v34, v15, s3 :: v_dual_cndmask_b32 v35, v35, v14, s3
	v_cmp_eq_u32_e64 s3, 8, v30
	v_dual_cndmask_b32 v34, v34, v17, s2 :: v_dual_cndmask_b32 v35, v35, v16, s2
	v_cmp_eq_u32_e64 s2, 9, v30
	s_delay_alu instid0(VALU_DEP_2)
	v_dual_cndmask_b32 v36, v34, v19, s3 :: v_dual_cndmask_b32 v37, v35, v18, s3
	ds_load_b64 v[34:35], v33
	v_cmp_eq_u32_e64 s3, 10, v30
	v_add_nc_u32_e32 v33, 8, v33
	v_dual_cndmask_b32 v36, v36, v21, s2 :: v_dual_cndmask_b32 v37, v37, v20, s2
	v_cmp_eq_u32_e64 s2, 11, v30
	s_delay_alu instid0(VALU_DEP_2) | instskip(SKIP_2) | instid1(VALU_DEP_3)
	v_dual_cndmask_b32 v36, v36, v23, s3 :: v_dual_cndmask_b32 v37, v37, v22, s3
	v_cmp_eq_u32_e64 s3, 12, v30
	v_add_nc_u64_e32 v[30:31], 1, v[30:31]
	v_dual_cndmask_b32 v36, v36, v25, s2 :: v_dual_cndmask_b32 v38, v37, v24, s2
	s_delay_alu instid0(VALU_DEP_1) | instskip(SKIP_1) | instid1(VALU_DEP_1)
	v_dual_cndmask_b32 v37, v36, v27, s3 :: v_dual_cndmask_b32 v36, v38, v26, s3
	s_wait_dscnt 0x0
	v_fmac_f64_e32 v[28:29], v[36:37], v[34:35]
	s_delay_alu instid0(VALU_DEP_4) | instskip(NEXT) | instid1(VALU_DEP_1)
	v_add_nc_u32_e32 v34, -1, v30
	v_cmp_lt_u32_e64 s2, 2, v34
	s_or_b32 s5, s2, s5
	s_delay_alu instid0(SALU_CYCLE_1)
	s_and_not1_b32 exec_lo, exec_lo, s5
	s_cbranch_execnz .LBB12_29
; %bb.30:
	s_or_b32 exec_lo, exec_lo, s5
	v_mov_b32_e32 v10, 0
	ds_load_b64 v[10:11], v10 offset:32
	s_wait_dscnt 0x0
	v_mul_f64_e32 v[10:11], v[28:29], v[10:11]
.LBB12_31:
	s_or_b32 exec_lo, exec_lo, s4
	s_delay_alu instid0(SALU_CYCLE_1)
	s_mov_b32 s4, exec_lo
	s_barrier_signal -1
	s_barrier_wait -1
	ds_store_b64 v32, v[12:13]
	s_wait_dscnt 0x0
	s_barrier_signal -1
	s_barrier_wait -1
	v_cmpx_gt_u32_e32 5, v0
	s_cbranch_execz .LBB12_35
; %bb.32:
	v_mov_b64_e32 v[28:29], 0
	v_mov_b64_e32 v[30:31], v[0:1]
	v_lshl_add_u32 v33, v0, 3, 0x70
	s_mov_b32 s5, 0
.LBB12_33:                              ; =>This Inner Loop Header: Depth=1
	s_delay_alu instid0(VALU_DEP_2) | instskip(SKIP_1) | instid1(VALU_DEP_2)
	v_cmp_eq_u32_e64 s2, 1, v30
	v_cmp_eq_u32_e64 s3, 2, v30
	v_dual_cndmask_b32 v34, v3, v5, s2 :: v_dual_cndmask_b32 v35, v2, v4, s2
	v_cmp_eq_u32_e64 s2, 3, v30
	s_delay_alu instid0(VALU_DEP_2) | instskip(SKIP_1) | instid1(VALU_DEP_2)
	v_dual_cndmask_b32 v34, v34, v7, s3 :: v_dual_cndmask_b32 v35, v35, v6, s3
	v_cmp_eq_u32_e64 s3, 4, v30
	v_dual_cndmask_b32 v34, v34, v9, s2 :: v_dual_cndmask_b32 v35, v35, v8, s2
	v_cmp_eq_u32_e64 s2, 5, v30
	s_delay_alu instid0(VALU_DEP_2) | instskip(SKIP_1) | instid1(VALU_DEP_2)
	v_dual_cndmask_b32 v34, v34, v11, s3 :: v_dual_cndmask_b32 v35, v35, v10, s3
	;; [unrolled: 5-line block ×3, first 2 shown]
	v_cmp_eq_u32_e64 s3, 8, v30
	v_dual_cndmask_b32 v34, v34, v17, s2 :: v_dual_cndmask_b32 v35, v35, v16, s2
	v_cmp_eq_u32_e64 s2, 9, v30
	s_delay_alu instid0(VALU_DEP_2)
	v_dual_cndmask_b32 v36, v34, v19, s3 :: v_dual_cndmask_b32 v37, v35, v18, s3
	ds_load_b64 v[34:35], v33
	v_cmp_eq_u32_e64 s3, 10, v30
	v_add_nc_u32_e32 v33, 8, v33
	v_dual_cndmask_b32 v36, v36, v21, s2 :: v_dual_cndmask_b32 v37, v37, v20, s2
	v_cmp_eq_u32_e64 s2, 11, v30
	s_delay_alu instid0(VALU_DEP_2) | instskip(SKIP_2) | instid1(VALU_DEP_3)
	v_dual_cndmask_b32 v36, v36, v23, s3 :: v_dual_cndmask_b32 v37, v37, v22, s3
	v_cmp_eq_u32_e64 s3, 12, v30
	v_add_nc_u64_e32 v[30:31], 1, v[30:31]
	v_dual_cndmask_b32 v36, v36, v25, s2 :: v_dual_cndmask_b32 v38, v37, v24, s2
	s_delay_alu instid0(VALU_DEP_1) | instskip(SKIP_1) | instid1(VALU_DEP_1)
	v_dual_cndmask_b32 v37, v36, v27, s3 :: v_dual_cndmask_b32 v36, v38, v26, s3
	s_wait_dscnt 0x0
	v_fmac_f64_e32 v[28:29], v[36:37], v[34:35]
	s_delay_alu instid0(VALU_DEP_4) | instskip(NEXT) | instid1(VALU_DEP_1)
	v_add_nc_u32_e32 v34, -1, v30
	v_cmp_lt_u32_e64 s2, 3, v34
	s_or_b32 s5, s2, s5
	s_delay_alu instid0(SALU_CYCLE_1)
	s_and_not1_b32 exec_lo, exec_lo, s5
	s_cbranch_execnz .LBB12_33
; %bb.34:
	s_or_b32 exec_lo, exec_lo, s5
	v_mov_b32_e32 v12, 0
	ds_load_b64 v[12:13], v12 offset:40
	s_wait_dscnt 0x0
	v_mul_f64_e32 v[12:13], v[28:29], v[12:13]
.LBB12_35:
	s_or_b32 exec_lo, exec_lo, s4
	v_cmp_gt_u32_e64 s2, 6, v0
	s_barrier_signal -1
	s_barrier_wait -1
	ds_store_b64 v32, v[14:15]
	s_wait_dscnt 0x0
	s_barrier_signal -1
	s_barrier_wait -1
	s_and_saveexec_b32 s5, s2
	s_cbranch_execz .LBB12_39
; %bb.36:
	v_mov_b64_e32 v[28:29], 0
	v_mov_b64_e32 v[30:31], v[0:1]
	v_lshl_add_u32 v33, v0, 3, 0x70
	s_mov_b32 s6, 0
.LBB12_37:                              ; =>This Inner Loop Header: Depth=1
	s_delay_alu instid0(VALU_DEP_2) | instskip(SKIP_1) | instid1(VALU_DEP_2)
	v_cmp_eq_u32_e64 s3, 1, v30
	v_cmp_eq_u32_e64 s4, 2, v30
	v_dual_cndmask_b32 v34, v3, v5, s3 :: v_dual_cndmask_b32 v35, v2, v4, s3
	v_cmp_eq_u32_e64 s3, 3, v30
	s_delay_alu instid0(VALU_DEP_2) | instskip(SKIP_1) | instid1(VALU_DEP_2)
	v_dual_cndmask_b32 v34, v34, v7, s4 :: v_dual_cndmask_b32 v35, v35, v6, s4
	v_cmp_eq_u32_e64 s4, 4, v30
	v_dual_cndmask_b32 v34, v34, v9, s3 :: v_dual_cndmask_b32 v35, v35, v8, s3
	v_cmp_eq_u32_e64 s3, 5, v30
	s_delay_alu instid0(VALU_DEP_2) | instskip(SKIP_1) | instid1(VALU_DEP_2)
	v_dual_cndmask_b32 v34, v34, v11, s4 :: v_dual_cndmask_b32 v35, v35, v10, s4
	;; [unrolled: 5-line block ×3, first 2 shown]
	v_cmp_eq_u32_e64 s4, 8, v30
	v_dual_cndmask_b32 v34, v34, v17, s3 :: v_dual_cndmask_b32 v35, v35, v16, s3
	v_cmp_eq_u32_e64 s3, 9, v30
	s_delay_alu instid0(VALU_DEP_2)
	v_dual_cndmask_b32 v36, v34, v19, s4 :: v_dual_cndmask_b32 v37, v35, v18, s4
	ds_load_b64 v[34:35], v33
	v_cmp_eq_u32_e64 s4, 10, v30
	v_add_nc_u32_e32 v33, 8, v33
	v_dual_cndmask_b32 v36, v36, v21, s3 :: v_dual_cndmask_b32 v37, v37, v20, s3
	v_cmp_eq_u32_e64 s3, 11, v30
	s_delay_alu instid0(VALU_DEP_2) | instskip(SKIP_2) | instid1(VALU_DEP_3)
	v_dual_cndmask_b32 v36, v36, v23, s4 :: v_dual_cndmask_b32 v37, v37, v22, s4
	v_cmp_eq_u32_e64 s4, 12, v30
	v_add_nc_u64_e32 v[30:31], 1, v[30:31]
	v_dual_cndmask_b32 v36, v36, v25, s3 :: v_dual_cndmask_b32 v38, v37, v24, s3
	s_delay_alu instid0(VALU_DEP_1) | instskip(SKIP_1) | instid1(VALU_DEP_1)
	v_dual_cndmask_b32 v37, v36, v27, s4 :: v_dual_cndmask_b32 v36, v38, v26, s4
	s_wait_dscnt 0x0
	v_fmac_f64_e32 v[28:29], v[36:37], v[34:35]
	s_delay_alu instid0(VALU_DEP_4) | instskip(NEXT) | instid1(VALU_DEP_1)
	v_add_nc_u32_e32 v34, -1, v30
	v_cmp_lt_u32_e64 s3, 4, v34
	s_or_b32 s6, s3, s6
	s_delay_alu instid0(SALU_CYCLE_1)
	s_and_not1_b32 exec_lo, exec_lo, s6
	s_cbranch_execnz .LBB12_37
; %bb.38:
	s_or_b32 exec_lo, exec_lo, s6
	v_mov_b32_e32 v14, 0
	ds_load_b64 v[14:15], v14 offset:48
	s_wait_dscnt 0x0
	v_mul_f64_e32 v[14:15], v[28:29], v[14:15]
.LBB12_39:
	s_or_b32 exec_lo, exec_lo, s5
	s_delay_alu instid0(SALU_CYCLE_1)
	s_mov_b32 s5, exec_lo
	s_barrier_signal -1
	s_barrier_wait -1
	ds_store_b64 v32, v[16:17]
	s_wait_dscnt 0x0
	s_barrier_signal -1
	s_barrier_wait -1
	v_cmpx_gt_u32_e32 7, v0
	s_cbranch_execz .LBB12_43
; %bb.40:
	v_mov_b64_e32 v[28:29], 0
	v_mov_b64_e32 v[30:31], v[0:1]
	v_lshl_add_u32 v33, v0, 3, 0x70
	s_mov_b32 s6, 0
.LBB12_41:                              ; =>This Inner Loop Header: Depth=1
	s_delay_alu instid0(VALU_DEP_2) | instskip(SKIP_1) | instid1(VALU_DEP_2)
	v_cmp_eq_u32_e64 s3, 1, v30
	v_cmp_eq_u32_e64 s4, 2, v30
	v_dual_cndmask_b32 v34, v3, v5, s3 :: v_dual_cndmask_b32 v35, v2, v4, s3
	v_cmp_eq_u32_e64 s3, 3, v30
	s_delay_alu instid0(VALU_DEP_2) | instskip(SKIP_1) | instid1(VALU_DEP_2)
	v_dual_cndmask_b32 v34, v34, v7, s4 :: v_dual_cndmask_b32 v35, v35, v6, s4
	v_cmp_eq_u32_e64 s4, 4, v30
	v_dual_cndmask_b32 v34, v34, v9, s3 :: v_dual_cndmask_b32 v35, v35, v8, s3
	v_cmp_eq_u32_e64 s3, 5, v30
	s_delay_alu instid0(VALU_DEP_2) | instskip(SKIP_1) | instid1(VALU_DEP_2)
	v_dual_cndmask_b32 v34, v34, v11, s4 :: v_dual_cndmask_b32 v35, v35, v10, s4
	;; [unrolled: 5-line block ×3, first 2 shown]
	v_cmp_eq_u32_e64 s4, 8, v30
	v_dual_cndmask_b32 v34, v34, v17, s3 :: v_dual_cndmask_b32 v35, v35, v16, s3
	v_cmp_eq_u32_e64 s3, 9, v30
	s_delay_alu instid0(VALU_DEP_2)
	v_dual_cndmask_b32 v36, v34, v19, s4 :: v_dual_cndmask_b32 v37, v35, v18, s4
	ds_load_b64 v[34:35], v33
	v_cmp_eq_u32_e64 s4, 10, v30
	v_add_nc_u32_e32 v33, 8, v33
	v_dual_cndmask_b32 v36, v36, v21, s3 :: v_dual_cndmask_b32 v37, v37, v20, s3
	v_cmp_eq_u32_e64 s3, 11, v30
	s_delay_alu instid0(VALU_DEP_2) | instskip(SKIP_2) | instid1(VALU_DEP_3)
	v_dual_cndmask_b32 v36, v36, v23, s4 :: v_dual_cndmask_b32 v37, v37, v22, s4
	v_cmp_eq_u32_e64 s4, 12, v30
	v_add_nc_u64_e32 v[30:31], 1, v[30:31]
	v_dual_cndmask_b32 v36, v36, v25, s3 :: v_dual_cndmask_b32 v38, v37, v24, s3
	s_delay_alu instid0(VALU_DEP_1) | instskip(SKIP_1) | instid1(VALU_DEP_1)
	v_dual_cndmask_b32 v37, v36, v27, s4 :: v_dual_cndmask_b32 v36, v38, v26, s4
	s_wait_dscnt 0x0
	v_fmac_f64_e32 v[28:29], v[36:37], v[34:35]
	s_delay_alu instid0(VALU_DEP_4) | instskip(NEXT) | instid1(VALU_DEP_1)
	v_add_nc_u32_e32 v34, -1, v30
	v_cmp_lt_u32_e64 s3, 5, v34
	s_or_b32 s6, s3, s6
	s_delay_alu instid0(SALU_CYCLE_1)
	s_and_not1_b32 exec_lo, exec_lo, s6
	s_cbranch_execnz .LBB12_41
; %bb.42:
	s_or_b32 exec_lo, exec_lo, s6
	v_mov_b32_e32 v16, 0
	ds_load_b64 v[16:17], v16 offset:56
	s_wait_dscnt 0x0
	v_mul_f64_e32 v[16:17], v[28:29], v[16:17]
.LBB12_43:
	s_or_b32 exec_lo, exec_lo, s5
	s_delay_alu instid0(SALU_CYCLE_1)
	s_mov_b32 s5, exec_lo
	s_barrier_signal -1
	s_barrier_wait -1
	ds_store_b64 v32, v[18:19]
	s_wait_dscnt 0x0
	s_barrier_signal -1
	s_barrier_wait -1
	v_cmpx_gt_u32_e32 8, v0
	s_cbranch_execz .LBB12_59
; %bb.44:
	v_cmp_eq_u32_e64 s3, 1, v0
	v_cmp_eq_u32_e64 s4, 10, v0
	s_mov_b32 s6, exec_lo
	v_dual_cndmask_b32 v28, v3, v5, s3 :: v_dual_cndmask_b32 v29, v2, v4, s3
	v_cmp_eq_u32_e64 s3, 2, v0
	s_delay_alu instid0(VALU_DEP_1) | instskip(SKIP_1) | instid1(VALU_DEP_1)
	v_dual_cndmask_b32 v28, v28, v7, s3 :: v_dual_cndmask_b32 v29, v29, v6, s3
	v_cmp_eq_u32_e64 s3, 3, v0
	v_dual_cndmask_b32 v28, v28, v9, s3 :: v_dual_cndmask_b32 v29, v29, v8, s3
	v_cmp_eq_u32_e64 s3, 4, v0
	s_delay_alu instid0(VALU_DEP_1) | instskip(SKIP_1) | instid1(VALU_DEP_1)
	v_dual_cndmask_b32 v28, v28, v11, s3 :: v_dual_cndmask_b32 v29, v29, v10, s3
	v_cmp_eq_u32_e64 s3, 5, v0
	v_dual_cndmask_b32 v28, v28, v13, s3 :: v_dual_cndmask_b32 v29, v29, v12, s3
	v_cmp_eq_u32_e64 s3, 6, v0
	s_delay_alu instid0(VALU_DEP_1) | instskip(SKIP_1) | instid1(VALU_DEP_1)
	v_dual_cndmask_b32 v28, v28, v15, s3 :: v_dual_cndmask_b32 v29, v29, v14, s3
	v_cmp_eq_u32_e64 s3, 7, v0
	v_dual_cndmask_b32 v28, v28, v17, s3 :: v_dual_cndmask_b32 v29, v29, v16, s3
	v_cmp_eq_u32_e64 s3, 8, v0
	s_delay_alu instid0(VALU_DEP_1) | instskip(SKIP_1) | instid1(VALU_DEP_1)
	v_dual_cndmask_b32 v28, v28, v19, s3 :: v_dual_cndmask_b32 v29, v29, v18, s3
	v_cmp_eq_u32_e64 s3, 9, v0
	v_dual_cndmask_b32 v30, v28, v21, s3 :: v_dual_cndmask_b32 v31, v29, v20, s3
	ds_load_b64 v[28:29], v32
	v_cmp_eq_u32_e64 s3, 11, v0
	v_dual_cndmask_b32 v30, v30, v23, s4 :: v_dual_cndmask_b32 v31, v31, v22, s4
	s_delay_alu instid0(VALU_DEP_1) | instskip(SKIP_1) | instid1(VALU_DEP_1)
	v_dual_cndmask_b32 v30, v30, v25, s3 :: v_dual_cndmask_b32 v33, v31, v24, s3
	v_cmp_eq_u32_e64 s3, 12, v0
	v_dual_cndmask_b32 v31, v30, v27, s3 :: v_dual_cndmask_b32 v30, v33, v26, s3
	s_wait_dscnt 0x0
	s_delay_alu instid0(VALU_DEP_1)
	v_fma_f64 v[28:29], v[30:31], v[28:29], 0
	v_cmpx_ne_u32_e32 7, v0
	s_cbranch_execz .LBB12_58
; %bb.45:
	v_add_nc_u32_e32 v33, 1, v0
	s_delay_alu instid0(VALU_DEP_1) | instskip(NEXT) | instid1(VALU_DEP_1)
	v_cmp_eq_u32_e64 s3, 1, v33
	v_cndmask_b32_e64 v30, v3, v5, s3
	v_cmp_eq_u32_e64 s4, 10, v33
	v_cndmask_b32_e64 v31, v2, v4, s3
	v_cmp_eq_u32_e64 s3, 2, v33
	s_delay_alu instid0(VALU_DEP_1) | instskip(SKIP_1) | instid1(VALU_DEP_1)
	v_dual_cndmask_b32 v30, v30, v7, s3 :: v_dual_cndmask_b32 v31, v31, v6, s3
	v_cmp_eq_u32_e64 s3, 3, v33
	v_dual_cndmask_b32 v30, v30, v9, s3 :: v_dual_cndmask_b32 v31, v31, v8, s3
	v_cmp_eq_u32_e64 s3, 4, v33
	s_delay_alu instid0(VALU_DEP_1) | instskip(SKIP_1) | instid1(VALU_DEP_1)
	v_dual_cndmask_b32 v30, v30, v11, s3 :: v_dual_cndmask_b32 v31, v31, v10, s3
	v_cmp_eq_u32_e64 s3, 5, v33
	v_dual_cndmask_b32 v30, v30, v13, s3 :: v_dual_cndmask_b32 v31, v31, v12, s3
	;; [unrolled: 5-line block ×4, first 2 shown]
	ds_load_b64 v[30:31], v32 offset:8
	v_cmp_eq_u32_e64 s3, 11, v33
	v_dual_cndmask_b32 v35, v35, v22, s4 :: v_dual_cndmask_b32 v34, v34, v23, s4
	s_delay_alu instid0(VALU_DEP_1) | instskip(SKIP_1) | instid1(VALU_DEP_1)
	v_dual_cndmask_b32 v36, v35, v24, s3 :: v_dual_cndmask_b32 v34, v34, v25, s3
	v_cmp_eq_u32_e64 s3, 12, v33
	v_dual_cndmask_b32 v35, v34, v27, s3 :: v_dual_cndmask_b32 v34, v36, v26, s3
	s_wait_dscnt 0x0
	s_delay_alu instid0(VALU_DEP_1)
	v_fmac_f64_e32 v[28:29], v[34:35], v[30:31]
	s_and_saveexec_b32 s4, s2
	s_cbranch_execz .LBB12_57
; %bb.46:
	v_add_nc_u32_e32 v33, 2, v0
	s_mov_b32 s7, exec_lo
	s_delay_alu instid0(VALU_DEP_1) | instskip(NEXT) | instid1(VALU_DEP_1)
	v_cmp_eq_u32_e64 s2, 1, v33
	v_cndmask_b32_e64 v30, v3, v5, s2
	v_cmp_eq_u32_e64 s3, 10, v33
	v_cndmask_b32_e64 v31, v2, v4, s2
	v_cmp_eq_u32_e64 s2, 2, v33
	s_delay_alu instid0(VALU_DEP_1) | instskip(SKIP_1) | instid1(VALU_DEP_1)
	v_dual_cndmask_b32 v30, v30, v7, s2 :: v_dual_cndmask_b32 v31, v31, v6, s2
	v_cmp_eq_u32_e64 s2, 3, v33
	v_dual_cndmask_b32 v30, v30, v9, s2 :: v_dual_cndmask_b32 v31, v31, v8, s2
	v_cmp_eq_u32_e64 s2, 4, v33
	s_delay_alu instid0(VALU_DEP_1) | instskip(SKIP_1) | instid1(VALU_DEP_1)
	v_dual_cndmask_b32 v30, v30, v11, s2 :: v_dual_cndmask_b32 v31, v31, v10, s2
	v_cmp_eq_u32_e64 s2, 5, v33
	v_dual_cndmask_b32 v30, v30, v13, s2 :: v_dual_cndmask_b32 v31, v31, v12, s2
	;; [unrolled: 5-line block ×4, first 2 shown]
	ds_load_b64 v[30:31], v32 offset:16
	v_cmp_eq_u32_e64 s2, 11, v33
	v_dual_cndmask_b32 v35, v35, v22, s3 :: v_dual_cndmask_b32 v34, v34, v23, s3
	s_delay_alu instid0(VALU_DEP_1) | instskip(SKIP_1) | instid1(VALU_DEP_1)
	v_dual_cndmask_b32 v36, v35, v24, s2 :: v_dual_cndmask_b32 v34, v34, v25, s2
	v_cmp_eq_u32_e64 s2, 12, v33
	v_dual_cndmask_b32 v35, v34, v27, s2 :: v_dual_cndmask_b32 v34, v36, v26, s2
	s_wait_dscnt 0x0
	s_delay_alu instid0(VALU_DEP_1)
	v_fmac_f64_e32 v[28:29], v[34:35], v[30:31]
	v_cmpx_ne_u32_e32 5, v0
	s_cbranch_execz .LBB12_56
; %bb.47:
	v_add_nc_u32_e32 v33, 3, v0
	s_delay_alu instid0(VALU_DEP_1) | instskip(NEXT) | instid1(VALU_DEP_1)
	v_cmp_eq_u32_e64 s2, 1, v33
	v_cndmask_b32_e64 v30, v3, v5, s2
	v_cmp_eq_u32_e64 s3, 10, v33
	v_cndmask_b32_e64 v31, v2, v4, s2
	v_cmp_eq_u32_e64 s2, 2, v33
	s_delay_alu instid0(VALU_DEP_1) | instskip(SKIP_1) | instid1(VALU_DEP_1)
	v_dual_cndmask_b32 v30, v30, v7, s2 :: v_dual_cndmask_b32 v31, v31, v6, s2
	v_cmp_eq_u32_e64 s2, 3, v33
	v_dual_cndmask_b32 v30, v30, v9, s2 :: v_dual_cndmask_b32 v31, v31, v8, s2
	v_cmp_eq_u32_e64 s2, 4, v33
	s_delay_alu instid0(VALU_DEP_1) | instskip(SKIP_1) | instid1(VALU_DEP_1)
	v_dual_cndmask_b32 v30, v30, v11, s2 :: v_dual_cndmask_b32 v31, v31, v10, s2
	v_cmp_eq_u32_e64 s2, 5, v33
	v_dual_cndmask_b32 v30, v30, v13, s2 :: v_dual_cndmask_b32 v31, v31, v12, s2
	;; [unrolled: 5-line block ×4, first 2 shown]
	ds_load_b64 v[30:31], v32 offset:24
	v_cmp_eq_u32_e64 s2, 11, v33
	v_dual_cndmask_b32 v35, v35, v22, s3 :: v_dual_cndmask_b32 v34, v34, v23, s3
	s_delay_alu instid0(VALU_DEP_1) | instskip(SKIP_1) | instid1(VALU_DEP_1)
	v_dual_cndmask_b32 v36, v35, v24, s2 :: v_dual_cndmask_b32 v34, v34, v25, s2
	v_cmp_eq_u32_e64 s2, 12, v33
	v_dual_cndmask_b32 v35, v34, v27, s2 :: v_dual_cndmask_b32 v34, v36, v26, s2
	s_wait_dscnt 0x0
	s_delay_alu instid0(VALU_DEP_1)
	v_fmac_f64_e32 v[28:29], v[34:35], v[30:31]
	s_and_saveexec_b32 s3, s1
	s_cbranch_execz .LBB12_55
; %bb.48:
	v_or_b32_e32 v33, 4, v0
	s_mov_b32 s8, exec_lo
	s_delay_alu instid0(VALU_DEP_1) | instskip(NEXT) | instid1(VALU_DEP_1)
	v_cmp_eq_u32_e64 s1, 1, v33
	v_cndmask_b32_e64 v30, v3, v5, s1
	v_cmp_eq_u32_e64 s2, 10, v33
	v_cndmask_b32_e64 v31, v2, v4, s1
	v_cmp_eq_u32_e64 s1, 2, v33
	s_delay_alu instid0(VALU_DEP_1) | instskip(SKIP_1) | instid1(VALU_DEP_1)
	v_dual_cndmask_b32 v30, v30, v7, s1 :: v_dual_cndmask_b32 v31, v31, v6, s1
	v_cmp_eq_u32_e64 s1, 3, v33
	v_dual_cndmask_b32 v30, v30, v9, s1 :: v_dual_cndmask_b32 v31, v31, v8, s1
	v_cmp_eq_u32_e64 s1, 4, v33
	s_delay_alu instid0(VALU_DEP_1) | instskip(SKIP_1) | instid1(VALU_DEP_1)
	v_dual_cndmask_b32 v30, v30, v11, s1 :: v_dual_cndmask_b32 v31, v31, v10, s1
	v_cmp_eq_u32_e64 s1, 5, v33
	v_dual_cndmask_b32 v30, v30, v13, s1 :: v_dual_cndmask_b32 v31, v31, v12, s1
	;; [unrolled: 5-line block ×4, first 2 shown]
	ds_load_b64 v[30:31], v32 offset:32
	v_cmp_eq_u32_e64 s1, 11, v33
	v_dual_cndmask_b32 v35, v35, v22, s2 :: v_dual_cndmask_b32 v34, v34, v23, s2
	s_delay_alu instid0(VALU_DEP_1) | instskip(SKIP_1) | instid1(VALU_DEP_1)
	v_dual_cndmask_b32 v36, v35, v24, s1 :: v_dual_cndmask_b32 v34, v34, v25, s1
	v_cmp_eq_u32_e64 s1, 12, v33
	v_dual_cndmask_b32 v35, v34, v27, s1 :: v_dual_cndmask_b32 v34, v36, v26, s1
	s_wait_dscnt 0x0
	s_delay_alu instid0(VALU_DEP_1)
	v_fmac_f64_e32 v[28:29], v[34:35], v[30:31]
	v_cmpx_ne_u32_e32 3, v0
	s_cbranch_execz .LBB12_54
; %bb.49:
	v_add_nc_u32_e32 v33, 5, v0
	s_delay_alu instid0(VALU_DEP_1) | instskip(NEXT) | instid1(VALU_DEP_1)
	v_cmp_eq_u32_e64 s1, 1, v33
	v_cndmask_b32_e64 v30, v3, v5, s1
	v_cmp_eq_u32_e64 s2, 10, v33
	v_cndmask_b32_e64 v31, v2, v4, s1
	v_cmp_eq_u32_e64 s1, 2, v33
	s_delay_alu instid0(VALU_DEP_1) | instskip(SKIP_1) | instid1(VALU_DEP_1)
	v_dual_cndmask_b32 v30, v30, v7, s1 :: v_dual_cndmask_b32 v31, v31, v6, s1
	v_cmp_eq_u32_e64 s1, 3, v33
	v_dual_cndmask_b32 v30, v30, v9, s1 :: v_dual_cndmask_b32 v31, v31, v8, s1
	v_cmp_eq_u32_e64 s1, 4, v33
	s_delay_alu instid0(VALU_DEP_1) | instskip(SKIP_1) | instid1(VALU_DEP_1)
	v_dual_cndmask_b32 v30, v30, v11, s1 :: v_dual_cndmask_b32 v31, v31, v10, s1
	v_cmp_eq_u32_e64 s1, 5, v33
	v_dual_cndmask_b32 v30, v30, v13, s1 :: v_dual_cndmask_b32 v31, v31, v12, s1
	;; [unrolled: 5-line block ×4, first 2 shown]
	ds_load_b64 v[30:31], v32 offset:40
	v_cmp_eq_u32_e64 s1, 11, v33
	v_dual_cndmask_b32 v35, v35, v22, s2 :: v_dual_cndmask_b32 v34, v34, v23, s2
	s_delay_alu instid0(VALU_DEP_1) | instskip(SKIP_1) | instid1(VALU_DEP_1)
	v_dual_cndmask_b32 v36, v35, v24, s1 :: v_dual_cndmask_b32 v34, v34, v25, s1
	v_cmp_eq_u32_e64 s1, 12, v33
	v_dual_cndmask_b32 v35, v34, v27, s1 :: v_dual_cndmask_b32 v34, v36, v26, s1
	s_wait_dscnt 0x0
	s_delay_alu instid0(VALU_DEP_1)
	v_fmac_f64_e32 v[28:29], v[34:35], v[30:31]
	s_and_saveexec_b32 s2, vcc_lo
	s_cbranch_execz .LBB12_53
; %bb.50:
	v_or_b32_e32 v30, 6, v0
	s_delay_alu instid0(VALU_DEP_1) | instskip(SKIP_3) | instid1(VALU_DEP_3)
	v_cmp_eq_u32_e32 vcc_lo, 1, v30
	v_dual_cndmask_b32 v31, v3, v5, vcc_lo :: v_dual_cndmask_b32 v33, v2, v4, vcc_lo
	v_cmp_eq_u32_e32 vcc_lo, 2, v30
	v_cmp_eq_u32_e64 s1, 10, v30
	v_dual_cndmask_b32 v31, v31, v7, vcc_lo :: v_dual_cndmask_b32 v33, v33, v6, vcc_lo
	v_cmp_eq_u32_e32 vcc_lo, 3, v30
	s_delay_alu instid0(VALU_DEP_2) | instskip(SKIP_1) | instid1(VALU_DEP_2)
	v_dual_cndmask_b32 v31, v31, v9, vcc_lo :: v_dual_cndmask_b32 v33, v33, v8, vcc_lo
	v_cmp_eq_u32_e32 vcc_lo, 4, v30
	v_dual_cndmask_b32 v31, v31, v11, vcc_lo :: v_dual_cndmask_b32 v33, v33, v10, vcc_lo
	v_cmp_eq_u32_e32 vcc_lo, 5, v30
	s_delay_alu instid0(VALU_DEP_2) | instskip(SKIP_1) | instid1(VALU_DEP_2)
	v_dual_cndmask_b32 v31, v31, v13, vcc_lo :: v_dual_cndmask_b32 v33, v33, v12, vcc_lo
	v_cmp_eq_u32_e32 vcc_lo, 6, v30
	;; [unrolled: 5-line block ×3, first 2 shown]
	v_dual_cndmask_b32 v19, v31, v19 :: v_dual_cndmask_b32 v18, v33, v18
	v_cmp_eq_u32_e32 vcc_lo, 9, v30
	s_delay_alu instid0(VALU_DEP_2) | instskip(SKIP_3) | instid1(VALU_DEP_1)
	v_dual_cndmask_b32 v31, v19, v21, vcc_lo :: v_dual_cndmask_b32 v33, v18, v20, vcc_lo
	ds_load_b64 v[18:19], v32 offset:48
	v_cmp_eq_u32_e32 vcc_lo, 11, v30
	v_dual_cndmask_b32 v31, v31, v23, s1 :: v_dual_cndmask_b32 v33, v33, v22, s1
	v_dual_cndmask_b32 v31, v31, v25, vcc_lo :: v_dual_cndmask_b32 v33, v33, v24, vcc_lo
	v_cmp_eq_u32_e32 vcc_lo, 12, v30
	s_delay_alu instid0(VALU_DEP_2) | instskip(SKIP_1) | instid1(VALU_DEP_1)
	v_dual_cndmask_b32 v31, v31, v27 :: v_dual_cndmask_b32 v30, v33, v26
	s_wait_dscnt 0x0
	v_fmac_f64_e32 v[28:29], v[30:31], v[18:19]
	s_and_saveexec_b32 s1, s0
	s_cbranch_execz .LBB12_52
; %bb.51:
	ds_load_b64 v[18:19], v32 offset:56
	s_wait_dscnt 0x0
	v_fmac_f64_e32 v[28:29], v[16:17], v[18:19]
.LBB12_52:
	s_or_b32 exec_lo, exec_lo, s1
.LBB12_53:
	s_delay_alu instid0(SALU_CYCLE_1)
	s_or_b32 exec_lo, exec_lo, s2
.LBB12_54:
	s_delay_alu instid0(SALU_CYCLE_1)
	s_or_b32 exec_lo, exec_lo, s8
.LBB12_55:
	s_delay_alu instid0(SALU_CYCLE_1)
	s_or_b32 exec_lo, exec_lo, s3
.LBB12_56:
	s_delay_alu instid0(SALU_CYCLE_1)
	s_or_b32 exec_lo, exec_lo, s7
.LBB12_57:
	s_delay_alu instid0(SALU_CYCLE_1)
	s_or_b32 exec_lo, exec_lo, s4
.LBB12_58:
	s_delay_alu instid0(SALU_CYCLE_1)
	s_or_b32 exec_lo, exec_lo, s6
	v_mov_b32_e32 v18, 0
	ds_load_b64 v[18:19], v18 offset:64
	s_wait_dscnt 0x0
	v_mul_f64_e32 v[18:19], v[28:29], v[18:19]
.LBB12_59:
	s_or_b32 exec_lo, exec_lo, s5
	s_delay_alu instid0(SALU_CYCLE_1)
	s_mov_b32 s1, exec_lo
	s_barrier_signal -1
	s_barrier_wait -1
	ds_store_b64 v32, v[20:21]
	s_wait_dscnt 0x0
	s_barrier_signal -1
	s_barrier_wait -1
	v_cmpx_gt_u32_e32 9, v0
	s_cbranch_execz .LBB12_63
; %bb.60:
	v_mov_b64_e32 v[28:29], 0
	v_mov_b64_e32 v[30:31], v[0:1]
	v_lshl_add_u32 v33, v0, 3, 0x70
	s_mov_b32 s2, 0
.LBB12_61:                              ; =>This Inner Loop Header: Depth=1
	s_delay_alu instid0(VALU_DEP_2) | instskip(SKIP_3) | instid1(VALU_DEP_2)
	v_cmp_eq_u32_e32 vcc_lo, 1, v30
	v_cmp_eq_u32_e64 s0, 2, v30
	v_dual_cndmask_b32 v34, v3, v5 :: v_dual_cndmask_b32 v35, v2, v4
	v_cmp_eq_u32_e32 vcc_lo, 3, v30
	v_dual_cndmask_b32 v34, v34, v7, s0 :: v_dual_cndmask_b32 v35, v35, v6, s0
	v_cmp_eq_u32_e64 s0, 4, v30
	s_delay_alu instid0(VALU_DEP_2) | instskip(SKIP_1) | instid1(VALU_DEP_2)
	v_dual_cndmask_b32 v34, v34, v9 :: v_dual_cndmask_b32 v35, v35, v8
	v_cmp_eq_u32_e32 vcc_lo, 5, v30
	v_dual_cndmask_b32 v34, v34, v11, s0 :: v_dual_cndmask_b32 v35, v35, v10, s0
	v_cmp_eq_u32_e64 s0, 6, v30
	s_delay_alu instid0(VALU_DEP_2) | instskip(SKIP_1) | instid1(VALU_DEP_2)
	;; [unrolled: 5-line block ×3, first 2 shown]
	v_dual_cndmask_b32 v34, v34, v17 :: v_dual_cndmask_b32 v35, v35, v16
	v_cmp_eq_u32_e32 vcc_lo, 9, v30
	v_dual_cndmask_b32 v36, v34, v19, s0 :: v_dual_cndmask_b32 v37, v35, v18, s0
	ds_load_b64 v[34:35], v33
	v_cmp_eq_u32_e64 s0, 10, v30
	v_add_nc_u32_e32 v33, 8, v33
	v_dual_cndmask_b32 v36, v36, v21 :: v_dual_cndmask_b32 v37, v37, v20
	v_cmp_eq_u32_e32 vcc_lo, 11, v30
	s_delay_alu instid0(VALU_DEP_2) | instskip(SKIP_2) | instid1(VALU_DEP_3)
	v_dual_cndmask_b32 v36, v36, v23, s0 :: v_dual_cndmask_b32 v37, v37, v22, s0
	v_cmp_eq_u32_e64 s0, 12, v30
	v_add_nc_u64_e32 v[30:31], 1, v[30:31]
	v_dual_cndmask_b32 v36, v36, v25, vcc_lo :: v_dual_cndmask_b32 v38, v37, v24, vcc_lo
	s_delay_alu instid0(VALU_DEP_1) | instskip(SKIP_1) | instid1(VALU_DEP_1)
	v_dual_cndmask_b32 v37, v36, v27, s0 :: v_dual_cndmask_b32 v36, v38, v26, s0
	s_wait_dscnt 0x0
	v_fmac_f64_e32 v[28:29], v[36:37], v[34:35]
	s_delay_alu instid0(VALU_DEP_4) | instskip(NEXT) | instid1(VALU_DEP_1)
	v_add_nc_u32_e32 v34, -1, v30
	v_cmp_lt_u32_e32 vcc_lo, 7, v34
	s_or_b32 s2, vcc_lo, s2
	s_delay_alu instid0(SALU_CYCLE_1)
	s_and_not1_b32 exec_lo, exec_lo, s2
	s_cbranch_execnz .LBB12_61
; %bb.62:
	s_or_b32 exec_lo, exec_lo, s2
	v_mov_b32_e32 v20, 0
	ds_load_b64 v[20:21], v20 offset:72
	s_wait_dscnt 0x0
	v_mul_f64_e32 v[20:21], v[28:29], v[20:21]
.LBB12_63:
	s_or_b32 exec_lo, exec_lo, s1
	s_delay_alu instid0(SALU_CYCLE_1)
	s_mov_b32 s1, exec_lo
	s_barrier_signal -1
	s_barrier_wait -1
	ds_store_b64 v32, v[22:23]
	s_wait_dscnt 0x0
	s_barrier_signal -1
	s_barrier_wait -1
	v_cmpx_gt_u32_e32 10, v0
	s_cbranch_execz .LBB12_67
; %bb.64:
	v_mov_b64_e32 v[28:29], 0
	v_mov_b64_e32 v[30:31], v[0:1]
	v_lshl_add_u32 v33, v0, 3, 0x70
	s_mov_b32 s2, 0
.LBB12_65:                              ; =>This Inner Loop Header: Depth=1
	s_delay_alu instid0(VALU_DEP_2) | instskip(SKIP_3) | instid1(VALU_DEP_2)
	v_cmp_eq_u32_e32 vcc_lo, 1, v30
	v_cmp_eq_u32_e64 s0, 2, v30
	v_dual_cndmask_b32 v34, v3, v5 :: v_dual_cndmask_b32 v35, v2, v4
	v_cmp_eq_u32_e32 vcc_lo, 3, v30
	v_dual_cndmask_b32 v34, v34, v7, s0 :: v_dual_cndmask_b32 v35, v35, v6, s0
	v_cmp_eq_u32_e64 s0, 4, v30
	s_delay_alu instid0(VALU_DEP_2) | instskip(SKIP_1) | instid1(VALU_DEP_2)
	v_dual_cndmask_b32 v34, v34, v9 :: v_dual_cndmask_b32 v35, v35, v8
	v_cmp_eq_u32_e32 vcc_lo, 5, v30
	v_dual_cndmask_b32 v34, v34, v11, s0 :: v_dual_cndmask_b32 v35, v35, v10, s0
	v_cmp_eq_u32_e64 s0, 6, v30
	s_delay_alu instid0(VALU_DEP_2) | instskip(SKIP_1) | instid1(VALU_DEP_2)
	;; [unrolled: 5-line block ×3, first 2 shown]
	v_dual_cndmask_b32 v34, v34, v17 :: v_dual_cndmask_b32 v35, v35, v16
	v_cmp_eq_u32_e32 vcc_lo, 9, v30
	v_dual_cndmask_b32 v36, v34, v19, s0 :: v_dual_cndmask_b32 v37, v35, v18, s0
	ds_load_b64 v[34:35], v33
	v_cmp_eq_u32_e64 s0, 10, v30
	v_add_nc_u32_e32 v33, 8, v33
	v_dual_cndmask_b32 v36, v36, v21 :: v_dual_cndmask_b32 v37, v37, v20
	v_cmp_eq_u32_e32 vcc_lo, 11, v30
	s_delay_alu instid0(VALU_DEP_2) | instskip(SKIP_2) | instid1(VALU_DEP_3)
	v_dual_cndmask_b32 v36, v36, v23, s0 :: v_dual_cndmask_b32 v37, v37, v22, s0
	v_cmp_eq_u32_e64 s0, 12, v30
	v_add_nc_u64_e32 v[30:31], 1, v[30:31]
	v_dual_cndmask_b32 v36, v36, v25, vcc_lo :: v_dual_cndmask_b32 v38, v37, v24, vcc_lo
	s_delay_alu instid0(VALU_DEP_1) | instskip(SKIP_1) | instid1(VALU_DEP_1)
	v_dual_cndmask_b32 v37, v36, v27, s0 :: v_dual_cndmask_b32 v36, v38, v26, s0
	s_wait_dscnt 0x0
	v_fmac_f64_e32 v[28:29], v[36:37], v[34:35]
	s_delay_alu instid0(VALU_DEP_4) | instskip(NEXT) | instid1(VALU_DEP_1)
	v_add_nc_u32_e32 v34, -1, v30
	v_cmp_lt_u32_e32 vcc_lo, 8, v34
	s_or_b32 s2, vcc_lo, s2
	s_delay_alu instid0(SALU_CYCLE_1)
	s_and_not1_b32 exec_lo, exec_lo, s2
	s_cbranch_execnz .LBB12_65
; %bb.66:
	s_or_b32 exec_lo, exec_lo, s2
	v_mov_b32_e32 v22, 0
	ds_load_b64 v[22:23], v22 offset:80
	s_wait_dscnt 0x0
	v_mul_f64_e32 v[22:23], v[28:29], v[22:23]
.LBB12_67:
	s_or_b32 exec_lo, exec_lo, s1
	s_delay_alu instid0(SALU_CYCLE_1)
	s_mov_b32 s1, exec_lo
	s_barrier_signal -1
	s_barrier_wait -1
	ds_store_b64 v32, v[24:25]
	s_wait_dscnt 0x0
	s_barrier_signal -1
	s_barrier_wait -1
	v_cmpx_gt_u32_e32 11, v0
	s_cbranch_execz .LBB12_71
; %bb.68:
	v_mov_b64_e32 v[28:29], 0
	v_mov_b64_e32 v[30:31], v[0:1]
	v_lshl_add_u32 v33, v0, 3, 0x70
	s_mov_b32 s2, 0
.LBB12_69:                              ; =>This Inner Loop Header: Depth=1
	s_delay_alu instid0(VALU_DEP_2) | instskip(SKIP_3) | instid1(VALU_DEP_2)
	v_cmp_eq_u32_e32 vcc_lo, 1, v30
	v_cmp_eq_u32_e64 s0, 2, v30
	v_dual_cndmask_b32 v34, v3, v5 :: v_dual_cndmask_b32 v35, v2, v4
	v_cmp_eq_u32_e32 vcc_lo, 3, v30
	v_dual_cndmask_b32 v34, v34, v7, s0 :: v_dual_cndmask_b32 v35, v35, v6, s0
	v_cmp_eq_u32_e64 s0, 4, v30
	s_delay_alu instid0(VALU_DEP_2) | instskip(SKIP_1) | instid1(VALU_DEP_2)
	v_dual_cndmask_b32 v34, v34, v9 :: v_dual_cndmask_b32 v35, v35, v8
	v_cmp_eq_u32_e32 vcc_lo, 5, v30
	v_dual_cndmask_b32 v34, v34, v11, s0 :: v_dual_cndmask_b32 v35, v35, v10, s0
	v_cmp_eq_u32_e64 s0, 6, v30
	s_delay_alu instid0(VALU_DEP_2) | instskip(SKIP_1) | instid1(VALU_DEP_2)
	;; [unrolled: 5-line block ×3, first 2 shown]
	v_dual_cndmask_b32 v34, v34, v17 :: v_dual_cndmask_b32 v35, v35, v16
	v_cmp_eq_u32_e32 vcc_lo, 9, v30
	v_dual_cndmask_b32 v36, v34, v19, s0 :: v_dual_cndmask_b32 v37, v35, v18, s0
	ds_load_b64 v[34:35], v33
	v_cmp_eq_u32_e64 s0, 10, v30
	v_add_nc_u32_e32 v33, 8, v33
	v_dual_cndmask_b32 v36, v36, v21 :: v_dual_cndmask_b32 v37, v37, v20
	v_cmp_eq_u32_e32 vcc_lo, 11, v30
	s_delay_alu instid0(VALU_DEP_2) | instskip(SKIP_2) | instid1(VALU_DEP_3)
	v_dual_cndmask_b32 v36, v36, v23, s0 :: v_dual_cndmask_b32 v37, v37, v22, s0
	v_cmp_eq_u32_e64 s0, 12, v30
	v_add_nc_u64_e32 v[30:31], 1, v[30:31]
	v_dual_cndmask_b32 v36, v36, v25, vcc_lo :: v_dual_cndmask_b32 v38, v37, v24, vcc_lo
	s_delay_alu instid0(VALU_DEP_1) | instskip(SKIP_1) | instid1(VALU_DEP_1)
	v_dual_cndmask_b32 v37, v36, v27, s0 :: v_dual_cndmask_b32 v36, v38, v26, s0
	s_wait_dscnt 0x0
	v_fmac_f64_e32 v[28:29], v[36:37], v[34:35]
	s_delay_alu instid0(VALU_DEP_4) | instskip(NEXT) | instid1(VALU_DEP_1)
	v_add_nc_u32_e32 v34, -1, v30
	v_cmp_lt_u32_e32 vcc_lo, 9, v34
	s_or_b32 s2, vcc_lo, s2
	s_delay_alu instid0(SALU_CYCLE_1)
	s_and_not1_b32 exec_lo, exec_lo, s2
	s_cbranch_execnz .LBB12_69
; %bb.70:
	s_or_b32 exec_lo, exec_lo, s2
	v_mov_b32_e32 v24, 0
	ds_load_b64 v[24:25], v24 offset:88
	s_wait_dscnt 0x0
	v_mul_f64_e32 v[24:25], v[28:29], v[24:25]
.LBB12_71:
	s_or_b32 exec_lo, exec_lo, s1
	s_delay_alu instid0(SALU_CYCLE_1)
	s_mov_b32 s1, exec_lo
	s_barrier_signal -1
	s_barrier_wait -1
	ds_store_b64 v32, v[26:27]
	s_wait_dscnt 0x0
	s_barrier_signal -1
	s_barrier_wait -1
	v_cmpx_ne_u32_e32 12, v0
	s_cbranch_execz .LBB12_75
; %bb.72:
	v_mov_b64_e32 v[28:29], 0
	v_mov_b64_e32 v[30:31], v[0:1]
	v_lshl_add_u32 v32, v0, 3, 0x70
	s_mov_b32 s2, 0
.LBB12_73:                              ; =>This Inner Loop Header: Depth=1
	s_delay_alu instid0(VALU_DEP_2)
	v_cmp_eq_u32_e32 vcc_lo, 1, v30
	v_cmp_eq_u32_e64 s0, 2, v30
	ds_load_b64 v[34:35], v32
	v_dual_cndmask_b32 v1, v3, v5 :: v_dual_add_nc_u32 v32, 8, v32
	v_cndmask_b32_e32 v33, v2, v4, vcc_lo
	v_cmp_eq_u32_e32 vcc_lo, 3, v30
	s_delay_alu instid0(VALU_DEP_3) | instskip(NEXT) | instid1(VALU_DEP_3)
	v_cndmask_b32_e64 v1, v1, v7, s0
	v_cndmask_b32_e64 v33, v33, v6, s0
	v_cmp_eq_u32_e64 s0, 4, v30
	s_delay_alu instid0(VALU_DEP_3) | instskip(NEXT) | instid1(VALU_DEP_3)
	v_cndmask_b32_e32 v1, v1, v9, vcc_lo
	v_cndmask_b32_e32 v33, v33, v8, vcc_lo
	v_cmp_eq_u32_e32 vcc_lo, 5, v30
	s_delay_alu instid0(VALU_DEP_3) | instskip(NEXT) | instid1(VALU_DEP_3)
	v_cndmask_b32_e64 v1, v1, v11, s0
	v_cndmask_b32_e64 v33, v33, v10, s0
	v_cmp_eq_u32_e64 s0, 6, v30
	s_delay_alu instid0(VALU_DEP_3) | instskip(NEXT) | instid1(VALU_DEP_3)
	v_cndmask_b32_e32 v1, v1, v13, vcc_lo
	v_cndmask_b32_e32 v33, v33, v12, vcc_lo
	v_cmp_eq_u32_e32 vcc_lo, 7, v30
	s_delay_alu instid0(VALU_DEP_3) | instskip(NEXT) | instid1(VALU_DEP_3)
	v_cndmask_b32_e64 v1, v1, v15, s0
	v_cndmask_b32_e64 v33, v33, v14, s0
	v_cmp_eq_u32_e64 s0, 8, v30
	s_delay_alu instid0(VALU_DEP_3) | instskip(NEXT) | instid1(VALU_DEP_3)
	v_cndmask_b32_e32 v1, v1, v17, vcc_lo
	v_cndmask_b32_e32 v33, v33, v16, vcc_lo
	v_cmp_eq_u32_e32 vcc_lo, 9, v30
	s_delay_alu instid0(VALU_DEP_3) | instskip(NEXT) | instid1(VALU_DEP_3)
	v_cndmask_b32_e64 v1, v1, v19, s0
	v_cndmask_b32_e64 v33, v33, v18, s0
	v_cmp_eq_u32_e64 s0, 10, v30
	s_delay_alu instid0(VALU_DEP_3) | instskip(NEXT) | instid1(VALU_DEP_3)
	v_cndmask_b32_e32 v1, v1, v21, vcc_lo
	v_cndmask_b32_e32 v33, v33, v20, vcc_lo
	v_cmp_eq_u32_e32 vcc_lo, 11, v30
	s_delay_alu instid0(VALU_DEP_3) | instskip(NEXT) | instid1(VALU_DEP_3)
	v_cndmask_b32_e64 v1, v1, v23, s0
	v_cndmask_b32_e64 v33, v33, v22, s0
	v_cmp_eq_u32_e64 s0, 12, v30
	v_add_nc_u64_e32 v[30:31], 1, v[30:31]
	s_delay_alu instid0(VALU_DEP_4) | instskip(NEXT) | instid1(VALU_DEP_4)
	v_cndmask_b32_e32 v1, v1, v25, vcc_lo
	v_cndmask_b32_e32 v33, v33, v24, vcc_lo
	s_delay_alu instid0(VALU_DEP_2) | instskip(NEXT) | instid1(VALU_DEP_2)
	v_cndmask_b32_e64 v37, v1, v27, s0
	v_cndmask_b32_e64 v36, v33, v26, s0
	v_add_nc_u32_e32 v1, -1, v30
	s_wait_dscnt 0x0
	s_delay_alu instid0(VALU_DEP_2) | instskip(NEXT) | instid1(VALU_DEP_2)
	v_fmac_f64_e32 v[28:29], v[36:37], v[34:35]
	v_cmp_lt_u32_e32 vcc_lo, 10, v1
	s_or_b32 s2, vcc_lo, s2
	s_delay_alu instid0(SALU_CYCLE_1)
	s_and_not1_b32 exec_lo, exec_lo, s2
	s_cbranch_execnz .LBB12_73
; %bb.74:
	s_or_b32 exec_lo, exec_lo, s2
	v_mov_b32_e32 v1, 0
	ds_load_b64 v[26:27], v1 offset:96
	s_wait_dscnt 0x0
	v_mul_f64_e32 v[26:27], v[28:29], v[26:27]
.LBB12_75:
	s_or_b32 exec_lo, exec_lo, s1
	s_barrier_signal -1
	s_barrier_wait -1
	s_cbranch_execnz .LBB12_15
	s_branch .LBB12_16
.LBB12_76:
	s_wait_xcnt 0x0
	v_lshl_add_u32 v1, v0, 3, 0x70
	s_mov_b32 s0, exec_lo
	v_cmpx_eq_u32_e32 12, v0
	s_cbranch_execz .LBB12_78
; %bb.77:
	v_dual_mov_b32 v50, 0 :: v_dual_mov_b32 v48, v22
	v_dual_mov_b32 v28, v2 :: v_dual_mov_b32 v29, v3
	v_dual_mov_b32 v34, v8 :: v_dual_mov_b32 v35, v9
	v_dual_mov_b32 v36, v10 :: v_dual_mov_b32 v37, v11
	v_dual_mov_b32 v38, v12 :: v_dual_mov_b32 v39, v13
	v_dual_mov_b32 v40, v14 :: v_dual_mov_b32 v41, v15
	v_dual_mov_b32 v42, v16 :: v_dual_mov_b32 v43, v17
	v_dual_mov_b32 v44, v18 :: v_dual_mov_b32 v45, v19
	v_dual_mov_b32 v46, v20 :: v_dual_mov_b32 v47, v21
	v_dual_mov_b32 v49, v23 :: v_dual_mov_b32 v52, v26
	v_dual_mov_b32 v53, v27 :: v_dual_mov_b32 v51, v50
	v_dual_mov_b32 v30, v4 :: v_dual_mov_b32 v31, v5
	v_dual_mov_b32 v32, v6 :: v_dual_mov_b32 v33, v7
	ds_store_b64 v1, v[24:25]
	v_mov_b64_e32 v[2:3], v[28:29]
	v_mov_b64_e32 v[4:5], v[30:31]
	v_mov_b64_e32 v[6:7], v[32:33]
	v_mov_b64_e32 v[8:9], v[34:35]
	v_mov_b64_e32 v[10:11], v[36:37]
	v_mov_b64_e32 v[12:13], v[38:39]
	v_mov_b64_e32 v[14:15], v[40:41]
	v_mov_b64_e32 v[16:17], v[42:43]
	v_mov_b64_e32 v[18:19], v[44:45]
	v_mov_b64_e32 v[20:21], v[46:47]
	v_mov_b64_e32 v[22:23], v[48:49]
	v_mov_b64_e32 v[24:25], v[50:51]
	v_mov_b64_e32 v[26:27], v[52:53]
	v_mov_b64_e32 v[28:29], v[54:55]
	v_mov_b64_e32 v[30:31], v[56:57]
	v_mov_b64_e32 v[32:33], v[58:59]
.LBB12_78:
	s_or_b32 exec_lo, exec_lo, s0
	v_mov_b32_e32 v48, 0
	s_wait_storecnt_dscnt 0x0
	s_barrier_signal -1
	s_barrier_wait -1
	ds_load_b64 v[28:29], v48 offset:208
	s_mov_b32 s0, exec_lo
	s_wait_dscnt 0x0
	v_fma_f64 v[28:29], v[26:27], v[28:29], 0
	s_delay_alu instid0(VALU_DEP_1)
	v_add_f64_e64 v[24:25], v[24:25], -v[28:29]
	v_cmpx_lt_u32_e32 10, v0
	s_cbranch_execz .LBB12_80
; %bb.79:
	v_dual_mov_b32 v28, v2 :: v_dual_mov_b32 v29, v3
	v_dual_mov_b32 v34, v8 :: v_dual_mov_b32 v35, v9
	;; [unrolled: 1-line block ×12, first 2 shown]
	v_mov_b32_e32 v33, v7
	ds_store_b64 v1, v[22:23]
	v_mov_b64_e32 v[2:3], v[28:29]
	v_mov_b64_e32 v[4:5], v[30:31]
	;; [unrolled: 1-line block ×16, first 2 shown]
.LBB12_80:
	s_or_b32 exec_lo, exec_lo, s0
	s_wait_dscnt 0x0
	s_barrier_signal -1
	s_barrier_wait -1
	ds_load_2addr_b64 v[28:31], v48 offset0:25 offset1:26
	s_mov_b32 s0, exec_lo
	s_wait_dscnt 0x0
	v_fma_f64 v[28:29], v[24:25], v[28:29], 0
	s_delay_alu instid0(VALU_DEP_1) | instskip(NEXT) | instid1(VALU_DEP_1)
	v_fmac_f64_e32 v[28:29], v[26:27], v[30:31]
	v_add_f64_e64 v[22:23], v[22:23], -v[28:29]
	v_cmpx_lt_u32_e32 9, v0
	s_cbranch_execz .LBB12_82
; %bb.81:
	v_dual_mov_b32 v46, 0 :: v_dual_mov_b32 v28, v2
	v_dual_mov_b32 v29, v3 :: v_dual_mov_b32 v30, v4
	;; [unrolled: 1-line block ×13, first 2 shown]
	ds_store_b64 v1, v[20:21]
	v_mov_b64_e32 v[2:3], v[28:29]
	v_mov_b64_e32 v[4:5], v[30:31]
	;; [unrolled: 1-line block ×16, first 2 shown]
.LBB12_82:
	s_or_b32 exec_lo, exec_lo, s0
	v_mov_b32_e32 v44, 0
	s_wait_dscnt 0x0
	s_barrier_signal -1
	s_barrier_wait -1
	ds_load_b128 v[28:31], v44 offset:192
	ds_load_b64 v[32:33], v44 offset:208
	s_mov_b32 s0, exec_lo
	s_wait_dscnt 0x1
	v_fma_f64 v[28:29], v[22:23], v[28:29], 0
	s_delay_alu instid0(VALU_DEP_1) | instskip(SKIP_1) | instid1(VALU_DEP_1)
	v_fmac_f64_e32 v[28:29], v[24:25], v[30:31]
	s_wait_dscnt 0x0
	v_fmac_f64_e32 v[28:29], v[26:27], v[32:33]
	s_delay_alu instid0(VALU_DEP_1)
	v_add_f64_e64 v[20:21], v[20:21], -v[28:29]
	v_cmpx_lt_u32_e32 8, v0
	s_cbranch_execz .LBB12_84
; %bb.83:
	v_dual_mov_b32 v28, v2 :: v_dual_mov_b32 v29, v3
	v_dual_mov_b32 v34, v8 :: v_dual_mov_b32 v35, v9
	;; [unrolled: 1-line block ×12, first 2 shown]
	v_mov_b32_e32 v33, v7
	ds_store_b64 v1, v[18:19]
	v_mov_b64_e32 v[2:3], v[28:29]
	v_mov_b64_e32 v[4:5], v[30:31]
	;; [unrolled: 1-line block ×16, first 2 shown]
.LBB12_84:
	s_or_b32 exec_lo, exec_lo, s0
	s_wait_dscnt 0x0
	s_barrier_signal -1
	s_barrier_wait -1
	ds_load_2addr_b64 v[28:31], v44 offset0:23 offset1:24
	ds_load_2addr_b64 v[32:35], v44 offset0:25 offset1:26
	s_mov_b32 s0, exec_lo
	s_wait_dscnt 0x1
	v_fma_f64 v[28:29], v[20:21], v[28:29], 0
	s_delay_alu instid0(VALU_DEP_1) | instskip(SKIP_1) | instid1(VALU_DEP_1)
	v_fmac_f64_e32 v[28:29], v[22:23], v[30:31]
	s_wait_dscnt 0x0
	v_fmac_f64_e32 v[28:29], v[24:25], v[32:33]
	s_delay_alu instid0(VALU_DEP_1) | instskip(NEXT) | instid1(VALU_DEP_1)
	v_fmac_f64_e32 v[28:29], v[26:27], v[34:35]
	v_add_f64_e64 v[18:19], v[18:19], -v[28:29]
	v_cmpx_lt_u32_e32 7, v0
	s_cbranch_execz .LBB12_86
; %bb.85:
	v_dual_mov_b32 v42, 0 :: v_dual_mov_b32 v28, v2
	v_dual_mov_b32 v29, v3 :: v_dual_mov_b32 v30, v4
	;; [unrolled: 1-line block ×13, first 2 shown]
	ds_store_b64 v1, v[16:17]
	v_mov_b64_e32 v[2:3], v[28:29]
	v_mov_b64_e32 v[4:5], v[30:31]
	;; [unrolled: 1-line block ×16, first 2 shown]
.LBB12_86:
	s_or_b32 exec_lo, exec_lo, s0
	v_mov_b32_e32 v40, 0
	s_wait_dscnt 0x0
	s_barrier_signal -1
	s_barrier_wait -1
	ds_load_b128 v[28:31], v40 offset:176
	ds_load_b128 v[32:35], v40 offset:192
	s_mov_b32 s0, exec_lo
	s_wait_dscnt 0x1
	v_fma_f64 v[28:29], v[18:19], v[28:29], 0
	s_delay_alu instid0(VALU_DEP_1) | instskip(SKIP_3) | instid1(VALU_DEP_1)
	v_fmac_f64_e32 v[28:29], v[20:21], v[30:31]
	ds_load_b64 v[30:31], v40 offset:208
	s_wait_dscnt 0x1
	v_fmac_f64_e32 v[28:29], v[22:23], v[32:33]
	v_fmac_f64_e32 v[28:29], v[24:25], v[34:35]
	s_wait_dscnt 0x0
	s_delay_alu instid0(VALU_DEP_1) | instskip(NEXT) | instid1(VALU_DEP_1)
	v_fmac_f64_e32 v[28:29], v[26:27], v[30:31]
	v_add_f64_e64 v[16:17], v[16:17], -v[28:29]
	v_cmpx_lt_u32_e32 6, v0
	s_cbranch_execz .LBB12_88
; %bb.87:
	v_dual_mov_b32 v28, v2 :: v_dual_mov_b32 v29, v3
	v_dual_mov_b32 v34, v8 :: v_dual_mov_b32 v35, v9
	;; [unrolled: 1-line block ×12, first 2 shown]
	v_mov_b32_e32 v33, v7
	ds_store_b64 v1, v[14:15]
	v_mov_b64_e32 v[2:3], v[28:29]
	v_mov_b64_e32 v[4:5], v[30:31]
	;; [unrolled: 1-line block ×16, first 2 shown]
.LBB12_88:
	s_or_b32 exec_lo, exec_lo, s0
	s_wait_dscnt 0x0
	s_barrier_signal -1
	s_barrier_wait -1
	ds_load_2addr_b64 v[28:31], v40 offset0:21 offset1:22
	ds_load_2addr_b64 v[32:35], v40 offset0:23 offset1:24
	s_mov_b32 s0, exec_lo
	s_wait_dscnt 0x1
	v_fma_f64 v[36:37], v[16:17], v[28:29], 0
	s_delay_alu instid0(VALU_DEP_1) | instskip(SKIP_3) | instid1(VALU_DEP_1)
	v_fmac_f64_e32 v[36:37], v[18:19], v[30:31]
	ds_load_2addr_b64 v[28:31], v40 offset0:25 offset1:26
	s_wait_dscnt 0x1
	v_fmac_f64_e32 v[36:37], v[20:21], v[32:33]
	v_fmac_f64_e32 v[36:37], v[22:23], v[34:35]
	s_wait_dscnt 0x0
	s_delay_alu instid0(VALU_DEP_1) | instskip(NEXT) | instid1(VALU_DEP_1)
	v_fmac_f64_e32 v[36:37], v[24:25], v[28:29]
	v_fmac_f64_e32 v[36:37], v[26:27], v[30:31]
	s_delay_alu instid0(VALU_DEP_1)
	v_add_f64_e64 v[14:15], v[14:15], -v[36:37]
	v_cmpx_lt_u32_e32 5, v0
	s_cbranch_execz .LBB12_90
; %bb.89:
	v_dual_mov_b32 v38, 0 :: v_dual_mov_b32 v28, v2
	v_dual_mov_b32 v29, v3 :: v_dual_mov_b32 v30, v4
	;; [unrolled: 1-line block ×4, first 2 shown]
	s_delay_alu instid0(VALU_DEP_4)
	v_dual_mov_b32 v37, v11 :: v_dual_mov_b32 v39, v38
	v_dual_mov_b32 v40, v14 :: v_dual_mov_b32 v41, v15
	;; [unrolled: 1-line block ×9, first 2 shown]
	ds_store_b64 v1, v[12:13]
	v_mov_b64_e32 v[2:3], v[28:29]
	v_mov_b64_e32 v[4:5], v[30:31]
	v_mov_b64_e32 v[6:7], v[32:33]
	v_mov_b64_e32 v[8:9], v[34:35]
	v_mov_b64_e32 v[10:11], v[36:37]
	v_mov_b64_e32 v[12:13], v[38:39]
	v_mov_b64_e32 v[14:15], v[40:41]
	v_mov_b64_e32 v[16:17], v[42:43]
	v_mov_b64_e32 v[18:19], v[44:45]
	v_mov_b64_e32 v[20:21], v[46:47]
	v_mov_b64_e32 v[22:23], v[48:49]
	v_mov_b64_e32 v[24:25], v[50:51]
	v_mov_b64_e32 v[26:27], v[52:53]
	v_mov_b64_e32 v[28:29], v[54:55]
	v_mov_b64_e32 v[30:31], v[56:57]
	v_mov_b64_e32 v[32:33], v[58:59]
.LBB12_90:
	s_or_b32 exec_lo, exec_lo, s0
	v_mov_b32_e32 v36, 0
	s_wait_dscnt 0x0
	s_barrier_signal -1
	s_barrier_wait -1
	ds_load_b128 v[28:31], v36 offset:160
	ds_load_b128 v[32:35], v36 offset:176
	s_mov_b32 s0, exec_lo
	s_wait_dscnt 0x1
	v_fma_f64 v[38:39], v[14:15], v[28:29], 0
	s_delay_alu instid0(VALU_DEP_1) | instskip(SKIP_1) | instid1(VALU_DEP_1)
	v_fmac_f64_e32 v[38:39], v[16:17], v[30:31]
	s_wait_dscnt 0x0
	v_fmac_f64_e32 v[38:39], v[18:19], v[32:33]
	ds_load_b128 v[28:31], v36 offset:192
	ds_load_b64 v[32:33], v36 offset:208
	v_fmac_f64_e32 v[38:39], v[20:21], v[34:35]
	s_wait_dscnt 0x1
	s_delay_alu instid0(VALU_DEP_1) | instskip(NEXT) | instid1(VALU_DEP_1)
	v_fmac_f64_e32 v[38:39], v[22:23], v[28:29]
	v_fmac_f64_e32 v[38:39], v[24:25], v[30:31]
	s_wait_dscnt 0x0
	s_delay_alu instid0(VALU_DEP_1) | instskip(NEXT) | instid1(VALU_DEP_1)
	v_fmac_f64_e32 v[38:39], v[26:27], v[32:33]
	v_add_f64_e64 v[12:13], v[12:13], -v[38:39]
	v_cmpx_lt_u32_e32 4, v0
	s_cbranch_execz .LBB12_92
; %bb.91:
	v_dual_mov_b32 v28, v2 :: v_dual_mov_b32 v29, v3
	v_dual_mov_b32 v34, v8 :: v_dual_mov_b32 v35, v9
	s_delay_alu instid0(VALU_DEP_4)
	v_dual_mov_b32 v37, v36 :: v_dual_mov_b32 v38, v12
	v_dual_mov_b32 v39, v13 :: v_dual_mov_b32 v40, v14
	;; [unrolled: 1-line block ×10, first 2 shown]
	v_mov_b32_e32 v33, v7
	ds_store_b64 v1, v[10:11]
	v_mov_b64_e32 v[2:3], v[28:29]
	v_mov_b64_e32 v[4:5], v[30:31]
	;; [unrolled: 1-line block ×16, first 2 shown]
.LBB12_92:
	s_or_b32 exec_lo, exec_lo, s0
	s_wait_dscnt 0x0
	s_barrier_signal -1
	s_barrier_wait -1
	ds_load_2addr_b64 v[28:31], v36 offset0:19 offset1:20
	ds_load_2addr_b64 v[32:35], v36 offset0:21 offset1:22
	s_mov_b32 s0, exec_lo
	s_wait_dscnt 0x1
	v_fma_f64 v[38:39], v[12:13], v[28:29], 0
	s_delay_alu instid0(VALU_DEP_1) | instskip(SKIP_1) | instid1(VALU_DEP_1)
	v_fmac_f64_e32 v[38:39], v[14:15], v[30:31]
	s_wait_dscnt 0x0
	v_fmac_f64_e32 v[38:39], v[16:17], v[32:33]
	s_delay_alu instid0(VALU_DEP_1) | instskip(SKIP_4) | instid1(VALU_DEP_1)
	v_fmac_f64_e32 v[38:39], v[18:19], v[34:35]
	ds_load_2addr_b64 v[28:31], v36 offset0:23 offset1:24
	ds_load_2addr_b64 v[32:35], v36 offset0:25 offset1:26
	s_wait_dscnt 0x1
	v_fmac_f64_e32 v[38:39], v[20:21], v[28:29]
	v_fmac_f64_e32 v[38:39], v[22:23], v[30:31]
	s_wait_dscnt 0x0
	s_delay_alu instid0(VALU_DEP_1) | instskip(NEXT) | instid1(VALU_DEP_1)
	v_fmac_f64_e32 v[38:39], v[24:25], v[32:33]
	v_fmac_f64_e32 v[38:39], v[26:27], v[34:35]
	s_delay_alu instid0(VALU_DEP_1)
	v_add_f64_e64 v[10:11], v[10:11], -v[38:39]
	v_cmpx_lt_u32_e32 3, v0
	s_cbranch_execz .LBB12_94
; %bb.93:
	v_dual_mov_b32 v34, 0 :: v_dual_mov_b32 v28, v2
	v_dual_mov_b32 v29, v3 :: v_dual_mov_b32 v30, v4
	s_delay_alu instid0(VALU_DEP_2)
	v_dual_mov_b32 v33, v7 :: v_dual_mov_b32 v35, v34
	v_dual_mov_b32 v36, v10 :: v_dual_mov_b32 v37, v11
	;; [unrolled: 1-line block ×11, first 2 shown]
	ds_store_b64 v1, v[8:9]
	v_mov_b64_e32 v[2:3], v[28:29]
	v_mov_b64_e32 v[4:5], v[30:31]
	;; [unrolled: 1-line block ×16, first 2 shown]
.LBB12_94:
	s_or_b32 exec_lo, exec_lo, s0
	v_mov_b32_e32 v34, 0
	s_wait_dscnt 0x0
	s_barrier_signal -1
	s_barrier_wait -1
	ds_load_b128 v[28:31], v34 offset:144
	ds_load_b128 v[36:39], v34 offset:160
	s_mov_b32 s0, exec_lo
	s_wait_dscnt 0x1
	v_fma_f64 v[32:33], v[10:11], v[28:29], 0
	s_delay_alu instid0(VALU_DEP_1) | instskip(SKIP_1) | instid1(VALU_DEP_1)
	v_fmac_f64_e32 v[32:33], v[12:13], v[30:31]
	s_wait_dscnt 0x0
	v_fmac_f64_e32 v[32:33], v[14:15], v[36:37]
	s_delay_alu instid0(VALU_DEP_1)
	v_fmac_f64_e32 v[32:33], v[16:17], v[38:39]
	ds_load_b128 v[28:31], v34 offset:176
	ds_load_b128 v[36:39], v34 offset:192
	s_wait_dscnt 0x1
	v_fmac_f64_e32 v[32:33], v[18:19], v[28:29]
	ds_load_b64 v[28:29], v34 offset:208
	v_fmac_f64_e32 v[32:33], v[20:21], v[30:31]
	s_wait_dscnt 0x1
	s_delay_alu instid0(VALU_DEP_1) | instskip(NEXT) | instid1(VALU_DEP_1)
	v_fmac_f64_e32 v[32:33], v[22:23], v[36:37]
	v_fmac_f64_e32 v[32:33], v[24:25], v[38:39]
	s_wait_dscnt 0x0
	s_delay_alu instid0(VALU_DEP_1) | instskip(NEXT) | instid1(VALU_DEP_1)
	v_fmac_f64_e32 v[32:33], v[26:27], v[28:29]
	v_add_f64_e64 v[8:9], v[8:9], -v[32:33]
	v_cmpx_lt_u32_e32 2, v0
	s_cbranch_execz .LBB12_96
; %bb.95:
	v_dual_mov_b32 v30, v2 :: v_dual_mov_b32 v31, v3
	s_delay_alu instid0(VALU_DEP_3) | instskip(NEXT) | instid1(VALU_DEP_4)
	v_dual_mov_b32 v35, v34 :: v_dual_mov_b32 v36, v8
	v_dual_mov_b32 v37, v9 :: v_dual_mov_b32 v38, v10
	;; [unrolled: 1-line block ×12, first 2 shown]
	v_mov_b32_e32 v57, v7
	v_mov_b64_e32 v[2:3], v[30:31]
	s_delay_alu instid0(VALU_DEP_3)
	v_mov_b64_e32 v[4:5], v[32:33]
	v_mov_b64_e32 v[6:7], v[34:35]
	;; [unrolled: 1-line block ×15, first 2 shown]
	ds_store_b64 v1, v[56:57]
.LBB12_96:
	s_or_b32 exec_lo, exec_lo, s0
	s_wait_dscnt 0x0
	s_barrier_signal -1
	s_barrier_wait -1
	ds_load_2addr_b64 v[28:31], v34 offset0:17 offset1:18
	ds_load_2addr_b64 v[36:39], v34 offset0:19 offset1:20
	s_mov_b32 s0, exec_lo
	s_wait_dscnt 0x1
	v_fma_f64 v[32:33], v[8:9], v[28:29], 0
	s_delay_alu instid0(VALU_DEP_1) | instskip(SKIP_1) | instid1(VALU_DEP_1)
	v_fmac_f64_e32 v[32:33], v[10:11], v[30:31]
	s_wait_dscnt 0x0
	v_fmac_f64_e32 v[32:33], v[12:13], v[36:37]
	s_delay_alu instid0(VALU_DEP_1) | instskip(SKIP_4) | instid1(VALU_DEP_1)
	v_fmac_f64_e32 v[32:33], v[14:15], v[38:39]
	ds_load_2addr_b64 v[28:31], v34 offset0:21 offset1:22
	ds_load_2addr_b64 v[36:39], v34 offset0:23 offset1:24
	s_wait_dscnt 0x1
	v_fmac_f64_e32 v[32:33], v[16:17], v[28:29]
	v_fmac_f64_e32 v[32:33], v[18:19], v[30:31]
	ds_load_2addr_b64 v[28:31], v34 offset0:25 offset1:26
	s_wait_dscnt 0x1
	v_fmac_f64_e32 v[32:33], v[20:21], v[36:37]
	s_delay_alu instid0(VALU_DEP_1) | instskip(SKIP_1) | instid1(VALU_DEP_1)
	v_fmac_f64_e32 v[32:33], v[22:23], v[38:39]
	s_wait_dscnt 0x0
	v_fmac_f64_e32 v[32:33], v[24:25], v[28:29]
	s_delay_alu instid0(VALU_DEP_1) | instskip(NEXT) | instid1(VALU_DEP_1)
	v_fmac_f64_e32 v[32:33], v[26:27], v[30:31]
	v_add_f64_e64 v[6:7], v[6:7], -v[32:33]
	v_cmpx_lt_u32_e32 1, v0
	s_cbranch_execz .LBB12_98
; %bb.97:
	v_dual_mov_b32 v30, 0 :: v_dual_mov_b32 v28, v2
	s_delay_alu instid0(VALU_DEP_3)
	v_dual_mov_b32 v29, v3 :: v_dual_mov_b32 v32, v6
	v_dual_mov_b32 v34, v8 :: v_dual_mov_b32 v35, v9
	;; [unrolled: 1-line block ×13, first 2 shown]
	v_mov_b64_e32 v[2:3], v[28:29]
	s_delay_alu instid0(VALU_DEP_3) | instskip(NEXT) | instid1(VALU_DEP_4)
	v_mov_b64_e32 v[4:5], v[30:31]
	v_mov_b64_e32 v[6:7], v[32:33]
	;; [unrolled: 1-line block ×15, first 2 shown]
	ds_store_b64 v1, v[54:55]
.LBB12_98:
	s_or_b32 exec_lo, exec_lo, s0
	v_mov_b32_e32 v34, 0
	s_wait_dscnt 0x0
	s_barrier_signal -1
	s_barrier_wait -1
	ds_load_b128 v[28:31], v34 offset:128
	ds_load_b128 v[36:39], v34 offset:144
	v_dual_ashrrev_i32 v61, 31, v60 :: v_dual_ashrrev_i32 v63, 31, v62
	v_dual_ashrrev_i32 v65, 31, v64 :: v_dual_ashrrev_i32 v67, 31, v66
	;; [unrolled: 1-line block ×5, first 2 shown]
	v_ashrrev_i32_e32 v83, 31, v82
	s_mov_b32 s0, exec_lo
	s_wait_dscnt 0x1
	v_fma_f64 v[32:33], v[6:7], v[28:29], 0
	s_delay_alu instid0(VALU_DEP_1) | instskip(SKIP_1) | instid1(VALU_DEP_1)
	v_fmac_f64_e32 v[32:33], v[8:9], v[30:31]
	s_wait_dscnt 0x0
	v_fmac_f64_e32 v[32:33], v[10:11], v[36:37]
	s_delay_alu instid0(VALU_DEP_1) | instskip(SKIP_4) | instid1(VALU_DEP_1)
	v_fmac_f64_e32 v[32:33], v[12:13], v[38:39]
	ds_load_b128 v[28:31], v34 offset:160
	ds_load_b128 v[36:39], v34 offset:176
	s_wait_dscnt 0x1
	v_fmac_f64_e32 v[32:33], v[14:15], v[28:29]
	v_fmac_f64_e32 v[32:33], v[16:17], v[30:31]
	ds_load_b128 v[28:31], v34 offset:192
	s_wait_dscnt 0x1
	v_fmac_f64_e32 v[32:33], v[18:19], v[36:37]
	s_delay_alu instid0(VALU_DEP_1) | instskip(SKIP_1) | instid1(VALU_DEP_1)
	v_fmac_f64_e32 v[32:33], v[20:21], v[38:39]
	s_wait_dscnt 0x0
	v_fmac_f64_e32 v[32:33], v[22:23], v[28:29]
	ds_load_b64 v[28:29], v34 offset:208
	v_fmac_f64_e32 v[32:33], v[24:25], v[30:31]
	s_wait_dscnt 0x0
	s_delay_alu instid0(VALU_DEP_1) | instskip(NEXT) | instid1(VALU_DEP_1)
	v_fmac_f64_e32 v[32:33], v[26:27], v[28:29]
	v_add_f64_e64 v[4:5], v[4:5], -v[32:33]
	v_cmpx_ne_u32_e32 0, v0
	s_cbranch_execz .LBB12_100
; %bb.99:
	s_delay_alu instid0(VALU_DEP_2) | instskip(NEXT) | instid1(VALU_DEP_3)
	v_dual_mov_b32 v35, v34 :: v_dual_mov_b32 v36, v4
	v_dual_mov_b32 v37, v5 :: v_dual_mov_b32 v38, v6
	;; [unrolled: 1-line block ×13, first 2 shown]
	v_mov_b32_e32 v87, v3
	v_mov_b64_e32 v[2:3], v[34:35]
	v_mov_b64_e32 v[4:5], v[36:37]
	;; [unrolled: 1-line block ×16, first 2 shown]
	ds_store_b64 v1, v[86:87]
.LBB12_100:
	s_or_b32 exec_lo, exec_lo, s0
	s_wait_dscnt 0x0
	s_barrier_signal -1
	s_barrier_wait -1
	ds_load_2addr_b64 v[28:31], v34 offset0:15 offset1:16
	ds_load_2addr_b64 v[36:39], v34 offset0:17 offset1:18
	s_and_b32 vcc_lo, exec_lo, s22
	s_wait_dscnt 0x1
	v_fma_f64 v[0:1], v[4:5], v[28:29], 0
	s_delay_alu instid0(VALU_DEP_1) | instskip(SKIP_1) | instid1(VALU_DEP_1)
	v_fmac_f64_e32 v[0:1], v[6:7], v[30:31]
	s_wait_dscnt 0x0
	v_fmac_f64_e32 v[0:1], v[8:9], v[36:37]
	s_delay_alu instid0(VALU_DEP_1) | instskip(SKIP_4) | instid1(VALU_DEP_1)
	v_fmac_f64_e32 v[0:1], v[10:11], v[38:39]
	ds_load_2addr_b64 v[28:31], v34 offset0:19 offset1:20
	ds_load_2addr_b64 v[36:39], v34 offset0:21 offset1:22
	s_wait_dscnt 0x1
	v_fmac_f64_e32 v[0:1], v[12:13], v[28:29]
	v_fmac_f64_e32 v[0:1], v[14:15], v[30:31]
	ds_load_2addr_b64 v[28:31], v34 offset0:23 offset1:24
	ds_load_2addr_b64 v[32:35], v34 offset0:25 offset1:26
	s_wait_dscnt 0x2
	v_fmac_f64_e32 v[0:1], v[16:17], v[36:37]
	s_delay_alu instid0(VALU_DEP_1) | instskip(SKIP_1) | instid1(VALU_DEP_1)
	v_fmac_f64_e32 v[0:1], v[18:19], v[38:39]
	s_wait_dscnt 0x1
	v_fmac_f64_e32 v[0:1], v[20:21], v[28:29]
	s_delay_alu instid0(VALU_DEP_1) | instskip(SKIP_1) | instid1(VALU_DEP_1)
	v_fmac_f64_e32 v[0:1], v[22:23], v[30:31]
	s_wait_dscnt 0x0
	v_fmac_f64_e32 v[0:1], v[24:25], v[32:33]
	s_delay_alu instid0(VALU_DEP_1) | instskip(NEXT) | instid1(VALU_DEP_1)
	v_fmac_f64_e32 v[0:1], v[26:27], v[34:35]
	v_add_f64_e64 v[2:3], v[2:3], -v[0:1]
	s_cbranch_vccz .LBB12_125
; %bb.101:
	v_mov_b32_e32 v0, 0
	global_load_b32 v1, v0, s[16:17] offset:44
	s_wait_loadcnt 0x0
	v_readfirstlane_b32 s0, v1
	s_add_co_i32 s0, s0, -1
	s_delay_alu instid0(SALU_CYCLE_1)
	s_cmp_lg_u32 s0, 11
	s_cbranch_scc0 .LBB12_103
; %bb.102:
	s_lshl_b32 m0, s0, 1
	v_movrels_b32_e32 v1, v2
	v_movrels_b32_e32 v58, v3
	v_mov_b64_e32 v[56:57], v[32:33]
	v_mov_b64_e32 v[54:55], v[30:31]
	v_mov_b64_e32 v[52:53], v[28:29]
	v_mov_b64_e32 v[50:51], v[26:27]
	v_mov_b64_e32 v[48:49], v[24:25]
	v_mov_b64_e32 v[46:47], v[22:23]
	v_mov_b64_e32 v[44:45], v[20:21]
	v_mov_b64_e32 v[42:43], v[18:19]
	v_mov_b64_e32 v[40:41], v[16:17]
	v_mov_b64_e32 v[38:39], v[14:15]
	v_mov_b64_e32 v[36:37], v[12:13]
	v_mov_b64_e32 v[34:35], v[10:11]
	v_mov_b64_e32 v[32:33], v[8:9]
	v_mov_b64_e32 v[30:31], v[6:7]
	v_mov_b64_e32 v[28:29], v[4:5]
	v_mov_b64_e32 v[26:27], v[2:3]
	v_dual_mov_b32 v48, v1 :: v_dual_mov_b32 v49, v58
	s_delay_alu instid0(VALU_DEP_2) | instskip(NEXT) | instid1(VALU_DEP_3)
	v_movreld_b32_e32 v26, v24
	v_movreld_b32_e32 v27, v25
	v_mov_b64_e32 v[2:3], v[26:27]
	v_mov_b64_e32 v[4:5], v[28:29]
	v_mov_b64_e32 v[6:7], v[30:31]
	v_mov_b64_e32 v[8:9], v[32:33]
	v_mov_b64_e32 v[10:11], v[34:35]
	v_mov_b64_e32 v[12:13], v[36:37]
	v_mov_b64_e32 v[14:15], v[38:39]
	v_mov_b64_e32 v[16:17], v[40:41]
	v_mov_b64_e32 v[18:19], v[42:43]
	v_mov_b64_e32 v[20:21], v[44:45]
	v_mov_b64_e32 v[22:23], v[46:47]
	v_mov_b64_e32 v[24:25], v[48:49]
	v_mov_b64_e32 v[26:27], v[50:51]
	v_mov_b64_e32 v[28:29], v[52:53]
	v_mov_b64_e32 v[30:31], v[54:55]
	v_mov_b64_e32 v[32:33], v[56:57]
.LBB12_103:
	global_load_b32 v0, v0, s[16:17] offset:40
	s_wait_loadcnt 0x0
	v_readfirstlane_b32 s0, v0
	s_add_co_i32 s0, s0, -1
	s_delay_alu instid0(SALU_CYCLE_1)
	s_cmp_eq_u32 s0, 10
	s_cbranch_scc1 .LBB12_105
; %bb.104:
	s_lshl_b32 m0, s0, 1
	v_movrels_b32_e32 v0, v2
	v_movrels_b32_e32 v1, v3
	v_mov_b64_e32 v[54:55], v[32:33]
	v_mov_b64_e32 v[52:53], v[30:31]
	;; [unrolled: 1-line block ×16, first 2 shown]
	v_dual_mov_b32 v44, v0 :: v_dual_mov_b32 v45, v1
	s_delay_alu instid0(VALU_DEP_2) | instskip(NEXT) | instid1(VALU_DEP_3)
	v_movreld_b32_e32 v24, v22
	v_movreld_b32_e32 v25, v23
	v_mov_b64_e32 v[2:3], v[24:25]
	v_mov_b64_e32 v[4:5], v[26:27]
	;; [unrolled: 1-line block ×16, first 2 shown]
.LBB12_105:
	v_mov_b32_e32 v0, 0
	global_load_b32 v1, v0, s[16:17] offset:36
	s_wait_loadcnt 0x0
	v_readfirstlane_b32 s0, v1
	s_add_co_i32 s0, s0, -1
	s_delay_alu instid0(SALU_CYCLE_1)
	s_cmp_eq_u32 s0, 9
	s_cbranch_scc1 .LBB12_107
; %bb.106:
	s_lshl_b32 m0, s0, 1
	v_movrels_b32_e32 v1, v2
	v_movrels_b32_e32 v54, v3
	v_mov_b64_e32 v[52:53], v[32:33]
	v_mov_b64_e32 v[50:51], v[30:31]
	;; [unrolled: 1-line block ×16, first 2 shown]
	v_dual_mov_b32 v40, v1 :: v_dual_mov_b32 v41, v54
	s_delay_alu instid0(VALU_DEP_2) | instskip(NEXT) | instid1(VALU_DEP_3)
	v_movreld_b32_e32 v22, v20
	v_movreld_b32_e32 v23, v21
	v_mov_b64_e32 v[2:3], v[22:23]
	v_mov_b64_e32 v[4:5], v[24:25]
	;; [unrolled: 1-line block ×16, first 2 shown]
.LBB12_107:
	global_load_b32 v0, v0, s[16:17] offset:32
	s_wait_loadcnt 0x0
	v_readfirstlane_b32 s0, v0
	s_add_co_i32 s0, s0, -1
	s_delay_alu instid0(SALU_CYCLE_1)
	s_cmp_eq_u32 s0, 8
	s_cbranch_scc1 .LBB12_109
; %bb.108:
	s_lshl_b32 m0, s0, 1
	v_movrels_b32_e32 v0, v2
	v_movrels_b32_e32 v1, v3
	v_mov_b64_e32 v[50:51], v[32:33]
	v_mov_b64_e32 v[48:49], v[30:31]
	v_mov_b64_e32 v[46:47], v[28:29]
	v_mov_b64_e32 v[44:45], v[26:27]
	v_mov_b64_e32 v[42:43], v[24:25]
	v_mov_b64_e32 v[40:41], v[22:23]
	v_mov_b64_e32 v[38:39], v[20:21]
	v_mov_b64_e32 v[36:37], v[18:19]
	v_mov_b64_e32 v[34:35], v[16:17]
	v_mov_b64_e32 v[32:33], v[14:15]
	v_mov_b64_e32 v[30:31], v[12:13]
	v_mov_b64_e32 v[28:29], v[10:11]
	v_mov_b64_e32 v[26:27], v[8:9]
	v_mov_b64_e32 v[24:25], v[6:7]
	v_mov_b64_e32 v[22:23], v[4:5]
	v_mov_b64_e32 v[20:21], v[2:3]
	v_dual_mov_b32 v36, v0 :: v_dual_mov_b32 v37, v1
	s_delay_alu instid0(VALU_DEP_2) | instskip(NEXT) | instid1(VALU_DEP_3)
	v_movreld_b32_e32 v20, v18
	v_movreld_b32_e32 v21, v19
	v_mov_b64_e32 v[2:3], v[20:21]
	v_mov_b64_e32 v[4:5], v[22:23]
	;; [unrolled: 1-line block ×16, first 2 shown]
.LBB12_109:
	v_mov_b32_e32 v0, 0
	global_load_b32 v1, v0, s[16:17] offset:28
	s_wait_loadcnt 0x0
	v_readfirstlane_b32 s0, v1
	s_add_co_i32 s0, s0, -1
	s_delay_alu instid0(SALU_CYCLE_1)
	s_cmp_eq_u32 s0, 7
	s_cbranch_scc1 .LBB12_111
; %bb.110:
	s_lshl_b32 m0, s0, 1
	v_movrels_b32_e32 v1, v2
	v_movrels_b32_e32 v50, v3
	v_mov_b64_e32 v[48:49], v[32:33]
	v_mov_b64_e32 v[46:47], v[30:31]
	;; [unrolled: 1-line block ×16, first 2 shown]
	v_dual_mov_b32 v32, v1 :: v_dual_mov_b32 v33, v50
	s_delay_alu instid0(VALU_DEP_2) | instskip(NEXT) | instid1(VALU_DEP_3)
	v_movreld_b32_e32 v18, v16
	v_movreld_b32_e32 v19, v17
	v_mov_b64_e32 v[2:3], v[18:19]
	v_mov_b64_e32 v[4:5], v[20:21]
	;; [unrolled: 1-line block ×16, first 2 shown]
.LBB12_111:
	global_load_b32 v0, v0, s[16:17] offset:24
	s_wait_loadcnt 0x0
	v_readfirstlane_b32 s0, v0
	s_add_co_i32 s0, s0, -1
	s_delay_alu instid0(SALU_CYCLE_1)
	s_cmp_eq_u32 s0, 6
	s_cbranch_scc1 .LBB12_113
; %bb.112:
	s_lshl_b32 m0, s0, 1
	v_movrels_b32_e32 v0, v2
	v_movrels_b32_e32 v1, v3
	v_mov_b64_e32 v[46:47], v[32:33]
	v_mov_b64_e32 v[44:45], v[30:31]
	;; [unrolled: 1-line block ×16, first 2 shown]
	v_dual_mov_b32 v28, v0 :: v_dual_mov_b32 v29, v1
	s_delay_alu instid0(VALU_DEP_2) | instskip(NEXT) | instid1(VALU_DEP_3)
	v_movreld_b32_e32 v16, v14
	v_movreld_b32_e32 v17, v15
	v_mov_b64_e32 v[2:3], v[16:17]
	v_mov_b64_e32 v[4:5], v[18:19]
	;; [unrolled: 1-line block ×16, first 2 shown]
.LBB12_113:
	v_mov_b32_e32 v0, 0
	global_load_b32 v1, v0, s[16:17] offset:20
	s_wait_loadcnt 0x0
	v_readfirstlane_b32 s0, v1
	s_add_co_i32 s0, s0, -1
	s_delay_alu instid0(SALU_CYCLE_1)
	s_cmp_eq_u32 s0, 5
	s_cbranch_scc1 .LBB12_115
; %bb.114:
	s_lshl_b32 m0, s0, 1
	v_movrels_b32_e32 v1, v2
	v_movrels_b32_e32 v46, v3
	v_mov_b64_e32 v[44:45], v[32:33]
	v_mov_b64_e32 v[42:43], v[30:31]
	;; [unrolled: 1-line block ×16, first 2 shown]
	v_dual_mov_b32 v24, v1 :: v_dual_mov_b32 v25, v46
	s_delay_alu instid0(VALU_DEP_2) | instskip(NEXT) | instid1(VALU_DEP_3)
	v_movreld_b32_e32 v14, v12
	v_movreld_b32_e32 v15, v13
	v_mov_b64_e32 v[2:3], v[14:15]
	v_mov_b64_e32 v[4:5], v[16:17]
	;; [unrolled: 1-line block ×16, first 2 shown]
.LBB12_115:
	global_load_b32 v0, v0, s[16:17] offset:16
	s_wait_loadcnt 0x0
	v_readfirstlane_b32 s0, v0
	s_add_co_i32 s0, s0, -1
	s_delay_alu instid0(SALU_CYCLE_1)
	s_cmp_eq_u32 s0, 4
	s_cbranch_scc1 .LBB12_117
; %bb.116:
	s_lshl_b32 m0, s0, 1
	v_movrels_b32_e32 v0, v2
	v_movrels_b32_e32 v1, v3
	v_mov_b64_e32 v[42:43], v[32:33]
	v_mov_b64_e32 v[40:41], v[30:31]
	;; [unrolled: 1-line block ×16, first 2 shown]
	v_dual_mov_b32 v20, v0 :: v_dual_mov_b32 v21, v1
	s_delay_alu instid0(VALU_DEP_2) | instskip(NEXT) | instid1(VALU_DEP_3)
	v_movreld_b32_e32 v12, v10
	v_movreld_b32_e32 v13, v11
	v_mov_b64_e32 v[2:3], v[12:13]
	v_mov_b64_e32 v[4:5], v[14:15]
	;; [unrolled: 1-line block ×16, first 2 shown]
.LBB12_117:
	v_mov_b32_e32 v0, 0
	global_load_b32 v1, v0, s[16:17] offset:12
	s_wait_loadcnt 0x0
	v_readfirstlane_b32 s0, v1
	s_add_co_i32 s0, s0, -1
	s_delay_alu instid0(SALU_CYCLE_1)
	s_cmp_eq_u32 s0, 3
	s_cbranch_scc1 .LBB12_119
; %bb.118:
	s_lshl_b32 m0, s0, 1
	v_movrels_b32_e32 v1, v2
	v_movrels_b32_e32 v42, v3
	v_mov_b64_e32 v[40:41], v[32:33]
	v_mov_b64_e32 v[38:39], v[30:31]
	;; [unrolled: 1-line block ×16, first 2 shown]
	v_dual_mov_b32 v16, v1 :: v_dual_mov_b32 v17, v42
	s_delay_alu instid0(VALU_DEP_2) | instskip(NEXT) | instid1(VALU_DEP_3)
	v_movreld_b32_e32 v10, v8
	v_movreld_b32_e32 v11, v9
	v_mov_b64_e32 v[2:3], v[10:11]
	v_mov_b64_e32 v[4:5], v[12:13]
	;; [unrolled: 1-line block ×16, first 2 shown]
.LBB12_119:
	global_load_b32 v0, v0, s[16:17] offset:8
	s_wait_loadcnt 0x0
	v_readfirstlane_b32 s0, v0
	s_add_co_i32 s0, s0, -1
	s_delay_alu instid0(SALU_CYCLE_1)
	s_cmp_eq_u32 s0, 2
	s_cbranch_scc1 .LBB12_121
; %bb.120:
	s_lshl_b32 m0, s0, 1
	v_movrels_b32_e32 v0, v2
	v_movrels_b32_e32 v1, v3
	v_mov_b64_e32 v[38:39], v[32:33]
	v_mov_b64_e32 v[36:37], v[30:31]
	;; [unrolled: 1-line block ×16, first 2 shown]
	v_dual_mov_b32 v12, v0 :: v_dual_mov_b32 v13, v1
	s_delay_alu instid0(VALU_DEP_2) | instskip(NEXT) | instid1(VALU_DEP_3)
	v_movreld_b32_e32 v8, v6
	v_movreld_b32_e32 v9, v7
	v_mov_b64_e32 v[2:3], v[8:9]
	v_mov_b64_e32 v[4:5], v[10:11]
	;; [unrolled: 1-line block ×16, first 2 shown]
.LBB12_121:
	v_mov_b32_e32 v0, 0
	global_load_b32 v1, v0, s[16:17] offset:4
	s_wait_loadcnt 0x0
	v_readfirstlane_b32 s0, v1
	s_add_co_i32 s0, s0, -1
	s_delay_alu instid0(SALU_CYCLE_1)
	s_cmp_eq_u32 s0, 1
	s_cbranch_scc1 .LBB12_123
; %bb.122:
	s_lshl_b32 m0, s0, 1
	v_movrels_b32_e32 v1, v2
	v_movrels_b32_e32 v38, v3
	v_mov_b64_e32 v[36:37], v[32:33]
	v_mov_b64_e32 v[34:35], v[30:31]
	;; [unrolled: 1-line block ×16, first 2 shown]
	v_dual_mov_b32 v8, v1 :: v_dual_mov_b32 v9, v38
	s_delay_alu instid0(VALU_DEP_2) | instskip(NEXT) | instid1(VALU_DEP_3)
	v_movreld_b32_e32 v6, v4
	v_movreld_b32_e32 v7, v5
	v_mov_b64_e32 v[2:3], v[6:7]
	s_delay_alu instid0(VALU_DEP_4)
	v_mov_b64_e32 v[4:5], v[8:9]
	v_mov_b64_e32 v[6:7], v[10:11]
	v_mov_b64_e32 v[8:9], v[12:13]
	v_mov_b64_e32 v[10:11], v[14:15]
	v_mov_b64_e32 v[12:13], v[16:17]
	v_mov_b64_e32 v[14:15], v[18:19]
	v_mov_b64_e32 v[16:17], v[20:21]
	v_mov_b64_e32 v[18:19], v[22:23]
	v_mov_b64_e32 v[20:21], v[24:25]
	v_mov_b64_e32 v[22:23], v[26:27]
	v_mov_b64_e32 v[24:25], v[28:29]
	v_mov_b64_e32 v[26:27], v[30:31]
	v_mov_b64_e32 v[28:29], v[32:33]
	v_mov_b64_e32 v[30:31], v[34:35]
	v_mov_b64_e32 v[32:33], v[36:37]
.LBB12_123:
	global_load_b32 v0, v0, s[16:17]
	s_wait_loadcnt 0x0
	v_readfirstlane_b32 s0, v0
	s_add_co_i32 s0, s0, -1
	s_delay_alu instid0(SALU_CYCLE_1)
	s_cmp_eq_u32 s0, 0
	s_cbranch_scc1 .LBB12_125
; %bb.124:
	s_lshl_b32 m0, s0, 1
	v_movrels_b32_e32 v0, v2
	v_movrels_b32_e32 v1, v3
	v_mov_b64_e32 v[34:35], v[32:33]
	v_mov_b64_e32 v[32:33], v[30:31]
	v_mov_b64_e32 v[30:31], v[28:29]
	v_mov_b64_e32 v[28:29], v[26:27]
	v_mov_b64_e32 v[26:27], v[24:25]
	v_mov_b64_e32 v[24:25], v[22:23]
	v_mov_b64_e32 v[22:23], v[20:21]
	v_mov_b64_e32 v[20:21], v[18:19]
	v_mov_b64_e32 v[18:19], v[16:17]
	v_mov_b64_e32 v[16:17], v[14:15]
	v_mov_b64_e32 v[14:15], v[12:13]
	v_mov_b64_e32 v[12:13], v[10:11]
	v_mov_b64_e32 v[10:11], v[8:9]
	v_mov_b64_e32 v[8:9], v[6:7]
	v_mov_b64_e32 v[6:7], v[4:5]
	v_mov_b64_e32 v[4:5], v[2:3]
	v_dual_mov_b32 v4, v0 :: v_dual_mov_b32 v5, v1
	s_delay_alu instid0(VALU_DEP_1) | instskip(NEXT) | instid1(VALU_DEP_2)
	v_movreld_b32_e32 v4, v2
	v_movreld_b32_e32 v5, v3
	v_mov_b64_e32 v[2:3], v[4:5]
	v_mov_b64_e32 v[4:5], v[6:7]
	;; [unrolled: 1-line block ×16, first 2 shown]
.LBB12_125:
	v_lshl_add_u64 v[46:47], v[60:61], 3, s[18:19]
	v_lshl_add_u64 v[36:37], v[62:63], 3, s[18:19]
	;; [unrolled: 1-line block ×3, first 2 shown]
	s_clause 0x2
	global_store_b64 v[68:69], v[2:3], off
	global_store_b64 v[72:73], v[4:5], off
	global_store_b64 v[46:47], v[6:7], off
	s_wait_xcnt 0x2
	v_dual_mov_b32 v2, v8 :: v_dual_mov_b32 v3, v9
	s_wait_xcnt 0x1
	v_dual_mov_b32 v4, v10 :: v_dual_mov_b32 v5, v11
	v_lshl_add_u64 v[40:41], v[66:67], 3, s[18:19]
	s_wait_xcnt 0x0
	v_dual_mov_b32 v6, v12 :: v_dual_mov_b32 v7, v13
	v_lshl_add_u64 v[42:43], v[70:71], 3, s[18:19]
	v_dual_mov_b32 v8, v14 :: v_dual_mov_b32 v9, v15
	v_lshl_add_u64 v[44:45], v[74:75], 3, s[18:19]
	;; [unrolled: 2-line block ×3, first 2 shown]
	s_clause 0x4
	global_store_b64 v[36:37], v[2:3], off
	global_store_b64 v[38:39], v[4:5], off
	global_store_b64 v[40:41], v[6:7], off
	global_store_b64 v[42:43], v[8:9], off
	global_store_b64 v[44:45], v[10:11], off
	s_wait_xcnt 0x4
	v_dual_mov_b32 v2, v18 :: v_dual_mov_b32 v3, v19
	v_lshl_add_u64 v[28:29], v[78:79], 3, s[18:19]
	s_wait_xcnt 0x3
	v_dual_mov_b32 v4, v20 :: v_dual_mov_b32 v5, v21
	v_lshl_add_u64 v[30:31], v[80:81], 3, s[18:19]
	;; [unrolled: 3-line block ×4, first 2 shown]
	s_wait_xcnt 0x0
	v_dual_mov_b32 v10, v26 :: v_dual_mov_b32 v11, v27
	s_clause 0x4
	global_store_b64 v[0:1], v[2:3], off
	global_store_b64 v[28:29], v[4:5], off
	;; [unrolled: 1-line block ×5, first 2 shown]
	s_sendmsg sendmsg(MSG_DEALLOC_VGPRS)
	s_endpgm
	.section	.rodata,"a",@progbits
	.p2align	6, 0x0
	.amdhsa_kernel _ZN9rocsolver6v33100L18getri_kernel_smallILi13EdPdEEvT1_iilPiilS4_bb
		.amdhsa_group_segment_fixed_size 216
		.amdhsa_private_segment_fixed_size 0
		.amdhsa_kernarg_size 60
		.amdhsa_user_sgpr_count 2
		.amdhsa_user_sgpr_dispatch_ptr 0
		.amdhsa_user_sgpr_queue_ptr 0
		.amdhsa_user_sgpr_kernarg_segment_ptr 1
		.amdhsa_user_sgpr_dispatch_id 0
		.amdhsa_user_sgpr_kernarg_preload_length 0
		.amdhsa_user_sgpr_kernarg_preload_offset 0
		.amdhsa_user_sgpr_private_segment_size 0
		.amdhsa_wavefront_size32 1
		.amdhsa_uses_dynamic_stack 0
		.amdhsa_enable_private_segment 0
		.amdhsa_system_sgpr_workgroup_id_x 1
		.amdhsa_system_sgpr_workgroup_id_y 0
		.amdhsa_system_sgpr_workgroup_id_z 0
		.amdhsa_system_sgpr_workgroup_info 0
		.amdhsa_system_vgpr_workitem_id 0
		.amdhsa_next_free_vgpr 88
		.amdhsa_next_free_sgpr 23
		.amdhsa_named_barrier_count 0
		.amdhsa_reserve_vcc 1
		.amdhsa_float_round_mode_32 0
		.amdhsa_float_round_mode_16_64 0
		.amdhsa_float_denorm_mode_32 3
		.amdhsa_float_denorm_mode_16_64 3
		.amdhsa_fp16_overflow 0
		.amdhsa_memory_ordered 1
		.amdhsa_forward_progress 1
		.amdhsa_inst_pref_size 111
		.amdhsa_round_robin_scheduling 0
		.amdhsa_exception_fp_ieee_invalid_op 0
		.amdhsa_exception_fp_denorm_src 0
		.amdhsa_exception_fp_ieee_div_zero 0
		.amdhsa_exception_fp_ieee_overflow 0
		.amdhsa_exception_fp_ieee_underflow 0
		.amdhsa_exception_fp_ieee_inexact 0
		.amdhsa_exception_int_div_zero 0
	.end_amdhsa_kernel
	.section	.text._ZN9rocsolver6v33100L18getri_kernel_smallILi13EdPdEEvT1_iilPiilS4_bb,"axG",@progbits,_ZN9rocsolver6v33100L18getri_kernel_smallILi13EdPdEEvT1_iilPiilS4_bb,comdat
.Lfunc_end12:
	.size	_ZN9rocsolver6v33100L18getri_kernel_smallILi13EdPdEEvT1_iilPiilS4_bb, .Lfunc_end12-_ZN9rocsolver6v33100L18getri_kernel_smallILi13EdPdEEvT1_iilPiilS4_bb
                                        ; -- End function
	.set _ZN9rocsolver6v33100L18getri_kernel_smallILi13EdPdEEvT1_iilPiilS4_bb.num_vgpr, 88
	.set _ZN9rocsolver6v33100L18getri_kernel_smallILi13EdPdEEvT1_iilPiilS4_bb.num_agpr, 0
	.set _ZN9rocsolver6v33100L18getri_kernel_smallILi13EdPdEEvT1_iilPiilS4_bb.numbered_sgpr, 23
	.set _ZN9rocsolver6v33100L18getri_kernel_smallILi13EdPdEEvT1_iilPiilS4_bb.num_named_barrier, 0
	.set _ZN9rocsolver6v33100L18getri_kernel_smallILi13EdPdEEvT1_iilPiilS4_bb.private_seg_size, 0
	.set _ZN9rocsolver6v33100L18getri_kernel_smallILi13EdPdEEvT1_iilPiilS4_bb.uses_vcc, 1
	.set _ZN9rocsolver6v33100L18getri_kernel_smallILi13EdPdEEvT1_iilPiilS4_bb.uses_flat_scratch, 0
	.set _ZN9rocsolver6v33100L18getri_kernel_smallILi13EdPdEEvT1_iilPiilS4_bb.has_dyn_sized_stack, 0
	.set _ZN9rocsolver6v33100L18getri_kernel_smallILi13EdPdEEvT1_iilPiilS4_bb.has_recursion, 0
	.set _ZN9rocsolver6v33100L18getri_kernel_smallILi13EdPdEEvT1_iilPiilS4_bb.has_indirect_call, 0
	.section	.AMDGPU.csdata,"",@progbits
; Kernel info:
; codeLenInByte = 14112
; TotalNumSgprs: 25
; NumVgprs: 88
; ScratchSize: 0
; MemoryBound: 0
; FloatMode: 240
; IeeeMode: 1
; LDSByteSize: 216 bytes/workgroup (compile time only)
; SGPRBlocks: 0
; VGPRBlocks: 5
; NumSGPRsForWavesPerEU: 25
; NumVGPRsForWavesPerEU: 88
; NamedBarCnt: 0
; Occupancy: 10
; WaveLimiterHint : 0
; COMPUTE_PGM_RSRC2:SCRATCH_EN: 0
; COMPUTE_PGM_RSRC2:USER_SGPR: 2
; COMPUTE_PGM_RSRC2:TRAP_HANDLER: 0
; COMPUTE_PGM_RSRC2:TGID_X_EN: 1
; COMPUTE_PGM_RSRC2:TGID_Y_EN: 0
; COMPUTE_PGM_RSRC2:TGID_Z_EN: 0
; COMPUTE_PGM_RSRC2:TIDIG_COMP_CNT: 0
	.section	.text._ZN9rocsolver6v33100L18getri_kernel_smallILi14EdPdEEvT1_iilPiilS4_bb,"axG",@progbits,_ZN9rocsolver6v33100L18getri_kernel_smallILi14EdPdEEvT1_iilPiilS4_bb,comdat
	.globl	_ZN9rocsolver6v33100L18getri_kernel_smallILi14EdPdEEvT1_iilPiilS4_bb ; -- Begin function _ZN9rocsolver6v33100L18getri_kernel_smallILi14EdPdEEvT1_iilPiilS4_bb
	.p2align	8
	.type	_ZN9rocsolver6v33100L18getri_kernel_smallILi14EdPdEEvT1_iilPiilS4_bb,@function
_ZN9rocsolver6v33100L18getri_kernel_smallILi14EdPdEEvT1_iilPiilS4_bb: ; @_ZN9rocsolver6v33100L18getri_kernel_smallILi14EdPdEEvT1_iilPiilS4_bb
; %bb.0:
	s_mov_b32 s2, exec_lo
	v_cmpx_gt_u32_e32 14, v0
	s_cbranch_execz .LBB13_16
; %bb.1:
	s_clause 0x2
	s_load_b32 s2, s[0:1], 0x38
	s_load_b128 s[8:11], s[0:1], 0x10
	s_load_b128 s[12:15], s[0:1], 0x28
	s_getreg_b32 s5, hwreg(HW_REG_IB_STS2, 6, 4)
                                        ; implicit-def: $sgpr16_sgpr17
	s_wait_kmcnt 0x0
	s_bitcmp1_b32 s2, 8
	s_cselect_b32 s22, -1, 0
	s_bfe_u32 s3, ttmp6, 0x4000c
	s_and_b32 s4, ttmp6, 15
	s_add_co_i32 s3, s3, 1
	s_delay_alu instid0(SALU_CYCLE_1) | instskip(NEXT) | instid1(SALU_CYCLE_1)
	s_mul_i32 s3, ttmp9, s3
	s_add_co_i32 s4, s4, s3
	s_cmp_eq_u32 s5, 0
	s_cselect_b32 s20, ttmp9, s4
	s_bfe_u32 s2, s2, 0x10008
	s_ashr_i32 s21, s20, 31
	s_cmp_eq_u32 s2, 0
	s_cbranch_scc1 .LBB13_3
; %bb.2:
	s_load_b32 s2, s[0:1], 0x20
	s_mul_u64 s[4:5], s[12:13], s[20:21]
	s_delay_alu instid0(SALU_CYCLE_1) | instskip(NEXT) | instid1(SALU_CYCLE_1)
	s_lshl_b64 s[4:5], s[4:5], 2
	s_add_nc_u64 s[4:5], s[10:11], s[4:5]
	s_wait_kmcnt 0x0
	s_ashr_i32 s3, s2, 31
	s_delay_alu instid0(SALU_CYCLE_1) | instskip(NEXT) | instid1(SALU_CYCLE_1)
	s_lshl_b64 s[2:3], s[2:3], 2
	s_add_nc_u64 s[16:17], s[4:5], s[2:3]
.LBB13_3:
	s_clause 0x1
	s_load_b128 s[4:7], s[0:1], 0x0
	s_load_b32 s10, s[0:1], 0x38
	s_wait_xcnt 0x0
	s_mul_u64 s[0:1], s[8:9], s[20:21]
	v_mov_b32_e32 v1, 0
	s_lshl_b64 s[0:1], s[0:1], 3
	s_delay_alu instid0(VALU_DEP_1)
	v_mov_b32_e32 v31, v1
	s_wait_kmcnt 0x0
	v_add3_u32 v60, s7, s7, v0
	s_ashr_i32 s3, s6, 31
	s_mov_b32 s2, s6
	s_add_nc_u64 s[0:1], s[4:5], s[0:1]
	s_lshl_b64 s[2:3], s[2:3], 3
	v_add_nc_u32_e32 v62, s7, v60
	s_add_nc_u64 s[18:19], s[0:1], s[2:3]
	s_ashr_i32 s1, s7, 31
	s_mov_b32 s0, s7
	s_bitcmp0_b32 s10, 0
	v_add_nc_u32_e32 v64, s7, v62
	s_delay_alu instid0(VALU_DEP_1) | instskip(NEXT) | instid1(VALU_DEP_1)
	v_add_nc_u32_e32 v66, s7, v64
	v_add_nc_u32_e32 v68, s7, v66
	s_delay_alu instid0(VALU_DEP_1) | instskip(NEXT) | instid1(VALU_DEP_1)
	v_add_nc_u32_e32 v72, s7, v68
	;; [unrolled: 3-line block ×3, first 2 shown]
	v_dual_lshlrev_b32 v30, 3, v0 :: v_dual_add_nc_u32 v80, s7, v78
	s_delay_alu instid0(VALU_DEP_1) | instskip(NEXT) | instid1(VALU_DEP_2)
	v_add_nc_u64_e32 v[70:71], s[18:19], v[30:31]
	v_add_nc_u32_e32 v82, s7, v80
	s_delay_alu instid0(VALU_DEP_2) | instskip(SKIP_1) | instid1(VALU_DEP_2)
	v_lshl_add_u64 v[74:75], s[0:1], 3, v[70:71]
	s_mov_b32 s0, -1
	v_add_nc_u32_e32 v84, s7, v82
	s_clause 0x5
	global_load_b64 v[2:3], v0, s[18:19] scale_offset
	global_load_b64 v[4:5], v[74:75], off
	global_load_b64 v[6:7], v60, s[18:19] scale_offset
	global_load_b64 v[8:9], v62, s[18:19] scale_offset
	;; [unrolled: 1-line block ×4, first 2 shown]
	v_add_nc_u32_e32 v86, s7, v84
	s_clause 0x7
	global_load_b64 v[14:15], v68, s[18:19] scale_offset
	global_load_b64 v[16:17], v72, s[18:19] scale_offset
	;; [unrolled: 1-line block ×8, first 2 shown]
	s_cbranch_scc1 .LBB13_14
; %bb.4:
	v_cmp_eq_u32_e64 s0, 0, v0
	s_wait_xcnt 0x0
	s_and_saveexec_b32 s1, s0
; %bb.5:
	v_mov_b32_e32 v31, 0
	ds_store_b32 v31, v31 offset:224
; %bb.6:
	s_or_b32 exec_lo, exec_lo, s1
	v_cmp_eq_u32_e32 vcc_lo, 1, v0
	s_mov_b32 s2, exec_lo
	s_wait_loadcnt_dscnt 0x0
	s_barrier_signal -1
	s_barrier_wait -1
	v_dual_cndmask_b32 v31, v3, v5 :: v_dual_cndmask_b32 v32, v2, v4
	v_cmp_eq_u32_e32 vcc_lo, 2, v0
	s_delay_alu instid0(VALU_DEP_2) | instskip(SKIP_1) | instid1(VALU_DEP_2)
	v_dual_cndmask_b32 v31, v31, v7 :: v_dual_cndmask_b32 v32, v32, v6
	v_cmp_eq_u32_e32 vcc_lo, 3, v0
	v_dual_cndmask_b32 v31, v31, v9 :: v_dual_cndmask_b32 v32, v32, v8
	v_cmp_eq_u32_e32 vcc_lo, 4, v0
	s_delay_alu instid0(VALU_DEP_2) | instskip(SKIP_1) | instid1(VALU_DEP_2)
	v_dual_cndmask_b32 v31, v31, v11 :: v_dual_cndmask_b32 v32, v32, v10
	v_cmp_eq_u32_e32 vcc_lo, 5, v0
	;; [unrolled: 5-line block ×6, first 2 shown]
	v_dual_cndmask_b32 v33, v31, v29 :: v_dual_cndmask_b32 v32, v32, v28
	s_delay_alu instid0(VALU_DEP_1)
	v_cmpx_eq_f64_e32 0, v[32:33]
	s_cbranch_execz .LBB13_10
; %bb.7:
	v_mov_b32_e32 v31, 0
	s_mov_b32 s3, 0
	ds_load_b32 v34, v31 offset:224
	s_wait_dscnt 0x0
	v_readfirstlane_b32 s1, v34
	v_add_nc_u32_e32 v34, 1, v0
	s_cmp_eq_u32 s1, 0
	s_delay_alu instid0(VALU_DEP_1) | instskip(SKIP_1) | instid1(SALU_CYCLE_1)
	v_cmp_gt_i32_e32 vcc_lo, s1, v34
	s_cselect_b32 s4, -1, 0
	s_or_b32 s4, s4, vcc_lo
	s_delay_alu instid0(SALU_CYCLE_1)
	s_and_b32 exec_lo, exec_lo, s4
	s_cbranch_execz .LBB13_10
; %bb.8:
	v_mov_b32_e32 v35, s1
.LBB13_9:                               ; =>This Inner Loop Header: Depth=1
	ds_cmpstore_rtn_b32 v35, v31, v34, v35 offset:224
	s_wait_dscnt 0x0
	v_cmp_ne_u32_e32 vcc_lo, 0, v35
	v_cmp_le_i32_e64 s1, v35, v34
	s_and_b32 s1, vcc_lo, s1
	s_delay_alu instid0(SALU_CYCLE_1) | instskip(NEXT) | instid1(SALU_CYCLE_1)
	s_and_b32 s1, exec_lo, s1
	s_or_b32 s3, s1, s3
	s_delay_alu instid0(SALU_CYCLE_1)
	s_and_not1_b32 exec_lo, exec_lo, s3
	s_cbranch_execnz .LBB13_9
.LBB13_10:
	s_or_b32 exec_lo, exec_lo, s2
	v_mov_b32_e32 v31, 0
	s_barrier_signal -1
	s_barrier_wait -1
	ds_load_b32 v34, v31 offset:224
	s_and_saveexec_b32 s1, s0
	s_cbranch_execz .LBB13_12
; %bb.11:
	s_lshl_b64 s[2:3], s[20:21], 2
	s_delay_alu instid0(SALU_CYCLE_1)
	s_add_nc_u64 s[2:3], s[14:15], s[2:3]
	s_wait_dscnt 0x0
	global_store_b32 v31, v34, s[2:3]
.LBB13_12:
	s_wait_xcnt 0x0
	s_or_b32 exec_lo, exec_lo, s1
	s_wait_dscnt 0x0
	v_cmp_ne_u32_e32 vcc_lo, 0, v34
	s_cbranch_vccz .LBB13_17
; %bb.13:
	s_mov_b32 s0, 0
                                        ; implicit-def: $vgpr2_vgpr3_vgpr4_vgpr5_vgpr6_vgpr7_vgpr8_vgpr9_vgpr10_vgpr11_vgpr12_vgpr13_vgpr14_vgpr15_vgpr16_vgpr17_vgpr18_vgpr19_vgpr20_vgpr21_vgpr22_vgpr23_vgpr24_vgpr25_vgpr26_vgpr27_vgpr28_vgpr29_vgpr30_vgpr31_vgpr32_vgpr33
.LBB13_14:
	s_delay_alu instid0(SALU_CYCLE_1)
	s_and_b32 vcc_lo, exec_lo, s0
	s_cbranch_vccz .LBB13_16
.LBB13_15:
	v_mov_b32_e32 v1, 0
	s_lshl_b64 s[0:1], s[20:21], 2
	s_delay_alu instid0(SALU_CYCLE_1)
	s_add_nc_u64 s[0:1], s[14:15], s[0:1]
	global_load_b32 v1, v1, s[0:1]
	s_wait_loadcnt 0x0
	v_cmp_ne_u32_e32 vcc_lo, 0, v1
	s_cbranch_vccz .LBB13_80
.LBB13_16:
	s_sendmsg sendmsg(MSG_DEALLOC_VGPRS)
	s_endpgm
.LBB13_17:
	v_div_scale_f64 v[34:35], null, v[32:33], v[32:33], 1.0
	v_div_scale_f64 v[40:41], vcc_lo, 1.0, v[32:33], 1.0
	v_cmp_eq_u32_e64 s1, 12, v0
	v_cmp_eq_u32_e64 s2, 11, v0
	v_cmp_eq_u32_e64 s3, 10, v0
	v_cmp_eq_u32_e64 s4, 9, v0
	v_cmp_eq_u32_e64 s5, 8, v0
	v_cmp_eq_u32_e64 s6, 7, v0
	v_cmp_eq_u32_e64 s7, 6, v0
	v_cmp_eq_u32_e64 s8, 5, v0
	v_cmp_eq_u32_e64 s9, 4, v0
	v_cmp_eq_u32_e64 s10, 3, v0
	v_cmp_eq_u32_e64 s11, 2, v0
	v_cmp_eq_u32_e64 s12, 1, v0
	v_cmp_eq_u32_e64 s13, 0, v0
	v_rcp_f64_e32 v[36:37], v[34:35]
	v_nop
	s_delay_alu instid0(TRANS32_DEP_1) | instskip(NEXT) | instid1(VALU_DEP_1)
	v_fma_f64 v[38:39], -v[34:35], v[36:37], 1.0
	v_fmac_f64_e32 v[36:37], v[36:37], v[38:39]
	s_delay_alu instid0(VALU_DEP_1) | instskip(NEXT) | instid1(VALU_DEP_1)
	v_fma_f64 v[38:39], -v[34:35], v[36:37], 1.0
	v_fmac_f64_e32 v[36:37], v[36:37], v[38:39]
	s_delay_alu instid0(VALU_DEP_1) | instskip(NEXT) | instid1(VALU_DEP_1)
	v_mul_f64_e32 v[38:39], v[40:41], v[36:37]
	v_fma_f64 v[34:35], -v[34:35], v[38:39], v[40:41]
	s_delay_alu instid0(VALU_DEP_1) | instskip(SKIP_1) | instid1(VALU_DEP_2)
	v_div_fmas_f64 v[34:35], v[34:35], v[36:37], v[38:39]
	v_cmp_eq_u32_e32 vcc_lo, 13, v0
	v_div_fixup_f64 v[32:33], v[34:35], v[32:33], 1.0
	s_delay_alu instid0(VALU_DEP_1) | instskip(NEXT) | instid1(VALU_DEP_2)
	v_dual_cndmask_b32 v29, v29, v33 :: v_dual_add_nc_u32 v34, 0x70, v30
	v_dual_cndmask_b32 v28, v28, v32, vcc_lo :: v_dual_cndmask_b32 v27, v27, v33, s1
	v_dual_cndmask_b32 v26, v26, v32, s1 :: v_dual_cndmask_b32 v25, v25, v33, s2
	v_dual_cndmask_b32 v24, v24, v32, s2 :: v_dual_cndmask_b32 v23, v23, v33, s3
	;; [unrolled: 1-line block ×11, first 2 shown]
	v_xor_b32_e32 v37, 0x80000000, v33
	v_dual_mov_b32 v36, v32 :: v_dual_cndmask_b32 v6, v6, v32, s11
	v_dual_cndmask_b32 v3, v3, v33, s13 :: v_dual_cndmask_b32 v2, v2, v32, s13
	ds_store_2addr_b64 v30, v[36:37], v[4:5] offset1:14
	s_wait_storecnt_dscnt 0x0
	s_barrier_signal -1
	s_barrier_wait -1
	s_and_saveexec_b32 s1, s0
	s_cbranch_execz .LBB13_19
; %bb.18:
	ds_load_b64 v[4:5], v34
	v_mov_b32_e32 v30, 0
	ds_load_b64 v[30:31], v30 offset:8
	s_wait_dscnt 0x1
	v_fma_f64 v[4:5], v[32:33], v[4:5], 0
	s_wait_dscnt 0x0
	s_delay_alu instid0(VALU_DEP_1)
	v_mul_f64_e32 v[4:5], v[4:5], v[30:31]
.LBB13_19:
	s_or_b32 exec_lo, exec_lo, s1
	v_cmp_gt_u32_e32 vcc_lo, 2, v0
	s_barrier_signal -1
	s_barrier_wait -1
	ds_store_b64 v34, v[6:7]
	s_wait_dscnt 0x0
	s_barrier_signal -1
	s_barrier_wait -1
	s_and_saveexec_b32 s3, vcc_lo
	s_cbranch_execz .LBB13_23
; %bb.20:
	v_cmp_eq_u32_e64 s1, 1, v0
	v_cmp_eq_u32_e64 s2, 11, v0
	s_delay_alu instid0(VALU_DEP_2) | instskip(SKIP_1) | instid1(VALU_DEP_1)
	v_dual_cndmask_b32 v30, v3, v5, s1 :: v_dual_cndmask_b32 v31, v2, v4, s1
	v_cmp_eq_u32_e64 s1, 2, v0
	v_dual_cndmask_b32 v7, v30, v7, s1 :: v_dual_cndmask_b32 v6, v31, v6, s1
	v_cmp_eq_u32_e64 s1, 3, v0
	s_delay_alu instid0(VALU_DEP_1) | instskip(SKIP_1) | instid1(VALU_DEP_1)
	v_dual_cndmask_b32 v7, v7, v9, s1 :: v_dual_cndmask_b32 v6, v6, v8, s1
	v_cmp_eq_u32_e64 s1, 4, v0
	v_dual_cndmask_b32 v7, v7, v11, s1 :: v_dual_cndmask_b32 v6, v6, v10, s1
	v_cmp_eq_u32_e64 s1, 5, v0
	s_delay_alu instid0(VALU_DEP_1) | instskip(SKIP_1) | instid1(VALU_DEP_1)
	;; [unrolled: 5-line block ×4, first 2 shown]
	v_dual_cndmask_b32 v7, v7, v21, s1 :: v_dual_cndmask_b32 v6, v6, v20, s1
	v_cmp_eq_u32_e64 s1, 10, v0
	v_dual_cndmask_b32 v30, v7, v23, s1 :: v_dual_cndmask_b32 v31, v6, v22, s1
	ds_load_b64 v[6:7], v34
	v_cmp_eq_u32_e64 s1, 12, v0
	v_dual_cndmask_b32 v30, v30, v25, s2 :: v_dual_cndmask_b32 v31, v31, v24, s2
	s_delay_alu instid0(VALU_DEP_1) | instskip(SKIP_1) | instid1(VALU_DEP_1)
	v_dual_cndmask_b32 v30, v30, v27, s1 :: v_dual_cndmask_b32 v32, v31, v26, s1
	v_cmp_eq_u32_e64 s1, 13, v0
	v_dual_cndmask_b32 v31, v30, v29, s1 :: v_dual_cndmask_b32 v30, v32, v28, s1
	s_wait_dscnt 0x0
	s_delay_alu instid0(VALU_DEP_1)
	v_fma_f64 v[6:7], v[30:31], v[6:7], 0
	s_and_saveexec_b32 s1, s0
	s_cbranch_execz .LBB13_22
; %bb.21:
	v_mov_b32_e32 v30, 0
	ds_load_b64 v[30:31], v30 offset:120
	s_wait_dscnt 0x0
	v_fmac_f64_e32 v[6:7], v[4:5], v[30:31]
.LBB13_22:
	s_or_b32 exec_lo, exec_lo, s1
	v_mov_b32_e32 v30, 0
	ds_load_b64 v[30:31], v30 offset:16
	s_wait_dscnt 0x0
	v_mul_f64_e32 v[6:7], v[6:7], v[30:31]
.LBB13_23:
	s_or_b32 exec_lo, exec_lo, s3
	s_delay_alu instid0(SALU_CYCLE_1)
	s_mov_b32 s3, exec_lo
	s_barrier_signal -1
	s_barrier_wait -1
	ds_store_b64 v34, v[8:9]
	s_wait_dscnt 0x0
	s_barrier_signal -1
	s_barrier_wait -1
	v_cmpx_gt_u32_e32 3, v0
	s_cbranch_execz .LBB13_27
; %bb.24:
	v_mov_b64_e32 v[30:31], 0
	v_mov_b64_e32 v[32:33], v[0:1]
	v_lshl_add_u32 v35, v0, 3, 0x70
	s_mov_b32 s4, 0
.LBB13_25:                              ; =>This Inner Loop Header: Depth=1
	s_delay_alu instid0(VALU_DEP_2) | instskip(SKIP_1) | instid1(VALU_DEP_2)
	v_cmp_eq_u32_e64 s1, 1, v32
	v_cmp_eq_u32_e64 s2, 2, v32
	v_dual_cndmask_b32 v36, v3, v5, s1 :: v_dual_cndmask_b32 v37, v2, v4, s1
	v_cmp_eq_u32_e64 s1, 3, v32
	s_delay_alu instid0(VALU_DEP_2) | instskip(SKIP_1) | instid1(VALU_DEP_2)
	v_dual_cndmask_b32 v36, v36, v7, s2 :: v_dual_cndmask_b32 v37, v37, v6, s2
	v_cmp_eq_u32_e64 s2, 4, v32
	v_dual_cndmask_b32 v36, v36, v9, s1 :: v_dual_cndmask_b32 v37, v37, v8, s1
	v_cmp_eq_u32_e64 s1, 5, v32
	s_delay_alu instid0(VALU_DEP_2) | instskip(SKIP_1) | instid1(VALU_DEP_2)
	v_dual_cndmask_b32 v36, v36, v11, s2 :: v_dual_cndmask_b32 v37, v37, v10, s2
	;; [unrolled: 5-line block ×4, first 2 shown]
	v_cmp_eq_u32_e64 s2, 10, v32
	v_dual_cndmask_b32 v38, v36, v21, s1 :: v_dual_cndmask_b32 v39, v37, v20, s1
	ds_load_b64 v[36:37], v35
	v_cmp_eq_u32_e64 s1, 11, v32
	v_add_nc_u32_e32 v35, 8, v35
	v_dual_cndmask_b32 v38, v38, v23, s2 :: v_dual_cndmask_b32 v39, v39, v22, s2
	v_cmp_eq_u32_e64 s2, 12, v32
	s_delay_alu instid0(VALU_DEP_2) | instskip(SKIP_2) | instid1(VALU_DEP_3)
	v_dual_cndmask_b32 v38, v38, v25, s1 :: v_dual_cndmask_b32 v39, v39, v24, s1
	v_cmp_eq_u32_e64 s1, 13, v32
	v_add_nc_u64_e32 v[32:33], 1, v[32:33]
	v_dual_cndmask_b32 v38, v38, v27, s2 :: v_dual_cndmask_b32 v40, v39, v26, s2
	s_delay_alu instid0(VALU_DEP_1) | instskip(SKIP_1) | instid1(VALU_DEP_1)
	v_dual_cndmask_b32 v39, v38, v29, s1 :: v_dual_cndmask_b32 v38, v40, v28, s1
	s_wait_dscnt 0x0
	v_fmac_f64_e32 v[30:31], v[38:39], v[36:37]
	s_delay_alu instid0(VALU_DEP_4) | instskip(NEXT) | instid1(VALU_DEP_1)
	v_add_nc_u32_e32 v36, -1, v32
	v_cmp_lt_u32_e64 s1, 1, v36
	s_or_b32 s4, s1, s4
	s_delay_alu instid0(SALU_CYCLE_1)
	s_and_not1_b32 exec_lo, exec_lo, s4
	s_cbranch_execnz .LBB13_25
; %bb.26:
	s_or_b32 exec_lo, exec_lo, s4
	v_mov_b32_e32 v8, 0
	ds_load_b64 v[8:9], v8 offset:24
	s_wait_dscnt 0x0
	v_mul_f64_e32 v[8:9], v[30:31], v[8:9]
.LBB13_27:
	s_or_b32 exec_lo, exec_lo, s3
	v_cmp_gt_u32_e64 s1, 4, v0
	s_barrier_signal -1
	s_barrier_wait -1
	ds_store_b64 v34, v[10:11]
	s_wait_dscnt 0x0
	s_barrier_signal -1
	s_barrier_wait -1
	s_and_saveexec_b32 s4, s1
	s_cbranch_execz .LBB13_31
; %bb.28:
	v_mov_b64_e32 v[30:31], 0
	v_mov_b64_e32 v[32:33], v[0:1]
	v_lshl_add_u32 v35, v0, 3, 0x70
	s_mov_b32 s5, 0
.LBB13_29:                              ; =>This Inner Loop Header: Depth=1
	s_delay_alu instid0(VALU_DEP_2) | instskip(SKIP_1) | instid1(VALU_DEP_2)
	v_cmp_eq_u32_e64 s2, 1, v32
	v_cmp_eq_u32_e64 s3, 2, v32
	v_dual_cndmask_b32 v36, v3, v5, s2 :: v_dual_cndmask_b32 v37, v2, v4, s2
	v_cmp_eq_u32_e64 s2, 3, v32
	s_delay_alu instid0(VALU_DEP_2) | instskip(SKIP_1) | instid1(VALU_DEP_2)
	v_dual_cndmask_b32 v36, v36, v7, s3 :: v_dual_cndmask_b32 v37, v37, v6, s3
	v_cmp_eq_u32_e64 s3, 4, v32
	v_dual_cndmask_b32 v36, v36, v9, s2 :: v_dual_cndmask_b32 v37, v37, v8, s2
	v_cmp_eq_u32_e64 s2, 5, v32
	s_delay_alu instid0(VALU_DEP_2) | instskip(SKIP_1) | instid1(VALU_DEP_2)
	v_dual_cndmask_b32 v36, v36, v11, s3 :: v_dual_cndmask_b32 v37, v37, v10, s3
	v_cmp_eq_u32_e64 s3, 6, v32
	v_dual_cndmask_b32 v36, v36, v13, s2 :: v_dual_cndmask_b32 v37, v37, v12, s2
	v_cmp_eq_u32_e64 s2, 7, v32
	s_delay_alu instid0(VALU_DEP_2) | instskip(SKIP_1) | instid1(VALU_DEP_2)
	v_dual_cndmask_b32 v36, v36, v15, s3 :: v_dual_cndmask_b32 v37, v37, v14, s3
	v_cmp_eq_u32_e64 s3, 8, v32
	v_dual_cndmask_b32 v36, v36, v17, s2 :: v_dual_cndmask_b32 v37, v37, v16, s2
	v_cmp_eq_u32_e64 s2, 9, v32
	s_delay_alu instid0(VALU_DEP_2) | instskip(SKIP_1) | instid1(VALU_DEP_2)
	v_dual_cndmask_b32 v36, v36, v19, s3 :: v_dual_cndmask_b32 v37, v37, v18, s3
	v_cmp_eq_u32_e64 s3, 10, v32
	v_dual_cndmask_b32 v38, v36, v21, s2 :: v_dual_cndmask_b32 v39, v37, v20, s2
	ds_load_b64 v[36:37], v35
	v_cmp_eq_u32_e64 s2, 11, v32
	v_add_nc_u32_e32 v35, 8, v35
	v_dual_cndmask_b32 v38, v38, v23, s3 :: v_dual_cndmask_b32 v39, v39, v22, s3
	v_cmp_eq_u32_e64 s3, 12, v32
	s_delay_alu instid0(VALU_DEP_2) | instskip(SKIP_2) | instid1(VALU_DEP_3)
	v_dual_cndmask_b32 v38, v38, v25, s2 :: v_dual_cndmask_b32 v39, v39, v24, s2
	v_cmp_eq_u32_e64 s2, 13, v32
	v_add_nc_u64_e32 v[32:33], 1, v[32:33]
	v_dual_cndmask_b32 v38, v38, v27, s3 :: v_dual_cndmask_b32 v40, v39, v26, s3
	s_delay_alu instid0(VALU_DEP_1) | instskip(SKIP_1) | instid1(VALU_DEP_1)
	v_dual_cndmask_b32 v39, v38, v29, s2 :: v_dual_cndmask_b32 v38, v40, v28, s2
	s_wait_dscnt 0x0
	v_fmac_f64_e32 v[30:31], v[38:39], v[36:37]
	s_delay_alu instid0(VALU_DEP_4) | instskip(NEXT) | instid1(VALU_DEP_1)
	v_add_nc_u32_e32 v36, -1, v32
	v_cmp_lt_u32_e64 s2, 2, v36
	s_or_b32 s5, s2, s5
	s_delay_alu instid0(SALU_CYCLE_1)
	s_and_not1_b32 exec_lo, exec_lo, s5
	s_cbranch_execnz .LBB13_29
; %bb.30:
	s_or_b32 exec_lo, exec_lo, s5
	v_mov_b32_e32 v10, 0
	ds_load_b64 v[10:11], v10 offset:32
	s_wait_dscnt 0x0
	v_mul_f64_e32 v[10:11], v[30:31], v[10:11]
.LBB13_31:
	s_or_b32 exec_lo, exec_lo, s4
	s_delay_alu instid0(SALU_CYCLE_1)
	s_mov_b32 s4, exec_lo
	s_barrier_signal -1
	s_barrier_wait -1
	ds_store_b64 v34, v[12:13]
	s_wait_dscnt 0x0
	s_barrier_signal -1
	s_barrier_wait -1
	v_cmpx_gt_u32_e32 5, v0
	s_cbranch_execz .LBB13_35
; %bb.32:
	v_mov_b64_e32 v[30:31], 0
	v_mov_b64_e32 v[32:33], v[0:1]
	v_lshl_add_u32 v35, v0, 3, 0x70
	s_mov_b32 s5, 0
.LBB13_33:                              ; =>This Inner Loop Header: Depth=1
	s_delay_alu instid0(VALU_DEP_2) | instskip(SKIP_1) | instid1(VALU_DEP_2)
	v_cmp_eq_u32_e64 s2, 1, v32
	v_cmp_eq_u32_e64 s3, 2, v32
	v_dual_cndmask_b32 v36, v3, v5, s2 :: v_dual_cndmask_b32 v37, v2, v4, s2
	v_cmp_eq_u32_e64 s2, 3, v32
	s_delay_alu instid0(VALU_DEP_2) | instskip(SKIP_1) | instid1(VALU_DEP_2)
	v_dual_cndmask_b32 v36, v36, v7, s3 :: v_dual_cndmask_b32 v37, v37, v6, s3
	v_cmp_eq_u32_e64 s3, 4, v32
	v_dual_cndmask_b32 v36, v36, v9, s2 :: v_dual_cndmask_b32 v37, v37, v8, s2
	v_cmp_eq_u32_e64 s2, 5, v32
	s_delay_alu instid0(VALU_DEP_2) | instskip(SKIP_1) | instid1(VALU_DEP_2)
	v_dual_cndmask_b32 v36, v36, v11, s3 :: v_dual_cndmask_b32 v37, v37, v10, s3
	;; [unrolled: 5-line block ×4, first 2 shown]
	v_cmp_eq_u32_e64 s3, 10, v32
	v_dual_cndmask_b32 v38, v36, v21, s2 :: v_dual_cndmask_b32 v39, v37, v20, s2
	ds_load_b64 v[36:37], v35
	v_cmp_eq_u32_e64 s2, 11, v32
	v_add_nc_u32_e32 v35, 8, v35
	v_dual_cndmask_b32 v38, v38, v23, s3 :: v_dual_cndmask_b32 v39, v39, v22, s3
	v_cmp_eq_u32_e64 s3, 12, v32
	s_delay_alu instid0(VALU_DEP_2) | instskip(SKIP_2) | instid1(VALU_DEP_3)
	v_dual_cndmask_b32 v38, v38, v25, s2 :: v_dual_cndmask_b32 v39, v39, v24, s2
	v_cmp_eq_u32_e64 s2, 13, v32
	v_add_nc_u64_e32 v[32:33], 1, v[32:33]
	v_dual_cndmask_b32 v38, v38, v27, s3 :: v_dual_cndmask_b32 v40, v39, v26, s3
	s_delay_alu instid0(VALU_DEP_1) | instskip(SKIP_1) | instid1(VALU_DEP_1)
	v_dual_cndmask_b32 v39, v38, v29, s2 :: v_dual_cndmask_b32 v38, v40, v28, s2
	s_wait_dscnt 0x0
	v_fmac_f64_e32 v[30:31], v[38:39], v[36:37]
	s_delay_alu instid0(VALU_DEP_4) | instskip(NEXT) | instid1(VALU_DEP_1)
	v_add_nc_u32_e32 v36, -1, v32
	v_cmp_lt_u32_e64 s2, 3, v36
	s_or_b32 s5, s2, s5
	s_delay_alu instid0(SALU_CYCLE_1)
	s_and_not1_b32 exec_lo, exec_lo, s5
	s_cbranch_execnz .LBB13_33
; %bb.34:
	s_or_b32 exec_lo, exec_lo, s5
	v_mov_b32_e32 v12, 0
	ds_load_b64 v[12:13], v12 offset:40
	s_wait_dscnt 0x0
	v_mul_f64_e32 v[12:13], v[30:31], v[12:13]
.LBB13_35:
	s_or_b32 exec_lo, exec_lo, s4
	v_cmp_gt_u32_e64 s2, 6, v0
	s_barrier_signal -1
	s_barrier_wait -1
	ds_store_b64 v34, v[14:15]
	s_wait_dscnt 0x0
	s_barrier_signal -1
	s_barrier_wait -1
	s_and_saveexec_b32 s5, s2
	s_cbranch_execz .LBB13_39
; %bb.36:
	v_mov_b64_e32 v[30:31], 0
	v_mov_b64_e32 v[32:33], v[0:1]
	v_lshl_add_u32 v35, v0, 3, 0x70
	s_mov_b32 s6, 0
.LBB13_37:                              ; =>This Inner Loop Header: Depth=1
	s_delay_alu instid0(VALU_DEP_2) | instskip(SKIP_1) | instid1(VALU_DEP_2)
	v_cmp_eq_u32_e64 s3, 1, v32
	v_cmp_eq_u32_e64 s4, 2, v32
	v_dual_cndmask_b32 v36, v3, v5, s3 :: v_dual_cndmask_b32 v37, v2, v4, s3
	v_cmp_eq_u32_e64 s3, 3, v32
	s_delay_alu instid0(VALU_DEP_2) | instskip(SKIP_1) | instid1(VALU_DEP_2)
	v_dual_cndmask_b32 v36, v36, v7, s4 :: v_dual_cndmask_b32 v37, v37, v6, s4
	v_cmp_eq_u32_e64 s4, 4, v32
	v_dual_cndmask_b32 v36, v36, v9, s3 :: v_dual_cndmask_b32 v37, v37, v8, s3
	v_cmp_eq_u32_e64 s3, 5, v32
	s_delay_alu instid0(VALU_DEP_2) | instskip(SKIP_1) | instid1(VALU_DEP_2)
	v_dual_cndmask_b32 v36, v36, v11, s4 :: v_dual_cndmask_b32 v37, v37, v10, s4
	;; [unrolled: 5-line block ×4, first 2 shown]
	v_cmp_eq_u32_e64 s4, 10, v32
	v_dual_cndmask_b32 v38, v36, v21, s3 :: v_dual_cndmask_b32 v39, v37, v20, s3
	ds_load_b64 v[36:37], v35
	v_cmp_eq_u32_e64 s3, 11, v32
	v_add_nc_u32_e32 v35, 8, v35
	v_dual_cndmask_b32 v38, v38, v23, s4 :: v_dual_cndmask_b32 v39, v39, v22, s4
	v_cmp_eq_u32_e64 s4, 12, v32
	s_delay_alu instid0(VALU_DEP_2) | instskip(SKIP_2) | instid1(VALU_DEP_3)
	v_dual_cndmask_b32 v38, v38, v25, s3 :: v_dual_cndmask_b32 v39, v39, v24, s3
	v_cmp_eq_u32_e64 s3, 13, v32
	v_add_nc_u64_e32 v[32:33], 1, v[32:33]
	v_dual_cndmask_b32 v38, v38, v27, s4 :: v_dual_cndmask_b32 v40, v39, v26, s4
	s_delay_alu instid0(VALU_DEP_1) | instskip(SKIP_1) | instid1(VALU_DEP_1)
	v_dual_cndmask_b32 v39, v38, v29, s3 :: v_dual_cndmask_b32 v38, v40, v28, s3
	s_wait_dscnt 0x0
	v_fmac_f64_e32 v[30:31], v[38:39], v[36:37]
	s_delay_alu instid0(VALU_DEP_4) | instskip(NEXT) | instid1(VALU_DEP_1)
	v_add_nc_u32_e32 v36, -1, v32
	v_cmp_lt_u32_e64 s3, 4, v36
	s_or_b32 s6, s3, s6
	s_delay_alu instid0(SALU_CYCLE_1)
	s_and_not1_b32 exec_lo, exec_lo, s6
	s_cbranch_execnz .LBB13_37
; %bb.38:
	s_or_b32 exec_lo, exec_lo, s6
	v_mov_b32_e32 v14, 0
	ds_load_b64 v[14:15], v14 offset:48
	s_wait_dscnt 0x0
	v_mul_f64_e32 v[14:15], v[30:31], v[14:15]
.LBB13_39:
	s_or_b32 exec_lo, exec_lo, s5
	s_delay_alu instid0(SALU_CYCLE_1)
	s_mov_b32 s5, exec_lo
	s_barrier_signal -1
	s_barrier_wait -1
	ds_store_b64 v34, v[16:17]
	s_wait_dscnt 0x0
	s_barrier_signal -1
	s_barrier_wait -1
	v_cmpx_gt_u32_e32 7, v0
	s_cbranch_execz .LBB13_43
; %bb.40:
	v_mov_b64_e32 v[30:31], 0
	v_mov_b64_e32 v[32:33], v[0:1]
	v_lshl_add_u32 v35, v0, 3, 0x70
	s_mov_b32 s6, 0
.LBB13_41:                              ; =>This Inner Loop Header: Depth=1
	s_delay_alu instid0(VALU_DEP_2) | instskip(SKIP_1) | instid1(VALU_DEP_2)
	v_cmp_eq_u32_e64 s3, 1, v32
	v_cmp_eq_u32_e64 s4, 2, v32
	v_dual_cndmask_b32 v36, v3, v5, s3 :: v_dual_cndmask_b32 v37, v2, v4, s3
	v_cmp_eq_u32_e64 s3, 3, v32
	s_delay_alu instid0(VALU_DEP_2) | instskip(SKIP_1) | instid1(VALU_DEP_2)
	v_dual_cndmask_b32 v36, v36, v7, s4 :: v_dual_cndmask_b32 v37, v37, v6, s4
	v_cmp_eq_u32_e64 s4, 4, v32
	v_dual_cndmask_b32 v36, v36, v9, s3 :: v_dual_cndmask_b32 v37, v37, v8, s3
	v_cmp_eq_u32_e64 s3, 5, v32
	s_delay_alu instid0(VALU_DEP_2) | instskip(SKIP_1) | instid1(VALU_DEP_2)
	v_dual_cndmask_b32 v36, v36, v11, s4 :: v_dual_cndmask_b32 v37, v37, v10, s4
	;; [unrolled: 5-line block ×4, first 2 shown]
	v_cmp_eq_u32_e64 s4, 10, v32
	v_dual_cndmask_b32 v38, v36, v21, s3 :: v_dual_cndmask_b32 v39, v37, v20, s3
	ds_load_b64 v[36:37], v35
	v_cmp_eq_u32_e64 s3, 11, v32
	v_add_nc_u32_e32 v35, 8, v35
	v_dual_cndmask_b32 v38, v38, v23, s4 :: v_dual_cndmask_b32 v39, v39, v22, s4
	v_cmp_eq_u32_e64 s4, 12, v32
	s_delay_alu instid0(VALU_DEP_2) | instskip(SKIP_2) | instid1(VALU_DEP_3)
	v_dual_cndmask_b32 v38, v38, v25, s3 :: v_dual_cndmask_b32 v39, v39, v24, s3
	v_cmp_eq_u32_e64 s3, 13, v32
	v_add_nc_u64_e32 v[32:33], 1, v[32:33]
	v_dual_cndmask_b32 v38, v38, v27, s4 :: v_dual_cndmask_b32 v40, v39, v26, s4
	s_delay_alu instid0(VALU_DEP_1) | instskip(SKIP_1) | instid1(VALU_DEP_1)
	v_dual_cndmask_b32 v39, v38, v29, s3 :: v_dual_cndmask_b32 v38, v40, v28, s3
	s_wait_dscnt 0x0
	v_fmac_f64_e32 v[30:31], v[38:39], v[36:37]
	s_delay_alu instid0(VALU_DEP_4) | instskip(NEXT) | instid1(VALU_DEP_1)
	v_add_nc_u32_e32 v36, -1, v32
	v_cmp_lt_u32_e64 s3, 5, v36
	s_or_b32 s6, s3, s6
	s_delay_alu instid0(SALU_CYCLE_1)
	s_and_not1_b32 exec_lo, exec_lo, s6
	s_cbranch_execnz .LBB13_41
; %bb.42:
	s_or_b32 exec_lo, exec_lo, s6
	v_mov_b32_e32 v16, 0
	ds_load_b64 v[16:17], v16 offset:56
	s_wait_dscnt 0x0
	v_mul_f64_e32 v[16:17], v[30:31], v[16:17]
.LBB13_43:
	s_or_b32 exec_lo, exec_lo, s5
	s_delay_alu instid0(SALU_CYCLE_1)
	s_mov_b32 s5, exec_lo
	s_barrier_signal -1
	s_barrier_wait -1
	ds_store_b64 v34, v[18:19]
	s_wait_dscnt 0x0
	s_barrier_signal -1
	s_barrier_wait -1
	v_cmpx_gt_u32_e32 8, v0
	s_cbranch_execz .LBB13_59
; %bb.44:
	v_cmp_eq_u32_e64 s3, 1, v0
	v_cmp_eq_u32_e64 s4, 11, v0
	s_mov_b32 s6, exec_lo
	v_dual_cndmask_b32 v30, v3, v5, s3 :: v_dual_cndmask_b32 v31, v2, v4, s3
	v_cmp_eq_u32_e64 s3, 2, v0
	s_delay_alu instid0(VALU_DEP_1) | instskip(SKIP_1) | instid1(VALU_DEP_1)
	v_dual_cndmask_b32 v30, v30, v7, s3 :: v_dual_cndmask_b32 v31, v31, v6, s3
	v_cmp_eq_u32_e64 s3, 3, v0
	v_dual_cndmask_b32 v30, v30, v9, s3 :: v_dual_cndmask_b32 v31, v31, v8, s3
	v_cmp_eq_u32_e64 s3, 4, v0
	s_delay_alu instid0(VALU_DEP_1) | instskip(SKIP_1) | instid1(VALU_DEP_1)
	v_dual_cndmask_b32 v30, v30, v11, s3 :: v_dual_cndmask_b32 v31, v31, v10, s3
	v_cmp_eq_u32_e64 s3, 5, v0
	;; [unrolled: 5-line block ×4, first 2 shown]
	v_dual_cndmask_b32 v30, v30, v21, s3 :: v_dual_cndmask_b32 v31, v31, v20, s3
	v_cmp_eq_u32_e64 s3, 10, v0
	s_delay_alu instid0(VALU_DEP_1) | instskip(SKIP_3) | instid1(VALU_DEP_1)
	v_dual_cndmask_b32 v32, v30, v23, s3 :: v_dual_cndmask_b32 v33, v31, v22, s3
	ds_load_b64 v[30:31], v34
	v_cmp_eq_u32_e64 s3, 12, v0
	v_dual_cndmask_b32 v32, v32, v25, s4 :: v_dual_cndmask_b32 v33, v33, v24, s4
	v_dual_cndmask_b32 v32, v32, v27, s3 :: v_dual_cndmask_b32 v35, v33, v26, s3
	v_cmp_eq_u32_e64 s3, 13, v0
	s_delay_alu instid0(VALU_DEP_1) | instskip(SKIP_1) | instid1(VALU_DEP_1)
	v_dual_cndmask_b32 v33, v32, v29, s3 :: v_dual_cndmask_b32 v32, v35, v28, s3
	s_wait_dscnt 0x0
	v_fma_f64 v[30:31], v[32:33], v[30:31], 0
	v_cmpx_ne_u32_e32 7, v0
	s_cbranch_execz .LBB13_58
; %bb.45:
	v_add_nc_u32_e32 v35, 1, v0
	s_delay_alu instid0(VALU_DEP_1) | instskip(NEXT) | instid1(VALU_DEP_1)
	v_cmp_eq_u32_e64 s3, 1, v35
	v_dual_cndmask_b32 v32, v3, v5, s3 :: v_dual_cndmask_b32 v33, v2, v4, s3
	v_cmp_eq_u32_e64 s3, 2, v35
	v_cmp_eq_u32_e64 s4, 11, v35
	s_delay_alu instid0(VALU_DEP_2) | instskip(SKIP_1) | instid1(VALU_DEP_1)
	v_dual_cndmask_b32 v32, v32, v7, s3 :: v_dual_cndmask_b32 v33, v33, v6, s3
	v_cmp_eq_u32_e64 s3, 3, v35
	v_dual_cndmask_b32 v32, v32, v9, s3 :: v_dual_cndmask_b32 v33, v33, v8, s3
	v_cmp_eq_u32_e64 s3, 4, v35
	s_delay_alu instid0(VALU_DEP_1) | instskip(SKIP_1) | instid1(VALU_DEP_1)
	v_dual_cndmask_b32 v32, v32, v11, s3 :: v_dual_cndmask_b32 v33, v33, v10, s3
	v_cmp_eq_u32_e64 s3, 5, v35
	v_dual_cndmask_b32 v32, v32, v13, s3 :: v_dual_cndmask_b32 v33, v33, v12, s3
	v_cmp_eq_u32_e64 s3, 6, v35
	s_delay_alu instid0(VALU_DEP_1) | instskip(SKIP_1) | instid1(VALU_DEP_1)
	;; [unrolled: 5-line block ×3, first 2 shown]
	v_dual_cndmask_b32 v32, v32, v19, s3 :: v_dual_cndmask_b32 v33, v33, v18, s3
	v_cmp_eq_u32_e64 s3, 9, v35
	v_dual_cndmask_b32 v32, v32, v21, s3 :: v_dual_cndmask_b32 v33, v33, v20, s3
	v_cmp_eq_u32_e64 s3, 10, v35
	s_delay_alu instid0(VALU_DEP_1) | instskip(SKIP_3) | instid1(VALU_DEP_1)
	v_dual_cndmask_b32 v36, v32, v23, s3 :: v_dual_cndmask_b32 v37, v33, v22, s3
	ds_load_b64 v[32:33], v34 offset:8
	v_cmp_eq_u32_e64 s3, 12, v35
	v_dual_cndmask_b32 v36, v36, v25, s4 :: v_dual_cndmask_b32 v37, v37, v24, s4
	v_dual_cndmask_b32 v36, v36, v27, s3 :: v_dual_cndmask_b32 v38, v37, v26, s3
	v_cmp_eq_u32_e64 s3, 13, v35
	s_delay_alu instid0(VALU_DEP_1) | instskip(SKIP_1) | instid1(VALU_DEP_1)
	v_dual_cndmask_b32 v37, v36, v29, s3 :: v_dual_cndmask_b32 v36, v38, v28, s3
	s_wait_dscnt 0x0
	v_fmac_f64_e32 v[30:31], v[36:37], v[32:33]
	s_and_saveexec_b32 s4, s2
	s_cbranch_execz .LBB13_57
; %bb.46:
	v_add_nc_u32_e32 v35, 2, v0
	s_mov_b32 s7, exec_lo
	s_delay_alu instid0(VALU_DEP_1) | instskip(NEXT) | instid1(VALU_DEP_1)
	v_cmp_eq_u32_e64 s2, 1, v35
	v_dual_cndmask_b32 v32, v3, v5, s2 :: v_dual_cndmask_b32 v33, v2, v4, s2
	v_cmp_eq_u32_e64 s2, 2, v35
	v_cmp_eq_u32_e64 s3, 11, v35
	s_delay_alu instid0(VALU_DEP_2) | instskip(SKIP_1) | instid1(VALU_DEP_1)
	v_dual_cndmask_b32 v32, v32, v7, s2 :: v_dual_cndmask_b32 v33, v33, v6, s2
	v_cmp_eq_u32_e64 s2, 3, v35
	v_dual_cndmask_b32 v32, v32, v9, s2 :: v_dual_cndmask_b32 v33, v33, v8, s2
	v_cmp_eq_u32_e64 s2, 4, v35
	s_delay_alu instid0(VALU_DEP_1) | instskip(SKIP_1) | instid1(VALU_DEP_1)
	v_dual_cndmask_b32 v32, v32, v11, s2 :: v_dual_cndmask_b32 v33, v33, v10, s2
	v_cmp_eq_u32_e64 s2, 5, v35
	v_dual_cndmask_b32 v32, v32, v13, s2 :: v_dual_cndmask_b32 v33, v33, v12, s2
	v_cmp_eq_u32_e64 s2, 6, v35
	s_delay_alu instid0(VALU_DEP_1) | instskip(SKIP_1) | instid1(VALU_DEP_1)
	;; [unrolled: 5-line block ×3, first 2 shown]
	v_dual_cndmask_b32 v32, v32, v19, s2 :: v_dual_cndmask_b32 v33, v33, v18, s2
	v_cmp_eq_u32_e64 s2, 9, v35
	v_dual_cndmask_b32 v32, v32, v21, s2 :: v_dual_cndmask_b32 v33, v33, v20, s2
	v_cmp_eq_u32_e64 s2, 10, v35
	s_delay_alu instid0(VALU_DEP_1) | instskip(SKIP_3) | instid1(VALU_DEP_1)
	v_dual_cndmask_b32 v36, v32, v23, s2 :: v_dual_cndmask_b32 v37, v33, v22, s2
	ds_load_b64 v[32:33], v34 offset:16
	v_cmp_eq_u32_e64 s2, 12, v35
	v_dual_cndmask_b32 v36, v36, v25, s3 :: v_dual_cndmask_b32 v37, v37, v24, s3
	v_dual_cndmask_b32 v36, v36, v27, s2 :: v_dual_cndmask_b32 v38, v37, v26, s2
	v_cmp_eq_u32_e64 s2, 13, v35
	s_delay_alu instid0(VALU_DEP_1) | instskip(SKIP_1) | instid1(VALU_DEP_1)
	v_dual_cndmask_b32 v37, v36, v29, s2 :: v_dual_cndmask_b32 v36, v38, v28, s2
	s_wait_dscnt 0x0
	v_fmac_f64_e32 v[30:31], v[36:37], v[32:33]
	v_cmpx_ne_u32_e32 5, v0
	s_cbranch_execz .LBB13_56
; %bb.47:
	v_add_nc_u32_e32 v35, 3, v0
	s_delay_alu instid0(VALU_DEP_1) | instskip(NEXT) | instid1(VALU_DEP_1)
	v_cmp_eq_u32_e64 s2, 1, v35
	v_dual_cndmask_b32 v32, v3, v5, s2 :: v_dual_cndmask_b32 v33, v2, v4, s2
	v_cmp_eq_u32_e64 s2, 2, v35
	v_cmp_eq_u32_e64 s3, 11, v35
	s_delay_alu instid0(VALU_DEP_2) | instskip(SKIP_1) | instid1(VALU_DEP_1)
	v_dual_cndmask_b32 v32, v32, v7, s2 :: v_dual_cndmask_b32 v33, v33, v6, s2
	v_cmp_eq_u32_e64 s2, 3, v35
	v_dual_cndmask_b32 v32, v32, v9, s2 :: v_dual_cndmask_b32 v33, v33, v8, s2
	v_cmp_eq_u32_e64 s2, 4, v35
	s_delay_alu instid0(VALU_DEP_1) | instskip(SKIP_1) | instid1(VALU_DEP_1)
	v_dual_cndmask_b32 v32, v32, v11, s2 :: v_dual_cndmask_b32 v33, v33, v10, s2
	v_cmp_eq_u32_e64 s2, 5, v35
	v_dual_cndmask_b32 v32, v32, v13, s2 :: v_dual_cndmask_b32 v33, v33, v12, s2
	v_cmp_eq_u32_e64 s2, 6, v35
	s_delay_alu instid0(VALU_DEP_1) | instskip(SKIP_1) | instid1(VALU_DEP_1)
	;; [unrolled: 5-line block ×3, first 2 shown]
	v_dual_cndmask_b32 v32, v32, v19, s2 :: v_dual_cndmask_b32 v33, v33, v18, s2
	v_cmp_eq_u32_e64 s2, 9, v35
	v_dual_cndmask_b32 v32, v32, v21, s2 :: v_dual_cndmask_b32 v33, v33, v20, s2
	v_cmp_eq_u32_e64 s2, 10, v35
	s_delay_alu instid0(VALU_DEP_1) | instskip(SKIP_3) | instid1(VALU_DEP_1)
	v_dual_cndmask_b32 v36, v32, v23, s2 :: v_dual_cndmask_b32 v37, v33, v22, s2
	ds_load_b64 v[32:33], v34 offset:24
	v_cmp_eq_u32_e64 s2, 12, v35
	v_dual_cndmask_b32 v36, v36, v25, s3 :: v_dual_cndmask_b32 v37, v37, v24, s3
	v_dual_cndmask_b32 v36, v36, v27, s2 :: v_dual_cndmask_b32 v38, v37, v26, s2
	v_cmp_eq_u32_e64 s2, 13, v35
	s_delay_alu instid0(VALU_DEP_1) | instskip(SKIP_1) | instid1(VALU_DEP_1)
	v_dual_cndmask_b32 v37, v36, v29, s2 :: v_dual_cndmask_b32 v36, v38, v28, s2
	s_wait_dscnt 0x0
	v_fmac_f64_e32 v[30:31], v[36:37], v[32:33]
	s_and_saveexec_b32 s3, s1
	s_cbranch_execz .LBB13_55
; %bb.48:
	v_or_b32_e32 v35, 4, v0
	s_mov_b32 s8, exec_lo
	s_delay_alu instid0(VALU_DEP_1) | instskip(NEXT) | instid1(VALU_DEP_1)
	v_cmp_eq_u32_e64 s1, 1, v35
	v_dual_cndmask_b32 v32, v3, v5, s1 :: v_dual_cndmask_b32 v33, v2, v4, s1
	v_cmp_eq_u32_e64 s1, 2, v35
	v_cmp_eq_u32_e64 s2, 11, v35
	s_delay_alu instid0(VALU_DEP_2) | instskip(SKIP_1) | instid1(VALU_DEP_1)
	v_dual_cndmask_b32 v32, v32, v7, s1 :: v_dual_cndmask_b32 v33, v33, v6, s1
	v_cmp_eq_u32_e64 s1, 3, v35
	v_dual_cndmask_b32 v32, v32, v9, s1 :: v_dual_cndmask_b32 v33, v33, v8, s1
	v_cmp_eq_u32_e64 s1, 4, v35
	s_delay_alu instid0(VALU_DEP_1) | instskip(SKIP_1) | instid1(VALU_DEP_1)
	v_dual_cndmask_b32 v32, v32, v11, s1 :: v_dual_cndmask_b32 v33, v33, v10, s1
	v_cmp_eq_u32_e64 s1, 5, v35
	v_dual_cndmask_b32 v32, v32, v13, s1 :: v_dual_cndmask_b32 v33, v33, v12, s1
	v_cmp_eq_u32_e64 s1, 6, v35
	s_delay_alu instid0(VALU_DEP_1) | instskip(SKIP_1) | instid1(VALU_DEP_1)
	;; [unrolled: 5-line block ×3, first 2 shown]
	v_dual_cndmask_b32 v32, v32, v19, s1 :: v_dual_cndmask_b32 v33, v33, v18, s1
	v_cmp_eq_u32_e64 s1, 9, v35
	v_dual_cndmask_b32 v32, v32, v21, s1 :: v_dual_cndmask_b32 v33, v33, v20, s1
	v_cmp_eq_u32_e64 s1, 10, v35
	s_delay_alu instid0(VALU_DEP_1) | instskip(SKIP_3) | instid1(VALU_DEP_1)
	v_dual_cndmask_b32 v36, v32, v23, s1 :: v_dual_cndmask_b32 v37, v33, v22, s1
	ds_load_b64 v[32:33], v34 offset:32
	v_cmp_eq_u32_e64 s1, 12, v35
	v_dual_cndmask_b32 v36, v36, v25, s2 :: v_dual_cndmask_b32 v37, v37, v24, s2
	v_dual_cndmask_b32 v36, v36, v27, s1 :: v_dual_cndmask_b32 v38, v37, v26, s1
	v_cmp_eq_u32_e64 s1, 13, v35
	s_delay_alu instid0(VALU_DEP_1) | instskip(SKIP_1) | instid1(VALU_DEP_1)
	v_dual_cndmask_b32 v37, v36, v29, s1 :: v_dual_cndmask_b32 v36, v38, v28, s1
	s_wait_dscnt 0x0
	v_fmac_f64_e32 v[30:31], v[36:37], v[32:33]
	v_cmpx_ne_u32_e32 3, v0
	s_cbranch_execz .LBB13_54
; %bb.49:
	v_add_nc_u32_e32 v35, 5, v0
	s_delay_alu instid0(VALU_DEP_1) | instskip(NEXT) | instid1(VALU_DEP_1)
	v_cmp_eq_u32_e64 s1, 1, v35
	v_dual_cndmask_b32 v32, v3, v5, s1 :: v_dual_cndmask_b32 v33, v2, v4, s1
	v_cmp_eq_u32_e64 s1, 2, v35
	v_cmp_eq_u32_e64 s2, 11, v35
	s_delay_alu instid0(VALU_DEP_2) | instskip(SKIP_1) | instid1(VALU_DEP_1)
	v_dual_cndmask_b32 v32, v32, v7, s1 :: v_dual_cndmask_b32 v33, v33, v6, s1
	v_cmp_eq_u32_e64 s1, 3, v35
	v_dual_cndmask_b32 v32, v32, v9, s1 :: v_dual_cndmask_b32 v33, v33, v8, s1
	v_cmp_eq_u32_e64 s1, 4, v35
	s_delay_alu instid0(VALU_DEP_1) | instskip(SKIP_1) | instid1(VALU_DEP_1)
	v_dual_cndmask_b32 v32, v32, v11, s1 :: v_dual_cndmask_b32 v33, v33, v10, s1
	v_cmp_eq_u32_e64 s1, 5, v35
	v_dual_cndmask_b32 v32, v32, v13, s1 :: v_dual_cndmask_b32 v33, v33, v12, s1
	v_cmp_eq_u32_e64 s1, 6, v35
	s_delay_alu instid0(VALU_DEP_1) | instskip(SKIP_1) | instid1(VALU_DEP_1)
	;; [unrolled: 5-line block ×3, first 2 shown]
	v_dual_cndmask_b32 v32, v32, v19, s1 :: v_dual_cndmask_b32 v33, v33, v18, s1
	v_cmp_eq_u32_e64 s1, 9, v35
	v_dual_cndmask_b32 v32, v32, v21, s1 :: v_dual_cndmask_b32 v33, v33, v20, s1
	v_cmp_eq_u32_e64 s1, 10, v35
	s_delay_alu instid0(VALU_DEP_1) | instskip(SKIP_3) | instid1(VALU_DEP_1)
	v_dual_cndmask_b32 v36, v32, v23, s1 :: v_dual_cndmask_b32 v37, v33, v22, s1
	ds_load_b64 v[32:33], v34 offset:40
	v_cmp_eq_u32_e64 s1, 12, v35
	v_dual_cndmask_b32 v36, v36, v25, s2 :: v_dual_cndmask_b32 v37, v37, v24, s2
	v_dual_cndmask_b32 v36, v36, v27, s1 :: v_dual_cndmask_b32 v38, v37, v26, s1
	v_cmp_eq_u32_e64 s1, 13, v35
	s_delay_alu instid0(VALU_DEP_1) | instskip(SKIP_1) | instid1(VALU_DEP_1)
	v_dual_cndmask_b32 v37, v36, v29, s1 :: v_dual_cndmask_b32 v36, v38, v28, s1
	s_wait_dscnt 0x0
	v_fmac_f64_e32 v[30:31], v[36:37], v[32:33]
	s_and_saveexec_b32 s2, vcc_lo
	s_cbranch_execz .LBB13_53
; %bb.50:
	v_or_b32_e32 v32, 6, v0
	s_delay_alu instid0(VALU_DEP_1) | instskip(SKIP_3) | instid1(VALU_DEP_3)
	v_cmp_eq_u32_e32 vcc_lo, 1, v32
	v_dual_cndmask_b32 v33, v3, v5, vcc_lo :: v_dual_cndmask_b32 v35, v2, v4, vcc_lo
	v_cmp_eq_u32_e32 vcc_lo, 2, v32
	v_cmp_eq_u32_e64 s1, 11, v32
	v_dual_cndmask_b32 v33, v33, v7, vcc_lo :: v_dual_cndmask_b32 v35, v35, v6, vcc_lo
	v_cmp_eq_u32_e32 vcc_lo, 3, v32
	s_delay_alu instid0(VALU_DEP_2) | instskip(SKIP_1) | instid1(VALU_DEP_2)
	v_dual_cndmask_b32 v33, v33, v9, vcc_lo :: v_dual_cndmask_b32 v35, v35, v8, vcc_lo
	v_cmp_eq_u32_e32 vcc_lo, 4, v32
	v_dual_cndmask_b32 v33, v33, v11, vcc_lo :: v_dual_cndmask_b32 v35, v35, v10, vcc_lo
	v_cmp_eq_u32_e32 vcc_lo, 5, v32
	s_delay_alu instid0(VALU_DEP_2) | instskip(SKIP_1) | instid1(VALU_DEP_2)
	v_dual_cndmask_b32 v33, v33, v13, vcc_lo :: v_dual_cndmask_b32 v35, v35, v12, vcc_lo
	v_cmp_eq_u32_e32 vcc_lo, 6, v32
	;; [unrolled: 5-line block ×3, first 2 shown]
	v_dual_cndmask_b32 v19, v33, v19 :: v_dual_cndmask_b32 v18, v35, v18
	v_cmp_eq_u32_e32 vcc_lo, 9, v32
	s_delay_alu instid0(VALU_DEP_2) | instskip(SKIP_1) | instid1(VALU_DEP_2)
	v_dual_cndmask_b32 v19, v19, v21 :: v_dual_cndmask_b32 v18, v18, v20
	v_cmp_eq_u32_e32 vcc_lo, 10, v32
	v_dual_cndmask_b32 v33, v19, v23, vcc_lo :: v_dual_cndmask_b32 v35, v18, v22, vcc_lo
	ds_load_b64 v[18:19], v34 offset:48
	v_cmp_eq_u32_e32 vcc_lo, 12, v32
	v_dual_cndmask_b32 v33, v33, v25, s1 :: v_dual_cndmask_b32 v35, v35, v24, s1
	s_delay_alu instid0(VALU_DEP_1) | instskip(SKIP_1) | instid1(VALU_DEP_2)
	v_dual_cndmask_b32 v33, v33, v27, vcc_lo :: v_dual_cndmask_b32 v35, v35, v26, vcc_lo
	v_cmp_eq_u32_e32 vcc_lo, 13, v32
	v_dual_cndmask_b32 v33, v33, v29 :: v_dual_cndmask_b32 v32, v35, v28
	s_wait_dscnt 0x0
	s_delay_alu instid0(VALU_DEP_1)
	v_fmac_f64_e32 v[30:31], v[32:33], v[18:19]
	s_and_saveexec_b32 s1, s0
	s_cbranch_execz .LBB13_52
; %bb.51:
	ds_load_b64 v[18:19], v34 offset:56
	s_wait_dscnt 0x0
	v_fmac_f64_e32 v[30:31], v[16:17], v[18:19]
.LBB13_52:
	s_or_b32 exec_lo, exec_lo, s1
.LBB13_53:
	s_delay_alu instid0(SALU_CYCLE_1)
	s_or_b32 exec_lo, exec_lo, s2
.LBB13_54:
	s_delay_alu instid0(SALU_CYCLE_1)
	s_or_b32 exec_lo, exec_lo, s8
.LBB13_55:
	s_delay_alu instid0(SALU_CYCLE_1)
	s_or_b32 exec_lo, exec_lo, s3
.LBB13_56:
	s_delay_alu instid0(SALU_CYCLE_1)
	s_or_b32 exec_lo, exec_lo, s7
.LBB13_57:
	s_delay_alu instid0(SALU_CYCLE_1)
	s_or_b32 exec_lo, exec_lo, s4
.LBB13_58:
	s_delay_alu instid0(SALU_CYCLE_1)
	s_or_b32 exec_lo, exec_lo, s6
	v_mov_b32_e32 v18, 0
	ds_load_b64 v[18:19], v18 offset:64
	s_wait_dscnt 0x0
	v_mul_f64_e32 v[18:19], v[30:31], v[18:19]
.LBB13_59:
	s_or_b32 exec_lo, exec_lo, s5
	s_delay_alu instid0(SALU_CYCLE_1)
	s_mov_b32 s1, exec_lo
	s_barrier_signal -1
	s_barrier_wait -1
	ds_store_b64 v34, v[20:21]
	s_wait_dscnt 0x0
	s_barrier_signal -1
	s_barrier_wait -1
	v_cmpx_gt_u32_e32 9, v0
	s_cbranch_execz .LBB13_63
; %bb.60:
	v_mov_b64_e32 v[30:31], 0
	v_mov_b64_e32 v[32:33], v[0:1]
	v_lshl_add_u32 v35, v0, 3, 0x70
	s_mov_b32 s2, 0
.LBB13_61:                              ; =>This Inner Loop Header: Depth=1
	s_delay_alu instid0(VALU_DEP_2) | instskip(SKIP_3) | instid1(VALU_DEP_2)
	v_cmp_eq_u32_e32 vcc_lo, 1, v32
	v_cmp_eq_u32_e64 s0, 2, v32
	v_dual_cndmask_b32 v36, v3, v5 :: v_dual_cndmask_b32 v37, v2, v4
	v_cmp_eq_u32_e32 vcc_lo, 3, v32
	v_dual_cndmask_b32 v36, v36, v7, s0 :: v_dual_cndmask_b32 v37, v37, v6, s0
	v_cmp_eq_u32_e64 s0, 4, v32
	s_delay_alu instid0(VALU_DEP_2) | instskip(SKIP_1) | instid1(VALU_DEP_2)
	v_dual_cndmask_b32 v36, v36, v9 :: v_dual_cndmask_b32 v37, v37, v8
	v_cmp_eq_u32_e32 vcc_lo, 5, v32
	v_dual_cndmask_b32 v36, v36, v11, s0 :: v_dual_cndmask_b32 v37, v37, v10, s0
	v_cmp_eq_u32_e64 s0, 6, v32
	s_delay_alu instid0(VALU_DEP_2) | instskip(SKIP_1) | instid1(VALU_DEP_2)
	;; [unrolled: 5-line block ×3, first 2 shown]
	v_dual_cndmask_b32 v36, v36, v17 :: v_dual_cndmask_b32 v37, v37, v16
	v_cmp_eq_u32_e32 vcc_lo, 9, v32
	v_dual_cndmask_b32 v36, v36, v19, s0 :: v_dual_cndmask_b32 v37, v37, v18, s0
	v_cmp_eq_u32_e64 s0, 10, v32
	s_delay_alu instid0(VALU_DEP_2)
	v_dual_cndmask_b32 v38, v36, v21 :: v_dual_cndmask_b32 v39, v37, v20
	ds_load_b64 v[36:37], v35
	v_cmp_eq_u32_e32 vcc_lo, 11, v32
	v_add_nc_u32_e32 v35, 8, v35
	v_dual_cndmask_b32 v38, v38, v23, s0 :: v_dual_cndmask_b32 v39, v39, v22, s0
	v_cmp_eq_u32_e64 s0, 12, v32
	s_delay_alu instid0(VALU_DEP_2) | instskip(SKIP_2) | instid1(VALU_DEP_3)
	v_dual_cndmask_b32 v38, v38, v25 :: v_dual_cndmask_b32 v39, v39, v24
	v_cmp_eq_u32_e32 vcc_lo, 13, v32
	v_add_nc_u64_e32 v[32:33], 1, v[32:33]
	v_dual_cndmask_b32 v38, v38, v27, s0 :: v_dual_cndmask_b32 v40, v39, v26, s0
	s_delay_alu instid0(VALU_DEP_1) | instskip(SKIP_1) | instid1(VALU_DEP_1)
	v_dual_cndmask_b32 v39, v38, v29 :: v_dual_cndmask_b32 v38, v40, v28
	s_wait_dscnt 0x0
	v_fmac_f64_e32 v[30:31], v[38:39], v[36:37]
	s_delay_alu instid0(VALU_DEP_4) | instskip(NEXT) | instid1(VALU_DEP_1)
	v_add_nc_u32_e32 v36, -1, v32
	v_cmp_lt_u32_e32 vcc_lo, 7, v36
	s_or_b32 s2, vcc_lo, s2
	s_delay_alu instid0(SALU_CYCLE_1)
	s_and_not1_b32 exec_lo, exec_lo, s2
	s_cbranch_execnz .LBB13_61
; %bb.62:
	s_or_b32 exec_lo, exec_lo, s2
	v_mov_b32_e32 v20, 0
	ds_load_b64 v[20:21], v20 offset:72
	s_wait_dscnt 0x0
	v_mul_f64_e32 v[20:21], v[30:31], v[20:21]
.LBB13_63:
	s_or_b32 exec_lo, exec_lo, s1
	s_delay_alu instid0(SALU_CYCLE_1)
	s_mov_b32 s1, exec_lo
	s_barrier_signal -1
	s_barrier_wait -1
	ds_store_b64 v34, v[22:23]
	s_wait_dscnt 0x0
	s_barrier_signal -1
	s_barrier_wait -1
	v_cmpx_gt_u32_e32 10, v0
	s_cbranch_execz .LBB13_67
; %bb.64:
	v_mov_b64_e32 v[30:31], 0
	v_mov_b64_e32 v[32:33], v[0:1]
	v_lshl_add_u32 v35, v0, 3, 0x70
	s_mov_b32 s2, 0
.LBB13_65:                              ; =>This Inner Loop Header: Depth=1
	s_delay_alu instid0(VALU_DEP_2) | instskip(SKIP_3) | instid1(VALU_DEP_2)
	v_cmp_eq_u32_e32 vcc_lo, 1, v32
	v_cmp_eq_u32_e64 s0, 2, v32
	v_dual_cndmask_b32 v36, v3, v5 :: v_dual_cndmask_b32 v37, v2, v4
	v_cmp_eq_u32_e32 vcc_lo, 3, v32
	v_dual_cndmask_b32 v36, v36, v7, s0 :: v_dual_cndmask_b32 v37, v37, v6, s0
	v_cmp_eq_u32_e64 s0, 4, v32
	s_delay_alu instid0(VALU_DEP_2) | instskip(SKIP_1) | instid1(VALU_DEP_2)
	v_dual_cndmask_b32 v36, v36, v9 :: v_dual_cndmask_b32 v37, v37, v8
	v_cmp_eq_u32_e32 vcc_lo, 5, v32
	v_dual_cndmask_b32 v36, v36, v11, s0 :: v_dual_cndmask_b32 v37, v37, v10, s0
	v_cmp_eq_u32_e64 s0, 6, v32
	s_delay_alu instid0(VALU_DEP_2) | instskip(SKIP_1) | instid1(VALU_DEP_2)
	;; [unrolled: 5-line block ×3, first 2 shown]
	v_dual_cndmask_b32 v36, v36, v17 :: v_dual_cndmask_b32 v37, v37, v16
	v_cmp_eq_u32_e32 vcc_lo, 9, v32
	v_dual_cndmask_b32 v36, v36, v19, s0 :: v_dual_cndmask_b32 v37, v37, v18, s0
	v_cmp_eq_u32_e64 s0, 10, v32
	s_delay_alu instid0(VALU_DEP_2)
	v_dual_cndmask_b32 v38, v36, v21 :: v_dual_cndmask_b32 v39, v37, v20
	ds_load_b64 v[36:37], v35
	v_cmp_eq_u32_e32 vcc_lo, 11, v32
	v_add_nc_u32_e32 v35, 8, v35
	v_dual_cndmask_b32 v38, v38, v23, s0 :: v_dual_cndmask_b32 v39, v39, v22, s0
	v_cmp_eq_u32_e64 s0, 12, v32
	s_delay_alu instid0(VALU_DEP_2) | instskip(SKIP_2) | instid1(VALU_DEP_3)
	v_dual_cndmask_b32 v38, v38, v25 :: v_dual_cndmask_b32 v39, v39, v24
	v_cmp_eq_u32_e32 vcc_lo, 13, v32
	v_add_nc_u64_e32 v[32:33], 1, v[32:33]
	v_dual_cndmask_b32 v38, v38, v27, s0 :: v_dual_cndmask_b32 v40, v39, v26, s0
	s_delay_alu instid0(VALU_DEP_1) | instskip(SKIP_1) | instid1(VALU_DEP_1)
	v_dual_cndmask_b32 v39, v38, v29 :: v_dual_cndmask_b32 v38, v40, v28
	s_wait_dscnt 0x0
	v_fmac_f64_e32 v[30:31], v[38:39], v[36:37]
	s_delay_alu instid0(VALU_DEP_4) | instskip(NEXT) | instid1(VALU_DEP_1)
	v_add_nc_u32_e32 v36, -1, v32
	v_cmp_lt_u32_e32 vcc_lo, 8, v36
	s_or_b32 s2, vcc_lo, s2
	s_delay_alu instid0(SALU_CYCLE_1)
	s_and_not1_b32 exec_lo, exec_lo, s2
	s_cbranch_execnz .LBB13_65
; %bb.66:
	s_or_b32 exec_lo, exec_lo, s2
	v_mov_b32_e32 v22, 0
	ds_load_b64 v[22:23], v22 offset:80
	s_wait_dscnt 0x0
	v_mul_f64_e32 v[22:23], v[30:31], v[22:23]
.LBB13_67:
	s_or_b32 exec_lo, exec_lo, s1
	s_delay_alu instid0(SALU_CYCLE_1)
	s_mov_b32 s1, exec_lo
	s_barrier_signal -1
	s_barrier_wait -1
	ds_store_b64 v34, v[24:25]
	s_wait_dscnt 0x0
	s_barrier_signal -1
	s_barrier_wait -1
	v_cmpx_gt_u32_e32 11, v0
	s_cbranch_execz .LBB13_71
; %bb.68:
	v_mov_b64_e32 v[30:31], 0
	v_mov_b64_e32 v[32:33], v[0:1]
	v_lshl_add_u32 v35, v0, 3, 0x70
	s_mov_b32 s2, 0
.LBB13_69:                              ; =>This Inner Loop Header: Depth=1
	s_delay_alu instid0(VALU_DEP_2) | instskip(SKIP_3) | instid1(VALU_DEP_2)
	v_cmp_eq_u32_e32 vcc_lo, 1, v32
	v_cmp_eq_u32_e64 s0, 2, v32
	v_dual_cndmask_b32 v36, v3, v5 :: v_dual_cndmask_b32 v37, v2, v4
	v_cmp_eq_u32_e32 vcc_lo, 3, v32
	v_dual_cndmask_b32 v36, v36, v7, s0 :: v_dual_cndmask_b32 v37, v37, v6, s0
	v_cmp_eq_u32_e64 s0, 4, v32
	s_delay_alu instid0(VALU_DEP_2) | instskip(SKIP_1) | instid1(VALU_DEP_2)
	v_dual_cndmask_b32 v36, v36, v9 :: v_dual_cndmask_b32 v37, v37, v8
	v_cmp_eq_u32_e32 vcc_lo, 5, v32
	v_dual_cndmask_b32 v36, v36, v11, s0 :: v_dual_cndmask_b32 v37, v37, v10, s0
	v_cmp_eq_u32_e64 s0, 6, v32
	s_delay_alu instid0(VALU_DEP_2) | instskip(SKIP_1) | instid1(VALU_DEP_2)
	;; [unrolled: 5-line block ×3, first 2 shown]
	v_dual_cndmask_b32 v36, v36, v17 :: v_dual_cndmask_b32 v37, v37, v16
	v_cmp_eq_u32_e32 vcc_lo, 9, v32
	v_dual_cndmask_b32 v36, v36, v19, s0 :: v_dual_cndmask_b32 v37, v37, v18, s0
	v_cmp_eq_u32_e64 s0, 10, v32
	s_delay_alu instid0(VALU_DEP_2)
	v_dual_cndmask_b32 v38, v36, v21 :: v_dual_cndmask_b32 v39, v37, v20
	ds_load_b64 v[36:37], v35
	v_cmp_eq_u32_e32 vcc_lo, 11, v32
	v_add_nc_u32_e32 v35, 8, v35
	v_dual_cndmask_b32 v38, v38, v23, s0 :: v_dual_cndmask_b32 v39, v39, v22, s0
	v_cmp_eq_u32_e64 s0, 12, v32
	s_delay_alu instid0(VALU_DEP_2) | instskip(SKIP_2) | instid1(VALU_DEP_3)
	v_dual_cndmask_b32 v38, v38, v25 :: v_dual_cndmask_b32 v39, v39, v24
	v_cmp_eq_u32_e32 vcc_lo, 13, v32
	v_add_nc_u64_e32 v[32:33], 1, v[32:33]
	v_dual_cndmask_b32 v38, v38, v27, s0 :: v_dual_cndmask_b32 v40, v39, v26, s0
	s_delay_alu instid0(VALU_DEP_1) | instskip(SKIP_1) | instid1(VALU_DEP_1)
	v_dual_cndmask_b32 v39, v38, v29 :: v_dual_cndmask_b32 v38, v40, v28
	s_wait_dscnt 0x0
	v_fmac_f64_e32 v[30:31], v[38:39], v[36:37]
	s_delay_alu instid0(VALU_DEP_4) | instskip(NEXT) | instid1(VALU_DEP_1)
	v_add_nc_u32_e32 v36, -1, v32
	v_cmp_lt_u32_e32 vcc_lo, 9, v36
	s_or_b32 s2, vcc_lo, s2
	s_delay_alu instid0(SALU_CYCLE_1)
	s_and_not1_b32 exec_lo, exec_lo, s2
	s_cbranch_execnz .LBB13_69
; %bb.70:
	s_or_b32 exec_lo, exec_lo, s2
	v_mov_b32_e32 v24, 0
	ds_load_b64 v[24:25], v24 offset:88
	s_wait_dscnt 0x0
	v_mul_f64_e32 v[24:25], v[30:31], v[24:25]
.LBB13_71:
	s_or_b32 exec_lo, exec_lo, s1
	s_delay_alu instid0(SALU_CYCLE_1)
	s_mov_b32 s1, exec_lo
	s_barrier_signal -1
	s_barrier_wait -1
	ds_store_b64 v34, v[26:27]
	s_wait_dscnt 0x0
	s_barrier_signal -1
	s_barrier_wait -1
	v_cmpx_gt_u32_e32 12, v0
	s_cbranch_execz .LBB13_75
; %bb.72:
	v_mov_b64_e32 v[30:31], 0
	v_mov_b64_e32 v[32:33], v[0:1]
	v_lshl_add_u32 v35, v0, 3, 0x70
	s_mov_b32 s2, 0
.LBB13_73:                              ; =>This Inner Loop Header: Depth=1
	s_delay_alu instid0(VALU_DEP_2) | instskip(SKIP_3) | instid1(VALU_DEP_2)
	v_cmp_eq_u32_e32 vcc_lo, 1, v32
	v_cmp_eq_u32_e64 s0, 2, v32
	v_dual_cndmask_b32 v36, v3, v5 :: v_dual_cndmask_b32 v37, v2, v4
	v_cmp_eq_u32_e32 vcc_lo, 3, v32
	v_dual_cndmask_b32 v36, v36, v7, s0 :: v_dual_cndmask_b32 v37, v37, v6, s0
	v_cmp_eq_u32_e64 s0, 4, v32
	s_delay_alu instid0(VALU_DEP_2) | instskip(SKIP_1) | instid1(VALU_DEP_2)
	v_dual_cndmask_b32 v36, v36, v9 :: v_dual_cndmask_b32 v37, v37, v8
	v_cmp_eq_u32_e32 vcc_lo, 5, v32
	v_dual_cndmask_b32 v36, v36, v11, s0 :: v_dual_cndmask_b32 v37, v37, v10, s0
	v_cmp_eq_u32_e64 s0, 6, v32
	s_delay_alu instid0(VALU_DEP_2) | instskip(SKIP_1) | instid1(VALU_DEP_2)
	;; [unrolled: 5-line block ×3, first 2 shown]
	v_dual_cndmask_b32 v36, v36, v17 :: v_dual_cndmask_b32 v37, v37, v16
	v_cmp_eq_u32_e32 vcc_lo, 9, v32
	v_dual_cndmask_b32 v36, v36, v19, s0 :: v_dual_cndmask_b32 v37, v37, v18, s0
	v_cmp_eq_u32_e64 s0, 10, v32
	s_delay_alu instid0(VALU_DEP_2)
	v_dual_cndmask_b32 v38, v36, v21 :: v_dual_cndmask_b32 v39, v37, v20
	ds_load_b64 v[36:37], v35
	v_cmp_eq_u32_e32 vcc_lo, 11, v32
	v_add_nc_u32_e32 v35, 8, v35
	v_dual_cndmask_b32 v38, v38, v23, s0 :: v_dual_cndmask_b32 v39, v39, v22, s0
	v_cmp_eq_u32_e64 s0, 12, v32
	s_delay_alu instid0(VALU_DEP_2) | instskip(SKIP_2) | instid1(VALU_DEP_3)
	v_dual_cndmask_b32 v38, v38, v25 :: v_dual_cndmask_b32 v39, v39, v24
	v_cmp_eq_u32_e32 vcc_lo, 13, v32
	v_add_nc_u64_e32 v[32:33], 1, v[32:33]
	v_dual_cndmask_b32 v38, v38, v27, s0 :: v_dual_cndmask_b32 v40, v39, v26, s0
	s_delay_alu instid0(VALU_DEP_1) | instskip(SKIP_1) | instid1(VALU_DEP_1)
	v_dual_cndmask_b32 v39, v38, v29 :: v_dual_cndmask_b32 v38, v40, v28
	s_wait_dscnt 0x0
	v_fmac_f64_e32 v[30:31], v[38:39], v[36:37]
	s_delay_alu instid0(VALU_DEP_4) | instskip(NEXT) | instid1(VALU_DEP_1)
	v_add_nc_u32_e32 v36, -1, v32
	v_cmp_lt_u32_e32 vcc_lo, 10, v36
	s_or_b32 s2, vcc_lo, s2
	s_delay_alu instid0(SALU_CYCLE_1)
	s_and_not1_b32 exec_lo, exec_lo, s2
	s_cbranch_execnz .LBB13_73
; %bb.74:
	s_or_b32 exec_lo, exec_lo, s2
	v_mov_b32_e32 v26, 0
	ds_load_b64 v[26:27], v26 offset:96
	s_wait_dscnt 0x0
	v_mul_f64_e32 v[26:27], v[30:31], v[26:27]
.LBB13_75:
	s_or_b32 exec_lo, exec_lo, s1
	s_delay_alu instid0(SALU_CYCLE_1)
	s_mov_b32 s1, exec_lo
	s_barrier_signal -1
	s_barrier_wait -1
	ds_store_b64 v34, v[28:29]
	s_wait_dscnt 0x0
	s_barrier_signal -1
	s_barrier_wait -1
	v_cmpx_ne_u32_e32 13, v0
	s_cbranch_execz .LBB13_79
; %bb.76:
	v_mov_b64_e32 v[30:31], 0
	v_mov_b64_e32 v[32:33], v[0:1]
	v_lshl_add_u32 v34, v0, 3, 0x70
	s_mov_b32 s2, 0
.LBB13_77:                              ; =>This Inner Loop Header: Depth=1
	s_delay_alu instid0(VALU_DEP_2)
	v_cmp_eq_u32_e32 vcc_lo, 1, v32
	v_cmp_eq_u32_e64 s0, 2, v32
	ds_load_b64 v[36:37], v34
	v_dual_cndmask_b32 v1, v3, v5 :: v_dual_add_nc_u32 v34, 8, v34
	v_cndmask_b32_e32 v35, v2, v4, vcc_lo
	v_cmp_eq_u32_e32 vcc_lo, 3, v32
	s_delay_alu instid0(VALU_DEP_2) | instskip(SKIP_1) | instid1(VALU_DEP_2)
	v_dual_cndmask_b32 v1, v1, v7, s0 :: v_dual_cndmask_b32 v35, v35, v6, s0
	v_cmp_eq_u32_e64 s0, 4, v32
	v_dual_cndmask_b32 v1, v1, v9, vcc_lo :: v_dual_cndmask_b32 v35, v35, v8, vcc_lo
	v_cmp_eq_u32_e32 vcc_lo, 5, v32
	s_delay_alu instid0(VALU_DEP_2) | instskip(SKIP_1) | instid1(VALU_DEP_2)
	v_dual_cndmask_b32 v1, v1, v11, s0 :: v_dual_cndmask_b32 v35, v35, v10, s0
	v_cmp_eq_u32_e64 s0, 6, v32
	v_dual_cndmask_b32 v1, v1, v13, vcc_lo :: v_dual_cndmask_b32 v35, v35, v12, vcc_lo
	;; [unrolled: 5-line block ×5, first 2 shown]
	v_cmp_eq_u32_e32 vcc_lo, 13, v32
	v_add_nc_u64_e32 v[32:33], 1, v[32:33]
	s_delay_alu instid0(VALU_DEP_3) | instskip(NEXT) | instid1(VALU_DEP_1)
	v_dual_cndmask_b32 v1, v1, v27, s0 :: v_dual_cndmask_b32 v35, v35, v26, s0
	v_dual_cndmask_b32 v39, v1, v29 :: v_dual_cndmask_b32 v38, v35, v28
	s_delay_alu instid0(VALU_DEP_3) | instskip(SKIP_1) | instid1(VALU_DEP_2)
	v_add_nc_u32_e32 v1, -1, v32
	s_wait_dscnt 0x0
	v_fmac_f64_e32 v[30:31], v[38:39], v[36:37]
	s_delay_alu instid0(VALU_DEP_2) | instskip(SKIP_1) | instid1(SALU_CYCLE_1)
	v_cmp_lt_u32_e32 vcc_lo, 11, v1
	s_or_b32 s2, vcc_lo, s2
	s_and_not1_b32 exec_lo, exec_lo, s2
	s_cbranch_execnz .LBB13_77
; %bb.78:
	s_or_b32 exec_lo, exec_lo, s2
	v_mov_b32_e32 v1, 0
	ds_load_b64 v[28:29], v1 offset:104
	s_wait_dscnt 0x0
	v_mul_f64_e32 v[28:29], v[30:31], v[28:29]
.LBB13_79:
	s_or_b32 exec_lo, exec_lo, s1
	s_barrier_signal -1
	s_barrier_wait -1
	s_cbranch_execnz .LBB13_15
	s_branch .LBB13_16
.LBB13_80:
	s_wait_xcnt 0x0
	v_lshl_add_u32 v1, v0, 3, 0x70
	s_mov_b32 s0, exec_lo
	v_cmpx_eq_u32_e32 13, v0
	s_cbranch_execz .LBB13_82
; %bb.81:
	v_dual_mov_b32 v54, 0 :: v_dual_mov_b32 v52, v24
	v_dual_mov_b32 v30, v2 :: v_dual_mov_b32 v31, v3
	;; [unrolled: 1-line block ×14, first 2 shown]
	ds_store_b64 v1, v[26:27]
	v_mov_b64_e32 v[2:3], v[30:31]
	v_mov_b64_e32 v[4:5], v[32:33]
	;; [unrolled: 1-line block ×16, first 2 shown]
.LBB13_82:
	s_or_b32 exec_lo, exec_lo, s0
	v_mov_b32_e32 v52, 0
	s_wait_storecnt_dscnt 0x0
	s_barrier_signal -1
	s_barrier_wait -1
	ds_load_b64 v[30:31], v52 offset:216
	s_mov_b32 s0, exec_lo
	s_wait_dscnt 0x0
	v_fma_f64 v[30:31], v[28:29], v[30:31], 0
	s_delay_alu instid0(VALU_DEP_1)
	v_add_f64_e64 v[26:27], v[26:27], -v[30:31]
	v_cmpx_lt_u32_e32 11, v0
	s_cbranch_execz .LBB13_84
; %bb.83:
	v_dual_mov_b32 v30, v2 :: v_dual_mov_b32 v31, v3
	v_dual_mov_b32 v34, v6 :: v_dual_mov_b32 v35, v7
	;; [unrolled: 1-line block ×13, first 2 shown]
	v_mov_b32_e32 v33, v5
	ds_store_b64 v1, v[24:25]
	v_mov_b64_e32 v[2:3], v[30:31]
	v_mov_b64_e32 v[4:5], v[32:33]
	;; [unrolled: 1-line block ×16, first 2 shown]
.LBB13_84:
	s_or_b32 exec_lo, exec_lo, s0
	s_wait_dscnt 0x0
	s_barrier_signal -1
	s_barrier_wait -1
	ds_load_b128 v[30:33], v52 offset:208
	s_mov_b32 s0, exec_lo
	s_wait_dscnt 0x0
	v_fma_f64 v[30:31], v[26:27], v[30:31], 0
	s_delay_alu instid0(VALU_DEP_1) | instskip(NEXT) | instid1(VALU_DEP_1)
	v_fmac_f64_e32 v[30:31], v[28:29], v[32:33]
	v_add_f64_e64 v[24:25], v[24:25], -v[30:31]
	v_cmpx_lt_u32_e32 10, v0
	s_cbranch_execz .LBB13_86
; %bb.85:
	v_dual_mov_b32 v50, 0 :: v_dual_mov_b32 v30, v2
	v_dual_mov_b32 v31, v3 :: v_dual_mov_b32 v32, v4
	;; [unrolled: 1-line block ×14, first 2 shown]
	ds_store_b64 v1, v[22:23]
	v_mov_b64_e32 v[2:3], v[30:31]
	v_mov_b64_e32 v[4:5], v[32:33]
	v_mov_b64_e32 v[6:7], v[34:35]
	v_mov_b64_e32 v[8:9], v[36:37]
	v_mov_b64_e32 v[10:11], v[38:39]
	v_mov_b64_e32 v[12:13], v[40:41]
	v_mov_b64_e32 v[14:15], v[42:43]
	v_mov_b64_e32 v[16:17], v[44:45]
	v_mov_b64_e32 v[18:19], v[46:47]
	v_mov_b64_e32 v[20:21], v[48:49]
	v_mov_b64_e32 v[22:23], v[50:51]
	v_mov_b64_e32 v[24:25], v[52:53]
	v_mov_b64_e32 v[26:27], v[54:55]
	v_mov_b64_e32 v[28:29], v[56:57]
	v_mov_b64_e32 v[30:31], v[58:59]
	v_mov_b64_e32 v[32:33], v[60:61]
.LBB13_86:
	s_or_b32 exec_lo, exec_lo, s0
	v_mov_b32_e32 v48, 0
	s_wait_dscnt 0x0
	s_barrier_signal -1
	s_barrier_wait -1
	ds_load_2addr_b64 v[30:33], v48 offset0:25 offset1:26
	ds_load_b64 v[34:35], v48 offset:216
	s_mov_b32 s0, exec_lo
	s_wait_dscnt 0x1
	v_fma_f64 v[30:31], v[24:25], v[30:31], 0
	s_delay_alu instid0(VALU_DEP_1) | instskip(SKIP_1) | instid1(VALU_DEP_1)
	v_fmac_f64_e32 v[30:31], v[26:27], v[32:33]
	s_wait_dscnt 0x0
	v_fmac_f64_e32 v[30:31], v[28:29], v[34:35]
	s_delay_alu instid0(VALU_DEP_1)
	v_add_f64_e64 v[22:23], v[22:23], -v[30:31]
	v_cmpx_lt_u32_e32 9, v0
	s_cbranch_execz .LBB13_88
; %bb.87:
	v_dual_mov_b32 v30, v2 :: v_dual_mov_b32 v31, v3
	v_dual_mov_b32 v34, v6 :: v_dual_mov_b32 v35, v7
	;; [unrolled: 1-line block ×13, first 2 shown]
	v_mov_b32_e32 v33, v5
	ds_store_b64 v1, v[20:21]
	v_mov_b64_e32 v[2:3], v[30:31]
	v_mov_b64_e32 v[4:5], v[32:33]
	v_mov_b64_e32 v[6:7], v[34:35]
	v_mov_b64_e32 v[8:9], v[36:37]
	v_mov_b64_e32 v[10:11], v[38:39]
	v_mov_b64_e32 v[12:13], v[40:41]
	v_mov_b64_e32 v[14:15], v[42:43]
	v_mov_b64_e32 v[16:17], v[44:45]
	v_mov_b64_e32 v[18:19], v[46:47]
	v_mov_b64_e32 v[20:21], v[48:49]
	v_mov_b64_e32 v[22:23], v[50:51]
	v_mov_b64_e32 v[24:25], v[52:53]
	v_mov_b64_e32 v[26:27], v[54:55]
	v_mov_b64_e32 v[28:29], v[56:57]
	v_mov_b64_e32 v[30:31], v[58:59]
	v_mov_b64_e32 v[32:33], v[60:61]
.LBB13_88:
	s_or_b32 exec_lo, exec_lo, s0
	s_wait_dscnt 0x0
	s_barrier_signal -1
	s_barrier_wait -1
	ds_load_b128 v[30:33], v48 offset:192
	ds_load_b128 v[34:37], v48 offset:208
	s_mov_b32 s0, exec_lo
	s_wait_dscnt 0x1
	v_fma_f64 v[30:31], v[22:23], v[30:31], 0
	s_delay_alu instid0(VALU_DEP_1) | instskip(SKIP_1) | instid1(VALU_DEP_1)
	v_fmac_f64_e32 v[30:31], v[24:25], v[32:33]
	s_wait_dscnt 0x0
	v_fmac_f64_e32 v[30:31], v[26:27], v[34:35]
	s_delay_alu instid0(VALU_DEP_1) | instskip(NEXT) | instid1(VALU_DEP_1)
	v_fmac_f64_e32 v[30:31], v[28:29], v[36:37]
	v_add_f64_e64 v[20:21], v[20:21], -v[30:31]
	v_cmpx_lt_u32_e32 8, v0
	s_cbranch_execz .LBB13_90
; %bb.89:
	v_dual_mov_b32 v46, 0 :: v_dual_mov_b32 v30, v2
	v_dual_mov_b32 v31, v3 :: v_dual_mov_b32 v32, v4
	;; [unrolled: 1-line block ×14, first 2 shown]
	ds_store_b64 v1, v[18:19]
	v_mov_b64_e32 v[2:3], v[30:31]
	v_mov_b64_e32 v[4:5], v[32:33]
	;; [unrolled: 1-line block ×16, first 2 shown]
.LBB13_90:
	s_or_b32 exec_lo, exec_lo, s0
	v_mov_b32_e32 v44, 0
	s_wait_dscnt 0x0
	s_barrier_signal -1
	s_barrier_wait -1
	ds_load_2addr_b64 v[30:33], v44 offset0:23 offset1:24
	ds_load_2addr_b64 v[34:37], v44 offset0:25 offset1:26
	s_mov_b32 s0, exec_lo
	s_wait_dscnt 0x1
	v_fma_f64 v[30:31], v[20:21], v[30:31], 0
	s_delay_alu instid0(VALU_DEP_1) | instskip(SKIP_3) | instid1(VALU_DEP_1)
	v_fmac_f64_e32 v[30:31], v[22:23], v[32:33]
	ds_load_b64 v[32:33], v44 offset:216
	s_wait_dscnt 0x1
	v_fmac_f64_e32 v[30:31], v[24:25], v[34:35]
	v_fmac_f64_e32 v[30:31], v[26:27], v[36:37]
	s_wait_dscnt 0x0
	s_delay_alu instid0(VALU_DEP_1) | instskip(NEXT) | instid1(VALU_DEP_1)
	v_fmac_f64_e32 v[30:31], v[28:29], v[32:33]
	v_add_f64_e64 v[18:19], v[18:19], -v[30:31]
	v_cmpx_lt_u32_e32 7, v0
	s_cbranch_execz .LBB13_92
; %bb.91:
	v_dual_mov_b32 v30, v2 :: v_dual_mov_b32 v31, v3
	v_dual_mov_b32 v34, v6 :: v_dual_mov_b32 v35, v7
	;; [unrolled: 1-line block ×13, first 2 shown]
	v_mov_b32_e32 v33, v5
	ds_store_b64 v1, v[16:17]
	v_mov_b64_e32 v[2:3], v[30:31]
	v_mov_b64_e32 v[4:5], v[32:33]
	;; [unrolled: 1-line block ×16, first 2 shown]
.LBB13_92:
	s_or_b32 exec_lo, exec_lo, s0
	s_wait_dscnt 0x0
	s_barrier_signal -1
	s_barrier_wait -1
	ds_load_b128 v[30:33], v44 offset:176
	ds_load_b128 v[34:37], v44 offset:192
	s_mov_b32 s0, exec_lo
	s_wait_dscnt 0x1
	v_fma_f64 v[38:39], v[18:19], v[30:31], 0
	s_delay_alu instid0(VALU_DEP_1) | instskip(SKIP_3) | instid1(VALU_DEP_1)
	v_fmac_f64_e32 v[38:39], v[20:21], v[32:33]
	ds_load_b128 v[30:33], v44 offset:208
	s_wait_dscnt 0x1
	v_fmac_f64_e32 v[38:39], v[22:23], v[34:35]
	v_fmac_f64_e32 v[38:39], v[24:25], v[36:37]
	s_wait_dscnt 0x0
	s_delay_alu instid0(VALU_DEP_1) | instskip(NEXT) | instid1(VALU_DEP_1)
	v_fmac_f64_e32 v[38:39], v[26:27], v[30:31]
	v_fmac_f64_e32 v[38:39], v[28:29], v[32:33]
	s_delay_alu instid0(VALU_DEP_1)
	v_add_f64_e64 v[16:17], v[16:17], -v[38:39]
	v_cmpx_lt_u32_e32 6, v0
	s_cbranch_execz .LBB13_94
; %bb.93:
	v_dual_mov_b32 v42, 0 :: v_dual_mov_b32 v30, v2
	v_dual_mov_b32 v31, v3 :: v_dual_mov_b32 v32, v4
	;; [unrolled: 1-line block ×14, first 2 shown]
	ds_store_b64 v1, v[14:15]
	v_mov_b64_e32 v[2:3], v[30:31]
	v_mov_b64_e32 v[4:5], v[32:33]
	;; [unrolled: 1-line block ×16, first 2 shown]
.LBB13_94:
	s_or_b32 exec_lo, exec_lo, s0
	v_mov_b32_e32 v40, 0
	s_wait_dscnt 0x0
	s_barrier_signal -1
	s_barrier_wait -1
	ds_load_2addr_b64 v[30:33], v40 offset0:21 offset1:22
	ds_load_2addr_b64 v[34:37], v40 offset0:23 offset1:24
	s_mov_b32 s0, exec_lo
	s_wait_dscnt 0x1
	v_fma_f64 v[38:39], v[16:17], v[30:31], 0
	s_delay_alu instid0(VALU_DEP_1) | instskip(SKIP_1) | instid1(VALU_DEP_1)
	v_fmac_f64_e32 v[38:39], v[18:19], v[32:33]
	s_wait_dscnt 0x0
	v_fmac_f64_e32 v[38:39], v[20:21], v[34:35]
	ds_load_2addr_b64 v[30:33], v40 offset0:25 offset1:26
	ds_load_b64 v[34:35], v40 offset:216
	v_fmac_f64_e32 v[38:39], v[22:23], v[36:37]
	s_wait_dscnt 0x1
	s_delay_alu instid0(VALU_DEP_1) | instskip(NEXT) | instid1(VALU_DEP_1)
	v_fmac_f64_e32 v[38:39], v[24:25], v[30:31]
	v_fmac_f64_e32 v[38:39], v[26:27], v[32:33]
	s_wait_dscnt 0x0
	s_delay_alu instid0(VALU_DEP_1) | instskip(NEXT) | instid1(VALU_DEP_1)
	v_fmac_f64_e32 v[38:39], v[28:29], v[34:35]
	v_add_f64_e64 v[14:15], v[14:15], -v[38:39]
	v_cmpx_lt_u32_e32 5, v0
	s_cbranch_execz .LBB13_96
; %bb.95:
	v_dual_mov_b32 v30, v2 :: v_dual_mov_b32 v31, v3
	v_dual_mov_b32 v34, v6 :: v_dual_mov_b32 v35, v7
	;; [unrolled: 1-line block ×13, first 2 shown]
	v_mov_b32_e32 v33, v5
	ds_store_b64 v1, v[12:13]
	v_mov_b64_e32 v[2:3], v[30:31]
	v_mov_b64_e32 v[4:5], v[32:33]
	;; [unrolled: 1-line block ×16, first 2 shown]
.LBB13_96:
	s_or_b32 exec_lo, exec_lo, s0
	s_wait_dscnt 0x0
	s_barrier_signal -1
	s_barrier_wait -1
	ds_load_b128 v[30:33], v40 offset:160
	ds_load_b128 v[34:37], v40 offset:176
	s_mov_b32 s0, exec_lo
	s_wait_dscnt 0x1
	v_fma_f64 v[38:39], v[14:15], v[30:31], 0
	s_delay_alu instid0(VALU_DEP_1) | instskip(SKIP_1) | instid1(VALU_DEP_1)
	v_fmac_f64_e32 v[38:39], v[16:17], v[32:33]
	s_wait_dscnt 0x0
	v_fmac_f64_e32 v[38:39], v[18:19], v[34:35]
	s_delay_alu instid0(VALU_DEP_1) | instskip(SKIP_4) | instid1(VALU_DEP_1)
	v_fmac_f64_e32 v[38:39], v[20:21], v[36:37]
	ds_load_b128 v[30:33], v40 offset:192
	ds_load_b128 v[34:37], v40 offset:208
	s_wait_dscnt 0x1
	v_fmac_f64_e32 v[38:39], v[22:23], v[30:31]
	v_fmac_f64_e32 v[38:39], v[24:25], v[32:33]
	s_wait_dscnt 0x0
	s_delay_alu instid0(VALU_DEP_1) | instskip(NEXT) | instid1(VALU_DEP_1)
	v_fmac_f64_e32 v[38:39], v[26:27], v[34:35]
	v_fmac_f64_e32 v[38:39], v[28:29], v[36:37]
	s_delay_alu instid0(VALU_DEP_1)
	v_add_f64_e64 v[12:13], v[12:13], -v[38:39]
	v_cmpx_lt_u32_e32 4, v0
	s_cbranch_execz .LBB13_98
; %bb.97:
	v_dual_mov_b32 v38, 0 :: v_dual_mov_b32 v30, v2
	v_dual_mov_b32 v31, v3 :: v_dual_mov_b32 v32, v4
	;; [unrolled: 1-line block ×4, first 2 shown]
	s_delay_alu instid0(VALU_DEP_4)
	v_dual_mov_b32 v37, v9 :: v_dual_mov_b32 v39, v38
	v_dual_mov_b32 v40, v12 :: v_dual_mov_b32 v41, v13
	;; [unrolled: 1-line block ×10, first 2 shown]
	ds_store_b64 v1, v[10:11]
	v_mov_b64_e32 v[2:3], v[30:31]
	v_mov_b64_e32 v[4:5], v[32:33]
	;; [unrolled: 1-line block ×16, first 2 shown]
.LBB13_98:
	s_or_b32 exec_lo, exec_lo, s0
	v_mov_b32_e32 v36, 0
	s_wait_dscnt 0x0
	s_barrier_signal -1
	s_barrier_wait -1
	ds_load_2addr_b64 v[30:33], v36 offset0:19 offset1:20
	ds_load_2addr_b64 v[38:41], v36 offset0:21 offset1:22
	s_mov_b32 s0, exec_lo
	s_wait_dscnt 0x1
	v_fma_f64 v[34:35], v[12:13], v[30:31], 0
	s_delay_alu instid0(VALU_DEP_1) | instskip(SKIP_1) | instid1(VALU_DEP_1)
	v_fmac_f64_e32 v[34:35], v[14:15], v[32:33]
	s_wait_dscnt 0x0
	v_fmac_f64_e32 v[34:35], v[16:17], v[38:39]
	s_delay_alu instid0(VALU_DEP_1)
	v_fmac_f64_e32 v[34:35], v[18:19], v[40:41]
	ds_load_2addr_b64 v[30:33], v36 offset0:23 offset1:24
	ds_load_2addr_b64 v[38:41], v36 offset0:25 offset1:26
	s_wait_dscnt 0x1
	v_fmac_f64_e32 v[34:35], v[20:21], v[30:31]
	ds_load_b64 v[30:31], v36 offset:216
	v_fmac_f64_e32 v[34:35], v[22:23], v[32:33]
	s_wait_dscnt 0x1
	s_delay_alu instid0(VALU_DEP_1) | instskip(NEXT) | instid1(VALU_DEP_1)
	v_fmac_f64_e32 v[34:35], v[24:25], v[38:39]
	v_fmac_f64_e32 v[34:35], v[26:27], v[40:41]
	s_wait_dscnt 0x0
	s_delay_alu instid0(VALU_DEP_1) | instskip(NEXT) | instid1(VALU_DEP_1)
	v_fmac_f64_e32 v[34:35], v[28:29], v[30:31]
	v_add_f64_e64 v[10:11], v[10:11], -v[34:35]
	v_cmpx_lt_u32_e32 3, v0
	s_cbranch_execz .LBB13_100
; %bb.99:
	v_dual_mov_b32 v30, v2 :: v_dual_mov_b32 v31, v3
	v_dual_mov_b32 v34, v6 :: v_dual_mov_b32 v35, v7
	s_delay_alu instid0(VALU_DEP_4)
	v_dual_mov_b32 v37, v36 :: v_dual_mov_b32 v38, v10
	v_dual_mov_b32 v39, v11 :: v_dual_mov_b32 v40, v12
	;; [unrolled: 1-line block ×12, first 2 shown]
	v_mov_b32_e32 v59, v9
	v_mov_b64_e32 v[2:3], v[30:31]
	s_delay_alu instid0(VALU_DEP_3)
	v_mov_b64_e32 v[4:5], v[32:33]
	v_mov_b64_e32 v[6:7], v[34:35]
	;; [unrolled: 1-line block ×15, first 2 shown]
	ds_store_b64 v1, v[58:59]
.LBB13_100:
	s_or_b32 exec_lo, exec_lo, s0
	s_wait_dscnt 0x0
	s_barrier_signal -1
	s_barrier_wait -1
	ds_load_b128 v[30:33], v36 offset:144
	ds_load_b128 v[38:41], v36 offset:160
	s_mov_b32 s0, exec_lo
	s_wait_dscnt 0x1
	v_fma_f64 v[34:35], v[10:11], v[30:31], 0
	s_delay_alu instid0(VALU_DEP_1) | instskip(SKIP_1) | instid1(VALU_DEP_1)
	v_fmac_f64_e32 v[34:35], v[12:13], v[32:33]
	s_wait_dscnt 0x0
	v_fmac_f64_e32 v[34:35], v[14:15], v[38:39]
	s_delay_alu instid0(VALU_DEP_1) | instskip(SKIP_4) | instid1(VALU_DEP_1)
	v_fmac_f64_e32 v[34:35], v[16:17], v[40:41]
	ds_load_b128 v[30:33], v36 offset:176
	ds_load_b128 v[38:41], v36 offset:192
	s_wait_dscnt 0x1
	v_fmac_f64_e32 v[34:35], v[18:19], v[30:31]
	v_fmac_f64_e32 v[34:35], v[20:21], v[32:33]
	ds_load_b128 v[30:33], v36 offset:208
	s_wait_dscnt 0x1
	v_fmac_f64_e32 v[34:35], v[22:23], v[38:39]
	s_delay_alu instid0(VALU_DEP_1) | instskip(SKIP_1) | instid1(VALU_DEP_1)
	v_fmac_f64_e32 v[34:35], v[24:25], v[40:41]
	s_wait_dscnt 0x0
	v_fmac_f64_e32 v[34:35], v[26:27], v[30:31]
	s_delay_alu instid0(VALU_DEP_1) | instskip(NEXT) | instid1(VALU_DEP_1)
	v_fmac_f64_e32 v[34:35], v[28:29], v[32:33]
	v_add_f64_e64 v[8:9], v[8:9], -v[34:35]
	v_cmpx_lt_u32_e32 2, v0
	s_cbranch_execz .LBB13_102
; %bb.101:
	v_dual_mov_b32 v34, 0 :: v_dual_mov_b32 v30, v2
	v_dual_mov_b32 v31, v3 :: v_dual_mov_b32 v32, v4
	s_delay_alu instid0(VALU_DEP_2)
	v_dual_mov_b32 v33, v5 :: v_dual_mov_b32 v35, v34
	v_dual_mov_b32 v36, v8 :: v_dual_mov_b32 v37, v9
	;; [unrolled: 1-line block ×13, first 2 shown]
	v_mov_b64_e32 v[2:3], v[30:31]
	v_mov_b64_e32 v[4:5], v[32:33]
	;; [unrolled: 1-line block ×16, first 2 shown]
	ds_store_b64 v1, v[58:59]
.LBB13_102:
	s_or_b32 exec_lo, exec_lo, s0
	v_mov_b32_e32 v34, 0
	s_wait_dscnt 0x0
	s_barrier_signal -1
	s_barrier_wait -1
	ds_load_2addr_b64 v[30:33], v34 offset0:17 offset1:18
	ds_load_2addr_b64 v[36:39], v34 offset0:19 offset1:20
	s_mov_b32 s0, exec_lo
	s_wait_dscnt 0x1
	v_fma_f64 v[40:41], v[8:9], v[30:31], 0
	s_delay_alu instid0(VALU_DEP_1) | instskip(SKIP_1) | instid1(VALU_DEP_1)
	v_fmac_f64_e32 v[40:41], v[10:11], v[32:33]
	s_wait_dscnt 0x0
	v_fmac_f64_e32 v[40:41], v[12:13], v[36:37]
	s_delay_alu instid0(VALU_DEP_1) | instskip(SKIP_4) | instid1(VALU_DEP_1)
	v_fmac_f64_e32 v[40:41], v[14:15], v[38:39]
	ds_load_2addr_b64 v[30:33], v34 offset0:21 offset1:22
	ds_load_2addr_b64 v[36:39], v34 offset0:23 offset1:24
	s_wait_dscnt 0x1
	v_fmac_f64_e32 v[40:41], v[16:17], v[30:31]
	v_fmac_f64_e32 v[40:41], v[18:19], v[32:33]
	s_wait_dscnt 0x0
	s_delay_alu instid0(VALU_DEP_1) | instskip(SKIP_4) | instid1(VALU_DEP_1)
	v_fmac_f64_e32 v[40:41], v[20:21], v[36:37]
	ds_load_2addr_b64 v[30:33], v34 offset0:25 offset1:26
	ds_load_b64 v[36:37], v34 offset:216
	v_fmac_f64_e32 v[40:41], v[22:23], v[38:39]
	s_wait_dscnt 0x1
	v_fmac_f64_e32 v[40:41], v[24:25], v[30:31]
	s_delay_alu instid0(VALU_DEP_1) | instskip(SKIP_1) | instid1(VALU_DEP_1)
	v_fmac_f64_e32 v[40:41], v[26:27], v[32:33]
	s_wait_dscnt 0x0
	v_fmac_f64_e32 v[40:41], v[28:29], v[36:37]
	s_delay_alu instid0(VALU_DEP_1)
	v_add_f64_e64 v[6:7], v[6:7], -v[40:41]
	v_cmpx_lt_u32_e32 1, v0
	s_cbranch_execz .LBB13_104
; %bb.103:
	v_dual_mov_b32 v32, v2 :: v_dual_mov_b32 v33, v3
	s_delay_alu instid0(VALU_DEP_3) | instskip(NEXT) | instid1(VALU_DEP_4)
	v_dual_mov_b32 v35, v34 :: v_dual_mov_b32 v36, v6
	v_dual_mov_b32 v37, v7 :: v_dual_mov_b32 v38, v8
	;; [unrolled: 1-line block ×13, first 2 shown]
	v_mov_b32_e32 v89, v5
	v_mov_b64_e32 v[2:3], v[32:33]
	v_mov_b64_e32 v[4:5], v[34:35]
	;; [unrolled: 1-line block ×16, first 2 shown]
	ds_store_b64 v1, v[88:89]
.LBB13_104:
	s_or_b32 exec_lo, exec_lo, s0
	s_wait_dscnt 0x0
	s_barrier_signal -1
	s_barrier_wait -1
	ds_load_b128 v[30:33], v34 offset:128
	ds_load_b128 v[36:39], v34 offset:144
	;; [unrolled: 1-line block ×6, first 2 shown]
	v_dual_ashrrev_i32 v63, 31, v62 :: v_dual_ashrrev_i32 v65, 31, v64
	v_dual_ashrrev_i32 v67, 31, v66 :: v_dual_ashrrev_i32 v69, 31, v68
	;; [unrolled: 1-line block ×5, first 2 shown]
	v_ashrrev_i32_e32 v85, 31, v84
	s_mov_b32 s0, exec_lo
	v_ashrrev_i32_e32 v61, 31, v60
	s_wait_dscnt 0x5
	v_fma_f64 v[30:31], v[6:7], v[30:31], 0
	s_delay_alu instid0(VALU_DEP_1) | instskip(SKIP_1) | instid1(VALU_DEP_1)
	v_fmac_f64_e32 v[30:31], v[8:9], v[32:33]
	s_wait_dscnt 0x4
	v_fmac_f64_e32 v[30:31], v[10:11], v[36:37]
	s_delay_alu instid0(VALU_DEP_1) | instskip(SKIP_1) | instid1(VALU_DEP_1)
	v_fmac_f64_e32 v[30:31], v[12:13], v[38:39]
	s_wait_dscnt 0x3
	v_fmac_f64_e32 v[30:31], v[14:15], v[40:41]
	;; [unrolled: 4-line block ×5, first 2 shown]
	s_delay_alu instid0(VALU_DEP_1) | instskip(NEXT) | instid1(VALU_DEP_1)
	v_fmac_f64_e32 v[30:31], v[28:29], v[54:55]
	v_add_f64_e64 v[4:5], v[4:5], -v[30:31]
	v_cmpx_ne_u32_e32 0, v0
	s_cbranch_execz .LBB13_106
; %bb.105:
	s_delay_alu instid0(VALU_DEP_2) | instskip(NEXT) | instid1(VALU_DEP_3)
	v_dual_mov_b32 v30, 0 :: v_dual_mov_b32 v32, v4
	v_dual_mov_b32 v35, v7 :: v_dual_mov_b32 v33, v5
	s_delay_alu instid0(VALU_DEP_2)
	v_dual_mov_b32 v34, v6 :: v_dual_mov_b32 v31, v30
	v_dual_mov_b32 v36, v8 :: v_dual_mov_b32 v37, v9
	;; [unrolled: 1-line block ×13, first 2 shown]
	v_mov_b64_e32 v[2:3], v[30:31]
	v_mov_b64_e32 v[4:5], v[32:33]
	;; [unrolled: 1-line block ×16, first 2 shown]
	ds_store_b64 v1, v[58:59]
.LBB13_106:
	s_or_b32 exec_lo, exec_lo, s0
	v_mov_b32_e32 v0, 0
	s_wait_dscnt 0x0
	s_barrier_signal -1
	s_barrier_wait -1
	ds_load_2addr_b64 v[30:33], v0 offset0:15 offset1:16
	ds_load_2addr_b64 v[34:37], v0 offset0:17 offset1:18
	s_and_b32 vcc_lo, exec_lo, s22
	s_wait_dscnt 0x1
	v_fma_f64 v[38:39], v[4:5], v[30:31], 0
	s_delay_alu instid0(VALU_DEP_1) | instskip(SKIP_1) | instid1(VALU_DEP_1)
	v_fmac_f64_e32 v[38:39], v[6:7], v[32:33]
	s_wait_dscnt 0x0
	v_fmac_f64_e32 v[38:39], v[8:9], v[34:35]
	s_delay_alu instid0(VALU_DEP_1) | instskip(SKIP_4) | instid1(VALU_DEP_1)
	v_fmac_f64_e32 v[38:39], v[10:11], v[36:37]
	ds_load_2addr_b64 v[30:33], v0 offset0:19 offset1:20
	ds_load_2addr_b64 v[34:37], v0 offset0:21 offset1:22
	s_wait_dscnt 0x1
	v_fmac_f64_e32 v[38:39], v[12:13], v[30:31]
	v_fmac_f64_e32 v[38:39], v[14:15], v[32:33]
	s_wait_dscnt 0x0
	s_delay_alu instid0(VALU_DEP_1) | instskip(NEXT) | instid1(VALU_DEP_1)
	v_fmac_f64_e32 v[38:39], v[16:17], v[34:35]
	v_fmac_f64_e32 v[38:39], v[18:19], v[36:37]
	ds_load_2addr_b64 v[30:33], v0 offset0:23 offset1:24
	ds_load_2addr_b64 v[34:37], v0 offset0:25 offset1:26
	s_wait_dscnt 0x1
	v_fmac_f64_e32 v[38:39], v[20:21], v[30:31]
	ds_load_b64 v[30:31], v0 offset:216
	v_fmac_f64_e32 v[38:39], v[22:23], v[32:33]
	s_wait_dscnt 0x1
	s_delay_alu instid0(VALU_DEP_1) | instskip(NEXT) | instid1(VALU_DEP_1)
	v_fmac_f64_e32 v[38:39], v[24:25], v[34:35]
	v_fmac_f64_e32 v[38:39], v[26:27], v[36:37]
	s_wait_dscnt 0x0
	s_delay_alu instid0(VALU_DEP_1) | instskip(NEXT) | instid1(VALU_DEP_1)
	v_fmac_f64_e32 v[38:39], v[28:29], v[30:31]
	v_add_f64_e64 v[2:3], v[2:3], -v[38:39]
	s_cbranch_vccz .LBB13_133
; %bb.107:
	global_load_b32 v0, v0, s[16:17] offset:48
	s_wait_loadcnt 0x0
	v_readfirstlane_b32 s0, v0
	s_add_co_i32 s0, s0, -1
	s_delay_alu instid0(SALU_CYCLE_1)
	s_cmp_lg_u32 s0, 12
	s_cbranch_scc0 .LBB13_109
; %bb.108:
	s_lshl_b32 m0, s0, 1
	v_movrels_b32_e32 v0, v2
	v_movrels_b32_e32 v1, v3
	v_mov_b64_e32 v[58:59], v[32:33]
	v_mov_b64_e32 v[56:57], v[30:31]
	;; [unrolled: 1-line block ×16, first 2 shown]
	v_dual_mov_b32 v52, v0 :: v_dual_mov_b32 v53, v1
	s_delay_alu instid0(VALU_DEP_2) | instskip(NEXT) | instid1(VALU_DEP_3)
	v_movreld_b32_e32 v28, v26
	v_movreld_b32_e32 v29, v27
	v_mov_b64_e32 v[2:3], v[28:29]
	v_mov_b64_e32 v[4:5], v[30:31]
	;; [unrolled: 1-line block ×16, first 2 shown]
.LBB13_109:
	v_mov_b32_e32 v0, 0
	global_load_b32 v1, v0, s[16:17] offset:44
	s_wait_loadcnt 0x0
	v_readfirstlane_b32 s0, v1
	s_add_co_i32 s0, s0, -1
	s_delay_alu instid0(SALU_CYCLE_1)
	s_cmp_eq_u32 s0, 11
	s_cbranch_scc1 .LBB13_111
; %bb.110:
	s_lshl_b32 m0, s0, 1
	v_movrels_b32_e32 v1, v2
	v_movrels_b32_e32 v58, v3
	v_mov_b64_e32 v[56:57], v[32:33]
	v_mov_b64_e32 v[54:55], v[30:31]
	;; [unrolled: 1-line block ×16, first 2 shown]
	v_dual_mov_b32 v48, v1 :: v_dual_mov_b32 v49, v58
	s_delay_alu instid0(VALU_DEP_2) | instskip(NEXT) | instid1(VALU_DEP_3)
	v_movreld_b32_e32 v26, v24
	v_movreld_b32_e32 v27, v25
	v_mov_b64_e32 v[2:3], v[26:27]
	v_mov_b64_e32 v[4:5], v[28:29]
	;; [unrolled: 1-line block ×16, first 2 shown]
.LBB13_111:
	global_load_b32 v0, v0, s[16:17] offset:40
	s_wait_loadcnt 0x0
	v_readfirstlane_b32 s0, v0
	s_add_co_i32 s0, s0, -1
	s_delay_alu instid0(SALU_CYCLE_1)
	s_cmp_eq_u32 s0, 10
	s_cbranch_scc1 .LBB13_113
; %bb.112:
	s_lshl_b32 m0, s0, 1
	v_movrels_b32_e32 v0, v2
	v_movrels_b32_e32 v1, v3
	v_mov_b64_e32 v[54:55], v[32:33]
	v_mov_b64_e32 v[52:53], v[30:31]
	;; [unrolled: 1-line block ×16, first 2 shown]
	v_dual_mov_b32 v44, v0 :: v_dual_mov_b32 v45, v1
	s_delay_alu instid0(VALU_DEP_2) | instskip(NEXT) | instid1(VALU_DEP_3)
	v_movreld_b32_e32 v24, v22
	v_movreld_b32_e32 v25, v23
	v_mov_b64_e32 v[2:3], v[24:25]
	v_mov_b64_e32 v[4:5], v[26:27]
	;; [unrolled: 1-line block ×16, first 2 shown]
.LBB13_113:
	v_mov_b32_e32 v0, 0
	global_load_b32 v1, v0, s[16:17] offset:36
	s_wait_loadcnt 0x0
	v_readfirstlane_b32 s0, v1
	s_add_co_i32 s0, s0, -1
	s_delay_alu instid0(SALU_CYCLE_1)
	s_cmp_eq_u32 s0, 9
	s_cbranch_scc1 .LBB13_115
; %bb.114:
	s_lshl_b32 m0, s0, 1
	v_movrels_b32_e32 v1, v2
	v_movrels_b32_e32 v54, v3
	v_mov_b64_e32 v[52:53], v[32:33]
	v_mov_b64_e32 v[50:51], v[30:31]
	;; [unrolled: 1-line block ×16, first 2 shown]
	v_dual_mov_b32 v40, v1 :: v_dual_mov_b32 v41, v54
	s_delay_alu instid0(VALU_DEP_2) | instskip(NEXT) | instid1(VALU_DEP_3)
	v_movreld_b32_e32 v22, v20
	v_movreld_b32_e32 v23, v21
	v_mov_b64_e32 v[2:3], v[22:23]
	v_mov_b64_e32 v[4:5], v[24:25]
	;; [unrolled: 1-line block ×16, first 2 shown]
.LBB13_115:
	global_load_b32 v0, v0, s[16:17] offset:32
	s_wait_loadcnt 0x0
	v_readfirstlane_b32 s0, v0
	s_add_co_i32 s0, s0, -1
	s_delay_alu instid0(SALU_CYCLE_1)
	s_cmp_eq_u32 s0, 8
	s_cbranch_scc1 .LBB13_117
; %bb.116:
	s_lshl_b32 m0, s0, 1
	v_movrels_b32_e32 v0, v2
	v_movrels_b32_e32 v1, v3
	v_mov_b64_e32 v[50:51], v[32:33]
	v_mov_b64_e32 v[48:49], v[30:31]
	;; [unrolled: 1-line block ×16, first 2 shown]
	v_dual_mov_b32 v36, v0 :: v_dual_mov_b32 v37, v1
	s_delay_alu instid0(VALU_DEP_2) | instskip(NEXT) | instid1(VALU_DEP_3)
	v_movreld_b32_e32 v20, v18
	v_movreld_b32_e32 v21, v19
	v_mov_b64_e32 v[2:3], v[20:21]
	v_mov_b64_e32 v[4:5], v[22:23]
	;; [unrolled: 1-line block ×16, first 2 shown]
.LBB13_117:
	v_mov_b32_e32 v0, 0
	global_load_b32 v1, v0, s[16:17] offset:28
	s_wait_loadcnt 0x0
	v_readfirstlane_b32 s0, v1
	s_add_co_i32 s0, s0, -1
	s_delay_alu instid0(SALU_CYCLE_1)
	s_cmp_eq_u32 s0, 7
	s_cbranch_scc1 .LBB13_119
; %bb.118:
	s_lshl_b32 m0, s0, 1
	v_movrels_b32_e32 v1, v2
	v_movrels_b32_e32 v50, v3
	v_mov_b64_e32 v[48:49], v[32:33]
	v_mov_b64_e32 v[46:47], v[30:31]
	;; [unrolled: 1-line block ×16, first 2 shown]
	v_dual_mov_b32 v32, v1 :: v_dual_mov_b32 v33, v50
	s_delay_alu instid0(VALU_DEP_2) | instskip(NEXT) | instid1(VALU_DEP_3)
	v_movreld_b32_e32 v18, v16
	v_movreld_b32_e32 v19, v17
	v_mov_b64_e32 v[2:3], v[18:19]
	v_mov_b64_e32 v[4:5], v[20:21]
	;; [unrolled: 1-line block ×16, first 2 shown]
.LBB13_119:
	global_load_b32 v0, v0, s[16:17] offset:24
	s_wait_loadcnt 0x0
	v_readfirstlane_b32 s0, v0
	s_add_co_i32 s0, s0, -1
	s_delay_alu instid0(SALU_CYCLE_1)
	s_cmp_eq_u32 s0, 6
	s_cbranch_scc1 .LBB13_121
; %bb.120:
	s_lshl_b32 m0, s0, 1
	v_movrels_b32_e32 v0, v2
	v_movrels_b32_e32 v1, v3
	v_mov_b64_e32 v[46:47], v[32:33]
	v_mov_b64_e32 v[44:45], v[30:31]
	;; [unrolled: 1-line block ×16, first 2 shown]
	v_dual_mov_b32 v28, v0 :: v_dual_mov_b32 v29, v1
	s_delay_alu instid0(VALU_DEP_2) | instskip(NEXT) | instid1(VALU_DEP_3)
	v_movreld_b32_e32 v16, v14
	v_movreld_b32_e32 v17, v15
	v_mov_b64_e32 v[2:3], v[16:17]
	v_mov_b64_e32 v[4:5], v[18:19]
	;; [unrolled: 1-line block ×16, first 2 shown]
.LBB13_121:
	v_mov_b32_e32 v0, 0
	global_load_b32 v1, v0, s[16:17] offset:20
	s_wait_loadcnt 0x0
	v_readfirstlane_b32 s0, v1
	s_add_co_i32 s0, s0, -1
	s_delay_alu instid0(SALU_CYCLE_1)
	s_cmp_eq_u32 s0, 5
	s_cbranch_scc1 .LBB13_123
; %bb.122:
	s_lshl_b32 m0, s0, 1
	v_movrels_b32_e32 v1, v2
	v_movrels_b32_e32 v46, v3
	v_mov_b64_e32 v[44:45], v[32:33]
	v_mov_b64_e32 v[42:43], v[30:31]
	;; [unrolled: 1-line block ×16, first 2 shown]
	v_dual_mov_b32 v24, v1 :: v_dual_mov_b32 v25, v46
	s_delay_alu instid0(VALU_DEP_2) | instskip(NEXT) | instid1(VALU_DEP_3)
	v_movreld_b32_e32 v14, v12
	v_movreld_b32_e32 v15, v13
	v_mov_b64_e32 v[2:3], v[14:15]
	v_mov_b64_e32 v[4:5], v[16:17]
	;; [unrolled: 1-line block ×16, first 2 shown]
.LBB13_123:
	global_load_b32 v0, v0, s[16:17] offset:16
	s_wait_loadcnt 0x0
	v_readfirstlane_b32 s0, v0
	s_add_co_i32 s0, s0, -1
	s_delay_alu instid0(SALU_CYCLE_1)
	s_cmp_eq_u32 s0, 4
	s_cbranch_scc1 .LBB13_125
; %bb.124:
	s_lshl_b32 m0, s0, 1
	v_movrels_b32_e32 v0, v2
	v_movrels_b32_e32 v1, v3
	v_mov_b64_e32 v[42:43], v[32:33]
	v_mov_b64_e32 v[40:41], v[30:31]
	;; [unrolled: 1-line block ×16, first 2 shown]
	v_dual_mov_b32 v20, v0 :: v_dual_mov_b32 v21, v1
	s_delay_alu instid0(VALU_DEP_2) | instskip(NEXT) | instid1(VALU_DEP_3)
	v_movreld_b32_e32 v12, v10
	v_movreld_b32_e32 v13, v11
	v_mov_b64_e32 v[2:3], v[12:13]
	v_mov_b64_e32 v[4:5], v[14:15]
	;; [unrolled: 1-line block ×16, first 2 shown]
.LBB13_125:
	v_mov_b32_e32 v0, 0
	global_load_b32 v1, v0, s[16:17] offset:12
	s_wait_loadcnt 0x0
	v_readfirstlane_b32 s0, v1
	s_add_co_i32 s0, s0, -1
	s_delay_alu instid0(SALU_CYCLE_1)
	s_cmp_eq_u32 s0, 3
	s_cbranch_scc1 .LBB13_127
; %bb.126:
	s_lshl_b32 m0, s0, 1
	v_movrels_b32_e32 v1, v2
	v_movrels_b32_e32 v42, v3
	v_mov_b64_e32 v[40:41], v[32:33]
	v_mov_b64_e32 v[38:39], v[30:31]
	;; [unrolled: 1-line block ×16, first 2 shown]
	v_dual_mov_b32 v16, v1 :: v_dual_mov_b32 v17, v42
	s_delay_alu instid0(VALU_DEP_2) | instskip(NEXT) | instid1(VALU_DEP_3)
	v_movreld_b32_e32 v10, v8
	v_movreld_b32_e32 v11, v9
	v_mov_b64_e32 v[2:3], v[10:11]
	v_mov_b64_e32 v[4:5], v[12:13]
	;; [unrolled: 1-line block ×16, first 2 shown]
.LBB13_127:
	global_load_b32 v0, v0, s[16:17] offset:8
	s_wait_loadcnt 0x0
	v_readfirstlane_b32 s0, v0
	s_add_co_i32 s0, s0, -1
	s_delay_alu instid0(SALU_CYCLE_1)
	s_cmp_eq_u32 s0, 2
	s_cbranch_scc1 .LBB13_129
; %bb.128:
	s_lshl_b32 m0, s0, 1
	v_movrels_b32_e32 v0, v2
	v_movrels_b32_e32 v1, v3
	v_mov_b64_e32 v[38:39], v[32:33]
	v_mov_b64_e32 v[36:37], v[30:31]
	;; [unrolled: 1-line block ×16, first 2 shown]
	v_dual_mov_b32 v12, v0 :: v_dual_mov_b32 v13, v1
	s_delay_alu instid0(VALU_DEP_2) | instskip(NEXT) | instid1(VALU_DEP_3)
	v_movreld_b32_e32 v8, v6
	v_movreld_b32_e32 v9, v7
	v_mov_b64_e32 v[2:3], v[8:9]
	v_mov_b64_e32 v[4:5], v[10:11]
	v_mov_b64_e32 v[6:7], v[12:13]
	v_mov_b64_e32 v[8:9], v[14:15]
	v_mov_b64_e32 v[10:11], v[16:17]
	v_mov_b64_e32 v[12:13], v[18:19]
	v_mov_b64_e32 v[14:15], v[20:21]
	v_mov_b64_e32 v[16:17], v[22:23]
	v_mov_b64_e32 v[18:19], v[24:25]
	v_mov_b64_e32 v[20:21], v[26:27]
	v_mov_b64_e32 v[22:23], v[28:29]
	v_mov_b64_e32 v[24:25], v[30:31]
	v_mov_b64_e32 v[26:27], v[32:33]
	v_mov_b64_e32 v[28:29], v[34:35]
	v_mov_b64_e32 v[30:31], v[36:37]
	v_mov_b64_e32 v[32:33], v[38:39]
.LBB13_129:
	v_mov_b32_e32 v0, 0
	global_load_b32 v1, v0, s[16:17] offset:4
	s_wait_loadcnt 0x0
	v_readfirstlane_b32 s0, v1
	s_add_co_i32 s0, s0, -1
	s_delay_alu instid0(SALU_CYCLE_1)
	s_cmp_eq_u32 s0, 1
	s_cbranch_scc1 .LBB13_131
; %bb.130:
	s_lshl_b32 m0, s0, 1
	v_movrels_b32_e32 v1, v2
	v_movrels_b32_e32 v38, v3
	v_mov_b64_e32 v[36:37], v[32:33]
	v_mov_b64_e32 v[34:35], v[30:31]
	;; [unrolled: 1-line block ×16, first 2 shown]
	v_dual_mov_b32 v8, v1 :: v_dual_mov_b32 v9, v38
	s_delay_alu instid0(VALU_DEP_2) | instskip(NEXT) | instid1(VALU_DEP_3)
	v_movreld_b32_e32 v6, v4
	v_movreld_b32_e32 v7, v5
	v_mov_b64_e32 v[2:3], v[6:7]
	s_delay_alu instid0(VALU_DEP_4)
	v_mov_b64_e32 v[4:5], v[8:9]
	v_mov_b64_e32 v[6:7], v[10:11]
	;; [unrolled: 1-line block ×15, first 2 shown]
.LBB13_131:
	global_load_b32 v0, v0, s[16:17]
	s_wait_loadcnt 0x0
	v_readfirstlane_b32 s0, v0
	s_add_co_i32 s0, s0, -1
	s_delay_alu instid0(SALU_CYCLE_1)
	s_cmp_eq_u32 s0, 0
	s_cbranch_scc1 .LBB13_133
; %bb.132:
	s_lshl_b32 m0, s0, 1
	v_movrels_b32_e32 v0, v2
	v_movrels_b32_e32 v1, v3
	v_mov_b64_e32 v[34:35], v[32:33]
	v_mov_b64_e32 v[32:33], v[30:31]
	;; [unrolled: 1-line block ×16, first 2 shown]
	v_dual_mov_b32 v4, v0 :: v_dual_mov_b32 v5, v1
	s_delay_alu instid0(VALU_DEP_1) | instskip(NEXT) | instid1(VALU_DEP_2)
	v_movreld_b32_e32 v4, v2
	v_movreld_b32_e32 v5, v3
	v_mov_b64_e32 v[2:3], v[4:5]
	v_mov_b64_e32 v[4:5], v[6:7]
	;; [unrolled: 1-line block ×16, first 2 shown]
.LBB13_133:
	v_lshl_add_u64 v[48:49], v[60:61], 3, s[18:19]
	v_lshl_add_u64 v[50:51], v[62:63], 3, s[18:19]
	;; [unrolled: 1-line block ×3, first 2 shown]
	s_clause 0x3
	global_store_b64 v[70:71], v[2:3], off
	global_store_b64 v[74:75], v[4:5], off
	;; [unrolled: 1-line block ×4, first 2 shown]
	s_wait_xcnt 0x3
	v_dual_mov_b32 v2, v10 :: v_dual_mov_b32 v3, v11
	v_lshl_add_u64 v[40:41], v[66:67], 3, s[18:19]
	s_wait_xcnt 0x2
	v_dual_mov_b32 v4, v12 :: v_dual_mov_b32 v5, v13
	v_lshl_add_u64 v[42:43], v[68:69], 3, s[18:19]
	;; [unrolled: 3-line block ×4, first 2 shown]
	v_dual_mov_b32 v10, v18 :: v_dual_mov_b32 v11, v19
	v_lshl_add_u64 v[0:1], v[78:79], 3, s[18:19]
	s_clause 0x4
	global_store_b64 v[38:39], v[2:3], off
	global_store_b64 v[40:41], v[4:5], off
	;; [unrolled: 1-line block ×5, first 2 shown]
	s_wait_xcnt 0x4
	v_dual_mov_b32 v2, v20 :: v_dual_mov_b32 v3, v21
	v_lshl_add_u64 v[30:31], v[80:81], 3, s[18:19]
	s_wait_xcnt 0x3
	v_dual_mov_b32 v4, v22 :: v_dual_mov_b32 v5, v23
	v_lshl_add_u64 v[32:33], v[82:83], 3, s[18:19]
	;; [unrolled: 3-line block ×4, first 2 shown]
	s_wait_xcnt 0x0
	v_dual_mov_b32 v10, v28 :: v_dual_mov_b32 v11, v29
	s_clause 0x4
	global_store_b64 v[0:1], v[2:3], off
	global_store_b64 v[30:31], v[4:5], off
	;; [unrolled: 1-line block ×5, first 2 shown]
	s_sendmsg sendmsg(MSG_DEALLOC_VGPRS)
	s_endpgm
	.section	.rodata,"a",@progbits
	.p2align	6, 0x0
	.amdhsa_kernel _ZN9rocsolver6v33100L18getri_kernel_smallILi14EdPdEEvT1_iilPiilS4_bb
		.amdhsa_group_segment_fixed_size 232
		.amdhsa_private_segment_fixed_size 0
		.amdhsa_kernarg_size 60
		.amdhsa_user_sgpr_count 2
		.amdhsa_user_sgpr_dispatch_ptr 0
		.amdhsa_user_sgpr_queue_ptr 0
		.amdhsa_user_sgpr_kernarg_segment_ptr 1
		.amdhsa_user_sgpr_dispatch_id 0
		.amdhsa_user_sgpr_kernarg_preload_length 0
		.amdhsa_user_sgpr_kernarg_preload_offset 0
		.amdhsa_user_sgpr_private_segment_size 0
		.amdhsa_wavefront_size32 1
		.amdhsa_uses_dynamic_stack 0
		.amdhsa_enable_private_segment 0
		.amdhsa_system_sgpr_workgroup_id_x 1
		.amdhsa_system_sgpr_workgroup_id_y 0
		.amdhsa_system_sgpr_workgroup_id_z 0
		.amdhsa_system_sgpr_workgroup_info 0
		.amdhsa_system_vgpr_workitem_id 0
		.amdhsa_next_free_vgpr 90
		.amdhsa_next_free_sgpr 23
		.amdhsa_named_barrier_count 0
		.amdhsa_reserve_vcc 1
		.amdhsa_float_round_mode_32 0
		.amdhsa_float_round_mode_16_64 0
		.amdhsa_float_denorm_mode_32 3
		.amdhsa_float_denorm_mode_16_64 3
		.amdhsa_fp16_overflow 0
		.amdhsa_memory_ordered 1
		.amdhsa_forward_progress 1
		.amdhsa_inst_pref_size 122
		.amdhsa_round_robin_scheduling 0
		.amdhsa_exception_fp_ieee_invalid_op 0
		.amdhsa_exception_fp_denorm_src 0
		.amdhsa_exception_fp_ieee_div_zero 0
		.amdhsa_exception_fp_ieee_overflow 0
		.amdhsa_exception_fp_ieee_underflow 0
		.amdhsa_exception_fp_ieee_inexact 0
		.amdhsa_exception_int_div_zero 0
	.end_amdhsa_kernel
	.section	.text._ZN9rocsolver6v33100L18getri_kernel_smallILi14EdPdEEvT1_iilPiilS4_bb,"axG",@progbits,_ZN9rocsolver6v33100L18getri_kernel_smallILi14EdPdEEvT1_iilPiilS4_bb,comdat
.Lfunc_end13:
	.size	_ZN9rocsolver6v33100L18getri_kernel_smallILi14EdPdEEvT1_iilPiilS4_bb, .Lfunc_end13-_ZN9rocsolver6v33100L18getri_kernel_smallILi14EdPdEEvT1_iilPiilS4_bb
                                        ; -- End function
	.set _ZN9rocsolver6v33100L18getri_kernel_smallILi14EdPdEEvT1_iilPiilS4_bb.num_vgpr, 90
	.set _ZN9rocsolver6v33100L18getri_kernel_smallILi14EdPdEEvT1_iilPiilS4_bb.num_agpr, 0
	.set _ZN9rocsolver6v33100L18getri_kernel_smallILi14EdPdEEvT1_iilPiilS4_bb.numbered_sgpr, 23
	.set _ZN9rocsolver6v33100L18getri_kernel_smallILi14EdPdEEvT1_iilPiilS4_bb.num_named_barrier, 0
	.set _ZN9rocsolver6v33100L18getri_kernel_smallILi14EdPdEEvT1_iilPiilS4_bb.private_seg_size, 0
	.set _ZN9rocsolver6v33100L18getri_kernel_smallILi14EdPdEEvT1_iilPiilS4_bb.uses_vcc, 1
	.set _ZN9rocsolver6v33100L18getri_kernel_smallILi14EdPdEEvT1_iilPiilS4_bb.uses_flat_scratch, 0
	.set _ZN9rocsolver6v33100L18getri_kernel_smallILi14EdPdEEvT1_iilPiilS4_bb.has_dyn_sized_stack, 0
	.set _ZN9rocsolver6v33100L18getri_kernel_smallILi14EdPdEEvT1_iilPiilS4_bb.has_recursion, 0
	.set _ZN9rocsolver6v33100L18getri_kernel_smallILi14EdPdEEvT1_iilPiilS4_bb.has_indirect_call, 0
	.section	.AMDGPU.csdata,"",@progbits
; Kernel info:
; codeLenInByte = 15536
; TotalNumSgprs: 25
; NumVgprs: 90
; ScratchSize: 0
; MemoryBound: 0
; FloatMode: 240
; IeeeMode: 1
; LDSByteSize: 232 bytes/workgroup (compile time only)
; SGPRBlocks: 0
; VGPRBlocks: 5
; NumSGPRsForWavesPerEU: 25
; NumVGPRsForWavesPerEU: 90
; NamedBarCnt: 0
; Occupancy: 10
; WaveLimiterHint : 0
; COMPUTE_PGM_RSRC2:SCRATCH_EN: 0
; COMPUTE_PGM_RSRC2:USER_SGPR: 2
; COMPUTE_PGM_RSRC2:TRAP_HANDLER: 0
; COMPUTE_PGM_RSRC2:TGID_X_EN: 1
; COMPUTE_PGM_RSRC2:TGID_Y_EN: 0
; COMPUTE_PGM_RSRC2:TGID_Z_EN: 0
; COMPUTE_PGM_RSRC2:TIDIG_COMP_CNT: 0
	.section	.text._ZN9rocsolver6v33100L18getri_kernel_smallILi15EdPdEEvT1_iilPiilS4_bb,"axG",@progbits,_ZN9rocsolver6v33100L18getri_kernel_smallILi15EdPdEEvT1_iilPiilS4_bb,comdat
	.globl	_ZN9rocsolver6v33100L18getri_kernel_smallILi15EdPdEEvT1_iilPiilS4_bb ; -- Begin function _ZN9rocsolver6v33100L18getri_kernel_smallILi15EdPdEEvT1_iilPiilS4_bb
	.p2align	8
	.type	_ZN9rocsolver6v33100L18getri_kernel_smallILi15EdPdEEvT1_iilPiilS4_bb,@function
_ZN9rocsolver6v33100L18getri_kernel_smallILi15EdPdEEvT1_iilPiilS4_bb: ; @_ZN9rocsolver6v33100L18getri_kernel_smallILi15EdPdEEvT1_iilPiilS4_bb
; %bb.0:
	s_mov_b32 s2, exec_lo
	v_cmpx_gt_u32_e32 15, v0
	s_cbranch_execz .LBB14_16
; %bb.1:
	s_clause 0x2
	s_load_b32 s2, s[0:1], 0x38
	s_load_b128 s[8:11], s[0:1], 0x10
	s_load_b128 s[16:19], s[0:1], 0x28
	s_getreg_b32 s5, hwreg(HW_REG_IB_STS2, 6, 4)
                                        ; implicit-def: $sgpr20_sgpr21
	s_wait_kmcnt 0x0
	s_bitcmp1_b32 s2, 8
	s_cselect_b32 s15, -1, 0
	s_bfe_u32 s3, ttmp6, 0x4000c
	s_and_b32 s4, ttmp6, 15
	s_add_co_i32 s3, s3, 1
	s_delay_alu instid0(SALU_CYCLE_1) | instskip(NEXT) | instid1(SALU_CYCLE_1)
	s_mul_i32 s3, ttmp9, s3
	s_add_co_i32 s4, s4, s3
	s_cmp_eq_u32 s5, 0
	s_cselect_b32 s22, ttmp9, s4
	s_bfe_u32 s2, s2, 0x10008
	s_ashr_i32 s23, s22, 31
	s_cmp_eq_u32 s2, 0
	s_cbranch_scc1 .LBB14_3
; %bb.2:
	s_load_b32 s2, s[0:1], 0x20
	s_mul_u64 s[4:5], s[16:17], s[22:23]
	s_delay_alu instid0(SALU_CYCLE_1) | instskip(NEXT) | instid1(SALU_CYCLE_1)
	s_lshl_b64 s[4:5], s[4:5], 2
	s_add_nc_u64 s[4:5], s[10:11], s[4:5]
	s_wait_kmcnt 0x0
	s_ashr_i32 s3, s2, 31
	s_delay_alu instid0(SALU_CYCLE_1) | instskip(NEXT) | instid1(SALU_CYCLE_1)
	s_lshl_b64 s[2:3], s[2:3], 2
	s_add_nc_u64 s[20:21], s[4:5], s[2:3]
.LBB14_3:
	s_clause 0x1
	s_load_b128 s[4:7], s[0:1], 0x0
	s_load_b32 s10, s[0:1], 0x38
	s_wait_xcnt 0x0
	s_mul_u64 s[0:1], s[8:9], s[22:23]
	v_mov_b32_e32 v1, 0
	s_lshl_b64 s[0:1], s[0:1], 3
	s_delay_alu instid0(VALU_DEP_1)
	v_dual_mov_b32 v33, v1 :: v_dual_lshlrev_b32 v32, 3, v0
	s_wait_kmcnt 0x0
	v_add3_u32 v64, s7, s7, v0
	s_ashr_i32 s3, s6, 31
	s_mov_b32 s2, s6
	s_add_nc_u64 s[0:1], s[4:5], s[0:1]
	s_lshl_b64 s[2:3], s[2:3], 3
	v_add_nc_u32_e32 v66, s7, v64
	s_add_nc_u64 s[16:17], s[0:1], s[2:3]
	s_ashr_i32 s1, s7, 31
	s_mov_b32 s0, s7
	s_bitcmp0_b32 s10, 0
	v_add_nc_u32_e32 v68, s7, v66
	v_add_nc_u64_e32 v[72:73], s[16:17], v[32:33]
	s_delay_alu instid0(VALU_DEP_2) | instskip(NEXT) | instid1(VALU_DEP_2)
	v_add_nc_u32_e32 v70, s7, v68
	v_lshl_add_u64 v[76:77], s[0:1], 3, v[72:73]
	s_mov_b32 s0, -1
	s_delay_alu instid0(VALU_DEP_2)
	v_add_nc_u32_e32 v74, s7, v70
	global_load_b64 v[4:5], v[76:77], off
	v_add_nc_u32_e32 v78, s7, v74
	s_clause 0x3
	global_load_b64 v[6:7], v64, s[16:17] scale_offset
	global_load_b64 v[8:9], v66, s[16:17] scale_offset
	;; [unrolled: 1-line block ×4, first 2 shown]
	v_add_nc_u32_e32 v80, s7, v78
	s_delay_alu instid0(VALU_DEP_1) | instskip(NEXT) | instid1(VALU_DEP_1)
	v_add_nc_u32_e32 v82, s7, v80
	v_add_nc_u32_e32 v84, s7, v82
	s_delay_alu instid0(VALU_DEP_1) | instskip(NEXT) | instid1(VALU_DEP_1)
	v_add_nc_u32_e32 v86, s7, v84
	v_add_nc_u32_e32 v88, s7, v86
	s_clause 0x3
	global_load_b64 v[14:15], v74, s[16:17] scale_offset
	global_load_b64 v[16:17], v78, s[16:17] scale_offset
	;; [unrolled: 1-line block ×4, first 2 shown]
	v_add_nc_u32_e32 v90, s7, v88
	s_delay_alu instid0(VALU_DEP_1)
	v_add_nc_u32_e32 v92, s7, v90
	s_clause 0x5
	global_load_b64 v[22:23], v84, s[16:17] scale_offset
	global_load_b64 v[24:25], v86, s[16:17] scale_offset
	;; [unrolled: 1-line block ×6, first 2 shown]
	s_cbranch_scc1 .LBB14_14
; %bb.4:
	v_cmp_eq_u32_e64 s0, 0, v0
	s_wait_xcnt 0x0
	s_and_saveexec_b32 s1, s0
; %bb.5:
	v_mov_b32_e32 v33, 0
	ds_store_b32 v33, v33 offset:120
; %bb.6:
	s_or_b32 exec_lo, exec_lo, s1
	v_cmp_eq_u32_e32 vcc_lo, 1, v0
	s_mov_b32 s2, exec_lo
	s_wait_loadcnt_dscnt 0x0
	s_barrier_signal -1
	s_barrier_wait -1
	v_dual_cndmask_b32 v33, v3, v5 :: v_dual_cndmask_b32 v34, v2, v4
	v_cmp_eq_u32_e32 vcc_lo, 2, v0
	s_delay_alu instid0(VALU_DEP_2) | instskip(SKIP_1) | instid1(VALU_DEP_2)
	v_dual_cndmask_b32 v33, v33, v7 :: v_dual_cndmask_b32 v34, v34, v6
	v_cmp_eq_u32_e32 vcc_lo, 3, v0
	v_dual_cndmask_b32 v33, v33, v9 :: v_dual_cndmask_b32 v34, v34, v8
	v_cmp_eq_u32_e32 vcc_lo, 4, v0
	s_delay_alu instid0(VALU_DEP_2) | instskip(SKIP_1) | instid1(VALU_DEP_2)
	v_dual_cndmask_b32 v33, v33, v11 :: v_dual_cndmask_b32 v34, v34, v10
	v_cmp_eq_u32_e32 vcc_lo, 5, v0
	;; [unrolled: 5-line block ×6, first 2 shown]
	v_dual_cndmask_b32 v33, v33, v29 :: v_dual_cndmask_b32 v34, v34, v28
	v_cmp_eq_u32_e32 vcc_lo, 14, v0
	s_delay_alu instid0(VALU_DEP_2) | instskip(NEXT) | instid1(VALU_DEP_1)
	v_dual_cndmask_b32 v35, v33, v31 :: v_dual_cndmask_b32 v34, v34, v30
	v_cmpx_eq_f64_e32 0, v[34:35]
	s_cbranch_execz .LBB14_10
; %bb.7:
	v_mov_b32_e32 v33, 0
	s_mov_b32 s3, 0
	ds_load_b32 v36, v33 offset:120
	s_wait_dscnt 0x0
	v_readfirstlane_b32 s1, v36
	v_add_nc_u32_e32 v36, 1, v0
	s_cmp_eq_u32 s1, 0
	s_delay_alu instid0(VALU_DEP_1) | instskip(SKIP_1) | instid1(SALU_CYCLE_1)
	v_cmp_gt_i32_e32 vcc_lo, s1, v36
	s_cselect_b32 s4, -1, 0
	s_or_b32 s4, s4, vcc_lo
	s_delay_alu instid0(SALU_CYCLE_1)
	s_and_b32 exec_lo, exec_lo, s4
	s_cbranch_execz .LBB14_10
; %bb.8:
	v_mov_b32_e32 v37, s1
.LBB14_9:                               ; =>This Inner Loop Header: Depth=1
	ds_cmpstore_rtn_b32 v37, v33, v36, v37 offset:120
	s_wait_dscnt 0x0
	v_cmp_ne_u32_e32 vcc_lo, 0, v37
	v_cmp_le_i32_e64 s1, v37, v36
	s_and_b32 s1, vcc_lo, s1
	s_delay_alu instid0(SALU_CYCLE_1) | instskip(NEXT) | instid1(SALU_CYCLE_1)
	s_and_b32 s1, exec_lo, s1
	s_or_b32 s3, s1, s3
	s_delay_alu instid0(SALU_CYCLE_1)
	s_and_not1_b32 exec_lo, exec_lo, s3
	s_cbranch_execnz .LBB14_9
.LBB14_10:
	s_or_b32 exec_lo, exec_lo, s2
	v_mov_b32_e32 v33, 0
	s_barrier_signal -1
	s_barrier_wait -1
	ds_load_b32 v36, v33 offset:120
	s_and_saveexec_b32 s1, s0
	s_cbranch_execz .LBB14_12
; %bb.11:
	s_lshl_b64 s[2:3], s[22:23], 2
	s_delay_alu instid0(SALU_CYCLE_1)
	s_add_nc_u64 s[2:3], s[18:19], s[2:3]
	s_wait_dscnt 0x0
	global_store_b32 v33, v36, s[2:3]
.LBB14_12:
	s_wait_xcnt 0x0
	s_or_b32 exec_lo, exec_lo, s1
	s_wait_dscnt 0x0
	v_cmp_ne_u32_e32 vcc_lo, 0, v36
	s_cbranch_vccz .LBB14_17
; %bb.13:
	s_mov_b32 s0, 0
                                        ; implicit-def: $vgpr2_vgpr3_vgpr4_vgpr5_vgpr6_vgpr7_vgpr8_vgpr9_vgpr10_vgpr11_vgpr12_vgpr13_vgpr14_vgpr15_vgpr16_vgpr17_vgpr18_vgpr19_vgpr20_vgpr21_vgpr22_vgpr23_vgpr24_vgpr25_vgpr26_vgpr27_vgpr28_vgpr29_vgpr30_vgpr31_vgpr32_vgpr33
.LBB14_14:
	s_delay_alu instid0(SALU_CYCLE_1)
	s_and_b32 vcc_lo, exec_lo, s0
	s_cbranch_vccz .LBB14_16
.LBB14_15:
	v_mov_b32_e32 v1, 0
	s_lshl_b64 s[0:1], s[22:23], 2
	s_delay_alu instid0(SALU_CYCLE_1)
	s_add_nc_u64 s[0:1], s[18:19], s[0:1]
	global_load_b32 v1, v1, s[0:1]
	s_wait_loadcnt 0x0
	v_cmp_ne_u32_e32 vcc_lo, 0, v1
	s_cbranch_vccz .LBB14_84
.LBB14_16:
	s_sendmsg sendmsg(MSG_DEALLOC_VGPRS)
	s_endpgm
.LBB14_17:
	v_div_scale_f64 v[36:37], null, v[34:35], v[34:35], 1.0
	v_div_scale_f64 v[42:43], vcc_lo, 1.0, v[34:35], 1.0
	v_cmp_eq_u32_e64 s1, 13, v0
	v_cmp_eq_u32_e64 s2, 12, v0
	;; [unrolled: 1-line block ×14, first 2 shown]
	v_rcp_f64_e32 v[38:39], v[36:37]
	v_nop
	s_delay_alu instid0(TRANS32_DEP_1) | instskip(NEXT) | instid1(VALU_DEP_1)
	v_fma_f64 v[40:41], -v[36:37], v[38:39], 1.0
	v_fmac_f64_e32 v[38:39], v[38:39], v[40:41]
	s_delay_alu instid0(VALU_DEP_1) | instskip(NEXT) | instid1(VALU_DEP_1)
	v_fma_f64 v[40:41], -v[36:37], v[38:39], 1.0
	v_fmac_f64_e32 v[38:39], v[38:39], v[40:41]
	s_delay_alu instid0(VALU_DEP_1) | instskip(NEXT) | instid1(VALU_DEP_1)
	v_mul_f64_e32 v[40:41], v[42:43], v[38:39]
	v_fma_f64 v[36:37], -v[36:37], v[40:41], v[42:43]
	s_delay_alu instid0(VALU_DEP_1) | instskip(SKIP_1) | instid1(VALU_DEP_2)
	v_div_fmas_f64 v[36:37], v[36:37], v[38:39], v[40:41]
	v_cmp_eq_u32_e32 vcc_lo, 14, v0
	v_div_fixup_f64 v[34:35], v[36:37], v[34:35], 1.0
	s_delay_alu instid0(VALU_DEP_1) | instskip(NEXT) | instid1(VALU_DEP_2)
	v_dual_cndmask_b32 v31, v31, v35 :: v_dual_add_nc_u32 v36, 0x80, v32
	v_dual_cndmask_b32 v30, v30, v34, vcc_lo :: v_dual_cndmask_b32 v29, v29, v35, s1
	v_dual_cndmask_b32 v28, v28, v34, s1 :: v_dual_cndmask_b32 v27, v27, v35, s2
	v_dual_cndmask_b32 v26, v26, v34, s2 :: v_dual_cndmask_b32 v25, v25, v35, s3
	;; [unrolled: 1-line block ×11, first 2 shown]
	v_dual_cndmask_b32 v4, v4, v34, s13 :: v_dual_mov_b32 v38, v34
	v_xor_b32_e32 v39, 0x80000000, v35
	v_dual_cndmask_b32 v7, v7, v35, s12 :: v_dual_cndmask_b32 v6, v6, v34, s12
	v_dual_cndmask_b32 v3, v3, v35, s14 :: v_dual_cndmask_b32 v2, v2, v34, s14
	ds_store_2addr_b64 v32, v[38:39], v[4:5] offset1:16
	s_wait_storecnt_dscnt 0x0
	s_barrier_signal -1
	s_barrier_wait -1
	s_and_saveexec_b32 s1, s0
	s_cbranch_execz .LBB14_19
; %bb.18:
	ds_load_b64 v[4:5], v36
	v_mov_b32_e32 v32, 0
	ds_load_b64 v[32:33], v32 offset:8
	s_wait_dscnt 0x1
	v_fma_f64 v[4:5], v[34:35], v[4:5], 0
	s_wait_dscnt 0x0
	s_delay_alu instid0(VALU_DEP_1)
	v_mul_f64_e32 v[4:5], v[4:5], v[32:33]
.LBB14_19:
	s_or_b32 exec_lo, exec_lo, s1
	v_cmp_gt_u32_e32 vcc_lo, 2, v0
	s_barrier_signal -1
	s_barrier_wait -1
	ds_store_b64 v36, v[6:7]
	s_wait_dscnt 0x0
	s_barrier_signal -1
	s_barrier_wait -1
	s_and_saveexec_b32 s3, vcc_lo
	s_cbranch_execz .LBB14_23
; %bb.20:
	v_cmp_eq_u32_e64 s1, 1, v0
	v_cmp_eq_u32_e64 s2, 12, v0
	s_delay_alu instid0(VALU_DEP_2) | instskip(SKIP_1) | instid1(VALU_DEP_1)
	v_dual_cndmask_b32 v32, v3, v5, s1 :: v_dual_cndmask_b32 v33, v2, v4, s1
	v_cmp_eq_u32_e64 s1, 2, v0
	v_dual_cndmask_b32 v7, v32, v7, s1 :: v_dual_cndmask_b32 v6, v33, v6, s1
	v_cmp_eq_u32_e64 s1, 3, v0
	s_delay_alu instid0(VALU_DEP_1) | instskip(SKIP_1) | instid1(VALU_DEP_1)
	v_dual_cndmask_b32 v7, v7, v9, s1 :: v_dual_cndmask_b32 v6, v6, v8, s1
	v_cmp_eq_u32_e64 s1, 4, v0
	v_dual_cndmask_b32 v7, v7, v11, s1 :: v_dual_cndmask_b32 v6, v6, v10, s1
	v_cmp_eq_u32_e64 s1, 5, v0
	s_delay_alu instid0(VALU_DEP_1) | instskip(SKIP_1) | instid1(VALU_DEP_1)
	;; [unrolled: 5-line block ×4, first 2 shown]
	v_dual_cndmask_b32 v7, v7, v21, s1 :: v_dual_cndmask_b32 v6, v6, v20, s1
	v_cmp_eq_u32_e64 s1, 10, v0
	v_dual_cndmask_b32 v7, v7, v23, s1 :: v_dual_cndmask_b32 v6, v6, v22, s1
	v_cmp_eq_u32_e64 s1, 11, v0
	s_delay_alu instid0(VALU_DEP_1) | instskip(SKIP_3) | instid1(VALU_DEP_1)
	v_dual_cndmask_b32 v32, v7, v25, s1 :: v_dual_cndmask_b32 v33, v6, v24, s1
	ds_load_b64 v[6:7], v36
	v_cmp_eq_u32_e64 s1, 13, v0
	v_dual_cndmask_b32 v32, v32, v27, s2 :: v_dual_cndmask_b32 v33, v33, v26, s2
	v_dual_cndmask_b32 v32, v32, v29, s1 :: v_dual_cndmask_b32 v34, v33, v28, s1
	v_cmp_eq_u32_e64 s1, 14, v0
	s_delay_alu instid0(VALU_DEP_1) | instskip(SKIP_1) | instid1(VALU_DEP_1)
	v_dual_cndmask_b32 v33, v32, v31, s1 :: v_dual_cndmask_b32 v32, v34, v30, s1
	s_wait_dscnt 0x0
	v_fma_f64 v[6:7], v[32:33], v[6:7], 0
	s_and_saveexec_b32 s1, s0
	s_cbranch_execz .LBB14_22
; %bb.21:
	v_mov_b32_e32 v32, 0
	ds_load_b64 v[32:33], v32 offset:136
	s_wait_dscnt 0x0
	v_fmac_f64_e32 v[6:7], v[4:5], v[32:33]
.LBB14_22:
	s_or_b32 exec_lo, exec_lo, s1
	v_mov_b32_e32 v32, 0
	ds_load_b64 v[32:33], v32 offset:16
	s_wait_dscnt 0x0
	v_mul_f64_e32 v[6:7], v[6:7], v[32:33]
.LBB14_23:
	s_or_b32 exec_lo, exec_lo, s3
	s_delay_alu instid0(SALU_CYCLE_1)
	s_mov_b32 s3, exec_lo
	s_barrier_signal -1
	s_barrier_wait -1
	ds_store_b64 v36, v[8:9]
	s_wait_dscnt 0x0
	s_barrier_signal -1
	s_barrier_wait -1
	v_cmpx_gt_u32_e32 3, v0
	s_cbranch_execz .LBB14_27
; %bb.24:
	v_mov_b64_e32 v[32:33], 0
	v_mov_b64_e32 v[34:35], v[0:1]
	v_lshl_add_u32 v37, v0, 3, 0x80
	s_mov_b32 s4, 0
.LBB14_25:                              ; =>This Inner Loop Header: Depth=1
	s_delay_alu instid0(VALU_DEP_2) | instskip(SKIP_1) | instid1(VALU_DEP_2)
	v_cmp_eq_u32_e64 s1, 1, v34
	v_cmp_eq_u32_e64 s2, 2, v34
	v_dual_cndmask_b32 v38, v3, v5, s1 :: v_dual_cndmask_b32 v39, v2, v4, s1
	v_cmp_eq_u32_e64 s1, 3, v34
	s_delay_alu instid0(VALU_DEP_2) | instskip(SKIP_1) | instid1(VALU_DEP_2)
	v_dual_cndmask_b32 v38, v38, v7, s2 :: v_dual_cndmask_b32 v39, v39, v6, s2
	v_cmp_eq_u32_e64 s2, 4, v34
	v_dual_cndmask_b32 v38, v38, v9, s1 :: v_dual_cndmask_b32 v39, v39, v8, s1
	v_cmp_eq_u32_e64 s1, 5, v34
	s_delay_alu instid0(VALU_DEP_2) | instskip(SKIP_1) | instid1(VALU_DEP_2)
	v_dual_cndmask_b32 v38, v38, v11, s2 :: v_dual_cndmask_b32 v39, v39, v10, s2
	;; [unrolled: 5-line block ×4, first 2 shown]
	v_cmp_eq_u32_e64 s2, 10, v34
	v_dual_cndmask_b32 v38, v38, v21, s1 :: v_dual_cndmask_b32 v39, v39, v20, s1
	v_cmp_eq_u32_e64 s1, 11, v34
	s_delay_alu instid0(VALU_DEP_2)
	v_dual_cndmask_b32 v40, v38, v23, s2 :: v_dual_cndmask_b32 v41, v39, v22, s2
	ds_load_b64 v[38:39], v37
	v_cmp_eq_u32_e64 s2, 12, v34
	v_add_nc_u32_e32 v37, 8, v37
	v_dual_cndmask_b32 v40, v40, v25, s1 :: v_dual_cndmask_b32 v41, v41, v24, s1
	v_cmp_eq_u32_e64 s1, 13, v34
	s_delay_alu instid0(VALU_DEP_2) | instskip(SKIP_2) | instid1(VALU_DEP_3)
	v_dual_cndmask_b32 v40, v40, v27, s2 :: v_dual_cndmask_b32 v41, v41, v26, s2
	v_cmp_eq_u32_e64 s2, 14, v34
	v_add_nc_u64_e32 v[34:35], 1, v[34:35]
	v_dual_cndmask_b32 v40, v40, v29, s1 :: v_dual_cndmask_b32 v42, v41, v28, s1
	s_delay_alu instid0(VALU_DEP_1) | instskip(SKIP_1) | instid1(VALU_DEP_1)
	v_dual_cndmask_b32 v41, v40, v31, s2 :: v_dual_cndmask_b32 v40, v42, v30, s2
	s_wait_dscnt 0x0
	v_fmac_f64_e32 v[32:33], v[40:41], v[38:39]
	s_delay_alu instid0(VALU_DEP_4) | instskip(NEXT) | instid1(VALU_DEP_1)
	v_add_nc_u32_e32 v38, -1, v34
	v_cmp_lt_u32_e64 s1, 1, v38
	s_or_b32 s4, s1, s4
	s_delay_alu instid0(SALU_CYCLE_1)
	s_and_not1_b32 exec_lo, exec_lo, s4
	s_cbranch_execnz .LBB14_25
; %bb.26:
	s_or_b32 exec_lo, exec_lo, s4
	v_mov_b32_e32 v8, 0
	ds_load_b64 v[8:9], v8 offset:24
	s_wait_dscnt 0x0
	v_mul_f64_e32 v[8:9], v[32:33], v[8:9]
.LBB14_27:
	s_or_b32 exec_lo, exec_lo, s3
	v_cmp_gt_u32_e64 s1, 4, v0
	s_barrier_signal -1
	s_barrier_wait -1
	ds_store_b64 v36, v[10:11]
	s_wait_dscnt 0x0
	s_barrier_signal -1
	s_barrier_wait -1
	s_and_saveexec_b32 s4, s1
	s_cbranch_execz .LBB14_31
; %bb.28:
	v_mov_b64_e32 v[32:33], 0
	v_mov_b64_e32 v[34:35], v[0:1]
	v_lshl_add_u32 v37, v0, 3, 0x80
	s_mov_b32 s5, 0
.LBB14_29:                              ; =>This Inner Loop Header: Depth=1
	s_delay_alu instid0(VALU_DEP_2) | instskip(SKIP_1) | instid1(VALU_DEP_2)
	v_cmp_eq_u32_e64 s2, 1, v34
	v_cmp_eq_u32_e64 s3, 2, v34
	v_dual_cndmask_b32 v38, v3, v5, s2 :: v_dual_cndmask_b32 v39, v2, v4, s2
	v_cmp_eq_u32_e64 s2, 3, v34
	s_delay_alu instid0(VALU_DEP_2) | instskip(SKIP_1) | instid1(VALU_DEP_2)
	v_dual_cndmask_b32 v38, v38, v7, s3 :: v_dual_cndmask_b32 v39, v39, v6, s3
	v_cmp_eq_u32_e64 s3, 4, v34
	v_dual_cndmask_b32 v38, v38, v9, s2 :: v_dual_cndmask_b32 v39, v39, v8, s2
	v_cmp_eq_u32_e64 s2, 5, v34
	s_delay_alu instid0(VALU_DEP_2) | instskip(SKIP_1) | instid1(VALU_DEP_2)
	v_dual_cndmask_b32 v38, v38, v11, s3 :: v_dual_cndmask_b32 v39, v39, v10, s3
	;; [unrolled: 5-line block ×4, first 2 shown]
	v_cmp_eq_u32_e64 s3, 10, v34
	v_dual_cndmask_b32 v38, v38, v21, s2 :: v_dual_cndmask_b32 v39, v39, v20, s2
	v_cmp_eq_u32_e64 s2, 11, v34
	s_delay_alu instid0(VALU_DEP_2)
	v_dual_cndmask_b32 v40, v38, v23, s3 :: v_dual_cndmask_b32 v41, v39, v22, s3
	ds_load_b64 v[38:39], v37
	v_cmp_eq_u32_e64 s3, 12, v34
	v_add_nc_u32_e32 v37, 8, v37
	v_dual_cndmask_b32 v40, v40, v25, s2 :: v_dual_cndmask_b32 v41, v41, v24, s2
	v_cmp_eq_u32_e64 s2, 13, v34
	s_delay_alu instid0(VALU_DEP_2) | instskip(SKIP_2) | instid1(VALU_DEP_3)
	v_dual_cndmask_b32 v40, v40, v27, s3 :: v_dual_cndmask_b32 v41, v41, v26, s3
	v_cmp_eq_u32_e64 s3, 14, v34
	v_add_nc_u64_e32 v[34:35], 1, v[34:35]
	v_dual_cndmask_b32 v40, v40, v29, s2 :: v_dual_cndmask_b32 v42, v41, v28, s2
	s_delay_alu instid0(VALU_DEP_1) | instskip(SKIP_1) | instid1(VALU_DEP_1)
	v_dual_cndmask_b32 v41, v40, v31, s3 :: v_dual_cndmask_b32 v40, v42, v30, s3
	s_wait_dscnt 0x0
	v_fmac_f64_e32 v[32:33], v[40:41], v[38:39]
	s_delay_alu instid0(VALU_DEP_4) | instskip(NEXT) | instid1(VALU_DEP_1)
	v_add_nc_u32_e32 v38, -1, v34
	v_cmp_lt_u32_e64 s2, 2, v38
	s_or_b32 s5, s2, s5
	s_delay_alu instid0(SALU_CYCLE_1)
	s_and_not1_b32 exec_lo, exec_lo, s5
	s_cbranch_execnz .LBB14_29
; %bb.30:
	s_or_b32 exec_lo, exec_lo, s5
	v_mov_b32_e32 v10, 0
	ds_load_b64 v[10:11], v10 offset:32
	s_wait_dscnt 0x0
	v_mul_f64_e32 v[10:11], v[32:33], v[10:11]
.LBB14_31:
	s_or_b32 exec_lo, exec_lo, s4
	s_delay_alu instid0(SALU_CYCLE_1)
	s_mov_b32 s4, exec_lo
	s_barrier_signal -1
	s_barrier_wait -1
	ds_store_b64 v36, v[12:13]
	s_wait_dscnt 0x0
	s_barrier_signal -1
	s_barrier_wait -1
	v_cmpx_gt_u32_e32 5, v0
	s_cbranch_execz .LBB14_35
; %bb.32:
	v_mov_b64_e32 v[32:33], 0
	v_mov_b64_e32 v[34:35], v[0:1]
	v_lshl_add_u32 v37, v0, 3, 0x80
	s_mov_b32 s5, 0
.LBB14_33:                              ; =>This Inner Loop Header: Depth=1
	s_delay_alu instid0(VALU_DEP_2) | instskip(SKIP_1) | instid1(VALU_DEP_2)
	v_cmp_eq_u32_e64 s2, 1, v34
	v_cmp_eq_u32_e64 s3, 2, v34
	v_dual_cndmask_b32 v38, v3, v5, s2 :: v_dual_cndmask_b32 v39, v2, v4, s2
	v_cmp_eq_u32_e64 s2, 3, v34
	s_delay_alu instid0(VALU_DEP_2) | instskip(SKIP_1) | instid1(VALU_DEP_2)
	v_dual_cndmask_b32 v38, v38, v7, s3 :: v_dual_cndmask_b32 v39, v39, v6, s3
	v_cmp_eq_u32_e64 s3, 4, v34
	v_dual_cndmask_b32 v38, v38, v9, s2 :: v_dual_cndmask_b32 v39, v39, v8, s2
	v_cmp_eq_u32_e64 s2, 5, v34
	s_delay_alu instid0(VALU_DEP_2) | instskip(SKIP_1) | instid1(VALU_DEP_2)
	v_dual_cndmask_b32 v38, v38, v11, s3 :: v_dual_cndmask_b32 v39, v39, v10, s3
	;; [unrolled: 5-line block ×4, first 2 shown]
	v_cmp_eq_u32_e64 s3, 10, v34
	v_dual_cndmask_b32 v38, v38, v21, s2 :: v_dual_cndmask_b32 v39, v39, v20, s2
	v_cmp_eq_u32_e64 s2, 11, v34
	s_delay_alu instid0(VALU_DEP_2)
	v_dual_cndmask_b32 v40, v38, v23, s3 :: v_dual_cndmask_b32 v41, v39, v22, s3
	ds_load_b64 v[38:39], v37
	v_cmp_eq_u32_e64 s3, 12, v34
	v_add_nc_u32_e32 v37, 8, v37
	v_dual_cndmask_b32 v40, v40, v25, s2 :: v_dual_cndmask_b32 v41, v41, v24, s2
	v_cmp_eq_u32_e64 s2, 13, v34
	s_delay_alu instid0(VALU_DEP_2) | instskip(SKIP_2) | instid1(VALU_DEP_3)
	v_dual_cndmask_b32 v40, v40, v27, s3 :: v_dual_cndmask_b32 v41, v41, v26, s3
	v_cmp_eq_u32_e64 s3, 14, v34
	v_add_nc_u64_e32 v[34:35], 1, v[34:35]
	v_dual_cndmask_b32 v40, v40, v29, s2 :: v_dual_cndmask_b32 v42, v41, v28, s2
	s_delay_alu instid0(VALU_DEP_1) | instskip(SKIP_1) | instid1(VALU_DEP_1)
	v_dual_cndmask_b32 v41, v40, v31, s3 :: v_dual_cndmask_b32 v40, v42, v30, s3
	s_wait_dscnt 0x0
	v_fmac_f64_e32 v[32:33], v[40:41], v[38:39]
	s_delay_alu instid0(VALU_DEP_4) | instskip(NEXT) | instid1(VALU_DEP_1)
	v_add_nc_u32_e32 v38, -1, v34
	v_cmp_lt_u32_e64 s2, 3, v38
	s_or_b32 s5, s2, s5
	s_delay_alu instid0(SALU_CYCLE_1)
	s_and_not1_b32 exec_lo, exec_lo, s5
	s_cbranch_execnz .LBB14_33
; %bb.34:
	s_or_b32 exec_lo, exec_lo, s5
	v_mov_b32_e32 v12, 0
	ds_load_b64 v[12:13], v12 offset:40
	s_wait_dscnt 0x0
	v_mul_f64_e32 v[12:13], v[32:33], v[12:13]
.LBB14_35:
	s_or_b32 exec_lo, exec_lo, s4
	v_cmp_gt_u32_e64 s2, 6, v0
	s_barrier_signal -1
	s_barrier_wait -1
	ds_store_b64 v36, v[14:15]
	s_wait_dscnt 0x0
	s_barrier_signal -1
	s_barrier_wait -1
	s_and_saveexec_b32 s5, s2
	s_cbranch_execz .LBB14_39
; %bb.36:
	v_mov_b64_e32 v[32:33], 0
	v_mov_b64_e32 v[34:35], v[0:1]
	v_lshl_add_u32 v37, v0, 3, 0x80
	s_mov_b32 s6, 0
.LBB14_37:                              ; =>This Inner Loop Header: Depth=1
	s_delay_alu instid0(VALU_DEP_2) | instskip(SKIP_1) | instid1(VALU_DEP_2)
	v_cmp_eq_u32_e64 s3, 1, v34
	v_cmp_eq_u32_e64 s4, 2, v34
	v_dual_cndmask_b32 v38, v3, v5, s3 :: v_dual_cndmask_b32 v39, v2, v4, s3
	v_cmp_eq_u32_e64 s3, 3, v34
	s_delay_alu instid0(VALU_DEP_2) | instskip(SKIP_1) | instid1(VALU_DEP_2)
	v_dual_cndmask_b32 v38, v38, v7, s4 :: v_dual_cndmask_b32 v39, v39, v6, s4
	v_cmp_eq_u32_e64 s4, 4, v34
	v_dual_cndmask_b32 v38, v38, v9, s3 :: v_dual_cndmask_b32 v39, v39, v8, s3
	v_cmp_eq_u32_e64 s3, 5, v34
	s_delay_alu instid0(VALU_DEP_2) | instskip(SKIP_1) | instid1(VALU_DEP_2)
	v_dual_cndmask_b32 v38, v38, v11, s4 :: v_dual_cndmask_b32 v39, v39, v10, s4
	;; [unrolled: 5-line block ×4, first 2 shown]
	v_cmp_eq_u32_e64 s4, 10, v34
	v_dual_cndmask_b32 v38, v38, v21, s3 :: v_dual_cndmask_b32 v39, v39, v20, s3
	v_cmp_eq_u32_e64 s3, 11, v34
	s_delay_alu instid0(VALU_DEP_2)
	v_dual_cndmask_b32 v40, v38, v23, s4 :: v_dual_cndmask_b32 v41, v39, v22, s4
	ds_load_b64 v[38:39], v37
	v_cmp_eq_u32_e64 s4, 12, v34
	v_add_nc_u32_e32 v37, 8, v37
	v_dual_cndmask_b32 v40, v40, v25, s3 :: v_dual_cndmask_b32 v41, v41, v24, s3
	v_cmp_eq_u32_e64 s3, 13, v34
	s_delay_alu instid0(VALU_DEP_2) | instskip(SKIP_2) | instid1(VALU_DEP_3)
	v_dual_cndmask_b32 v40, v40, v27, s4 :: v_dual_cndmask_b32 v41, v41, v26, s4
	v_cmp_eq_u32_e64 s4, 14, v34
	v_add_nc_u64_e32 v[34:35], 1, v[34:35]
	v_dual_cndmask_b32 v40, v40, v29, s3 :: v_dual_cndmask_b32 v42, v41, v28, s3
	s_delay_alu instid0(VALU_DEP_1) | instskip(SKIP_1) | instid1(VALU_DEP_1)
	v_dual_cndmask_b32 v41, v40, v31, s4 :: v_dual_cndmask_b32 v40, v42, v30, s4
	s_wait_dscnt 0x0
	v_fmac_f64_e32 v[32:33], v[40:41], v[38:39]
	s_delay_alu instid0(VALU_DEP_4) | instskip(NEXT) | instid1(VALU_DEP_1)
	v_add_nc_u32_e32 v38, -1, v34
	v_cmp_lt_u32_e64 s3, 4, v38
	s_or_b32 s6, s3, s6
	s_delay_alu instid0(SALU_CYCLE_1)
	s_and_not1_b32 exec_lo, exec_lo, s6
	s_cbranch_execnz .LBB14_37
; %bb.38:
	s_or_b32 exec_lo, exec_lo, s6
	v_mov_b32_e32 v14, 0
	ds_load_b64 v[14:15], v14 offset:48
	s_wait_dscnt 0x0
	v_mul_f64_e32 v[14:15], v[32:33], v[14:15]
.LBB14_39:
	s_or_b32 exec_lo, exec_lo, s5
	s_delay_alu instid0(SALU_CYCLE_1)
	s_mov_b32 s5, exec_lo
	s_barrier_signal -1
	s_barrier_wait -1
	ds_store_b64 v36, v[16:17]
	s_wait_dscnt 0x0
	s_barrier_signal -1
	s_barrier_wait -1
	v_cmpx_gt_u32_e32 7, v0
	s_cbranch_execz .LBB14_43
; %bb.40:
	v_mov_b64_e32 v[32:33], 0
	v_mov_b64_e32 v[34:35], v[0:1]
	v_lshl_add_u32 v37, v0, 3, 0x80
	s_mov_b32 s6, 0
.LBB14_41:                              ; =>This Inner Loop Header: Depth=1
	s_delay_alu instid0(VALU_DEP_2) | instskip(SKIP_1) | instid1(VALU_DEP_2)
	v_cmp_eq_u32_e64 s3, 1, v34
	v_cmp_eq_u32_e64 s4, 2, v34
	v_dual_cndmask_b32 v38, v3, v5, s3 :: v_dual_cndmask_b32 v39, v2, v4, s3
	v_cmp_eq_u32_e64 s3, 3, v34
	s_delay_alu instid0(VALU_DEP_2) | instskip(SKIP_1) | instid1(VALU_DEP_2)
	v_dual_cndmask_b32 v38, v38, v7, s4 :: v_dual_cndmask_b32 v39, v39, v6, s4
	v_cmp_eq_u32_e64 s4, 4, v34
	v_dual_cndmask_b32 v38, v38, v9, s3 :: v_dual_cndmask_b32 v39, v39, v8, s3
	v_cmp_eq_u32_e64 s3, 5, v34
	s_delay_alu instid0(VALU_DEP_2) | instskip(SKIP_1) | instid1(VALU_DEP_2)
	v_dual_cndmask_b32 v38, v38, v11, s4 :: v_dual_cndmask_b32 v39, v39, v10, s4
	;; [unrolled: 5-line block ×4, first 2 shown]
	v_cmp_eq_u32_e64 s4, 10, v34
	v_dual_cndmask_b32 v38, v38, v21, s3 :: v_dual_cndmask_b32 v39, v39, v20, s3
	v_cmp_eq_u32_e64 s3, 11, v34
	s_delay_alu instid0(VALU_DEP_2)
	v_dual_cndmask_b32 v40, v38, v23, s4 :: v_dual_cndmask_b32 v41, v39, v22, s4
	ds_load_b64 v[38:39], v37
	v_cmp_eq_u32_e64 s4, 12, v34
	v_add_nc_u32_e32 v37, 8, v37
	v_dual_cndmask_b32 v40, v40, v25, s3 :: v_dual_cndmask_b32 v41, v41, v24, s3
	v_cmp_eq_u32_e64 s3, 13, v34
	s_delay_alu instid0(VALU_DEP_2) | instskip(SKIP_2) | instid1(VALU_DEP_3)
	v_dual_cndmask_b32 v40, v40, v27, s4 :: v_dual_cndmask_b32 v41, v41, v26, s4
	v_cmp_eq_u32_e64 s4, 14, v34
	v_add_nc_u64_e32 v[34:35], 1, v[34:35]
	v_dual_cndmask_b32 v40, v40, v29, s3 :: v_dual_cndmask_b32 v42, v41, v28, s3
	s_delay_alu instid0(VALU_DEP_1) | instskip(SKIP_1) | instid1(VALU_DEP_1)
	v_dual_cndmask_b32 v41, v40, v31, s4 :: v_dual_cndmask_b32 v40, v42, v30, s4
	s_wait_dscnt 0x0
	v_fmac_f64_e32 v[32:33], v[40:41], v[38:39]
	s_delay_alu instid0(VALU_DEP_4) | instskip(NEXT) | instid1(VALU_DEP_1)
	v_add_nc_u32_e32 v38, -1, v34
	v_cmp_lt_u32_e64 s3, 5, v38
	s_or_b32 s6, s3, s6
	s_delay_alu instid0(SALU_CYCLE_1)
	s_and_not1_b32 exec_lo, exec_lo, s6
	s_cbranch_execnz .LBB14_41
; %bb.42:
	s_or_b32 exec_lo, exec_lo, s6
	v_mov_b32_e32 v16, 0
	ds_load_b64 v[16:17], v16 offset:56
	s_wait_dscnt 0x0
	v_mul_f64_e32 v[16:17], v[32:33], v[16:17]
.LBB14_43:
	s_or_b32 exec_lo, exec_lo, s5
	s_delay_alu instid0(SALU_CYCLE_1)
	s_mov_b32 s5, exec_lo
	s_barrier_signal -1
	s_barrier_wait -1
	ds_store_b64 v36, v[18:19]
	s_wait_dscnt 0x0
	s_barrier_signal -1
	s_barrier_wait -1
	v_cmpx_gt_u32_e32 8, v0
	s_cbranch_execz .LBB14_59
; %bb.44:
	v_cmp_eq_u32_e64 s3, 1, v0
	v_cmp_eq_u32_e64 s4, 12, v0
	s_mov_b32 s6, exec_lo
	v_dual_cndmask_b32 v32, v3, v5, s3 :: v_dual_cndmask_b32 v33, v2, v4, s3
	v_cmp_eq_u32_e64 s3, 2, v0
	s_delay_alu instid0(VALU_DEP_1) | instskip(SKIP_1) | instid1(VALU_DEP_1)
	v_dual_cndmask_b32 v32, v32, v7, s3 :: v_dual_cndmask_b32 v33, v33, v6, s3
	v_cmp_eq_u32_e64 s3, 3, v0
	v_dual_cndmask_b32 v32, v32, v9, s3 :: v_dual_cndmask_b32 v33, v33, v8, s3
	v_cmp_eq_u32_e64 s3, 4, v0
	s_delay_alu instid0(VALU_DEP_1) | instskip(SKIP_1) | instid1(VALU_DEP_1)
	v_dual_cndmask_b32 v32, v32, v11, s3 :: v_dual_cndmask_b32 v33, v33, v10, s3
	v_cmp_eq_u32_e64 s3, 5, v0
	;; [unrolled: 5-line block ×5, first 2 shown]
	v_dual_cndmask_b32 v34, v32, v25, s3 :: v_dual_cndmask_b32 v35, v33, v24, s3
	ds_load_b64 v[32:33], v36
	v_cmp_eq_u32_e64 s3, 13, v0
	v_dual_cndmask_b32 v34, v34, v27, s4 :: v_dual_cndmask_b32 v35, v35, v26, s4
	s_delay_alu instid0(VALU_DEP_1) | instskip(SKIP_1) | instid1(VALU_DEP_1)
	v_dual_cndmask_b32 v34, v34, v29, s3 :: v_dual_cndmask_b32 v37, v35, v28, s3
	v_cmp_eq_u32_e64 s3, 14, v0
	v_dual_cndmask_b32 v35, v34, v31, s3 :: v_dual_cndmask_b32 v34, v37, v30, s3
	s_wait_dscnt 0x0
	s_delay_alu instid0(VALU_DEP_1)
	v_fma_f64 v[32:33], v[34:35], v[32:33], 0
	v_cmpx_ne_u32_e32 7, v0
	s_cbranch_execz .LBB14_58
; %bb.45:
	v_add_nc_u32_e32 v37, 1, v0
	s_delay_alu instid0(VALU_DEP_1) | instskip(NEXT) | instid1(VALU_DEP_1)
	v_cmp_eq_u32_e64 s3, 1, v37
	v_cndmask_b32_e64 v34, v3, v5, s3
	v_cmp_eq_u32_e64 s4, 12, v37
	v_cndmask_b32_e64 v35, v2, v4, s3
	v_cmp_eq_u32_e64 s3, 2, v37
	s_delay_alu instid0(VALU_DEP_1) | instskip(SKIP_1) | instid1(VALU_DEP_1)
	v_dual_cndmask_b32 v34, v34, v7, s3 :: v_dual_cndmask_b32 v35, v35, v6, s3
	v_cmp_eq_u32_e64 s3, 3, v37
	v_dual_cndmask_b32 v34, v34, v9, s3 :: v_dual_cndmask_b32 v35, v35, v8, s3
	v_cmp_eq_u32_e64 s3, 4, v37
	s_delay_alu instid0(VALU_DEP_1) | instskip(SKIP_1) | instid1(VALU_DEP_1)
	v_dual_cndmask_b32 v34, v34, v11, s3 :: v_dual_cndmask_b32 v35, v35, v10, s3
	v_cmp_eq_u32_e64 s3, 5, v37
	v_dual_cndmask_b32 v34, v34, v13, s3 :: v_dual_cndmask_b32 v35, v35, v12, s3
	;; [unrolled: 5-line block ×5, first 2 shown]
	ds_load_b64 v[34:35], v36 offset:8
	v_cmp_eq_u32_e64 s3, 13, v37
	v_dual_cndmask_b32 v39, v39, v26, s4 :: v_dual_cndmask_b32 v38, v38, v27, s4
	s_delay_alu instid0(VALU_DEP_1) | instskip(SKIP_1) | instid1(VALU_DEP_1)
	v_dual_cndmask_b32 v40, v39, v28, s3 :: v_dual_cndmask_b32 v38, v38, v29, s3
	v_cmp_eq_u32_e64 s3, 14, v37
	v_dual_cndmask_b32 v39, v38, v31, s3 :: v_dual_cndmask_b32 v38, v40, v30, s3
	s_wait_dscnt 0x0
	s_delay_alu instid0(VALU_DEP_1)
	v_fmac_f64_e32 v[32:33], v[38:39], v[34:35]
	s_and_saveexec_b32 s4, s2
	s_cbranch_execz .LBB14_57
; %bb.46:
	v_add_nc_u32_e32 v37, 2, v0
	s_mov_b32 s7, exec_lo
	s_delay_alu instid0(VALU_DEP_1) | instskip(NEXT) | instid1(VALU_DEP_1)
	v_cmp_eq_u32_e64 s2, 1, v37
	v_cndmask_b32_e64 v34, v3, v5, s2
	v_cmp_eq_u32_e64 s3, 12, v37
	v_cndmask_b32_e64 v35, v2, v4, s2
	v_cmp_eq_u32_e64 s2, 2, v37
	s_delay_alu instid0(VALU_DEP_1) | instskip(SKIP_1) | instid1(VALU_DEP_1)
	v_dual_cndmask_b32 v34, v34, v7, s2 :: v_dual_cndmask_b32 v35, v35, v6, s2
	v_cmp_eq_u32_e64 s2, 3, v37
	v_dual_cndmask_b32 v34, v34, v9, s2 :: v_dual_cndmask_b32 v35, v35, v8, s2
	v_cmp_eq_u32_e64 s2, 4, v37
	s_delay_alu instid0(VALU_DEP_1) | instskip(SKIP_1) | instid1(VALU_DEP_1)
	v_dual_cndmask_b32 v34, v34, v11, s2 :: v_dual_cndmask_b32 v35, v35, v10, s2
	v_cmp_eq_u32_e64 s2, 5, v37
	v_dual_cndmask_b32 v34, v34, v13, s2 :: v_dual_cndmask_b32 v35, v35, v12, s2
	;; [unrolled: 5-line block ×5, first 2 shown]
	ds_load_b64 v[34:35], v36 offset:16
	v_cmp_eq_u32_e64 s2, 13, v37
	v_dual_cndmask_b32 v39, v39, v26, s3 :: v_dual_cndmask_b32 v38, v38, v27, s3
	s_delay_alu instid0(VALU_DEP_1) | instskip(SKIP_1) | instid1(VALU_DEP_1)
	v_dual_cndmask_b32 v40, v39, v28, s2 :: v_dual_cndmask_b32 v38, v38, v29, s2
	v_cmp_eq_u32_e64 s2, 14, v37
	v_dual_cndmask_b32 v39, v38, v31, s2 :: v_dual_cndmask_b32 v38, v40, v30, s2
	s_wait_dscnt 0x0
	s_delay_alu instid0(VALU_DEP_1)
	v_fmac_f64_e32 v[32:33], v[38:39], v[34:35]
	v_cmpx_ne_u32_e32 5, v0
	s_cbranch_execz .LBB14_56
; %bb.47:
	v_add_nc_u32_e32 v37, 3, v0
	s_delay_alu instid0(VALU_DEP_1) | instskip(NEXT) | instid1(VALU_DEP_1)
	v_cmp_eq_u32_e64 s2, 1, v37
	v_cndmask_b32_e64 v34, v3, v5, s2
	v_cmp_eq_u32_e64 s3, 12, v37
	v_cndmask_b32_e64 v35, v2, v4, s2
	v_cmp_eq_u32_e64 s2, 2, v37
	s_delay_alu instid0(VALU_DEP_1) | instskip(SKIP_1) | instid1(VALU_DEP_1)
	v_dual_cndmask_b32 v34, v34, v7, s2 :: v_dual_cndmask_b32 v35, v35, v6, s2
	v_cmp_eq_u32_e64 s2, 3, v37
	v_dual_cndmask_b32 v34, v34, v9, s2 :: v_dual_cndmask_b32 v35, v35, v8, s2
	v_cmp_eq_u32_e64 s2, 4, v37
	s_delay_alu instid0(VALU_DEP_1) | instskip(SKIP_1) | instid1(VALU_DEP_1)
	v_dual_cndmask_b32 v34, v34, v11, s2 :: v_dual_cndmask_b32 v35, v35, v10, s2
	v_cmp_eq_u32_e64 s2, 5, v37
	v_dual_cndmask_b32 v34, v34, v13, s2 :: v_dual_cndmask_b32 v35, v35, v12, s2
	;; [unrolled: 5-line block ×5, first 2 shown]
	ds_load_b64 v[34:35], v36 offset:24
	v_cmp_eq_u32_e64 s2, 13, v37
	v_dual_cndmask_b32 v39, v39, v26, s3 :: v_dual_cndmask_b32 v38, v38, v27, s3
	s_delay_alu instid0(VALU_DEP_1) | instskip(SKIP_1) | instid1(VALU_DEP_1)
	v_dual_cndmask_b32 v40, v39, v28, s2 :: v_dual_cndmask_b32 v38, v38, v29, s2
	v_cmp_eq_u32_e64 s2, 14, v37
	v_dual_cndmask_b32 v39, v38, v31, s2 :: v_dual_cndmask_b32 v38, v40, v30, s2
	s_wait_dscnt 0x0
	s_delay_alu instid0(VALU_DEP_1)
	v_fmac_f64_e32 v[32:33], v[38:39], v[34:35]
	s_and_saveexec_b32 s3, s1
	s_cbranch_execz .LBB14_55
; %bb.48:
	v_or_b32_e32 v37, 4, v0
	s_mov_b32 s8, exec_lo
	s_delay_alu instid0(VALU_DEP_1) | instskip(NEXT) | instid1(VALU_DEP_1)
	v_cmp_eq_u32_e64 s1, 1, v37
	v_cndmask_b32_e64 v34, v3, v5, s1
	v_cmp_eq_u32_e64 s2, 12, v37
	v_cndmask_b32_e64 v35, v2, v4, s1
	v_cmp_eq_u32_e64 s1, 2, v37
	s_delay_alu instid0(VALU_DEP_1) | instskip(SKIP_1) | instid1(VALU_DEP_1)
	v_dual_cndmask_b32 v34, v34, v7, s1 :: v_dual_cndmask_b32 v35, v35, v6, s1
	v_cmp_eq_u32_e64 s1, 3, v37
	v_dual_cndmask_b32 v34, v34, v9, s1 :: v_dual_cndmask_b32 v35, v35, v8, s1
	v_cmp_eq_u32_e64 s1, 4, v37
	s_delay_alu instid0(VALU_DEP_1) | instskip(SKIP_1) | instid1(VALU_DEP_1)
	v_dual_cndmask_b32 v34, v34, v11, s1 :: v_dual_cndmask_b32 v35, v35, v10, s1
	v_cmp_eq_u32_e64 s1, 5, v37
	v_dual_cndmask_b32 v34, v34, v13, s1 :: v_dual_cndmask_b32 v35, v35, v12, s1
	;; [unrolled: 5-line block ×5, first 2 shown]
	ds_load_b64 v[34:35], v36 offset:32
	v_cmp_eq_u32_e64 s1, 13, v37
	v_dual_cndmask_b32 v39, v39, v26, s2 :: v_dual_cndmask_b32 v38, v38, v27, s2
	s_delay_alu instid0(VALU_DEP_1) | instskip(SKIP_1) | instid1(VALU_DEP_1)
	v_dual_cndmask_b32 v40, v39, v28, s1 :: v_dual_cndmask_b32 v38, v38, v29, s1
	v_cmp_eq_u32_e64 s1, 14, v37
	v_dual_cndmask_b32 v39, v38, v31, s1 :: v_dual_cndmask_b32 v38, v40, v30, s1
	s_wait_dscnt 0x0
	s_delay_alu instid0(VALU_DEP_1)
	v_fmac_f64_e32 v[32:33], v[38:39], v[34:35]
	v_cmpx_ne_u32_e32 3, v0
	s_cbranch_execz .LBB14_54
; %bb.49:
	v_add_nc_u32_e32 v37, 5, v0
	s_delay_alu instid0(VALU_DEP_1) | instskip(NEXT) | instid1(VALU_DEP_1)
	v_cmp_eq_u32_e64 s1, 1, v37
	v_cndmask_b32_e64 v34, v3, v5, s1
	v_cmp_eq_u32_e64 s2, 12, v37
	v_cndmask_b32_e64 v35, v2, v4, s1
	v_cmp_eq_u32_e64 s1, 2, v37
	s_delay_alu instid0(VALU_DEP_1) | instskip(SKIP_1) | instid1(VALU_DEP_1)
	v_dual_cndmask_b32 v34, v34, v7, s1 :: v_dual_cndmask_b32 v35, v35, v6, s1
	v_cmp_eq_u32_e64 s1, 3, v37
	v_dual_cndmask_b32 v34, v34, v9, s1 :: v_dual_cndmask_b32 v35, v35, v8, s1
	v_cmp_eq_u32_e64 s1, 4, v37
	s_delay_alu instid0(VALU_DEP_1) | instskip(SKIP_1) | instid1(VALU_DEP_1)
	v_dual_cndmask_b32 v34, v34, v11, s1 :: v_dual_cndmask_b32 v35, v35, v10, s1
	v_cmp_eq_u32_e64 s1, 5, v37
	v_dual_cndmask_b32 v34, v34, v13, s1 :: v_dual_cndmask_b32 v35, v35, v12, s1
	;; [unrolled: 5-line block ×5, first 2 shown]
	ds_load_b64 v[34:35], v36 offset:40
	v_cmp_eq_u32_e64 s1, 13, v37
	v_dual_cndmask_b32 v39, v39, v26, s2 :: v_dual_cndmask_b32 v38, v38, v27, s2
	s_delay_alu instid0(VALU_DEP_1) | instskip(SKIP_1) | instid1(VALU_DEP_1)
	v_dual_cndmask_b32 v40, v39, v28, s1 :: v_dual_cndmask_b32 v38, v38, v29, s1
	v_cmp_eq_u32_e64 s1, 14, v37
	v_dual_cndmask_b32 v39, v38, v31, s1 :: v_dual_cndmask_b32 v38, v40, v30, s1
	s_wait_dscnt 0x0
	s_delay_alu instid0(VALU_DEP_1)
	v_fmac_f64_e32 v[32:33], v[38:39], v[34:35]
	s_and_saveexec_b32 s2, vcc_lo
	s_cbranch_execz .LBB14_53
; %bb.50:
	v_or_b32_e32 v34, 6, v0
	s_delay_alu instid0(VALU_DEP_1) | instskip(SKIP_3) | instid1(VALU_DEP_3)
	v_cmp_eq_u32_e32 vcc_lo, 1, v34
	v_dual_cndmask_b32 v35, v3, v5, vcc_lo :: v_dual_cndmask_b32 v37, v2, v4, vcc_lo
	v_cmp_eq_u32_e32 vcc_lo, 2, v34
	v_cmp_eq_u32_e64 s1, 12, v34
	v_dual_cndmask_b32 v35, v35, v7, vcc_lo :: v_dual_cndmask_b32 v37, v37, v6, vcc_lo
	v_cmp_eq_u32_e32 vcc_lo, 3, v34
	s_delay_alu instid0(VALU_DEP_2) | instskip(SKIP_1) | instid1(VALU_DEP_2)
	v_dual_cndmask_b32 v35, v35, v9, vcc_lo :: v_dual_cndmask_b32 v37, v37, v8, vcc_lo
	v_cmp_eq_u32_e32 vcc_lo, 4, v34
	v_dual_cndmask_b32 v35, v35, v11, vcc_lo :: v_dual_cndmask_b32 v37, v37, v10, vcc_lo
	v_cmp_eq_u32_e32 vcc_lo, 5, v34
	s_delay_alu instid0(VALU_DEP_2) | instskip(SKIP_1) | instid1(VALU_DEP_2)
	v_dual_cndmask_b32 v35, v35, v13, vcc_lo :: v_dual_cndmask_b32 v37, v37, v12, vcc_lo
	v_cmp_eq_u32_e32 vcc_lo, 6, v34
	;; [unrolled: 5-line block ×3, first 2 shown]
	v_dual_cndmask_b32 v19, v35, v19 :: v_dual_cndmask_b32 v18, v37, v18
	v_cmp_eq_u32_e32 vcc_lo, 9, v34
	s_delay_alu instid0(VALU_DEP_2) | instskip(SKIP_1) | instid1(VALU_DEP_2)
	v_dual_cndmask_b32 v19, v19, v21 :: v_dual_cndmask_b32 v18, v18, v20
	v_cmp_eq_u32_e32 vcc_lo, 10, v34
	v_dual_cndmask_b32 v19, v19, v23 :: v_dual_cndmask_b32 v18, v18, v22
	v_cmp_eq_u32_e32 vcc_lo, 11, v34
	s_delay_alu instid0(VALU_DEP_2) | instskip(SKIP_3) | instid1(VALU_DEP_1)
	v_dual_cndmask_b32 v35, v19, v25, vcc_lo :: v_dual_cndmask_b32 v37, v18, v24, vcc_lo
	ds_load_b64 v[18:19], v36 offset:48
	v_cmp_eq_u32_e32 vcc_lo, 13, v34
	v_dual_cndmask_b32 v35, v35, v27, s1 :: v_dual_cndmask_b32 v37, v37, v26, s1
	v_dual_cndmask_b32 v35, v35, v29, vcc_lo :: v_dual_cndmask_b32 v37, v37, v28, vcc_lo
	v_cmp_eq_u32_e32 vcc_lo, 14, v34
	s_delay_alu instid0(VALU_DEP_2) | instskip(SKIP_1) | instid1(VALU_DEP_1)
	v_dual_cndmask_b32 v35, v35, v31 :: v_dual_cndmask_b32 v34, v37, v30
	s_wait_dscnt 0x0
	v_fmac_f64_e32 v[32:33], v[34:35], v[18:19]
	s_and_saveexec_b32 s1, s0
	s_cbranch_execz .LBB14_52
; %bb.51:
	ds_load_b64 v[18:19], v36 offset:56
	s_wait_dscnt 0x0
	v_fmac_f64_e32 v[32:33], v[16:17], v[18:19]
.LBB14_52:
	s_or_b32 exec_lo, exec_lo, s1
.LBB14_53:
	s_delay_alu instid0(SALU_CYCLE_1)
	s_or_b32 exec_lo, exec_lo, s2
.LBB14_54:
	s_delay_alu instid0(SALU_CYCLE_1)
	s_or_b32 exec_lo, exec_lo, s8
.LBB14_55:
	s_delay_alu instid0(SALU_CYCLE_1)
	s_or_b32 exec_lo, exec_lo, s3
.LBB14_56:
	s_delay_alu instid0(SALU_CYCLE_1)
	s_or_b32 exec_lo, exec_lo, s7
.LBB14_57:
	s_delay_alu instid0(SALU_CYCLE_1)
	s_or_b32 exec_lo, exec_lo, s4
.LBB14_58:
	s_delay_alu instid0(SALU_CYCLE_1)
	s_or_b32 exec_lo, exec_lo, s6
	v_mov_b32_e32 v18, 0
	ds_load_b64 v[18:19], v18 offset:64
	s_wait_dscnt 0x0
	v_mul_f64_e32 v[18:19], v[32:33], v[18:19]
.LBB14_59:
	s_or_b32 exec_lo, exec_lo, s5
	s_delay_alu instid0(SALU_CYCLE_1)
	s_mov_b32 s1, exec_lo
	s_barrier_signal -1
	s_barrier_wait -1
	ds_store_b64 v36, v[20:21]
	s_wait_dscnt 0x0
	s_barrier_signal -1
	s_barrier_wait -1
	v_cmpx_gt_u32_e32 9, v0
	s_cbranch_execz .LBB14_63
; %bb.60:
	v_mov_b64_e32 v[32:33], 0
	v_mov_b64_e32 v[34:35], v[0:1]
	v_lshl_add_u32 v37, v0, 3, 0x80
	s_mov_b32 s2, 0
.LBB14_61:                              ; =>This Inner Loop Header: Depth=1
	s_delay_alu instid0(VALU_DEP_2) | instskip(SKIP_3) | instid1(VALU_DEP_2)
	v_cmp_eq_u32_e32 vcc_lo, 1, v34
	v_cmp_eq_u32_e64 s0, 2, v34
	v_dual_cndmask_b32 v38, v3, v5 :: v_dual_cndmask_b32 v39, v2, v4
	v_cmp_eq_u32_e32 vcc_lo, 3, v34
	v_dual_cndmask_b32 v38, v38, v7, s0 :: v_dual_cndmask_b32 v39, v39, v6, s0
	v_cmp_eq_u32_e64 s0, 4, v34
	s_delay_alu instid0(VALU_DEP_2) | instskip(SKIP_1) | instid1(VALU_DEP_2)
	v_dual_cndmask_b32 v38, v38, v9 :: v_dual_cndmask_b32 v39, v39, v8
	v_cmp_eq_u32_e32 vcc_lo, 5, v34
	v_dual_cndmask_b32 v38, v38, v11, s0 :: v_dual_cndmask_b32 v39, v39, v10, s0
	v_cmp_eq_u32_e64 s0, 6, v34
	s_delay_alu instid0(VALU_DEP_2) | instskip(SKIP_1) | instid1(VALU_DEP_2)
	;; [unrolled: 5-line block ×4, first 2 shown]
	v_dual_cndmask_b32 v38, v38, v21 :: v_dual_cndmask_b32 v39, v39, v20
	v_cmp_eq_u32_e32 vcc_lo, 11, v34
	v_dual_cndmask_b32 v40, v38, v23, s0 :: v_dual_cndmask_b32 v41, v39, v22, s0
	ds_load_b64 v[38:39], v37
	v_cmp_eq_u32_e64 s0, 12, v34
	v_add_nc_u32_e32 v37, 8, v37
	v_dual_cndmask_b32 v40, v40, v25 :: v_dual_cndmask_b32 v41, v41, v24
	v_cmp_eq_u32_e32 vcc_lo, 13, v34
	s_delay_alu instid0(VALU_DEP_2) | instskip(SKIP_2) | instid1(VALU_DEP_3)
	v_dual_cndmask_b32 v40, v40, v27, s0 :: v_dual_cndmask_b32 v41, v41, v26, s0
	v_cmp_eq_u32_e64 s0, 14, v34
	v_add_nc_u64_e32 v[34:35], 1, v[34:35]
	v_dual_cndmask_b32 v40, v40, v29, vcc_lo :: v_dual_cndmask_b32 v42, v41, v28, vcc_lo
	s_delay_alu instid0(VALU_DEP_1) | instskip(SKIP_1) | instid1(VALU_DEP_1)
	v_dual_cndmask_b32 v41, v40, v31, s0 :: v_dual_cndmask_b32 v40, v42, v30, s0
	s_wait_dscnt 0x0
	v_fmac_f64_e32 v[32:33], v[40:41], v[38:39]
	s_delay_alu instid0(VALU_DEP_4) | instskip(NEXT) | instid1(VALU_DEP_1)
	v_add_nc_u32_e32 v38, -1, v34
	v_cmp_lt_u32_e32 vcc_lo, 7, v38
	s_or_b32 s2, vcc_lo, s2
	s_delay_alu instid0(SALU_CYCLE_1)
	s_and_not1_b32 exec_lo, exec_lo, s2
	s_cbranch_execnz .LBB14_61
; %bb.62:
	s_or_b32 exec_lo, exec_lo, s2
	v_mov_b32_e32 v20, 0
	ds_load_b64 v[20:21], v20 offset:72
	s_wait_dscnt 0x0
	v_mul_f64_e32 v[20:21], v[32:33], v[20:21]
.LBB14_63:
	s_or_b32 exec_lo, exec_lo, s1
	s_delay_alu instid0(SALU_CYCLE_1)
	s_mov_b32 s1, exec_lo
	s_barrier_signal -1
	s_barrier_wait -1
	ds_store_b64 v36, v[22:23]
	s_wait_dscnt 0x0
	s_barrier_signal -1
	s_barrier_wait -1
	v_cmpx_gt_u32_e32 10, v0
	s_cbranch_execz .LBB14_67
; %bb.64:
	v_mov_b64_e32 v[32:33], 0
	v_mov_b64_e32 v[34:35], v[0:1]
	v_lshl_add_u32 v37, v0, 3, 0x80
	s_mov_b32 s2, 0
.LBB14_65:                              ; =>This Inner Loop Header: Depth=1
	s_delay_alu instid0(VALU_DEP_2) | instskip(SKIP_3) | instid1(VALU_DEP_2)
	v_cmp_eq_u32_e32 vcc_lo, 1, v34
	v_cmp_eq_u32_e64 s0, 2, v34
	v_dual_cndmask_b32 v38, v3, v5 :: v_dual_cndmask_b32 v39, v2, v4
	v_cmp_eq_u32_e32 vcc_lo, 3, v34
	v_dual_cndmask_b32 v38, v38, v7, s0 :: v_dual_cndmask_b32 v39, v39, v6, s0
	v_cmp_eq_u32_e64 s0, 4, v34
	s_delay_alu instid0(VALU_DEP_2) | instskip(SKIP_1) | instid1(VALU_DEP_2)
	v_dual_cndmask_b32 v38, v38, v9 :: v_dual_cndmask_b32 v39, v39, v8
	v_cmp_eq_u32_e32 vcc_lo, 5, v34
	v_dual_cndmask_b32 v38, v38, v11, s0 :: v_dual_cndmask_b32 v39, v39, v10, s0
	v_cmp_eq_u32_e64 s0, 6, v34
	s_delay_alu instid0(VALU_DEP_2) | instskip(SKIP_1) | instid1(VALU_DEP_2)
	;; [unrolled: 5-line block ×4, first 2 shown]
	v_dual_cndmask_b32 v38, v38, v21 :: v_dual_cndmask_b32 v39, v39, v20
	v_cmp_eq_u32_e32 vcc_lo, 11, v34
	v_dual_cndmask_b32 v40, v38, v23, s0 :: v_dual_cndmask_b32 v41, v39, v22, s0
	ds_load_b64 v[38:39], v37
	v_cmp_eq_u32_e64 s0, 12, v34
	v_add_nc_u32_e32 v37, 8, v37
	v_dual_cndmask_b32 v40, v40, v25 :: v_dual_cndmask_b32 v41, v41, v24
	v_cmp_eq_u32_e32 vcc_lo, 13, v34
	s_delay_alu instid0(VALU_DEP_2) | instskip(SKIP_2) | instid1(VALU_DEP_3)
	v_dual_cndmask_b32 v40, v40, v27, s0 :: v_dual_cndmask_b32 v41, v41, v26, s0
	v_cmp_eq_u32_e64 s0, 14, v34
	v_add_nc_u64_e32 v[34:35], 1, v[34:35]
	v_dual_cndmask_b32 v40, v40, v29, vcc_lo :: v_dual_cndmask_b32 v42, v41, v28, vcc_lo
	s_delay_alu instid0(VALU_DEP_1) | instskip(SKIP_1) | instid1(VALU_DEP_1)
	v_dual_cndmask_b32 v41, v40, v31, s0 :: v_dual_cndmask_b32 v40, v42, v30, s0
	s_wait_dscnt 0x0
	v_fmac_f64_e32 v[32:33], v[40:41], v[38:39]
	s_delay_alu instid0(VALU_DEP_4) | instskip(NEXT) | instid1(VALU_DEP_1)
	v_add_nc_u32_e32 v38, -1, v34
	v_cmp_lt_u32_e32 vcc_lo, 8, v38
	s_or_b32 s2, vcc_lo, s2
	s_delay_alu instid0(SALU_CYCLE_1)
	s_and_not1_b32 exec_lo, exec_lo, s2
	s_cbranch_execnz .LBB14_65
; %bb.66:
	s_or_b32 exec_lo, exec_lo, s2
	v_mov_b32_e32 v22, 0
	ds_load_b64 v[22:23], v22 offset:80
	s_wait_dscnt 0x0
	v_mul_f64_e32 v[22:23], v[32:33], v[22:23]
.LBB14_67:
	s_or_b32 exec_lo, exec_lo, s1
	s_delay_alu instid0(SALU_CYCLE_1)
	s_mov_b32 s1, exec_lo
	s_barrier_signal -1
	s_barrier_wait -1
	ds_store_b64 v36, v[24:25]
	s_wait_dscnt 0x0
	s_barrier_signal -1
	s_barrier_wait -1
	v_cmpx_gt_u32_e32 11, v0
	s_cbranch_execz .LBB14_71
; %bb.68:
	v_mov_b64_e32 v[32:33], 0
	v_mov_b64_e32 v[34:35], v[0:1]
	v_lshl_add_u32 v37, v0, 3, 0x80
	s_mov_b32 s2, 0
.LBB14_69:                              ; =>This Inner Loop Header: Depth=1
	s_delay_alu instid0(VALU_DEP_2) | instskip(SKIP_3) | instid1(VALU_DEP_2)
	v_cmp_eq_u32_e32 vcc_lo, 1, v34
	v_cmp_eq_u32_e64 s0, 2, v34
	v_dual_cndmask_b32 v38, v3, v5 :: v_dual_cndmask_b32 v39, v2, v4
	v_cmp_eq_u32_e32 vcc_lo, 3, v34
	v_dual_cndmask_b32 v38, v38, v7, s0 :: v_dual_cndmask_b32 v39, v39, v6, s0
	v_cmp_eq_u32_e64 s0, 4, v34
	s_delay_alu instid0(VALU_DEP_2) | instskip(SKIP_1) | instid1(VALU_DEP_2)
	v_dual_cndmask_b32 v38, v38, v9 :: v_dual_cndmask_b32 v39, v39, v8
	v_cmp_eq_u32_e32 vcc_lo, 5, v34
	v_dual_cndmask_b32 v38, v38, v11, s0 :: v_dual_cndmask_b32 v39, v39, v10, s0
	v_cmp_eq_u32_e64 s0, 6, v34
	s_delay_alu instid0(VALU_DEP_2) | instskip(SKIP_1) | instid1(VALU_DEP_2)
	;; [unrolled: 5-line block ×4, first 2 shown]
	v_dual_cndmask_b32 v38, v38, v21 :: v_dual_cndmask_b32 v39, v39, v20
	v_cmp_eq_u32_e32 vcc_lo, 11, v34
	v_dual_cndmask_b32 v40, v38, v23, s0 :: v_dual_cndmask_b32 v41, v39, v22, s0
	ds_load_b64 v[38:39], v37
	v_cmp_eq_u32_e64 s0, 12, v34
	v_add_nc_u32_e32 v37, 8, v37
	v_dual_cndmask_b32 v40, v40, v25 :: v_dual_cndmask_b32 v41, v41, v24
	v_cmp_eq_u32_e32 vcc_lo, 13, v34
	s_delay_alu instid0(VALU_DEP_2) | instskip(SKIP_2) | instid1(VALU_DEP_3)
	v_dual_cndmask_b32 v40, v40, v27, s0 :: v_dual_cndmask_b32 v41, v41, v26, s0
	v_cmp_eq_u32_e64 s0, 14, v34
	v_add_nc_u64_e32 v[34:35], 1, v[34:35]
	v_dual_cndmask_b32 v40, v40, v29, vcc_lo :: v_dual_cndmask_b32 v42, v41, v28, vcc_lo
	s_delay_alu instid0(VALU_DEP_1) | instskip(SKIP_1) | instid1(VALU_DEP_1)
	v_dual_cndmask_b32 v41, v40, v31, s0 :: v_dual_cndmask_b32 v40, v42, v30, s0
	s_wait_dscnt 0x0
	v_fmac_f64_e32 v[32:33], v[40:41], v[38:39]
	s_delay_alu instid0(VALU_DEP_4) | instskip(NEXT) | instid1(VALU_DEP_1)
	v_add_nc_u32_e32 v38, -1, v34
	v_cmp_lt_u32_e32 vcc_lo, 9, v38
	s_or_b32 s2, vcc_lo, s2
	s_delay_alu instid0(SALU_CYCLE_1)
	s_and_not1_b32 exec_lo, exec_lo, s2
	s_cbranch_execnz .LBB14_69
; %bb.70:
	s_or_b32 exec_lo, exec_lo, s2
	v_mov_b32_e32 v24, 0
	ds_load_b64 v[24:25], v24 offset:88
	s_wait_dscnt 0x0
	v_mul_f64_e32 v[24:25], v[32:33], v[24:25]
.LBB14_71:
	s_or_b32 exec_lo, exec_lo, s1
	s_delay_alu instid0(SALU_CYCLE_1)
	s_mov_b32 s1, exec_lo
	s_barrier_signal -1
	s_barrier_wait -1
	ds_store_b64 v36, v[26:27]
	s_wait_dscnt 0x0
	s_barrier_signal -1
	s_barrier_wait -1
	v_cmpx_gt_u32_e32 12, v0
	s_cbranch_execz .LBB14_75
; %bb.72:
	v_mov_b64_e32 v[32:33], 0
	v_mov_b64_e32 v[34:35], v[0:1]
	v_lshl_add_u32 v37, v0, 3, 0x80
	s_mov_b32 s2, 0
.LBB14_73:                              ; =>This Inner Loop Header: Depth=1
	s_delay_alu instid0(VALU_DEP_2) | instskip(SKIP_3) | instid1(VALU_DEP_2)
	v_cmp_eq_u32_e32 vcc_lo, 1, v34
	v_cmp_eq_u32_e64 s0, 2, v34
	v_dual_cndmask_b32 v38, v3, v5 :: v_dual_cndmask_b32 v39, v2, v4
	v_cmp_eq_u32_e32 vcc_lo, 3, v34
	v_dual_cndmask_b32 v38, v38, v7, s0 :: v_dual_cndmask_b32 v39, v39, v6, s0
	v_cmp_eq_u32_e64 s0, 4, v34
	s_delay_alu instid0(VALU_DEP_2) | instskip(SKIP_1) | instid1(VALU_DEP_2)
	v_dual_cndmask_b32 v38, v38, v9 :: v_dual_cndmask_b32 v39, v39, v8
	v_cmp_eq_u32_e32 vcc_lo, 5, v34
	v_dual_cndmask_b32 v38, v38, v11, s0 :: v_dual_cndmask_b32 v39, v39, v10, s0
	v_cmp_eq_u32_e64 s0, 6, v34
	s_delay_alu instid0(VALU_DEP_2) | instskip(SKIP_1) | instid1(VALU_DEP_2)
	v_dual_cndmask_b32 v38, v38, v13 :: v_dual_cndmask_b32 v39, v39, v12
	v_cmp_eq_u32_e32 vcc_lo, 7, v34
	v_dual_cndmask_b32 v38, v38, v15, s0 :: v_dual_cndmask_b32 v39, v39, v14, s0
	v_cmp_eq_u32_e64 s0, 8, v34
	s_delay_alu instid0(VALU_DEP_2) | instskip(SKIP_1) | instid1(VALU_DEP_2)
	v_dual_cndmask_b32 v38, v38, v17 :: v_dual_cndmask_b32 v39, v39, v16
	v_cmp_eq_u32_e32 vcc_lo, 9, v34
	v_dual_cndmask_b32 v38, v38, v19, s0 :: v_dual_cndmask_b32 v39, v39, v18, s0
	v_cmp_eq_u32_e64 s0, 10, v34
	s_delay_alu instid0(VALU_DEP_2) | instskip(SKIP_1) | instid1(VALU_DEP_2)
	v_dual_cndmask_b32 v38, v38, v21 :: v_dual_cndmask_b32 v39, v39, v20
	v_cmp_eq_u32_e32 vcc_lo, 11, v34
	v_dual_cndmask_b32 v40, v38, v23, s0 :: v_dual_cndmask_b32 v41, v39, v22, s0
	ds_load_b64 v[38:39], v37
	v_cmp_eq_u32_e64 s0, 12, v34
	v_add_nc_u32_e32 v37, 8, v37
	v_dual_cndmask_b32 v40, v40, v25 :: v_dual_cndmask_b32 v41, v41, v24
	v_cmp_eq_u32_e32 vcc_lo, 13, v34
	s_delay_alu instid0(VALU_DEP_2) | instskip(SKIP_2) | instid1(VALU_DEP_3)
	v_dual_cndmask_b32 v40, v40, v27, s0 :: v_dual_cndmask_b32 v41, v41, v26, s0
	v_cmp_eq_u32_e64 s0, 14, v34
	v_add_nc_u64_e32 v[34:35], 1, v[34:35]
	v_dual_cndmask_b32 v40, v40, v29, vcc_lo :: v_dual_cndmask_b32 v42, v41, v28, vcc_lo
	s_delay_alu instid0(VALU_DEP_1) | instskip(SKIP_1) | instid1(VALU_DEP_1)
	v_dual_cndmask_b32 v41, v40, v31, s0 :: v_dual_cndmask_b32 v40, v42, v30, s0
	s_wait_dscnt 0x0
	v_fmac_f64_e32 v[32:33], v[40:41], v[38:39]
	s_delay_alu instid0(VALU_DEP_4) | instskip(NEXT) | instid1(VALU_DEP_1)
	v_add_nc_u32_e32 v38, -1, v34
	v_cmp_lt_u32_e32 vcc_lo, 10, v38
	s_or_b32 s2, vcc_lo, s2
	s_delay_alu instid0(SALU_CYCLE_1)
	s_and_not1_b32 exec_lo, exec_lo, s2
	s_cbranch_execnz .LBB14_73
; %bb.74:
	s_or_b32 exec_lo, exec_lo, s2
	v_mov_b32_e32 v26, 0
	ds_load_b64 v[26:27], v26 offset:96
	s_wait_dscnt 0x0
	v_mul_f64_e32 v[26:27], v[32:33], v[26:27]
.LBB14_75:
	s_or_b32 exec_lo, exec_lo, s1
	s_delay_alu instid0(SALU_CYCLE_1)
	s_mov_b32 s1, exec_lo
	s_barrier_signal -1
	s_barrier_wait -1
	ds_store_b64 v36, v[28:29]
	s_wait_dscnt 0x0
	s_barrier_signal -1
	s_barrier_wait -1
	v_cmpx_gt_u32_e32 13, v0
	s_cbranch_execz .LBB14_79
; %bb.76:
	v_mov_b64_e32 v[32:33], 0
	v_mov_b64_e32 v[34:35], v[0:1]
	v_lshl_add_u32 v37, v0, 3, 0x80
	s_mov_b32 s2, 0
.LBB14_77:                              ; =>This Inner Loop Header: Depth=1
	s_delay_alu instid0(VALU_DEP_2) | instskip(SKIP_3) | instid1(VALU_DEP_2)
	v_cmp_eq_u32_e32 vcc_lo, 1, v34
	v_cmp_eq_u32_e64 s0, 2, v34
	v_dual_cndmask_b32 v38, v3, v5 :: v_dual_cndmask_b32 v39, v2, v4
	v_cmp_eq_u32_e32 vcc_lo, 3, v34
	v_dual_cndmask_b32 v38, v38, v7, s0 :: v_dual_cndmask_b32 v39, v39, v6, s0
	v_cmp_eq_u32_e64 s0, 4, v34
	s_delay_alu instid0(VALU_DEP_2) | instskip(SKIP_1) | instid1(VALU_DEP_2)
	v_dual_cndmask_b32 v38, v38, v9 :: v_dual_cndmask_b32 v39, v39, v8
	v_cmp_eq_u32_e32 vcc_lo, 5, v34
	v_dual_cndmask_b32 v38, v38, v11, s0 :: v_dual_cndmask_b32 v39, v39, v10, s0
	v_cmp_eq_u32_e64 s0, 6, v34
	s_delay_alu instid0(VALU_DEP_2) | instskip(SKIP_1) | instid1(VALU_DEP_2)
	;; [unrolled: 5-line block ×4, first 2 shown]
	v_dual_cndmask_b32 v38, v38, v21 :: v_dual_cndmask_b32 v39, v39, v20
	v_cmp_eq_u32_e32 vcc_lo, 11, v34
	v_dual_cndmask_b32 v40, v38, v23, s0 :: v_dual_cndmask_b32 v41, v39, v22, s0
	ds_load_b64 v[38:39], v37
	v_cmp_eq_u32_e64 s0, 12, v34
	v_add_nc_u32_e32 v37, 8, v37
	v_dual_cndmask_b32 v40, v40, v25 :: v_dual_cndmask_b32 v41, v41, v24
	v_cmp_eq_u32_e32 vcc_lo, 13, v34
	s_delay_alu instid0(VALU_DEP_2) | instskip(SKIP_2) | instid1(VALU_DEP_3)
	v_dual_cndmask_b32 v40, v40, v27, s0 :: v_dual_cndmask_b32 v41, v41, v26, s0
	v_cmp_eq_u32_e64 s0, 14, v34
	v_add_nc_u64_e32 v[34:35], 1, v[34:35]
	v_dual_cndmask_b32 v40, v40, v29, vcc_lo :: v_dual_cndmask_b32 v42, v41, v28, vcc_lo
	s_delay_alu instid0(VALU_DEP_1) | instskip(SKIP_1) | instid1(VALU_DEP_1)
	v_dual_cndmask_b32 v41, v40, v31, s0 :: v_dual_cndmask_b32 v40, v42, v30, s0
	s_wait_dscnt 0x0
	v_fmac_f64_e32 v[32:33], v[40:41], v[38:39]
	s_delay_alu instid0(VALU_DEP_4) | instskip(NEXT) | instid1(VALU_DEP_1)
	v_add_nc_u32_e32 v38, -1, v34
	v_cmp_lt_u32_e32 vcc_lo, 11, v38
	s_or_b32 s2, vcc_lo, s2
	s_delay_alu instid0(SALU_CYCLE_1)
	s_and_not1_b32 exec_lo, exec_lo, s2
	s_cbranch_execnz .LBB14_77
; %bb.78:
	s_or_b32 exec_lo, exec_lo, s2
	v_mov_b32_e32 v28, 0
	ds_load_b64 v[28:29], v28 offset:104
	s_wait_dscnt 0x0
	v_mul_f64_e32 v[28:29], v[32:33], v[28:29]
.LBB14_79:
	s_or_b32 exec_lo, exec_lo, s1
	s_delay_alu instid0(SALU_CYCLE_1)
	s_mov_b32 s1, exec_lo
	s_barrier_signal -1
	s_barrier_wait -1
	ds_store_b64 v36, v[30:31]
	s_wait_dscnt 0x0
	s_barrier_signal -1
	s_barrier_wait -1
	v_cmpx_ne_u32_e32 14, v0
	s_cbranch_execz .LBB14_83
; %bb.80:
	v_mov_b64_e32 v[32:33], 0
	v_mov_b64_e32 v[34:35], v[0:1]
	v_lshl_add_u32 v36, v0, 3, 0x80
	s_mov_b32 s2, 0
.LBB14_81:                              ; =>This Inner Loop Header: Depth=1
	s_delay_alu instid0(VALU_DEP_2)
	v_cmp_eq_u32_e32 vcc_lo, 1, v34
	v_cmp_eq_u32_e64 s0, 2, v34
	ds_load_b64 v[38:39], v36
	v_dual_cndmask_b32 v1, v3, v5 :: v_dual_add_nc_u32 v36, 8, v36
	v_cndmask_b32_e32 v37, v2, v4, vcc_lo
	v_cmp_eq_u32_e32 vcc_lo, 3, v34
	s_delay_alu instid0(VALU_DEP_3) | instskip(NEXT) | instid1(VALU_DEP_3)
	v_cndmask_b32_e64 v1, v1, v7, s0
	v_cndmask_b32_e64 v37, v37, v6, s0
	v_cmp_eq_u32_e64 s0, 4, v34
	s_delay_alu instid0(VALU_DEP_3) | instskip(NEXT) | instid1(VALU_DEP_3)
	v_cndmask_b32_e32 v1, v1, v9, vcc_lo
	v_cndmask_b32_e32 v37, v37, v8, vcc_lo
	v_cmp_eq_u32_e32 vcc_lo, 5, v34
	s_delay_alu instid0(VALU_DEP_3) | instskip(NEXT) | instid1(VALU_DEP_3)
	v_cndmask_b32_e64 v1, v1, v11, s0
	v_cndmask_b32_e64 v37, v37, v10, s0
	v_cmp_eq_u32_e64 s0, 6, v34
	s_delay_alu instid0(VALU_DEP_3) | instskip(NEXT) | instid1(VALU_DEP_3)
	v_cndmask_b32_e32 v1, v1, v13, vcc_lo
	;; [unrolled: 8-line block ×5, first 2 shown]
	v_cndmask_b32_e32 v37, v37, v24, vcc_lo
	v_cmp_eq_u32_e32 vcc_lo, 13, v34
	s_delay_alu instid0(VALU_DEP_3) | instskip(NEXT) | instid1(VALU_DEP_3)
	v_cndmask_b32_e64 v1, v1, v27, s0
	v_cndmask_b32_e64 v37, v37, v26, s0
	v_cmp_eq_u32_e64 s0, 14, v34
	v_add_nc_u64_e32 v[34:35], 1, v[34:35]
	s_delay_alu instid0(VALU_DEP_4) | instskip(NEXT) | instid1(VALU_DEP_4)
	v_cndmask_b32_e32 v1, v1, v29, vcc_lo
	v_cndmask_b32_e32 v37, v37, v28, vcc_lo
	s_delay_alu instid0(VALU_DEP_2) | instskip(NEXT) | instid1(VALU_DEP_2)
	v_cndmask_b32_e64 v41, v1, v31, s0
	v_cndmask_b32_e64 v40, v37, v30, s0
	v_add_nc_u32_e32 v1, -1, v34
	s_wait_dscnt 0x0
	s_delay_alu instid0(VALU_DEP_2) | instskip(NEXT) | instid1(VALU_DEP_2)
	v_fmac_f64_e32 v[32:33], v[40:41], v[38:39]
	v_cmp_lt_u32_e32 vcc_lo, 12, v1
	s_or_b32 s2, vcc_lo, s2
	s_delay_alu instid0(SALU_CYCLE_1)
	s_and_not1_b32 exec_lo, exec_lo, s2
	s_cbranch_execnz .LBB14_81
; %bb.82:
	s_or_b32 exec_lo, exec_lo, s2
	v_mov_b32_e32 v1, 0
	ds_load_b64 v[30:31], v1 offset:112
	s_wait_dscnt 0x0
	v_mul_f64_e32 v[30:31], v[32:33], v[30:31]
.LBB14_83:
	s_or_b32 exec_lo, exec_lo, s1
	s_barrier_signal -1
	s_barrier_wait -1
	s_cbranch_execnz .LBB14_15
	s_branch .LBB14_16
.LBB14_84:
	s_wait_xcnt 0x0
	v_lshl_add_u32 v1, v0, 3, 0x80
	s_mov_b32 s0, exec_lo
	v_cmpx_eq_u32_e32 14, v0
	s_cbranch_execz .LBB14_86
; %bb.85:
	v_dual_mov_b32 v58, 0 :: v_dual_mov_b32 v56, v26
	v_dual_mov_b32 v32, v2 :: v_dual_mov_b32 v33, v3
	;; [unrolled: 1-line block ×15, first 2 shown]
	ds_store_b64 v1, v[28:29]
	v_mov_b64_e32 v[2:3], v[32:33]
	v_mov_b64_e32 v[4:5], v[34:35]
	;; [unrolled: 1-line block ×16, first 2 shown]
.LBB14_86:
	s_or_b32 exec_lo, exec_lo, s0
	v_mov_b32_e32 v56, 0
	s_wait_storecnt_dscnt 0x0
	s_barrier_signal -1
	s_barrier_wait -1
	ds_load_b64 v[32:33], v56 offset:240
	s_mov_b32 s0, exec_lo
	s_wait_dscnt 0x0
	v_fma_f64 v[32:33], v[30:31], v[32:33], 0
	s_delay_alu instid0(VALU_DEP_1)
	v_add_f64_e64 v[28:29], v[28:29], -v[32:33]
	v_cmpx_lt_u32_e32 12, v0
	s_cbranch_execz .LBB14_88
; %bb.87:
	v_dual_mov_b32 v32, v2 :: v_dual_mov_b32 v33, v3
	v_dual_mov_b32 v34, v4 :: v_dual_mov_b32 v35, v5
	;; [unrolled: 1-line block ×14, first 2 shown]
	v_mov_b32_e32 v61, v31
	ds_store_b64 v1, v[26:27]
	v_mov_b64_e32 v[2:3], v[32:33]
	v_mov_b64_e32 v[4:5], v[34:35]
	v_mov_b64_e32 v[6:7], v[36:37]
	v_mov_b64_e32 v[8:9], v[38:39]
	v_mov_b64_e32 v[10:11], v[40:41]
	v_mov_b64_e32 v[12:13], v[42:43]
	v_mov_b64_e32 v[14:15], v[44:45]
	v_mov_b64_e32 v[16:17], v[46:47]
	v_mov_b64_e32 v[18:19], v[48:49]
	v_mov_b64_e32 v[20:21], v[50:51]
	v_mov_b64_e32 v[22:23], v[52:53]
	v_mov_b64_e32 v[24:25], v[54:55]
	v_mov_b64_e32 v[26:27], v[56:57]
	v_mov_b64_e32 v[28:29], v[58:59]
	v_mov_b64_e32 v[30:31], v[60:61]
	v_mov_b64_e32 v[32:33], v[62:63]
.LBB14_88:
	s_or_b32 exec_lo, exec_lo, s0
	s_wait_dscnt 0x0
	s_barrier_signal -1
	s_barrier_wait -1
	ds_load_2addr_b64 v[32:35], v56 offset0:29 offset1:30
	s_mov_b32 s0, exec_lo
	s_wait_dscnt 0x0
	v_fma_f64 v[32:33], v[28:29], v[32:33], 0
	s_delay_alu instid0(VALU_DEP_1) | instskip(NEXT) | instid1(VALU_DEP_1)
	v_fmac_f64_e32 v[32:33], v[30:31], v[34:35]
	v_add_f64_e64 v[26:27], v[26:27], -v[32:33]
	v_cmpx_lt_u32_e32 11, v0
	s_cbranch_execz .LBB14_90
; %bb.89:
	v_dual_mov_b32 v54, 0 :: v_dual_mov_b32 v32, v2
	v_dual_mov_b32 v33, v3 :: v_dual_mov_b32 v34, v4
	v_dual_mov_b32 v35, v5 :: v_dual_mov_b32 v36, v6
	v_dual_mov_b32 v37, v7 :: v_dual_mov_b32 v38, v8
	v_dual_mov_b32 v39, v9 :: v_dual_mov_b32 v40, v10
	v_dual_mov_b32 v41, v11 :: v_dual_mov_b32 v42, v12
	v_dual_mov_b32 v43, v13 :: v_dual_mov_b32 v44, v14
	v_dual_mov_b32 v45, v15 :: v_dual_mov_b32 v46, v16
	v_dual_mov_b32 v47, v17 :: v_dual_mov_b32 v48, v18
	v_dual_mov_b32 v49, v19 :: v_dual_mov_b32 v50, v20
	v_dual_mov_b32 v51, v21 :: v_dual_mov_b32 v52, v22
	v_dual_mov_b32 v53, v23 :: v_dual_mov_b32 v55, v54
	v_dual_mov_b32 v56, v26 :: v_dual_mov_b32 v57, v27
	v_dual_mov_b32 v58, v28 :: v_dual_mov_b32 v59, v29
	v_dual_mov_b32 v60, v30 :: v_dual_mov_b32 v61, v31
	ds_store_b64 v1, v[24:25]
	v_mov_b64_e32 v[2:3], v[32:33]
	v_mov_b64_e32 v[4:5], v[34:35]
	;; [unrolled: 1-line block ×16, first 2 shown]
.LBB14_90:
	s_or_b32 exec_lo, exec_lo, s0
	v_mov_b32_e32 v52, 0
	s_wait_dscnt 0x0
	s_barrier_signal -1
	s_barrier_wait -1
	ds_load_b128 v[32:35], v52 offset:224
	ds_load_b64 v[36:37], v52 offset:240
	s_mov_b32 s0, exec_lo
	s_wait_dscnt 0x1
	v_fma_f64 v[32:33], v[26:27], v[32:33], 0
	s_delay_alu instid0(VALU_DEP_1) | instskip(SKIP_1) | instid1(VALU_DEP_1)
	v_fmac_f64_e32 v[32:33], v[28:29], v[34:35]
	s_wait_dscnt 0x0
	v_fmac_f64_e32 v[32:33], v[30:31], v[36:37]
	s_delay_alu instid0(VALU_DEP_1)
	v_add_f64_e64 v[24:25], v[24:25], -v[32:33]
	v_cmpx_lt_u32_e32 10, v0
	s_cbranch_execz .LBB14_92
; %bb.91:
	v_dual_mov_b32 v32, v2 :: v_dual_mov_b32 v33, v3
	v_dual_mov_b32 v34, v4 :: v_dual_mov_b32 v35, v5
	;; [unrolled: 1-line block ×14, first 2 shown]
	v_mov_b32_e32 v61, v31
	ds_store_b64 v1, v[22:23]
	v_mov_b64_e32 v[2:3], v[32:33]
	v_mov_b64_e32 v[4:5], v[34:35]
	;; [unrolled: 1-line block ×16, first 2 shown]
.LBB14_92:
	s_or_b32 exec_lo, exec_lo, s0
	s_wait_dscnt 0x0
	s_barrier_signal -1
	s_barrier_wait -1
	ds_load_2addr_b64 v[32:35], v52 offset0:27 offset1:28
	ds_load_2addr_b64 v[36:39], v52 offset0:29 offset1:30
	s_mov_b32 s0, exec_lo
	s_wait_dscnt 0x1
	v_fma_f64 v[32:33], v[24:25], v[32:33], 0
	s_delay_alu instid0(VALU_DEP_1) | instskip(SKIP_1) | instid1(VALU_DEP_1)
	v_fmac_f64_e32 v[32:33], v[26:27], v[34:35]
	s_wait_dscnt 0x0
	v_fmac_f64_e32 v[32:33], v[28:29], v[36:37]
	s_delay_alu instid0(VALU_DEP_1) | instskip(NEXT) | instid1(VALU_DEP_1)
	v_fmac_f64_e32 v[32:33], v[30:31], v[38:39]
	v_add_f64_e64 v[22:23], v[22:23], -v[32:33]
	v_cmpx_lt_u32_e32 9, v0
	s_cbranch_execz .LBB14_94
; %bb.93:
	v_dual_mov_b32 v50, 0 :: v_dual_mov_b32 v32, v2
	v_dual_mov_b32 v33, v3 :: v_dual_mov_b32 v34, v4
	;; [unrolled: 1-line block ×15, first 2 shown]
	ds_store_b64 v1, v[20:21]
	v_mov_b64_e32 v[2:3], v[32:33]
	v_mov_b64_e32 v[4:5], v[34:35]
	;; [unrolled: 1-line block ×16, first 2 shown]
.LBB14_94:
	s_or_b32 exec_lo, exec_lo, s0
	v_mov_b32_e32 v48, 0
	s_wait_dscnt 0x0
	s_barrier_signal -1
	s_barrier_wait -1
	ds_load_b128 v[32:35], v48 offset:208
	ds_load_b128 v[36:39], v48 offset:224
	s_mov_b32 s0, exec_lo
	s_wait_dscnt 0x1
	v_fma_f64 v[32:33], v[22:23], v[32:33], 0
	s_delay_alu instid0(VALU_DEP_1) | instskip(SKIP_3) | instid1(VALU_DEP_1)
	v_fmac_f64_e32 v[32:33], v[24:25], v[34:35]
	ds_load_b64 v[34:35], v48 offset:240
	s_wait_dscnt 0x1
	v_fmac_f64_e32 v[32:33], v[26:27], v[36:37]
	v_fmac_f64_e32 v[32:33], v[28:29], v[38:39]
	s_wait_dscnt 0x0
	s_delay_alu instid0(VALU_DEP_1) | instskip(NEXT) | instid1(VALU_DEP_1)
	v_fmac_f64_e32 v[32:33], v[30:31], v[34:35]
	v_add_f64_e64 v[20:21], v[20:21], -v[32:33]
	v_cmpx_lt_u32_e32 8, v0
	s_cbranch_execz .LBB14_96
; %bb.95:
	v_dual_mov_b32 v32, v2 :: v_dual_mov_b32 v33, v3
	v_dual_mov_b32 v34, v4 :: v_dual_mov_b32 v35, v5
	;; [unrolled: 1-line block ×14, first 2 shown]
	v_mov_b32_e32 v61, v31
	ds_store_b64 v1, v[18:19]
	v_mov_b64_e32 v[2:3], v[32:33]
	v_mov_b64_e32 v[4:5], v[34:35]
	;; [unrolled: 1-line block ×16, first 2 shown]
.LBB14_96:
	s_or_b32 exec_lo, exec_lo, s0
	s_wait_dscnt 0x0
	s_barrier_signal -1
	s_barrier_wait -1
	ds_load_2addr_b64 v[32:35], v48 offset0:25 offset1:26
	ds_load_2addr_b64 v[36:39], v48 offset0:27 offset1:28
	s_mov_b32 s0, exec_lo
	s_wait_dscnt 0x1
	v_fma_f64 v[40:41], v[20:21], v[32:33], 0
	s_delay_alu instid0(VALU_DEP_1) | instskip(SKIP_3) | instid1(VALU_DEP_1)
	v_fmac_f64_e32 v[40:41], v[22:23], v[34:35]
	ds_load_2addr_b64 v[32:35], v48 offset0:29 offset1:30
	s_wait_dscnt 0x1
	v_fmac_f64_e32 v[40:41], v[24:25], v[36:37]
	v_fmac_f64_e32 v[40:41], v[26:27], v[38:39]
	s_wait_dscnt 0x0
	s_delay_alu instid0(VALU_DEP_1) | instskip(NEXT) | instid1(VALU_DEP_1)
	v_fmac_f64_e32 v[40:41], v[28:29], v[32:33]
	v_fmac_f64_e32 v[40:41], v[30:31], v[34:35]
	s_delay_alu instid0(VALU_DEP_1)
	v_add_f64_e64 v[18:19], v[18:19], -v[40:41]
	v_cmpx_lt_u32_e32 7, v0
	s_cbranch_execz .LBB14_98
; %bb.97:
	v_dual_mov_b32 v46, 0 :: v_dual_mov_b32 v32, v2
	v_dual_mov_b32 v33, v3 :: v_dual_mov_b32 v34, v4
	;; [unrolled: 1-line block ×15, first 2 shown]
	ds_store_b64 v1, v[16:17]
	v_mov_b64_e32 v[2:3], v[32:33]
	v_mov_b64_e32 v[4:5], v[34:35]
	;; [unrolled: 1-line block ×16, first 2 shown]
.LBB14_98:
	s_or_b32 exec_lo, exec_lo, s0
	v_mov_b32_e32 v44, 0
	s_wait_dscnt 0x0
	s_barrier_signal -1
	s_barrier_wait -1
	ds_load_b128 v[32:35], v44 offset:192
	ds_load_b128 v[36:39], v44 offset:208
	s_mov_b32 s0, exec_lo
	s_wait_dscnt 0x1
	v_fma_f64 v[40:41], v[18:19], v[32:33], 0
	s_delay_alu instid0(VALU_DEP_1) | instskip(SKIP_1) | instid1(VALU_DEP_1)
	v_fmac_f64_e32 v[40:41], v[20:21], v[34:35]
	s_wait_dscnt 0x0
	v_fmac_f64_e32 v[40:41], v[22:23], v[36:37]
	ds_load_b128 v[32:35], v44 offset:224
	ds_load_b64 v[36:37], v44 offset:240
	v_fmac_f64_e32 v[40:41], v[24:25], v[38:39]
	s_wait_dscnt 0x1
	s_delay_alu instid0(VALU_DEP_1) | instskip(NEXT) | instid1(VALU_DEP_1)
	v_fmac_f64_e32 v[40:41], v[26:27], v[32:33]
	v_fmac_f64_e32 v[40:41], v[28:29], v[34:35]
	s_wait_dscnt 0x0
	s_delay_alu instid0(VALU_DEP_1) | instskip(NEXT) | instid1(VALU_DEP_1)
	v_fmac_f64_e32 v[40:41], v[30:31], v[36:37]
	v_add_f64_e64 v[16:17], v[16:17], -v[40:41]
	v_cmpx_lt_u32_e32 6, v0
	s_cbranch_execz .LBB14_100
; %bb.99:
	v_dual_mov_b32 v32, v2 :: v_dual_mov_b32 v33, v3
	v_dual_mov_b32 v34, v4 :: v_dual_mov_b32 v35, v5
	;; [unrolled: 1-line block ×14, first 2 shown]
	v_mov_b32_e32 v61, v31
	ds_store_b64 v1, v[14:15]
	v_mov_b64_e32 v[2:3], v[32:33]
	v_mov_b64_e32 v[4:5], v[34:35]
	;; [unrolled: 1-line block ×16, first 2 shown]
.LBB14_100:
	s_or_b32 exec_lo, exec_lo, s0
	s_wait_dscnt 0x0
	s_barrier_signal -1
	s_barrier_wait -1
	ds_load_2addr_b64 v[32:35], v44 offset0:23 offset1:24
	ds_load_2addr_b64 v[36:39], v44 offset0:25 offset1:26
	s_mov_b32 s0, exec_lo
	s_wait_dscnt 0x1
	v_fma_f64 v[40:41], v[16:17], v[32:33], 0
	s_delay_alu instid0(VALU_DEP_1) | instskip(SKIP_1) | instid1(VALU_DEP_1)
	v_fmac_f64_e32 v[40:41], v[18:19], v[34:35]
	s_wait_dscnt 0x0
	v_fmac_f64_e32 v[40:41], v[20:21], v[36:37]
	s_delay_alu instid0(VALU_DEP_1) | instskip(SKIP_4) | instid1(VALU_DEP_1)
	v_fmac_f64_e32 v[40:41], v[22:23], v[38:39]
	ds_load_2addr_b64 v[32:35], v44 offset0:27 offset1:28
	ds_load_2addr_b64 v[36:39], v44 offset0:29 offset1:30
	s_wait_dscnt 0x1
	v_fmac_f64_e32 v[40:41], v[24:25], v[32:33]
	v_fmac_f64_e32 v[40:41], v[26:27], v[34:35]
	s_wait_dscnt 0x0
	s_delay_alu instid0(VALU_DEP_1) | instskip(NEXT) | instid1(VALU_DEP_1)
	v_fmac_f64_e32 v[40:41], v[28:29], v[36:37]
	v_fmac_f64_e32 v[40:41], v[30:31], v[38:39]
	s_delay_alu instid0(VALU_DEP_1)
	v_add_f64_e64 v[14:15], v[14:15], -v[40:41]
	v_cmpx_lt_u32_e32 5, v0
	s_cbranch_execz .LBB14_102
; %bb.101:
	v_dual_mov_b32 v42, 0 :: v_dual_mov_b32 v32, v2
	v_dual_mov_b32 v33, v3 :: v_dual_mov_b32 v34, v4
	;; [unrolled: 1-line block ×16, first 2 shown]
	v_mov_b64_e32 v[2:3], v[32:33]
	v_mov_b64_e32 v[4:5], v[34:35]
	;; [unrolled: 1-line block ×16, first 2 shown]
	ds_store_b64 v1, v[62:63]
.LBB14_102:
	s_or_b32 exec_lo, exec_lo, s0
	v_mov_b32_e32 v40, 0
	s_wait_dscnt 0x0
	s_barrier_signal -1
	s_barrier_wait -1
	ds_load_b128 v[32:35], v40 offset:176
	ds_load_b128 v[36:39], v40 offset:192
	s_mov_b32 s0, exec_lo
	s_wait_dscnt 0x1
	v_fma_f64 v[42:43], v[14:15], v[32:33], 0
	s_delay_alu instid0(VALU_DEP_1) | instskip(SKIP_1) | instid1(VALU_DEP_1)
	v_fmac_f64_e32 v[42:43], v[16:17], v[34:35]
	s_wait_dscnt 0x0
	v_fmac_f64_e32 v[42:43], v[18:19], v[36:37]
	s_delay_alu instid0(VALU_DEP_1)
	v_fmac_f64_e32 v[42:43], v[20:21], v[38:39]
	ds_load_b128 v[32:35], v40 offset:208
	ds_load_b128 v[36:39], v40 offset:224
	s_wait_dscnt 0x1
	v_fmac_f64_e32 v[42:43], v[22:23], v[32:33]
	ds_load_b64 v[32:33], v40 offset:240
	v_fmac_f64_e32 v[42:43], v[24:25], v[34:35]
	s_wait_dscnt 0x1
	s_delay_alu instid0(VALU_DEP_1) | instskip(NEXT) | instid1(VALU_DEP_1)
	v_fmac_f64_e32 v[42:43], v[26:27], v[36:37]
	v_fmac_f64_e32 v[42:43], v[28:29], v[38:39]
	s_wait_dscnt 0x0
	s_delay_alu instid0(VALU_DEP_1) | instskip(NEXT) | instid1(VALU_DEP_1)
	v_fmac_f64_e32 v[42:43], v[30:31], v[32:33]
	v_add_f64_e64 v[12:13], v[12:13], -v[42:43]
	v_cmpx_lt_u32_e32 4, v0
	s_cbranch_execz .LBB14_104
; %bb.103:
	v_dual_mov_b32 v32, v2 :: v_dual_mov_b32 v33, v3
	v_dual_mov_b32 v34, v4 :: v_dual_mov_b32 v35, v5
	;; [unrolled: 1-line block ×15, first 2 shown]
	v_mov_b32_e32 v63, v11
	v_mov_b64_e32 v[2:3], v[32:33]
	v_mov_b64_e32 v[4:5], v[34:35]
	;; [unrolled: 1-line block ×16, first 2 shown]
	ds_store_b64 v1, v[62:63]
.LBB14_104:
	s_or_b32 exec_lo, exec_lo, s0
	s_wait_dscnt 0x0
	s_barrier_signal -1
	s_barrier_wait -1
	ds_load_2addr_b64 v[32:35], v40 offset0:21 offset1:22
	ds_load_2addr_b64 v[36:39], v40 offset0:23 offset1:24
	s_mov_b32 s0, exec_lo
	s_wait_dscnt 0x1
	v_fma_f64 v[42:43], v[12:13], v[32:33], 0
	s_delay_alu instid0(VALU_DEP_1) | instskip(SKIP_1) | instid1(VALU_DEP_1)
	v_fmac_f64_e32 v[42:43], v[14:15], v[34:35]
	s_wait_dscnt 0x0
	v_fmac_f64_e32 v[42:43], v[16:17], v[36:37]
	s_delay_alu instid0(VALU_DEP_1) | instskip(SKIP_4) | instid1(VALU_DEP_1)
	v_fmac_f64_e32 v[42:43], v[18:19], v[38:39]
	ds_load_2addr_b64 v[32:35], v40 offset0:25 offset1:26
	ds_load_2addr_b64 v[36:39], v40 offset0:27 offset1:28
	s_wait_dscnt 0x1
	v_fmac_f64_e32 v[42:43], v[20:21], v[32:33]
	v_fmac_f64_e32 v[42:43], v[22:23], v[34:35]
	ds_load_2addr_b64 v[32:35], v40 offset0:29 offset1:30
	s_wait_dscnt 0x1
	v_fmac_f64_e32 v[42:43], v[24:25], v[36:37]
	s_delay_alu instid0(VALU_DEP_1) | instskip(SKIP_1) | instid1(VALU_DEP_1)
	v_fmac_f64_e32 v[42:43], v[26:27], v[38:39]
	s_wait_dscnt 0x0
	v_fmac_f64_e32 v[42:43], v[28:29], v[32:33]
	s_delay_alu instid0(VALU_DEP_1) | instskip(NEXT) | instid1(VALU_DEP_1)
	v_fmac_f64_e32 v[42:43], v[30:31], v[34:35]
	v_add_f64_e64 v[10:11], v[10:11], -v[42:43]
	v_cmpx_lt_u32_e32 3, v0
	s_cbranch_execz .LBB14_106
; %bb.105:
	v_dual_mov_b32 v38, 0 :: v_dual_mov_b32 v32, v2
	v_dual_mov_b32 v33, v3 :: v_dual_mov_b32 v34, v4
	;; [unrolled: 1-line block ×3, first 2 shown]
	s_delay_alu instid0(VALU_DEP_3)
	v_dual_mov_b32 v37, v7 :: v_dual_mov_b32 v39, v38
	v_dual_mov_b32 v40, v10 :: v_dual_mov_b32 v41, v11
	;; [unrolled: 1-line block ×13, first 2 shown]
	v_mov_b64_e32 v[2:3], v[32:33]
	v_mov_b64_e32 v[4:5], v[34:35]
	;; [unrolled: 1-line block ×16, first 2 shown]
	ds_store_b64 v1, v[62:63]
.LBB14_106:
	s_or_b32 exec_lo, exec_lo, s0
	v_mov_b32_e32 v36, 0
	s_wait_dscnt 0x0
	s_barrier_signal -1
	s_barrier_wait -1
	ds_load_b128 v[32:35], v36 offset:160
	ds_load_b128 v[38:41], v36 offset:176
	s_mov_b32 s0, exec_lo
	s_wait_dscnt 0x1
	v_fma_f64 v[42:43], v[10:11], v[32:33], 0
	s_delay_alu instid0(VALU_DEP_1) | instskip(SKIP_1) | instid1(VALU_DEP_1)
	v_fmac_f64_e32 v[42:43], v[12:13], v[34:35]
	s_wait_dscnt 0x0
	v_fmac_f64_e32 v[42:43], v[14:15], v[38:39]
	s_delay_alu instid0(VALU_DEP_1) | instskip(SKIP_4) | instid1(VALU_DEP_1)
	v_fmac_f64_e32 v[42:43], v[16:17], v[40:41]
	ds_load_b128 v[32:35], v36 offset:192
	ds_load_b128 v[38:41], v36 offset:208
	s_wait_dscnt 0x1
	v_fmac_f64_e32 v[42:43], v[18:19], v[32:33]
	v_fmac_f64_e32 v[42:43], v[20:21], v[34:35]
	s_wait_dscnt 0x0
	s_delay_alu instid0(VALU_DEP_1) | instskip(SKIP_4) | instid1(VALU_DEP_1)
	v_fmac_f64_e32 v[42:43], v[22:23], v[38:39]
	ds_load_b128 v[32:35], v36 offset:224
	ds_load_b64 v[38:39], v36 offset:240
	v_fmac_f64_e32 v[42:43], v[24:25], v[40:41]
	s_wait_dscnt 0x1
	v_fmac_f64_e32 v[42:43], v[26:27], v[32:33]
	s_delay_alu instid0(VALU_DEP_1) | instskip(SKIP_1) | instid1(VALU_DEP_1)
	v_fmac_f64_e32 v[42:43], v[28:29], v[34:35]
	s_wait_dscnt 0x0
	v_fmac_f64_e32 v[42:43], v[30:31], v[38:39]
	s_delay_alu instid0(VALU_DEP_1)
	v_add_f64_e64 v[8:9], v[8:9], -v[42:43]
	v_cmpx_lt_u32_e32 2, v0
	s_cbranch_execz .LBB14_108
; %bb.107:
	v_dual_mov_b32 v32, v2 :: v_dual_mov_b32 v33, v3
	v_dual_mov_b32 v34, v4 :: v_dual_mov_b32 v35, v5
	s_delay_alu instid0(VALU_DEP_4)
	v_dual_mov_b32 v37, v36 :: v_dual_mov_b32 v38, v8
	v_dual_mov_b32 v39, v9 :: v_dual_mov_b32 v40, v10
	;; [unrolled: 1-line block ×13, first 2 shown]
	v_mov_b32_e32 v63, v7
	v_mov_b64_e32 v[2:3], v[32:33]
	v_mov_b64_e32 v[4:5], v[34:35]
	;; [unrolled: 1-line block ×16, first 2 shown]
	ds_store_b64 v1, v[62:63]
.LBB14_108:
	s_or_b32 exec_lo, exec_lo, s0
	s_wait_dscnt 0x0
	s_barrier_signal -1
	s_barrier_wait -1
	ds_load_2addr_b64 v[32:35], v36 offset0:19 offset1:20
	ds_load_2addr_b64 v[38:41], v36 offset0:21 offset1:22
	s_mov_b32 s0, exec_lo
	s_wait_dscnt 0x1
	v_fma_f64 v[42:43], v[8:9], v[32:33], 0
	s_delay_alu instid0(VALU_DEP_1) | instskip(SKIP_1) | instid1(VALU_DEP_1)
	v_fmac_f64_e32 v[42:43], v[10:11], v[34:35]
	s_wait_dscnt 0x0
	v_fmac_f64_e32 v[42:43], v[12:13], v[38:39]
	s_delay_alu instid0(VALU_DEP_1) | instskip(SKIP_4) | instid1(VALU_DEP_1)
	v_fmac_f64_e32 v[42:43], v[14:15], v[40:41]
	ds_load_2addr_b64 v[32:35], v36 offset0:23 offset1:24
	ds_load_2addr_b64 v[38:41], v36 offset0:25 offset1:26
	s_wait_dscnt 0x1
	v_fmac_f64_e32 v[42:43], v[16:17], v[32:33]
	v_fmac_f64_e32 v[42:43], v[18:19], v[34:35]
	s_wait_dscnt 0x0
	s_delay_alu instid0(VALU_DEP_1) | instskip(SKIP_4) | instid1(VALU_DEP_1)
	v_fmac_f64_e32 v[42:43], v[20:21], v[38:39]
	ds_load_2addr_b64 v[32:35], v36 offset0:27 offset1:28
	ds_load_2addr_b64 v[36:39], v36 offset0:29 offset1:30
	v_fmac_f64_e32 v[42:43], v[22:23], v[40:41]
	s_wait_dscnt 0x1
	v_fmac_f64_e32 v[42:43], v[24:25], v[32:33]
	s_delay_alu instid0(VALU_DEP_1) | instskip(SKIP_1) | instid1(VALU_DEP_1)
	v_fmac_f64_e32 v[42:43], v[26:27], v[34:35]
	s_wait_dscnt 0x0
	v_fmac_f64_e32 v[42:43], v[28:29], v[36:37]
	s_delay_alu instid0(VALU_DEP_1) | instskip(NEXT) | instid1(VALU_DEP_1)
	v_fmac_f64_e32 v[42:43], v[30:31], v[38:39]
	v_add_f64_e64 v[6:7], v[6:7], -v[42:43]
	v_cmpx_lt_u32_e32 1, v0
	s_cbranch_execz .LBB14_110
; %bb.109:
	v_dual_mov_b32 v34, 0 :: v_dual_mov_b32 v32, v2
	s_delay_alu instid0(VALU_DEP_3) | instskip(NEXT) | instid1(VALU_DEP_2)
	v_dual_mov_b32 v33, v3 :: v_dual_mov_b32 v36, v6
	v_dual_mov_b32 v37, v7 :: v_dual_mov_b32 v35, v34
	;; [unrolled: 1-line block ×15, first 2 shown]
	v_mov_b64_e32 v[2:3], v[32:33]
	v_mov_b64_e32 v[4:5], v[34:35]
	;; [unrolled: 1-line block ×16, first 2 shown]
	ds_store_b64 v1, v[62:63]
.LBB14_110:
	s_or_b32 exec_lo, exec_lo, s0
	v_mov_b32_e32 v34, 0
	s_wait_dscnt 0x0
	s_barrier_signal -1
	s_barrier_wait -1
	ds_load_b128 v[36:39], v34 offset:144
	ds_load_b128 v[40:43], v34 offset:160
	v_dual_ashrrev_i32 v65, 31, v64 :: v_dual_ashrrev_i32 v67, 31, v66
	v_dual_ashrrev_i32 v69, 31, v68 :: v_dual_ashrrev_i32 v71, 31, v70
	;; [unrolled: 1-line block ×6, first 2 shown]
	v_ashrrev_i32_e32 v91, 31, v90
	s_mov_b32 s0, exec_lo
	s_wait_dscnt 0x1
	v_fma_f64 v[32:33], v[6:7], v[36:37], 0
	s_delay_alu instid0(VALU_DEP_1) | instskip(SKIP_1) | instid1(VALU_DEP_1)
	v_fmac_f64_e32 v[32:33], v[8:9], v[38:39]
	s_wait_dscnt 0x0
	v_fmac_f64_e32 v[32:33], v[10:11], v[40:41]
	s_delay_alu instid0(VALU_DEP_1) | instskip(SKIP_4) | instid1(VALU_DEP_1)
	v_fmac_f64_e32 v[32:33], v[12:13], v[42:43]
	ds_load_b128 v[36:39], v34 offset:176
	ds_load_b128 v[40:43], v34 offset:192
	s_wait_dscnt 0x1
	v_fmac_f64_e32 v[32:33], v[14:15], v[36:37]
	v_fmac_f64_e32 v[32:33], v[16:17], v[38:39]
	s_wait_dscnt 0x0
	s_delay_alu instid0(VALU_DEP_1) | instskip(NEXT) | instid1(VALU_DEP_1)
	v_fmac_f64_e32 v[32:33], v[18:19], v[40:41]
	v_fmac_f64_e32 v[32:33], v[20:21], v[42:43]
	ds_load_b128 v[36:39], v34 offset:208
	ds_load_b128 v[40:43], v34 offset:224
	s_wait_dscnt 0x1
	v_fmac_f64_e32 v[32:33], v[22:23], v[36:37]
	ds_load_b64 v[36:37], v34 offset:240
	v_fmac_f64_e32 v[32:33], v[24:25], v[38:39]
	s_wait_dscnt 0x1
	s_delay_alu instid0(VALU_DEP_1) | instskip(NEXT) | instid1(VALU_DEP_1)
	v_fmac_f64_e32 v[32:33], v[26:27], v[40:41]
	v_fmac_f64_e32 v[32:33], v[28:29], v[42:43]
	s_wait_dscnt 0x0
	s_delay_alu instid0(VALU_DEP_1) | instskip(NEXT) | instid1(VALU_DEP_1)
	v_fmac_f64_e32 v[32:33], v[30:31], v[36:37]
	v_add_f64_e64 v[4:5], v[4:5], -v[32:33]
	v_cmpx_ne_u32_e32 0, v0
	s_cbranch_execz .LBB14_112
; %bb.111:
	s_delay_alu instid0(VALU_DEP_2) | instskip(NEXT) | instid1(VALU_DEP_3)
	v_dual_mov_b32 v35, v34 :: v_dual_mov_b32 v36, v4
	v_dual_mov_b32 v37, v5 :: v_dual_mov_b32 v38, v6
	;; [unrolled: 1-line block ×15, first 2 shown]
	v_mov_b32_e32 v95, v3
	v_mov_b64_e32 v[2:3], v[34:35]
	v_mov_b64_e32 v[4:5], v[36:37]
	;; [unrolled: 1-line block ×16, first 2 shown]
	ds_store_b64 v1, v[94:95]
.LBB14_112:
	s_or_b32 exec_lo, exec_lo, s0
	s_wait_dscnt 0x0
	s_barrier_signal -1
	s_barrier_wait -1
	ds_load_2addr_b64 v[36:39], v34 offset0:17 offset1:18
	ds_load_2addr_b64 v[40:43], v34 offset0:19 offset1:20
	s_and_b32 vcc_lo, exec_lo, s15
	s_wait_dscnt 0x1
	v_fma_f64 v[0:1], v[4:5], v[36:37], 0
	s_delay_alu instid0(VALU_DEP_1) | instskip(SKIP_1) | instid1(VALU_DEP_1)
	v_fmac_f64_e32 v[0:1], v[6:7], v[38:39]
	s_wait_dscnt 0x0
	v_fmac_f64_e32 v[0:1], v[8:9], v[40:41]
	s_delay_alu instid0(VALU_DEP_1) | instskip(SKIP_4) | instid1(VALU_DEP_1)
	v_fmac_f64_e32 v[0:1], v[10:11], v[42:43]
	ds_load_2addr_b64 v[36:39], v34 offset0:21 offset1:22
	ds_load_2addr_b64 v[40:43], v34 offset0:23 offset1:24
	s_wait_dscnt 0x1
	v_fmac_f64_e32 v[0:1], v[12:13], v[36:37]
	v_fmac_f64_e32 v[0:1], v[14:15], v[38:39]
	s_wait_dscnt 0x0
	s_delay_alu instid0(VALU_DEP_1) | instskip(NEXT) | instid1(VALU_DEP_1)
	v_fmac_f64_e32 v[0:1], v[16:17], v[40:41]
	v_fmac_f64_e32 v[0:1], v[18:19], v[42:43]
	ds_load_2addr_b64 v[36:39], v34 offset0:25 offset1:26
	ds_load_2addr_b64 v[40:43], v34 offset0:27 offset1:28
	;; [unrolled: 1-line block ×3, first 2 shown]
	s_wait_dscnt 0x2
	v_fmac_f64_e32 v[0:1], v[20:21], v[36:37]
	s_delay_alu instid0(VALU_DEP_1) | instskip(SKIP_1) | instid1(VALU_DEP_1)
	v_fmac_f64_e32 v[0:1], v[22:23], v[38:39]
	s_wait_dscnt 0x1
	v_fmac_f64_e32 v[0:1], v[24:25], v[40:41]
	s_delay_alu instid0(VALU_DEP_1) | instskip(SKIP_1) | instid1(VALU_DEP_1)
	v_fmac_f64_e32 v[0:1], v[26:27], v[42:43]
	s_wait_dscnt 0x0
	v_fmac_f64_e32 v[0:1], v[28:29], v[32:33]
	s_delay_alu instid0(VALU_DEP_1) | instskip(NEXT) | instid1(VALU_DEP_1)
	v_fmac_f64_e32 v[0:1], v[30:31], v[34:35]
	v_add_f64_e64 v[2:3], v[2:3], -v[0:1]
	s_cbranch_vccz .LBB14_141
; %bb.113:
	v_mov_b32_e32 v0, 0
	global_load_b32 v1, v0, s[20:21] offset:52
	s_wait_loadcnt 0x0
	v_readfirstlane_b32 s0, v1
	s_add_co_i32 s0, s0, -1
	s_delay_alu instid0(SALU_CYCLE_1)
	s_cmp_lg_u32 s0, 13
	s_cbranch_scc0 .LBB14_115
; %bb.114:
	s_lshl_b32 m0, s0, 1
	v_movrels_b32_e32 v1, v2
	v_movrels_b32_e32 v62, v3
	v_mov_b64_e32 v[60:61], v[32:33]
	v_mov_b64_e32 v[58:59], v[30:31]
	;; [unrolled: 1-line block ×16, first 2 shown]
	v_dual_mov_b32 v56, v1 :: v_dual_mov_b32 v57, v62
	s_delay_alu instid0(VALU_DEP_2) | instskip(NEXT) | instid1(VALU_DEP_3)
	v_movreld_b32_e32 v30, v28
	v_movreld_b32_e32 v31, v29
	v_mov_b64_e32 v[2:3], v[30:31]
	v_mov_b64_e32 v[4:5], v[32:33]
	;; [unrolled: 1-line block ×16, first 2 shown]
.LBB14_115:
	global_load_b32 v0, v0, s[20:21] offset:48
	s_wait_loadcnt 0x0
	v_readfirstlane_b32 s0, v0
	s_add_co_i32 s0, s0, -1
	s_delay_alu instid0(SALU_CYCLE_1)
	s_cmp_eq_u32 s0, 12
	s_cbranch_scc1 .LBB14_117
; %bb.116:
	s_lshl_b32 m0, s0, 1
	v_movrels_b32_e32 v0, v2
	v_movrels_b32_e32 v1, v3
	v_mov_b64_e32 v[58:59], v[32:33]
	v_mov_b64_e32 v[56:57], v[30:31]
	;; [unrolled: 1-line block ×16, first 2 shown]
	v_dual_mov_b32 v52, v0 :: v_dual_mov_b32 v53, v1
	s_delay_alu instid0(VALU_DEP_2) | instskip(NEXT) | instid1(VALU_DEP_3)
	v_movreld_b32_e32 v28, v26
	v_movreld_b32_e32 v29, v27
	v_mov_b64_e32 v[2:3], v[28:29]
	v_mov_b64_e32 v[4:5], v[30:31]
	;; [unrolled: 1-line block ×16, first 2 shown]
.LBB14_117:
	v_mov_b32_e32 v0, 0
	global_load_b32 v1, v0, s[20:21] offset:44
	s_wait_loadcnt 0x0
	v_readfirstlane_b32 s0, v1
	s_add_co_i32 s0, s0, -1
	s_delay_alu instid0(SALU_CYCLE_1)
	s_cmp_eq_u32 s0, 11
	s_cbranch_scc1 .LBB14_119
; %bb.118:
	s_lshl_b32 m0, s0, 1
	v_movrels_b32_e32 v1, v2
	v_movrels_b32_e32 v58, v3
	v_mov_b64_e32 v[56:57], v[32:33]
	v_mov_b64_e32 v[54:55], v[30:31]
	;; [unrolled: 1-line block ×16, first 2 shown]
	v_dual_mov_b32 v48, v1 :: v_dual_mov_b32 v49, v58
	s_delay_alu instid0(VALU_DEP_2) | instskip(NEXT) | instid1(VALU_DEP_3)
	v_movreld_b32_e32 v26, v24
	v_movreld_b32_e32 v27, v25
	v_mov_b64_e32 v[2:3], v[26:27]
	v_mov_b64_e32 v[4:5], v[28:29]
	v_mov_b64_e32 v[6:7], v[30:31]
	v_mov_b64_e32 v[8:9], v[32:33]
	v_mov_b64_e32 v[10:11], v[34:35]
	v_mov_b64_e32 v[12:13], v[36:37]
	v_mov_b64_e32 v[14:15], v[38:39]
	v_mov_b64_e32 v[16:17], v[40:41]
	v_mov_b64_e32 v[18:19], v[42:43]
	v_mov_b64_e32 v[20:21], v[44:45]
	v_mov_b64_e32 v[22:23], v[46:47]
	v_mov_b64_e32 v[24:25], v[48:49]
	v_mov_b64_e32 v[26:27], v[50:51]
	v_mov_b64_e32 v[28:29], v[52:53]
	v_mov_b64_e32 v[30:31], v[54:55]
	v_mov_b64_e32 v[32:33], v[56:57]
.LBB14_119:
	global_load_b32 v0, v0, s[20:21] offset:40
	s_wait_loadcnt 0x0
	v_readfirstlane_b32 s0, v0
	s_add_co_i32 s0, s0, -1
	s_delay_alu instid0(SALU_CYCLE_1)
	s_cmp_eq_u32 s0, 10
	s_cbranch_scc1 .LBB14_121
; %bb.120:
	s_lshl_b32 m0, s0, 1
	v_movrels_b32_e32 v0, v2
	v_movrels_b32_e32 v1, v3
	v_mov_b64_e32 v[54:55], v[32:33]
	v_mov_b64_e32 v[52:53], v[30:31]
	;; [unrolled: 1-line block ×16, first 2 shown]
	v_dual_mov_b32 v44, v0 :: v_dual_mov_b32 v45, v1
	s_delay_alu instid0(VALU_DEP_2) | instskip(NEXT) | instid1(VALU_DEP_3)
	v_movreld_b32_e32 v24, v22
	v_movreld_b32_e32 v25, v23
	v_mov_b64_e32 v[2:3], v[24:25]
	v_mov_b64_e32 v[4:5], v[26:27]
	;; [unrolled: 1-line block ×16, first 2 shown]
.LBB14_121:
	v_mov_b32_e32 v0, 0
	global_load_b32 v1, v0, s[20:21] offset:36
	s_wait_loadcnt 0x0
	v_readfirstlane_b32 s0, v1
	s_add_co_i32 s0, s0, -1
	s_delay_alu instid0(SALU_CYCLE_1)
	s_cmp_eq_u32 s0, 9
	s_cbranch_scc1 .LBB14_123
; %bb.122:
	s_lshl_b32 m0, s0, 1
	v_movrels_b32_e32 v1, v2
	v_movrels_b32_e32 v54, v3
	v_mov_b64_e32 v[52:53], v[32:33]
	v_mov_b64_e32 v[50:51], v[30:31]
	;; [unrolled: 1-line block ×16, first 2 shown]
	v_dual_mov_b32 v40, v1 :: v_dual_mov_b32 v41, v54
	s_delay_alu instid0(VALU_DEP_2) | instskip(NEXT) | instid1(VALU_DEP_3)
	v_movreld_b32_e32 v22, v20
	v_movreld_b32_e32 v23, v21
	v_mov_b64_e32 v[2:3], v[22:23]
	v_mov_b64_e32 v[4:5], v[24:25]
	;; [unrolled: 1-line block ×16, first 2 shown]
.LBB14_123:
	global_load_b32 v0, v0, s[20:21] offset:32
	s_wait_loadcnt 0x0
	v_readfirstlane_b32 s0, v0
	s_add_co_i32 s0, s0, -1
	s_delay_alu instid0(SALU_CYCLE_1)
	s_cmp_eq_u32 s0, 8
	s_cbranch_scc1 .LBB14_125
; %bb.124:
	s_lshl_b32 m0, s0, 1
	v_movrels_b32_e32 v0, v2
	v_movrels_b32_e32 v1, v3
	v_mov_b64_e32 v[50:51], v[32:33]
	v_mov_b64_e32 v[48:49], v[30:31]
	;; [unrolled: 1-line block ×16, first 2 shown]
	v_dual_mov_b32 v36, v0 :: v_dual_mov_b32 v37, v1
	s_delay_alu instid0(VALU_DEP_2) | instskip(NEXT) | instid1(VALU_DEP_3)
	v_movreld_b32_e32 v20, v18
	v_movreld_b32_e32 v21, v19
	v_mov_b64_e32 v[2:3], v[20:21]
	v_mov_b64_e32 v[4:5], v[22:23]
	;; [unrolled: 1-line block ×16, first 2 shown]
.LBB14_125:
	v_mov_b32_e32 v0, 0
	global_load_b32 v1, v0, s[20:21] offset:28
	s_wait_loadcnt 0x0
	v_readfirstlane_b32 s0, v1
	s_add_co_i32 s0, s0, -1
	s_delay_alu instid0(SALU_CYCLE_1)
	s_cmp_eq_u32 s0, 7
	s_cbranch_scc1 .LBB14_127
; %bb.126:
	s_lshl_b32 m0, s0, 1
	v_movrels_b32_e32 v1, v2
	v_movrels_b32_e32 v50, v3
	v_mov_b64_e32 v[48:49], v[32:33]
	v_mov_b64_e32 v[46:47], v[30:31]
	;; [unrolled: 1-line block ×16, first 2 shown]
	v_dual_mov_b32 v32, v1 :: v_dual_mov_b32 v33, v50
	s_delay_alu instid0(VALU_DEP_2) | instskip(NEXT) | instid1(VALU_DEP_3)
	v_movreld_b32_e32 v18, v16
	v_movreld_b32_e32 v19, v17
	v_mov_b64_e32 v[2:3], v[18:19]
	v_mov_b64_e32 v[4:5], v[20:21]
	;; [unrolled: 1-line block ×16, first 2 shown]
.LBB14_127:
	global_load_b32 v0, v0, s[20:21] offset:24
	s_wait_loadcnt 0x0
	v_readfirstlane_b32 s0, v0
	s_add_co_i32 s0, s0, -1
	s_delay_alu instid0(SALU_CYCLE_1)
	s_cmp_eq_u32 s0, 6
	s_cbranch_scc1 .LBB14_129
; %bb.128:
	s_lshl_b32 m0, s0, 1
	v_movrels_b32_e32 v0, v2
	v_movrels_b32_e32 v1, v3
	v_mov_b64_e32 v[46:47], v[32:33]
	v_mov_b64_e32 v[44:45], v[30:31]
	;; [unrolled: 1-line block ×16, first 2 shown]
	v_dual_mov_b32 v28, v0 :: v_dual_mov_b32 v29, v1
	s_delay_alu instid0(VALU_DEP_2) | instskip(NEXT) | instid1(VALU_DEP_3)
	v_movreld_b32_e32 v16, v14
	v_movreld_b32_e32 v17, v15
	v_mov_b64_e32 v[2:3], v[16:17]
	v_mov_b64_e32 v[4:5], v[18:19]
	v_mov_b64_e32 v[6:7], v[20:21]
	v_mov_b64_e32 v[8:9], v[22:23]
	v_mov_b64_e32 v[10:11], v[24:25]
	v_mov_b64_e32 v[12:13], v[26:27]
	v_mov_b64_e32 v[14:15], v[28:29]
	v_mov_b64_e32 v[16:17], v[30:31]
	v_mov_b64_e32 v[18:19], v[32:33]
	v_mov_b64_e32 v[20:21], v[34:35]
	v_mov_b64_e32 v[22:23], v[36:37]
	v_mov_b64_e32 v[24:25], v[38:39]
	v_mov_b64_e32 v[26:27], v[40:41]
	v_mov_b64_e32 v[28:29], v[42:43]
	v_mov_b64_e32 v[30:31], v[44:45]
	v_mov_b64_e32 v[32:33], v[46:47]
.LBB14_129:
	v_mov_b32_e32 v0, 0
	global_load_b32 v1, v0, s[20:21] offset:20
	s_wait_loadcnt 0x0
	v_readfirstlane_b32 s0, v1
	s_add_co_i32 s0, s0, -1
	s_delay_alu instid0(SALU_CYCLE_1)
	s_cmp_eq_u32 s0, 5
	s_cbranch_scc1 .LBB14_131
; %bb.130:
	s_lshl_b32 m0, s0, 1
	v_movrels_b32_e32 v1, v2
	v_movrels_b32_e32 v46, v3
	v_mov_b64_e32 v[44:45], v[32:33]
	v_mov_b64_e32 v[42:43], v[30:31]
	;; [unrolled: 1-line block ×16, first 2 shown]
	v_dual_mov_b32 v24, v1 :: v_dual_mov_b32 v25, v46
	s_delay_alu instid0(VALU_DEP_2) | instskip(NEXT) | instid1(VALU_DEP_3)
	v_movreld_b32_e32 v14, v12
	v_movreld_b32_e32 v15, v13
	v_mov_b64_e32 v[2:3], v[14:15]
	v_mov_b64_e32 v[4:5], v[16:17]
	;; [unrolled: 1-line block ×16, first 2 shown]
.LBB14_131:
	global_load_b32 v0, v0, s[20:21] offset:16
	s_wait_loadcnt 0x0
	v_readfirstlane_b32 s0, v0
	s_add_co_i32 s0, s0, -1
	s_delay_alu instid0(SALU_CYCLE_1)
	s_cmp_eq_u32 s0, 4
	s_cbranch_scc1 .LBB14_133
; %bb.132:
	s_lshl_b32 m0, s0, 1
	v_movrels_b32_e32 v0, v2
	v_movrels_b32_e32 v1, v3
	v_mov_b64_e32 v[42:43], v[32:33]
	v_mov_b64_e32 v[40:41], v[30:31]
	;; [unrolled: 1-line block ×16, first 2 shown]
	v_dual_mov_b32 v20, v0 :: v_dual_mov_b32 v21, v1
	s_delay_alu instid0(VALU_DEP_2) | instskip(NEXT) | instid1(VALU_DEP_3)
	v_movreld_b32_e32 v12, v10
	v_movreld_b32_e32 v13, v11
	v_mov_b64_e32 v[2:3], v[12:13]
	v_mov_b64_e32 v[4:5], v[14:15]
	;; [unrolled: 1-line block ×16, first 2 shown]
.LBB14_133:
	v_mov_b32_e32 v0, 0
	global_load_b32 v1, v0, s[20:21] offset:12
	s_wait_loadcnt 0x0
	v_readfirstlane_b32 s0, v1
	s_add_co_i32 s0, s0, -1
	s_delay_alu instid0(SALU_CYCLE_1)
	s_cmp_eq_u32 s0, 3
	s_cbranch_scc1 .LBB14_135
; %bb.134:
	s_lshl_b32 m0, s0, 1
	v_movrels_b32_e32 v1, v2
	v_movrels_b32_e32 v42, v3
	v_mov_b64_e32 v[40:41], v[32:33]
	v_mov_b64_e32 v[38:39], v[30:31]
	;; [unrolled: 1-line block ×16, first 2 shown]
	v_dual_mov_b32 v16, v1 :: v_dual_mov_b32 v17, v42
	s_delay_alu instid0(VALU_DEP_2) | instskip(NEXT) | instid1(VALU_DEP_3)
	v_movreld_b32_e32 v10, v8
	v_movreld_b32_e32 v11, v9
	v_mov_b64_e32 v[2:3], v[10:11]
	v_mov_b64_e32 v[4:5], v[12:13]
	;; [unrolled: 1-line block ×16, first 2 shown]
.LBB14_135:
	global_load_b32 v0, v0, s[20:21] offset:8
	s_wait_loadcnt 0x0
	v_readfirstlane_b32 s0, v0
	s_add_co_i32 s0, s0, -1
	s_delay_alu instid0(SALU_CYCLE_1)
	s_cmp_eq_u32 s0, 2
	s_cbranch_scc1 .LBB14_137
; %bb.136:
	s_lshl_b32 m0, s0, 1
	v_movrels_b32_e32 v0, v2
	v_movrels_b32_e32 v1, v3
	v_mov_b64_e32 v[38:39], v[32:33]
	v_mov_b64_e32 v[36:37], v[30:31]
	;; [unrolled: 1-line block ×16, first 2 shown]
	v_dual_mov_b32 v12, v0 :: v_dual_mov_b32 v13, v1
	s_delay_alu instid0(VALU_DEP_2) | instskip(NEXT) | instid1(VALU_DEP_3)
	v_movreld_b32_e32 v8, v6
	v_movreld_b32_e32 v9, v7
	v_mov_b64_e32 v[2:3], v[8:9]
	v_mov_b64_e32 v[4:5], v[10:11]
	v_mov_b64_e32 v[6:7], v[12:13]
	v_mov_b64_e32 v[8:9], v[14:15]
	v_mov_b64_e32 v[10:11], v[16:17]
	v_mov_b64_e32 v[12:13], v[18:19]
	v_mov_b64_e32 v[14:15], v[20:21]
	v_mov_b64_e32 v[16:17], v[22:23]
	v_mov_b64_e32 v[18:19], v[24:25]
	v_mov_b64_e32 v[20:21], v[26:27]
	v_mov_b64_e32 v[22:23], v[28:29]
	v_mov_b64_e32 v[24:25], v[30:31]
	v_mov_b64_e32 v[26:27], v[32:33]
	v_mov_b64_e32 v[28:29], v[34:35]
	v_mov_b64_e32 v[30:31], v[36:37]
	v_mov_b64_e32 v[32:33], v[38:39]
.LBB14_137:
	v_mov_b32_e32 v0, 0
	global_load_b32 v1, v0, s[20:21] offset:4
	s_wait_loadcnt 0x0
	v_readfirstlane_b32 s0, v1
	s_add_co_i32 s0, s0, -1
	s_delay_alu instid0(SALU_CYCLE_1)
	s_cmp_eq_u32 s0, 1
	s_cbranch_scc1 .LBB14_139
; %bb.138:
	s_lshl_b32 m0, s0, 1
	v_movrels_b32_e32 v1, v2
	v_movrels_b32_e32 v38, v3
	v_mov_b64_e32 v[36:37], v[32:33]
	v_mov_b64_e32 v[34:35], v[30:31]
	;; [unrolled: 1-line block ×16, first 2 shown]
	v_dual_mov_b32 v8, v1 :: v_dual_mov_b32 v9, v38
	s_delay_alu instid0(VALU_DEP_2) | instskip(NEXT) | instid1(VALU_DEP_3)
	v_movreld_b32_e32 v6, v4
	v_movreld_b32_e32 v7, v5
	v_mov_b64_e32 v[2:3], v[6:7]
	s_delay_alu instid0(VALU_DEP_4)
	v_mov_b64_e32 v[4:5], v[8:9]
	v_mov_b64_e32 v[6:7], v[10:11]
	;; [unrolled: 1-line block ×15, first 2 shown]
.LBB14_139:
	global_load_b32 v0, v0, s[20:21]
	s_wait_loadcnt 0x0
	v_readfirstlane_b32 s0, v0
	s_add_co_i32 s0, s0, -1
	s_delay_alu instid0(SALU_CYCLE_1)
	s_cmp_eq_u32 s0, 0
	s_cbranch_scc1 .LBB14_141
; %bb.140:
	s_lshl_b32 m0, s0, 1
	v_movrels_b32_e32 v0, v2
	v_movrels_b32_e32 v1, v3
	v_mov_b64_e32 v[34:35], v[32:33]
	v_mov_b64_e32 v[32:33], v[30:31]
	;; [unrolled: 1-line block ×16, first 2 shown]
	v_dual_mov_b32 v4, v0 :: v_dual_mov_b32 v5, v1
	s_delay_alu instid0(VALU_DEP_1) | instskip(NEXT) | instid1(VALU_DEP_2)
	v_movreld_b32_e32 v4, v2
	v_movreld_b32_e32 v5, v3
	v_mov_b64_e32 v[2:3], v[4:5]
	v_mov_b64_e32 v[4:5], v[6:7]
	;; [unrolled: 1-line block ×16, first 2 shown]
.LBB14_141:
	v_lshl_add_u64 v[50:51], v[64:65], 3, s[16:17]
	v_lshl_add_u64 v[52:53], v[66:67], 3, s[16:17]
	;; [unrolled: 1-line block ×4, first 2 shown]
	s_clause 0x4
	global_store_b64 v[72:73], v[2:3], off
	global_store_b64 v[76:77], v[4:5], off
	;; [unrolled: 1-line block ×5, first 2 shown]
	s_wait_xcnt 0x4
	v_dual_mov_b32 v2, v12 :: v_dual_mov_b32 v3, v13
	v_lshl_add_u64 v[42:43], v[74:75], 3, s[16:17]
	s_wait_xcnt 0x3
	v_dual_mov_b32 v4, v14 :: v_dual_mov_b32 v5, v15
	v_lshl_add_u64 v[44:45], v[78:79], 3, s[16:17]
	;; [unrolled: 3-line block ×5, first 2 shown]
	s_clause 0x4
	global_store_b64 v[40:41], v[2:3], off
	global_store_b64 v[42:43], v[4:5], off
	;; [unrolled: 1-line block ×5, first 2 shown]
	s_wait_xcnt 0x4
	v_dual_mov_b32 v2, v22 :: v_dual_mov_b32 v3, v23
	v_lshl_add_u64 v[32:33], v[86:87], 3, s[16:17]
	s_wait_xcnt 0x3
	v_dual_mov_b32 v4, v24 :: v_dual_mov_b32 v5, v25
	v_lshl_add_u64 v[34:35], v[88:89], 3, s[16:17]
	;; [unrolled: 3-line block ×4, first 2 shown]
	s_wait_xcnt 0x0
	v_dual_mov_b32 v10, v30 :: v_dual_mov_b32 v11, v31
	s_clause 0x4
	global_store_b64 v[0:1], v[2:3], off
	global_store_b64 v[32:33], v[4:5], off
	;; [unrolled: 1-line block ×5, first 2 shown]
	s_sendmsg sendmsg(MSG_DEALLOC_VGPRS)
	s_endpgm
	.section	.rodata,"a",@progbits
	.p2align	6, 0x0
	.amdhsa_kernel _ZN9rocsolver6v33100L18getri_kernel_smallILi15EdPdEEvT1_iilPiilS4_bb
		.amdhsa_group_segment_fixed_size 248
		.amdhsa_private_segment_fixed_size 0
		.amdhsa_kernarg_size 60
		.amdhsa_user_sgpr_count 2
		.amdhsa_user_sgpr_dispatch_ptr 0
		.amdhsa_user_sgpr_queue_ptr 0
		.amdhsa_user_sgpr_kernarg_segment_ptr 1
		.amdhsa_user_sgpr_dispatch_id 0
		.amdhsa_user_sgpr_kernarg_preload_length 0
		.amdhsa_user_sgpr_kernarg_preload_offset 0
		.amdhsa_user_sgpr_private_segment_size 0
		.amdhsa_wavefront_size32 1
		.amdhsa_uses_dynamic_stack 0
		.amdhsa_enable_private_segment 0
		.amdhsa_system_sgpr_workgroup_id_x 1
		.amdhsa_system_sgpr_workgroup_id_y 0
		.amdhsa_system_sgpr_workgroup_id_z 0
		.amdhsa_system_sgpr_workgroup_info 0
		.amdhsa_system_vgpr_workitem_id 0
		.amdhsa_next_free_vgpr 96
		.amdhsa_next_free_sgpr 24
		.amdhsa_named_barrier_count 0
		.amdhsa_reserve_vcc 1
		.amdhsa_float_round_mode_32 0
		.amdhsa_float_round_mode_16_64 0
		.amdhsa_float_denorm_mode_32 3
		.amdhsa_float_denorm_mode_16_64 3
		.amdhsa_fp16_overflow 0
		.amdhsa_memory_ordered 1
		.amdhsa_forward_progress 1
		.amdhsa_inst_pref_size 135
		.amdhsa_round_robin_scheduling 0
		.amdhsa_exception_fp_ieee_invalid_op 0
		.amdhsa_exception_fp_denorm_src 0
		.amdhsa_exception_fp_ieee_div_zero 0
		.amdhsa_exception_fp_ieee_overflow 0
		.amdhsa_exception_fp_ieee_underflow 0
		.amdhsa_exception_fp_ieee_inexact 0
		.amdhsa_exception_int_div_zero 0
	.end_amdhsa_kernel
	.section	.text._ZN9rocsolver6v33100L18getri_kernel_smallILi15EdPdEEvT1_iilPiilS4_bb,"axG",@progbits,_ZN9rocsolver6v33100L18getri_kernel_smallILi15EdPdEEvT1_iilPiilS4_bb,comdat
.Lfunc_end14:
	.size	_ZN9rocsolver6v33100L18getri_kernel_smallILi15EdPdEEvT1_iilPiilS4_bb, .Lfunc_end14-_ZN9rocsolver6v33100L18getri_kernel_smallILi15EdPdEEvT1_iilPiilS4_bb
                                        ; -- End function
	.set _ZN9rocsolver6v33100L18getri_kernel_smallILi15EdPdEEvT1_iilPiilS4_bb.num_vgpr, 96
	.set _ZN9rocsolver6v33100L18getri_kernel_smallILi15EdPdEEvT1_iilPiilS4_bb.num_agpr, 0
	.set _ZN9rocsolver6v33100L18getri_kernel_smallILi15EdPdEEvT1_iilPiilS4_bb.numbered_sgpr, 24
	.set _ZN9rocsolver6v33100L18getri_kernel_smallILi15EdPdEEvT1_iilPiilS4_bb.num_named_barrier, 0
	.set _ZN9rocsolver6v33100L18getri_kernel_smallILi15EdPdEEvT1_iilPiilS4_bb.private_seg_size, 0
	.set _ZN9rocsolver6v33100L18getri_kernel_smallILi15EdPdEEvT1_iilPiilS4_bb.uses_vcc, 1
	.set _ZN9rocsolver6v33100L18getri_kernel_smallILi15EdPdEEvT1_iilPiilS4_bb.uses_flat_scratch, 0
	.set _ZN9rocsolver6v33100L18getri_kernel_smallILi15EdPdEEvT1_iilPiilS4_bb.has_dyn_sized_stack, 0
	.set _ZN9rocsolver6v33100L18getri_kernel_smallILi15EdPdEEvT1_iilPiilS4_bb.has_recursion, 0
	.set _ZN9rocsolver6v33100L18getri_kernel_smallILi15EdPdEEvT1_iilPiilS4_bb.has_indirect_call, 0
	.section	.AMDGPU.csdata,"",@progbits
; Kernel info:
; codeLenInByte = 17184
; TotalNumSgprs: 26
; NumVgprs: 96
; ScratchSize: 0
; MemoryBound: 0
; FloatMode: 240
; IeeeMode: 1
; LDSByteSize: 248 bytes/workgroup (compile time only)
; SGPRBlocks: 0
; VGPRBlocks: 5
; NumSGPRsForWavesPerEU: 26
; NumVGPRsForWavesPerEU: 96
; NamedBarCnt: 0
; Occupancy: 10
; WaveLimiterHint : 0
; COMPUTE_PGM_RSRC2:SCRATCH_EN: 0
; COMPUTE_PGM_RSRC2:USER_SGPR: 2
; COMPUTE_PGM_RSRC2:TRAP_HANDLER: 0
; COMPUTE_PGM_RSRC2:TGID_X_EN: 1
; COMPUTE_PGM_RSRC2:TGID_Y_EN: 0
; COMPUTE_PGM_RSRC2:TGID_Z_EN: 0
; COMPUTE_PGM_RSRC2:TIDIG_COMP_CNT: 0
	.section	.text._ZN9rocsolver6v33100L18getri_kernel_smallILi16EdPdEEvT1_iilPiilS4_bb,"axG",@progbits,_ZN9rocsolver6v33100L18getri_kernel_smallILi16EdPdEEvT1_iilPiilS4_bb,comdat
	.globl	_ZN9rocsolver6v33100L18getri_kernel_smallILi16EdPdEEvT1_iilPiilS4_bb ; -- Begin function _ZN9rocsolver6v33100L18getri_kernel_smallILi16EdPdEEvT1_iilPiilS4_bb
	.p2align	8
	.type	_ZN9rocsolver6v33100L18getri_kernel_smallILi16EdPdEEvT1_iilPiilS4_bb,@function
_ZN9rocsolver6v33100L18getri_kernel_smallILi16EdPdEEvT1_iilPiilS4_bb: ; @_ZN9rocsolver6v33100L18getri_kernel_smallILi16EdPdEEvT1_iilPiilS4_bb
; %bb.0:
	s_mov_b32 s2, exec_lo
	v_cmpx_gt_u32_e32 16, v0
	s_cbranch_execz .LBB15_16
; %bb.1:
	s_clause 0x2
	s_load_b32 s2, s[0:1], 0x38
	s_load_b128 s[8:11], s[0:1], 0x10
	s_load_b128 s[16:19], s[0:1], 0x28
	s_getreg_b32 s5, hwreg(HW_REG_IB_STS2, 6, 4)
                                        ; implicit-def: $sgpr20_sgpr21
	s_wait_kmcnt 0x0
	s_bitcmp1_b32 s2, 8
	s_cselect_b32 s24, -1, 0
	s_bfe_u32 s3, ttmp6, 0x4000c
	s_and_b32 s4, ttmp6, 15
	s_add_co_i32 s3, s3, 1
	s_delay_alu instid0(SALU_CYCLE_1) | instskip(NEXT) | instid1(SALU_CYCLE_1)
	s_mul_i32 s3, ttmp9, s3
	s_add_co_i32 s4, s4, s3
	s_cmp_eq_u32 s5, 0
	s_cselect_b32 s22, ttmp9, s4
	s_bfe_u32 s2, s2, 0x10008
	s_ashr_i32 s23, s22, 31
	s_cmp_eq_u32 s2, 0
	s_cbranch_scc1 .LBB15_3
; %bb.2:
	s_load_b32 s2, s[0:1], 0x20
	s_mul_u64 s[4:5], s[16:17], s[22:23]
	s_delay_alu instid0(SALU_CYCLE_1) | instskip(NEXT) | instid1(SALU_CYCLE_1)
	s_lshl_b64 s[4:5], s[4:5], 2
	s_add_nc_u64 s[4:5], s[10:11], s[4:5]
	s_wait_kmcnt 0x0
	s_ashr_i32 s3, s2, 31
	s_delay_alu instid0(SALU_CYCLE_1) | instskip(NEXT) | instid1(SALU_CYCLE_1)
	s_lshl_b64 s[2:3], s[2:3], 2
	s_add_nc_u64 s[20:21], s[4:5], s[2:3]
.LBB15_3:
	s_clause 0x1
	s_load_b128 s[4:7], s[0:1], 0x0
	s_load_b32 s10, s[0:1], 0x38
	s_wait_xcnt 0x0
	s_mul_u64 s[0:1], s[8:9], s[22:23]
	v_mov_b32_e32 v1, 0
	s_lshl_b64 s[0:1], s[0:1], 3
	s_wait_kmcnt 0x0
	v_add3_u32 v64, s7, s7, v0
	s_ashr_i32 s3, s6, 31
	s_mov_b32 s2, s6
	s_add_nc_u64 s[0:1], s[4:5], s[0:1]
	s_lshl_b64 s[2:3], s[2:3], 3
	v_add_nc_u32_e32 v66, s7, v64
	s_add_nc_u64 s[16:17], s[0:1], s[2:3]
	s_ashr_i32 s1, s7, 31
	s_mov_b32 s0, s7
	s_bitcmp0_b32 s10, 0
	v_add_nc_u32_e32 v68, s7, v66
	s_delay_alu instid0(VALU_DEP_1) | instskip(NEXT) | instid1(VALU_DEP_1)
	v_add_nc_u32_e32 v70, s7, v68
	v_add_nc_u32_e32 v72, s7, v70
	s_delay_alu instid0(VALU_DEP_1) | instskip(NEXT) | instid1(VALU_DEP_1)
	v_add_nc_u32_e32 v74, s7, v72
	v_dual_lshlrev_b32 v34, 3, v0 :: v_dual_add_nc_u32 v76, s7, v74
	s_delay_alu instid0(VALU_DEP_1) | instskip(NEXT) | instid1(VALU_DEP_1)
	v_dual_mov_b32 v35, v1 :: v_dual_add_nc_u32 v80, s7, v76
	v_add_nc_u64_e32 v[78:79], s[16:17], v[34:35]
	s_delay_alu instid0(VALU_DEP_2) | instskip(NEXT) | instid1(VALU_DEP_2)
	v_add_nc_u32_e32 v84, s7, v80
	v_lshl_add_u64 v[82:83], s[0:1], 3, v[78:79]
	s_mov_b32 s0, -1
	s_delay_alu instid0(VALU_DEP_2)
	v_add_nc_u32_e32 v86, s7, v84
	s_clause 0x4
	global_load_b64 v[4:5], v[82:83], off
	global_load_b64 v[6:7], v64, s[16:17] scale_offset
	global_load_b64 v[8:9], v66, s[16:17] scale_offset
	;; [unrolled: 1-line block ×4, first 2 shown]
	v_add_nc_u32_e32 v88, s7, v86
	s_clause 0x3
	global_load_b64 v[14:15], v72, s[16:17] scale_offset
	global_load_b64 v[16:17], v74, s[16:17] scale_offset
	;; [unrolled: 1-line block ×4, first 2 shown]
	v_add_nc_u32_e32 v90, s7, v88
	s_delay_alu instid0(VALU_DEP_1) | instskip(NEXT) | instid1(VALU_DEP_1)
	v_add_nc_u32_e32 v92, s7, v90
	v_add_nc_u32_e32 v94, s7, v92
	s_clause 0x6
	global_load_b64 v[22:23], v84, s[16:17] scale_offset
	global_load_b64 v[24:25], v86, s[16:17] scale_offset
	;; [unrolled: 1-line block ×7, first 2 shown]
	s_cbranch_scc1 .LBB15_14
; %bb.4:
	v_cmp_eq_u32_e64 s0, 0, v0
	s_wait_xcnt 0x0
	s_and_saveexec_b32 s1, s0
; %bb.5:
	v_mov_b32_e32 v35, 0
	ds_store_b32 v35, v35 offset:256
; %bb.6:
	s_or_b32 exec_lo, exec_lo, s1
	v_cmp_eq_u32_e32 vcc_lo, 1, v0
	s_mov_b32 s2, exec_lo
	s_wait_loadcnt_dscnt 0x0
	s_barrier_signal -1
	s_barrier_wait -1
	v_dual_cndmask_b32 v35, v3, v5 :: v_dual_cndmask_b32 v36, v2, v4
	v_cmp_eq_u32_e32 vcc_lo, 2, v0
	s_delay_alu instid0(VALU_DEP_2) | instskip(SKIP_1) | instid1(VALU_DEP_2)
	v_dual_cndmask_b32 v35, v35, v7 :: v_dual_cndmask_b32 v36, v36, v6
	v_cmp_eq_u32_e32 vcc_lo, 3, v0
	v_dual_cndmask_b32 v35, v35, v9 :: v_dual_cndmask_b32 v36, v36, v8
	v_cmp_eq_u32_e32 vcc_lo, 4, v0
	s_delay_alu instid0(VALU_DEP_2) | instskip(SKIP_1) | instid1(VALU_DEP_2)
	v_dual_cndmask_b32 v35, v35, v11 :: v_dual_cndmask_b32 v36, v36, v10
	v_cmp_eq_u32_e32 vcc_lo, 5, v0
	v_dual_cndmask_b32 v35, v35, v13 :: v_dual_cndmask_b32 v36, v36, v12
	v_cmp_eq_u32_e32 vcc_lo, 6, v0
	s_delay_alu instid0(VALU_DEP_2) | instskip(SKIP_1) | instid1(VALU_DEP_2)
	v_dual_cndmask_b32 v35, v35, v15 :: v_dual_cndmask_b32 v36, v36, v14
	v_cmp_eq_u32_e32 vcc_lo, 7, v0
	v_dual_cndmask_b32 v35, v35, v17 :: v_dual_cndmask_b32 v36, v36, v16
	v_cmp_eq_u32_e32 vcc_lo, 8, v0
	s_delay_alu instid0(VALU_DEP_2) | instskip(SKIP_1) | instid1(VALU_DEP_2)
	v_dual_cndmask_b32 v35, v35, v19 :: v_dual_cndmask_b32 v36, v36, v18
	v_cmp_eq_u32_e32 vcc_lo, 9, v0
	v_dual_cndmask_b32 v35, v35, v21 :: v_dual_cndmask_b32 v36, v36, v20
	v_cmp_eq_u32_e32 vcc_lo, 10, v0
	s_delay_alu instid0(VALU_DEP_2) | instskip(SKIP_1) | instid1(VALU_DEP_2)
	v_dual_cndmask_b32 v35, v35, v23 :: v_dual_cndmask_b32 v36, v36, v22
	v_cmp_eq_u32_e32 vcc_lo, 11, v0
	v_dual_cndmask_b32 v35, v35, v25 :: v_dual_cndmask_b32 v36, v36, v24
	v_cmp_eq_u32_e32 vcc_lo, 12, v0
	s_delay_alu instid0(VALU_DEP_2) | instskip(SKIP_1) | instid1(VALU_DEP_2)
	v_dual_cndmask_b32 v35, v35, v27 :: v_dual_cndmask_b32 v36, v36, v26
	v_cmp_eq_u32_e32 vcc_lo, 13, v0
	v_dual_cndmask_b32 v35, v35, v29 :: v_dual_cndmask_b32 v36, v36, v28
	v_cmp_eq_u32_e32 vcc_lo, 14, v0
	s_delay_alu instid0(VALU_DEP_2) | instskip(SKIP_1) | instid1(VALU_DEP_2)
	v_dual_cndmask_b32 v35, v35, v31 :: v_dual_cndmask_b32 v36, v36, v30
	v_cmp_eq_u32_e32 vcc_lo, 15, v0
	v_dual_cndmask_b32 v37, v35, v33 :: v_dual_cndmask_b32 v36, v36, v32
	s_delay_alu instid0(VALU_DEP_1)
	v_cmpx_eq_f64_e32 0, v[36:37]
	s_cbranch_execz .LBB15_10
; %bb.7:
	v_mov_b32_e32 v35, 0
	s_mov_b32 s3, 0
	ds_load_b32 v38, v35 offset:256
	s_wait_dscnt 0x0
	v_readfirstlane_b32 s1, v38
	v_add_nc_u32_e32 v38, 1, v0
	s_cmp_eq_u32 s1, 0
	s_delay_alu instid0(VALU_DEP_1) | instskip(SKIP_1) | instid1(SALU_CYCLE_1)
	v_cmp_gt_i32_e32 vcc_lo, s1, v38
	s_cselect_b32 s4, -1, 0
	s_or_b32 s4, s4, vcc_lo
	s_delay_alu instid0(SALU_CYCLE_1)
	s_and_b32 exec_lo, exec_lo, s4
	s_cbranch_execz .LBB15_10
; %bb.8:
	v_mov_b32_e32 v39, s1
.LBB15_9:                               ; =>This Inner Loop Header: Depth=1
	ds_cmpstore_rtn_b32 v39, v35, v38, v39 offset:256
	s_wait_dscnt 0x0
	v_cmp_ne_u32_e32 vcc_lo, 0, v39
	v_cmp_le_i32_e64 s1, v39, v38
	s_and_b32 s1, vcc_lo, s1
	s_delay_alu instid0(SALU_CYCLE_1) | instskip(NEXT) | instid1(SALU_CYCLE_1)
	s_and_b32 s1, exec_lo, s1
	s_or_b32 s3, s1, s3
	s_delay_alu instid0(SALU_CYCLE_1)
	s_and_not1_b32 exec_lo, exec_lo, s3
	s_cbranch_execnz .LBB15_9
.LBB15_10:
	s_or_b32 exec_lo, exec_lo, s2
	v_mov_b32_e32 v35, 0
	s_barrier_signal -1
	s_barrier_wait -1
	ds_load_b32 v38, v35 offset:256
	s_and_saveexec_b32 s1, s0
	s_cbranch_execz .LBB15_12
; %bb.11:
	s_lshl_b64 s[2:3], s[22:23], 2
	s_delay_alu instid0(SALU_CYCLE_1)
	s_add_nc_u64 s[2:3], s[18:19], s[2:3]
	s_wait_dscnt 0x0
	global_store_b32 v35, v38, s[2:3]
.LBB15_12:
	s_wait_xcnt 0x0
	s_or_b32 exec_lo, exec_lo, s1
	s_wait_dscnt 0x0
	v_cmp_ne_u32_e32 vcc_lo, 0, v38
	s_cbranch_vccz .LBB15_17
; %bb.13:
	s_mov_b32 s0, 0
                                        ; implicit-def: $vgpr2_vgpr3_vgpr4_vgpr5_vgpr6_vgpr7_vgpr8_vgpr9_vgpr10_vgpr11_vgpr12_vgpr13_vgpr14_vgpr15_vgpr16_vgpr17_vgpr18_vgpr19_vgpr20_vgpr21_vgpr22_vgpr23_vgpr24_vgpr25_vgpr26_vgpr27_vgpr28_vgpr29_vgpr30_vgpr31_vgpr32_vgpr33
.LBB15_14:
	s_delay_alu instid0(SALU_CYCLE_1)
	s_and_b32 vcc_lo, exec_lo, s0
	s_cbranch_vccz .LBB15_16
.LBB15_15:
	v_mov_b32_e32 v1, 0
	s_lshl_b64 s[0:1], s[22:23], 2
	s_delay_alu instid0(SALU_CYCLE_1)
	s_add_nc_u64 s[0:1], s[18:19], s[0:1]
	global_load_b32 v1, v1, s[0:1]
	s_wait_loadcnt 0x0
	v_cmp_ne_u32_e32 vcc_lo, 0, v1
	s_cbranch_vccz .LBB15_88
.LBB15_16:
	s_sendmsg sendmsg(MSG_DEALLOC_VGPRS)
	s_endpgm
.LBB15_17:
	v_div_scale_f64 v[38:39], null, v[36:37], v[36:37], 1.0
	v_div_scale_f64 v[44:45], vcc_lo, 1.0, v[36:37], 1.0
	v_cmp_eq_u32_e64 s1, 14, v0
	v_cmp_eq_u32_e64 s2, 13, v0
	;; [unrolled: 1-line block ×15, first 2 shown]
	v_rcp_f64_e32 v[40:41], v[38:39]
	v_nop
	s_delay_alu instid0(TRANS32_DEP_1) | instskip(NEXT) | instid1(VALU_DEP_1)
	v_fma_f64 v[42:43], -v[38:39], v[40:41], 1.0
	v_fmac_f64_e32 v[40:41], v[40:41], v[42:43]
	s_delay_alu instid0(VALU_DEP_1) | instskip(NEXT) | instid1(VALU_DEP_1)
	v_fma_f64 v[42:43], -v[38:39], v[40:41], 1.0
	v_fmac_f64_e32 v[40:41], v[40:41], v[42:43]
	s_delay_alu instid0(VALU_DEP_1) | instskip(NEXT) | instid1(VALU_DEP_1)
	v_mul_f64_e32 v[42:43], v[44:45], v[40:41]
	v_fma_f64 v[38:39], -v[38:39], v[42:43], v[44:45]
	s_delay_alu instid0(VALU_DEP_1) | instskip(SKIP_1) | instid1(VALU_DEP_2)
	v_div_fmas_f64 v[38:39], v[38:39], v[40:41], v[42:43]
	v_cmp_eq_u32_e32 vcc_lo, 15, v0
	v_div_fixup_f64 v[36:37], v[38:39], v[36:37], 1.0
	s_delay_alu instid0(VALU_DEP_1) | instskip(NEXT) | instid1(VALU_DEP_2)
	v_dual_cndmask_b32 v33, v33, v37 :: v_dual_add_nc_u32 v38, 0x80, v34
	v_dual_cndmask_b32 v32, v32, v36, vcc_lo :: v_dual_cndmask_b32 v31, v31, v37, s1
	v_dual_cndmask_b32 v30, v30, v36, s1 :: v_dual_cndmask_b32 v29, v29, v37, s2
	v_dual_cndmask_b32 v28, v28, v36, s2 :: v_dual_cndmask_b32 v27, v27, v37, s3
	;; [unrolled: 1-line block ×13, first 2 shown]
	v_xor_b32_e32 v41, 0x80000000, v37
	v_dual_mov_b32 v40, v36 :: v_dual_cndmask_b32 v6, v6, v36, s13
	v_dual_cndmask_b32 v3, v3, v37, s15 :: v_dual_cndmask_b32 v2, v2, v36, s15
	ds_store_2addr_b64 v34, v[40:41], v[4:5] offset1:16
	s_wait_storecnt_dscnt 0x0
	s_barrier_signal -1
	s_barrier_wait -1
	s_and_saveexec_b32 s1, s0
	s_cbranch_execz .LBB15_19
; %bb.18:
	ds_load_b64 v[4:5], v38
	v_mov_b32_e32 v34, 0
	ds_load_b64 v[34:35], v34 offset:8
	s_wait_dscnt 0x1
	v_fma_f64 v[4:5], v[36:37], v[4:5], 0
	s_wait_dscnt 0x0
	s_delay_alu instid0(VALU_DEP_1)
	v_mul_f64_e32 v[4:5], v[4:5], v[34:35]
.LBB15_19:
	s_or_b32 exec_lo, exec_lo, s1
	v_cmp_gt_u32_e32 vcc_lo, 2, v0
	s_barrier_signal -1
	s_barrier_wait -1
	ds_store_b64 v38, v[6:7]
	s_wait_dscnt 0x0
	s_barrier_signal -1
	s_barrier_wait -1
	s_and_saveexec_b32 s3, vcc_lo
	s_cbranch_execz .LBB15_23
; %bb.20:
	v_cmp_eq_u32_e64 s1, 1, v0
	v_cmp_eq_u32_e64 s2, 13, v0
	s_delay_alu instid0(VALU_DEP_2) | instskip(SKIP_1) | instid1(VALU_DEP_1)
	v_dual_cndmask_b32 v34, v3, v5, s1 :: v_dual_cndmask_b32 v35, v2, v4, s1
	v_cmp_eq_u32_e64 s1, 2, v0
	v_dual_cndmask_b32 v7, v34, v7, s1 :: v_dual_cndmask_b32 v6, v35, v6, s1
	v_cmp_eq_u32_e64 s1, 3, v0
	s_delay_alu instid0(VALU_DEP_1) | instskip(SKIP_1) | instid1(VALU_DEP_1)
	v_dual_cndmask_b32 v7, v7, v9, s1 :: v_dual_cndmask_b32 v6, v6, v8, s1
	v_cmp_eq_u32_e64 s1, 4, v0
	v_dual_cndmask_b32 v7, v7, v11, s1 :: v_dual_cndmask_b32 v6, v6, v10, s1
	v_cmp_eq_u32_e64 s1, 5, v0
	s_delay_alu instid0(VALU_DEP_1) | instskip(SKIP_1) | instid1(VALU_DEP_1)
	;; [unrolled: 5-line block ×5, first 2 shown]
	v_dual_cndmask_b32 v7, v7, v25, s1 :: v_dual_cndmask_b32 v6, v6, v24, s1
	v_cmp_eq_u32_e64 s1, 12, v0
	v_dual_cndmask_b32 v34, v7, v27, s1 :: v_dual_cndmask_b32 v35, v6, v26, s1
	ds_load_b64 v[6:7], v38
	v_cmp_eq_u32_e64 s1, 14, v0
	v_dual_cndmask_b32 v34, v34, v29, s2 :: v_dual_cndmask_b32 v35, v35, v28, s2
	s_delay_alu instid0(VALU_DEP_1) | instskip(SKIP_1) | instid1(VALU_DEP_1)
	v_dual_cndmask_b32 v34, v34, v31, s1 :: v_dual_cndmask_b32 v36, v35, v30, s1
	v_cmp_eq_u32_e64 s1, 15, v0
	v_dual_cndmask_b32 v35, v34, v33, s1 :: v_dual_cndmask_b32 v34, v36, v32, s1
	s_wait_dscnt 0x0
	s_delay_alu instid0(VALU_DEP_1)
	v_fma_f64 v[6:7], v[34:35], v[6:7], 0
	s_and_saveexec_b32 s1, s0
	s_cbranch_execz .LBB15_22
; %bb.21:
	v_mov_b32_e32 v34, 0
	ds_load_b64 v[34:35], v34 offset:136
	s_wait_dscnt 0x0
	v_fmac_f64_e32 v[6:7], v[4:5], v[34:35]
.LBB15_22:
	s_or_b32 exec_lo, exec_lo, s1
	v_mov_b32_e32 v34, 0
	ds_load_b64 v[34:35], v34 offset:16
	s_wait_dscnt 0x0
	v_mul_f64_e32 v[6:7], v[6:7], v[34:35]
.LBB15_23:
	s_or_b32 exec_lo, exec_lo, s3
	s_delay_alu instid0(SALU_CYCLE_1)
	s_mov_b32 s3, exec_lo
	s_barrier_signal -1
	s_barrier_wait -1
	ds_store_b64 v38, v[8:9]
	s_wait_dscnt 0x0
	s_barrier_signal -1
	s_barrier_wait -1
	v_cmpx_gt_u32_e32 3, v0
	s_cbranch_execz .LBB15_27
; %bb.24:
	v_mov_b64_e32 v[34:35], 0
	v_mov_b64_e32 v[36:37], v[0:1]
	v_lshl_add_u32 v39, v0, 3, 0x80
	s_mov_b32 s4, 0
.LBB15_25:                              ; =>This Inner Loop Header: Depth=1
	s_delay_alu instid0(VALU_DEP_2) | instskip(SKIP_1) | instid1(VALU_DEP_2)
	v_cmp_eq_u32_e64 s1, 1, v36
	v_cmp_eq_u32_e64 s2, 2, v36
	v_dual_cndmask_b32 v40, v3, v5, s1 :: v_dual_cndmask_b32 v41, v2, v4, s1
	v_cmp_eq_u32_e64 s1, 3, v36
	s_delay_alu instid0(VALU_DEP_2) | instskip(SKIP_1) | instid1(VALU_DEP_2)
	v_dual_cndmask_b32 v40, v40, v7, s2 :: v_dual_cndmask_b32 v41, v41, v6, s2
	v_cmp_eq_u32_e64 s2, 4, v36
	v_dual_cndmask_b32 v40, v40, v9, s1 :: v_dual_cndmask_b32 v41, v41, v8, s1
	v_cmp_eq_u32_e64 s1, 5, v36
	s_delay_alu instid0(VALU_DEP_2) | instskip(SKIP_1) | instid1(VALU_DEP_2)
	v_dual_cndmask_b32 v40, v40, v11, s2 :: v_dual_cndmask_b32 v41, v41, v10, s2
	;; [unrolled: 5-line block ×5, first 2 shown]
	v_cmp_eq_u32_e64 s2, 12, v36
	v_dual_cndmask_b32 v42, v40, v25, s1 :: v_dual_cndmask_b32 v43, v41, v24, s1
	ds_load_b64 v[40:41], v39
	v_cmp_eq_u32_e64 s1, 13, v36
	v_add_nc_u32_e32 v39, 8, v39
	v_dual_cndmask_b32 v42, v42, v27, s2 :: v_dual_cndmask_b32 v43, v43, v26, s2
	v_cmp_eq_u32_e64 s2, 14, v36
	s_delay_alu instid0(VALU_DEP_2) | instskip(SKIP_2) | instid1(VALU_DEP_3)
	v_dual_cndmask_b32 v42, v42, v29, s1 :: v_dual_cndmask_b32 v43, v43, v28, s1
	v_cmp_eq_u32_e64 s1, 15, v36
	v_add_nc_u64_e32 v[36:37], 1, v[36:37]
	v_dual_cndmask_b32 v42, v42, v31, s2 :: v_dual_cndmask_b32 v44, v43, v30, s2
	s_delay_alu instid0(VALU_DEP_1) | instskip(SKIP_1) | instid1(VALU_DEP_1)
	v_dual_cndmask_b32 v43, v42, v33, s1 :: v_dual_cndmask_b32 v42, v44, v32, s1
	s_wait_dscnt 0x0
	v_fmac_f64_e32 v[34:35], v[42:43], v[40:41]
	s_delay_alu instid0(VALU_DEP_4) | instskip(NEXT) | instid1(VALU_DEP_1)
	v_add_nc_u32_e32 v40, -1, v36
	v_cmp_lt_u32_e64 s1, 1, v40
	s_or_b32 s4, s1, s4
	s_delay_alu instid0(SALU_CYCLE_1)
	s_and_not1_b32 exec_lo, exec_lo, s4
	s_cbranch_execnz .LBB15_25
; %bb.26:
	s_or_b32 exec_lo, exec_lo, s4
	v_mov_b32_e32 v8, 0
	ds_load_b64 v[8:9], v8 offset:24
	s_wait_dscnt 0x0
	v_mul_f64_e32 v[8:9], v[34:35], v[8:9]
.LBB15_27:
	s_or_b32 exec_lo, exec_lo, s3
	v_cmp_gt_u32_e64 s1, 4, v0
	s_barrier_signal -1
	s_barrier_wait -1
	ds_store_b64 v38, v[10:11]
	s_wait_dscnt 0x0
	s_barrier_signal -1
	s_barrier_wait -1
	s_and_saveexec_b32 s4, s1
	s_cbranch_execz .LBB15_31
; %bb.28:
	v_mov_b64_e32 v[34:35], 0
	v_mov_b64_e32 v[36:37], v[0:1]
	v_lshl_add_u32 v39, v0, 3, 0x80
	s_mov_b32 s5, 0
.LBB15_29:                              ; =>This Inner Loop Header: Depth=1
	s_delay_alu instid0(VALU_DEP_2) | instskip(SKIP_1) | instid1(VALU_DEP_2)
	v_cmp_eq_u32_e64 s2, 1, v36
	v_cmp_eq_u32_e64 s3, 2, v36
	v_dual_cndmask_b32 v40, v3, v5, s2 :: v_dual_cndmask_b32 v41, v2, v4, s2
	v_cmp_eq_u32_e64 s2, 3, v36
	s_delay_alu instid0(VALU_DEP_2) | instskip(SKIP_1) | instid1(VALU_DEP_2)
	v_dual_cndmask_b32 v40, v40, v7, s3 :: v_dual_cndmask_b32 v41, v41, v6, s3
	v_cmp_eq_u32_e64 s3, 4, v36
	v_dual_cndmask_b32 v40, v40, v9, s2 :: v_dual_cndmask_b32 v41, v41, v8, s2
	v_cmp_eq_u32_e64 s2, 5, v36
	s_delay_alu instid0(VALU_DEP_2) | instskip(SKIP_1) | instid1(VALU_DEP_2)
	v_dual_cndmask_b32 v40, v40, v11, s3 :: v_dual_cndmask_b32 v41, v41, v10, s3
	;; [unrolled: 5-line block ×5, first 2 shown]
	v_cmp_eq_u32_e64 s3, 12, v36
	v_dual_cndmask_b32 v42, v40, v25, s2 :: v_dual_cndmask_b32 v43, v41, v24, s2
	ds_load_b64 v[40:41], v39
	v_cmp_eq_u32_e64 s2, 13, v36
	v_add_nc_u32_e32 v39, 8, v39
	v_dual_cndmask_b32 v42, v42, v27, s3 :: v_dual_cndmask_b32 v43, v43, v26, s3
	v_cmp_eq_u32_e64 s3, 14, v36
	s_delay_alu instid0(VALU_DEP_2) | instskip(SKIP_2) | instid1(VALU_DEP_3)
	v_dual_cndmask_b32 v42, v42, v29, s2 :: v_dual_cndmask_b32 v43, v43, v28, s2
	v_cmp_eq_u32_e64 s2, 15, v36
	v_add_nc_u64_e32 v[36:37], 1, v[36:37]
	v_dual_cndmask_b32 v42, v42, v31, s3 :: v_dual_cndmask_b32 v44, v43, v30, s3
	s_delay_alu instid0(VALU_DEP_1) | instskip(SKIP_1) | instid1(VALU_DEP_1)
	v_dual_cndmask_b32 v43, v42, v33, s2 :: v_dual_cndmask_b32 v42, v44, v32, s2
	s_wait_dscnt 0x0
	v_fmac_f64_e32 v[34:35], v[42:43], v[40:41]
	s_delay_alu instid0(VALU_DEP_4) | instskip(NEXT) | instid1(VALU_DEP_1)
	v_add_nc_u32_e32 v40, -1, v36
	v_cmp_lt_u32_e64 s2, 2, v40
	s_or_b32 s5, s2, s5
	s_delay_alu instid0(SALU_CYCLE_1)
	s_and_not1_b32 exec_lo, exec_lo, s5
	s_cbranch_execnz .LBB15_29
; %bb.30:
	s_or_b32 exec_lo, exec_lo, s5
	v_mov_b32_e32 v10, 0
	ds_load_b64 v[10:11], v10 offset:32
	s_wait_dscnt 0x0
	v_mul_f64_e32 v[10:11], v[34:35], v[10:11]
.LBB15_31:
	s_or_b32 exec_lo, exec_lo, s4
	s_delay_alu instid0(SALU_CYCLE_1)
	s_mov_b32 s4, exec_lo
	s_barrier_signal -1
	s_barrier_wait -1
	ds_store_b64 v38, v[12:13]
	s_wait_dscnt 0x0
	s_barrier_signal -1
	s_barrier_wait -1
	v_cmpx_gt_u32_e32 5, v0
	s_cbranch_execz .LBB15_35
; %bb.32:
	v_mov_b64_e32 v[34:35], 0
	v_mov_b64_e32 v[36:37], v[0:1]
	v_lshl_add_u32 v39, v0, 3, 0x80
	s_mov_b32 s5, 0
.LBB15_33:                              ; =>This Inner Loop Header: Depth=1
	s_delay_alu instid0(VALU_DEP_2) | instskip(SKIP_1) | instid1(VALU_DEP_2)
	v_cmp_eq_u32_e64 s2, 1, v36
	v_cmp_eq_u32_e64 s3, 2, v36
	v_dual_cndmask_b32 v40, v3, v5, s2 :: v_dual_cndmask_b32 v41, v2, v4, s2
	v_cmp_eq_u32_e64 s2, 3, v36
	s_delay_alu instid0(VALU_DEP_2) | instskip(SKIP_1) | instid1(VALU_DEP_2)
	v_dual_cndmask_b32 v40, v40, v7, s3 :: v_dual_cndmask_b32 v41, v41, v6, s3
	v_cmp_eq_u32_e64 s3, 4, v36
	v_dual_cndmask_b32 v40, v40, v9, s2 :: v_dual_cndmask_b32 v41, v41, v8, s2
	v_cmp_eq_u32_e64 s2, 5, v36
	s_delay_alu instid0(VALU_DEP_2) | instskip(SKIP_1) | instid1(VALU_DEP_2)
	v_dual_cndmask_b32 v40, v40, v11, s3 :: v_dual_cndmask_b32 v41, v41, v10, s3
	;; [unrolled: 5-line block ×5, first 2 shown]
	v_cmp_eq_u32_e64 s3, 12, v36
	v_dual_cndmask_b32 v42, v40, v25, s2 :: v_dual_cndmask_b32 v43, v41, v24, s2
	ds_load_b64 v[40:41], v39
	v_cmp_eq_u32_e64 s2, 13, v36
	v_add_nc_u32_e32 v39, 8, v39
	v_dual_cndmask_b32 v42, v42, v27, s3 :: v_dual_cndmask_b32 v43, v43, v26, s3
	v_cmp_eq_u32_e64 s3, 14, v36
	s_delay_alu instid0(VALU_DEP_2) | instskip(SKIP_2) | instid1(VALU_DEP_3)
	v_dual_cndmask_b32 v42, v42, v29, s2 :: v_dual_cndmask_b32 v43, v43, v28, s2
	v_cmp_eq_u32_e64 s2, 15, v36
	v_add_nc_u64_e32 v[36:37], 1, v[36:37]
	v_dual_cndmask_b32 v42, v42, v31, s3 :: v_dual_cndmask_b32 v44, v43, v30, s3
	s_delay_alu instid0(VALU_DEP_1) | instskip(SKIP_1) | instid1(VALU_DEP_1)
	v_dual_cndmask_b32 v43, v42, v33, s2 :: v_dual_cndmask_b32 v42, v44, v32, s2
	s_wait_dscnt 0x0
	v_fmac_f64_e32 v[34:35], v[42:43], v[40:41]
	s_delay_alu instid0(VALU_DEP_4) | instskip(NEXT) | instid1(VALU_DEP_1)
	v_add_nc_u32_e32 v40, -1, v36
	v_cmp_lt_u32_e64 s2, 3, v40
	s_or_b32 s5, s2, s5
	s_delay_alu instid0(SALU_CYCLE_1)
	s_and_not1_b32 exec_lo, exec_lo, s5
	s_cbranch_execnz .LBB15_33
; %bb.34:
	s_or_b32 exec_lo, exec_lo, s5
	v_mov_b32_e32 v12, 0
	ds_load_b64 v[12:13], v12 offset:40
	s_wait_dscnt 0x0
	v_mul_f64_e32 v[12:13], v[34:35], v[12:13]
.LBB15_35:
	s_or_b32 exec_lo, exec_lo, s4
	v_cmp_gt_u32_e64 s2, 6, v0
	s_barrier_signal -1
	s_barrier_wait -1
	ds_store_b64 v38, v[14:15]
	s_wait_dscnt 0x0
	s_barrier_signal -1
	s_barrier_wait -1
	s_and_saveexec_b32 s5, s2
	s_cbranch_execz .LBB15_39
; %bb.36:
	v_mov_b64_e32 v[34:35], 0
	v_mov_b64_e32 v[36:37], v[0:1]
	v_lshl_add_u32 v39, v0, 3, 0x80
	s_mov_b32 s6, 0
.LBB15_37:                              ; =>This Inner Loop Header: Depth=1
	s_delay_alu instid0(VALU_DEP_2) | instskip(SKIP_1) | instid1(VALU_DEP_2)
	v_cmp_eq_u32_e64 s3, 1, v36
	v_cmp_eq_u32_e64 s4, 2, v36
	v_dual_cndmask_b32 v40, v3, v5, s3 :: v_dual_cndmask_b32 v41, v2, v4, s3
	v_cmp_eq_u32_e64 s3, 3, v36
	s_delay_alu instid0(VALU_DEP_2) | instskip(SKIP_1) | instid1(VALU_DEP_2)
	v_dual_cndmask_b32 v40, v40, v7, s4 :: v_dual_cndmask_b32 v41, v41, v6, s4
	v_cmp_eq_u32_e64 s4, 4, v36
	v_dual_cndmask_b32 v40, v40, v9, s3 :: v_dual_cndmask_b32 v41, v41, v8, s3
	v_cmp_eq_u32_e64 s3, 5, v36
	s_delay_alu instid0(VALU_DEP_2) | instskip(SKIP_1) | instid1(VALU_DEP_2)
	v_dual_cndmask_b32 v40, v40, v11, s4 :: v_dual_cndmask_b32 v41, v41, v10, s4
	;; [unrolled: 5-line block ×5, first 2 shown]
	v_cmp_eq_u32_e64 s4, 12, v36
	v_dual_cndmask_b32 v42, v40, v25, s3 :: v_dual_cndmask_b32 v43, v41, v24, s3
	ds_load_b64 v[40:41], v39
	v_cmp_eq_u32_e64 s3, 13, v36
	v_add_nc_u32_e32 v39, 8, v39
	v_dual_cndmask_b32 v42, v42, v27, s4 :: v_dual_cndmask_b32 v43, v43, v26, s4
	v_cmp_eq_u32_e64 s4, 14, v36
	s_delay_alu instid0(VALU_DEP_2) | instskip(SKIP_2) | instid1(VALU_DEP_3)
	v_dual_cndmask_b32 v42, v42, v29, s3 :: v_dual_cndmask_b32 v43, v43, v28, s3
	v_cmp_eq_u32_e64 s3, 15, v36
	v_add_nc_u64_e32 v[36:37], 1, v[36:37]
	v_dual_cndmask_b32 v42, v42, v31, s4 :: v_dual_cndmask_b32 v44, v43, v30, s4
	s_delay_alu instid0(VALU_DEP_1) | instskip(SKIP_1) | instid1(VALU_DEP_1)
	v_dual_cndmask_b32 v43, v42, v33, s3 :: v_dual_cndmask_b32 v42, v44, v32, s3
	s_wait_dscnt 0x0
	v_fmac_f64_e32 v[34:35], v[42:43], v[40:41]
	s_delay_alu instid0(VALU_DEP_4) | instskip(NEXT) | instid1(VALU_DEP_1)
	v_add_nc_u32_e32 v40, -1, v36
	v_cmp_lt_u32_e64 s3, 4, v40
	s_or_b32 s6, s3, s6
	s_delay_alu instid0(SALU_CYCLE_1)
	s_and_not1_b32 exec_lo, exec_lo, s6
	s_cbranch_execnz .LBB15_37
; %bb.38:
	s_or_b32 exec_lo, exec_lo, s6
	v_mov_b32_e32 v14, 0
	ds_load_b64 v[14:15], v14 offset:48
	s_wait_dscnt 0x0
	v_mul_f64_e32 v[14:15], v[34:35], v[14:15]
.LBB15_39:
	s_or_b32 exec_lo, exec_lo, s5
	s_delay_alu instid0(SALU_CYCLE_1)
	s_mov_b32 s5, exec_lo
	s_barrier_signal -1
	s_barrier_wait -1
	ds_store_b64 v38, v[16:17]
	s_wait_dscnt 0x0
	s_barrier_signal -1
	s_barrier_wait -1
	v_cmpx_gt_u32_e32 7, v0
	s_cbranch_execz .LBB15_43
; %bb.40:
	v_mov_b64_e32 v[34:35], 0
	v_mov_b64_e32 v[36:37], v[0:1]
	v_lshl_add_u32 v39, v0, 3, 0x80
	s_mov_b32 s6, 0
.LBB15_41:                              ; =>This Inner Loop Header: Depth=1
	s_delay_alu instid0(VALU_DEP_2) | instskip(SKIP_1) | instid1(VALU_DEP_2)
	v_cmp_eq_u32_e64 s3, 1, v36
	v_cmp_eq_u32_e64 s4, 2, v36
	v_dual_cndmask_b32 v40, v3, v5, s3 :: v_dual_cndmask_b32 v41, v2, v4, s3
	v_cmp_eq_u32_e64 s3, 3, v36
	s_delay_alu instid0(VALU_DEP_2) | instskip(SKIP_1) | instid1(VALU_DEP_2)
	v_dual_cndmask_b32 v40, v40, v7, s4 :: v_dual_cndmask_b32 v41, v41, v6, s4
	v_cmp_eq_u32_e64 s4, 4, v36
	v_dual_cndmask_b32 v40, v40, v9, s3 :: v_dual_cndmask_b32 v41, v41, v8, s3
	v_cmp_eq_u32_e64 s3, 5, v36
	s_delay_alu instid0(VALU_DEP_2) | instskip(SKIP_1) | instid1(VALU_DEP_2)
	v_dual_cndmask_b32 v40, v40, v11, s4 :: v_dual_cndmask_b32 v41, v41, v10, s4
	v_cmp_eq_u32_e64 s4, 6, v36
	v_dual_cndmask_b32 v40, v40, v13, s3 :: v_dual_cndmask_b32 v41, v41, v12, s3
	v_cmp_eq_u32_e64 s3, 7, v36
	s_delay_alu instid0(VALU_DEP_2) | instskip(SKIP_1) | instid1(VALU_DEP_2)
	v_dual_cndmask_b32 v40, v40, v15, s4 :: v_dual_cndmask_b32 v41, v41, v14, s4
	v_cmp_eq_u32_e64 s4, 8, v36
	v_dual_cndmask_b32 v40, v40, v17, s3 :: v_dual_cndmask_b32 v41, v41, v16, s3
	v_cmp_eq_u32_e64 s3, 9, v36
	s_delay_alu instid0(VALU_DEP_2) | instskip(SKIP_1) | instid1(VALU_DEP_2)
	v_dual_cndmask_b32 v40, v40, v19, s4 :: v_dual_cndmask_b32 v41, v41, v18, s4
	v_cmp_eq_u32_e64 s4, 10, v36
	v_dual_cndmask_b32 v40, v40, v21, s3 :: v_dual_cndmask_b32 v41, v41, v20, s3
	v_cmp_eq_u32_e64 s3, 11, v36
	s_delay_alu instid0(VALU_DEP_2) | instskip(SKIP_1) | instid1(VALU_DEP_2)
	v_dual_cndmask_b32 v40, v40, v23, s4 :: v_dual_cndmask_b32 v41, v41, v22, s4
	v_cmp_eq_u32_e64 s4, 12, v36
	v_dual_cndmask_b32 v42, v40, v25, s3 :: v_dual_cndmask_b32 v43, v41, v24, s3
	ds_load_b64 v[40:41], v39
	v_cmp_eq_u32_e64 s3, 13, v36
	v_add_nc_u32_e32 v39, 8, v39
	v_dual_cndmask_b32 v42, v42, v27, s4 :: v_dual_cndmask_b32 v43, v43, v26, s4
	v_cmp_eq_u32_e64 s4, 14, v36
	s_delay_alu instid0(VALU_DEP_2) | instskip(SKIP_2) | instid1(VALU_DEP_3)
	v_dual_cndmask_b32 v42, v42, v29, s3 :: v_dual_cndmask_b32 v43, v43, v28, s3
	v_cmp_eq_u32_e64 s3, 15, v36
	v_add_nc_u64_e32 v[36:37], 1, v[36:37]
	v_dual_cndmask_b32 v42, v42, v31, s4 :: v_dual_cndmask_b32 v44, v43, v30, s4
	s_delay_alu instid0(VALU_DEP_1) | instskip(SKIP_1) | instid1(VALU_DEP_1)
	v_dual_cndmask_b32 v43, v42, v33, s3 :: v_dual_cndmask_b32 v42, v44, v32, s3
	s_wait_dscnt 0x0
	v_fmac_f64_e32 v[34:35], v[42:43], v[40:41]
	s_delay_alu instid0(VALU_DEP_4) | instskip(NEXT) | instid1(VALU_DEP_1)
	v_add_nc_u32_e32 v40, -1, v36
	v_cmp_lt_u32_e64 s3, 5, v40
	s_or_b32 s6, s3, s6
	s_delay_alu instid0(SALU_CYCLE_1)
	s_and_not1_b32 exec_lo, exec_lo, s6
	s_cbranch_execnz .LBB15_41
; %bb.42:
	s_or_b32 exec_lo, exec_lo, s6
	v_mov_b32_e32 v16, 0
	ds_load_b64 v[16:17], v16 offset:56
	s_wait_dscnt 0x0
	v_mul_f64_e32 v[16:17], v[34:35], v[16:17]
.LBB15_43:
	s_or_b32 exec_lo, exec_lo, s5
	s_delay_alu instid0(SALU_CYCLE_1)
	s_mov_b32 s5, exec_lo
	s_barrier_signal -1
	s_barrier_wait -1
	ds_store_b64 v38, v[18:19]
	s_wait_dscnt 0x0
	s_barrier_signal -1
	s_barrier_wait -1
	v_cmpx_gt_u32_e32 8, v0
	s_cbranch_execz .LBB15_59
; %bb.44:
	v_cmp_eq_u32_e64 s3, 1, v0
	v_cmp_eq_u32_e64 s4, 13, v0
	s_mov_b32 s6, exec_lo
	v_dual_cndmask_b32 v34, v3, v5, s3 :: v_dual_cndmask_b32 v35, v2, v4, s3
	v_cmp_eq_u32_e64 s3, 2, v0
	s_delay_alu instid0(VALU_DEP_1) | instskip(SKIP_1) | instid1(VALU_DEP_1)
	v_dual_cndmask_b32 v34, v34, v7, s3 :: v_dual_cndmask_b32 v35, v35, v6, s3
	v_cmp_eq_u32_e64 s3, 3, v0
	v_dual_cndmask_b32 v34, v34, v9, s3 :: v_dual_cndmask_b32 v35, v35, v8, s3
	v_cmp_eq_u32_e64 s3, 4, v0
	s_delay_alu instid0(VALU_DEP_1) | instskip(SKIP_1) | instid1(VALU_DEP_1)
	v_dual_cndmask_b32 v34, v34, v11, s3 :: v_dual_cndmask_b32 v35, v35, v10, s3
	v_cmp_eq_u32_e64 s3, 5, v0
	;; [unrolled: 5-line block ×5, first 2 shown]
	v_dual_cndmask_b32 v34, v34, v25, s3 :: v_dual_cndmask_b32 v35, v35, v24, s3
	v_cmp_eq_u32_e64 s3, 12, v0
	s_delay_alu instid0(VALU_DEP_1) | instskip(SKIP_3) | instid1(VALU_DEP_1)
	v_dual_cndmask_b32 v36, v34, v27, s3 :: v_dual_cndmask_b32 v37, v35, v26, s3
	ds_load_b64 v[34:35], v38
	v_cmp_eq_u32_e64 s3, 14, v0
	v_dual_cndmask_b32 v36, v36, v29, s4 :: v_dual_cndmask_b32 v37, v37, v28, s4
	v_dual_cndmask_b32 v36, v36, v31, s3 :: v_dual_cndmask_b32 v39, v37, v30, s3
	v_cmp_eq_u32_e64 s3, 15, v0
	s_delay_alu instid0(VALU_DEP_1) | instskip(SKIP_1) | instid1(VALU_DEP_1)
	v_dual_cndmask_b32 v37, v36, v33, s3 :: v_dual_cndmask_b32 v36, v39, v32, s3
	s_wait_dscnt 0x0
	v_fma_f64 v[34:35], v[36:37], v[34:35], 0
	v_cmpx_ne_u32_e32 7, v0
	s_cbranch_execz .LBB15_58
; %bb.45:
	v_add_nc_u32_e32 v39, 1, v0
	s_delay_alu instid0(VALU_DEP_1) | instskip(NEXT) | instid1(VALU_DEP_1)
	v_cmp_eq_u32_e64 s3, 1, v39
	v_dual_cndmask_b32 v36, v3, v5, s3 :: v_dual_cndmask_b32 v37, v2, v4, s3
	v_cmp_eq_u32_e64 s3, 2, v39
	v_cmp_eq_u32_e64 s4, 13, v39
	s_delay_alu instid0(VALU_DEP_2) | instskip(SKIP_1) | instid1(VALU_DEP_1)
	v_dual_cndmask_b32 v36, v36, v7, s3 :: v_dual_cndmask_b32 v37, v37, v6, s3
	v_cmp_eq_u32_e64 s3, 3, v39
	v_dual_cndmask_b32 v36, v36, v9, s3 :: v_dual_cndmask_b32 v37, v37, v8, s3
	v_cmp_eq_u32_e64 s3, 4, v39
	s_delay_alu instid0(VALU_DEP_1) | instskip(SKIP_1) | instid1(VALU_DEP_1)
	v_dual_cndmask_b32 v36, v36, v11, s3 :: v_dual_cndmask_b32 v37, v37, v10, s3
	v_cmp_eq_u32_e64 s3, 5, v39
	v_dual_cndmask_b32 v36, v36, v13, s3 :: v_dual_cndmask_b32 v37, v37, v12, s3
	v_cmp_eq_u32_e64 s3, 6, v39
	s_delay_alu instid0(VALU_DEP_1) | instskip(SKIP_1) | instid1(VALU_DEP_1)
	;; [unrolled: 5-line block ×4, first 2 shown]
	v_dual_cndmask_b32 v36, v36, v23, s3 :: v_dual_cndmask_b32 v37, v37, v22, s3
	v_cmp_eq_u32_e64 s3, 11, v39
	v_dual_cndmask_b32 v36, v36, v25, s3 :: v_dual_cndmask_b32 v37, v37, v24, s3
	v_cmp_eq_u32_e64 s3, 12, v39
	s_delay_alu instid0(VALU_DEP_1) | instskip(SKIP_3) | instid1(VALU_DEP_1)
	v_dual_cndmask_b32 v40, v36, v27, s3 :: v_dual_cndmask_b32 v41, v37, v26, s3
	ds_load_b64 v[36:37], v38 offset:8
	v_cmp_eq_u32_e64 s3, 14, v39
	v_dual_cndmask_b32 v40, v40, v29, s4 :: v_dual_cndmask_b32 v41, v41, v28, s4
	v_dual_cndmask_b32 v40, v40, v31, s3 :: v_dual_cndmask_b32 v42, v41, v30, s3
	v_cmp_eq_u32_e64 s3, 15, v39
	s_delay_alu instid0(VALU_DEP_1) | instskip(SKIP_1) | instid1(VALU_DEP_1)
	v_dual_cndmask_b32 v41, v40, v33, s3 :: v_dual_cndmask_b32 v40, v42, v32, s3
	s_wait_dscnt 0x0
	v_fmac_f64_e32 v[34:35], v[40:41], v[36:37]
	s_and_saveexec_b32 s4, s2
	s_cbranch_execz .LBB15_57
; %bb.46:
	v_add_nc_u32_e32 v39, 2, v0
	s_mov_b32 s7, exec_lo
	s_delay_alu instid0(VALU_DEP_1) | instskip(NEXT) | instid1(VALU_DEP_1)
	v_cmp_eq_u32_e64 s2, 1, v39
	v_dual_cndmask_b32 v36, v3, v5, s2 :: v_dual_cndmask_b32 v37, v2, v4, s2
	v_cmp_eq_u32_e64 s2, 2, v39
	v_cmp_eq_u32_e64 s3, 13, v39
	s_delay_alu instid0(VALU_DEP_2) | instskip(SKIP_1) | instid1(VALU_DEP_1)
	v_dual_cndmask_b32 v36, v36, v7, s2 :: v_dual_cndmask_b32 v37, v37, v6, s2
	v_cmp_eq_u32_e64 s2, 3, v39
	v_dual_cndmask_b32 v36, v36, v9, s2 :: v_dual_cndmask_b32 v37, v37, v8, s2
	v_cmp_eq_u32_e64 s2, 4, v39
	s_delay_alu instid0(VALU_DEP_1) | instskip(SKIP_1) | instid1(VALU_DEP_1)
	v_dual_cndmask_b32 v36, v36, v11, s2 :: v_dual_cndmask_b32 v37, v37, v10, s2
	v_cmp_eq_u32_e64 s2, 5, v39
	v_dual_cndmask_b32 v36, v36, v13, s2 :: v_dual_cndmask_b32 v37, v37, v12, s2
	v_cmp_eq_u32_e64 s2, 6, v39
	s_delay_alu instid0(VALU_DEP_1) | instskip(SKIP_1) | instid1(VALU_DEP_1)
	;; [unrolled: 5-line block ×4, first 2 shown]
	v_dual_cndmask_b32 v36, v36, v23, s2 :: v_dual_cndmask_b32 v37, v37, v22, s2
	v_cmp_eq_u32_e64 s2, 11, v39
	v_dual_cndmask_b32 v36, v36, v25, s2 :: v_dual_cndmask_b32 v37, v37, v24, s2
	v_cmp_eq_u32_e64 s2, 12, v39
	s_delay_alu instid0(VALU_DEP_1) | instskip(SKIP_3) | instid1(VALU_DEP_1)
	v_dual_cndmask_b32 v40, v36, v27, s2 :: v_dual_cndmask_b32 v41, v37, v26, s2
	ds_load_b64 v[36:37], v38 offset:16
	v_cmp_eq_u32_e64 s2, 14, v39
	v_dual_cndmask_b32 v40, v40, v29, s3 :: v_dual_cndmask_b32 v41, v41, v28, s3
	v_dual_cndmask_b32 v40, v40, v31, s2 :: v_dual_cndmask_b32 v42, v41, v30, s2
	v_cmp_eq_u32_e64 s2, 15, v39
	s_delay_alu instid0(VALU_DEP_1) | instskip(SKIP_1) | instid1(VALU_DEP_1)
	v_dual_cndmask_b32 v41, v40, v33, s2 :: v_dual_cndmask_b32 v40, v42, v32, s2
	s_wait_dscnt 0x0
	v_fmac_f64_e32 v[34:35], v[40:41], v[36:37]
	v_cmpx_ne_u32_e32 5, v0
	s_cbranch_execz .LBB15_56
; %bb.47:
	v_add_nc_u32_e32 v39, 3, v0
	s_delay_alu instid0(VALU_DEP_1) | instskip(NEXT) | instid1(VALU_DEP_1)
	v_cmp_eq_u32_e64 s2, 1, v39
	v_dual_cndmask_b32 v36, v3, v5, s2 :: v_dual_cndmask_b32 v37, v2, v4, s2
	v_cmp_eq_u32_e64 s2, 2, v39
	v_cmp_eq_u32_e64 s3, 13, v39
	s_delay_alu instid0(VALU_DEP_2) | instskip(SKIP_1) | instid1(VALU_DEP_1)
	v_dual_cndmask_b32 v36, v36, v7, s2 :: v_dual_cndmask_b32 v37, v37, v6, s2
	v_cmp_eq_u32_e64 s2, 3, v39
	v_dual_cndmask_b32 v36, v36, v9, s2 :: v_dual_cndmask_b32 v37, v37, v8, s2
	v_cmp_eq_u32_e64 s2, 4, v39
	s_delay_alu instid0(VALU_DEP_1) | instskip(SKIP_1) | instid1(VALU_DEP_1)
	v_dual_cndmask_b32 v36, v36, v11, s2 :: v_dual_cndmask_b32 v37, v37, v10, s2
	v_cmp_eq_u32_e64 s2, 5, v39
	v_dual_cndmask_b32 v36, v36, v13, s2 :: v_dual_cndmask_b32 v37, v37, v12, s2
	v_cmp_eq_u32_e64 s2, 6, v39
	s_delay_alu instid0(VALU_DEP_1) | instskip(SKIP_1) | instid1(VALU_DEP_1)
	;; [unrolled: 5-line block ×4, first 2 shown]
	v_dual_cndmask_b32 v36, v36, v23, s2 :: v_dual_cndmask_b32 v37, v37, v22, s2
	v_cmp_eq_u32_e64 s2, 11, v39
	v_dual_cndmask_b32 v36, v36, v25, s2 :: v_dual_cndmask_b32 v37, v37, v24, s2
	v_cmp_eq_u32_e64 s2, 12, v39
	s_delay_alu instid0(VALU_DEP_1) | instskip(SKIP_3) | instid1(VALU_DEP_1)
	v_dual_cndmask_b32 v40, v36, v27, s2 :: v_dual_cndmask_b32 v41, v37, v26, s2
	ds_load_b64 v[36:37], v38 offset:24
	v_cmp_eq_u32_e64 s2, 14, v39
	v_dual_cndmask_b32 v40, v40, v29, s3 :: v_dual_cndmask_b32 v41, v41, v28, s3
	v_dual_cndmask_b32 v40, v40, v31, s2 :: v_dual_cndmask_b32 v42, v41, v30, s2
	v_cmp_eq_u32_e64 s2, 15, v39
	s_delay_alu instid0(VALU_DEP_1) | instskip(SKIP_1) | instid1(VALU_DEP_1)
	v_dual_cndmask_b32 v41, v40, v33, s2 :: v_dual_cndmask_b32 v40, v42, v32, s2
	s_wait_dscnt 0x0
	v_fmac_f64_e32 v[34:35], v[40:41], v[36:37]
	s_and_saveexec_b32 s3, s1
	s_cbranch_execz .LBB15_55
; %bb.48:
	v_or_b32_e32 v39, 4, v0
	s_mov_b32 s8, exec_lo
	s_delay_alu instid0(VALU_DEP_1) | instskip(NEXT) | instid1(VALU_DEP_1)
	v_cmp_eq_u32_e64 s1, 1, v39
	v_dual_cndmask_b32 v36, v3, v5, s1 :: v_dual_cndmask_b32 v37, v2, v4, s1
	v_cmp_eq_u32_e64 s1, 2, v39
	v_cmp_eq_u32_e64 s2, 13, v39
	s_delay_alu instid0(VALU_DEP_2) | instskip(SKIP_1) | instid1(VALU_DEP_1)
	v_dual_cndmask_b32 v36, v36, v7, s1 :: v_dual_cndmask_b32 v37, v37, v6, s1
	v_cmp_eq_u32_e64 s1, 3, v39
	v_dual_cndmask_b32 v36, v36, v9, s1 :: v_dual_cndmask_b32 v37, v37, v8, s1
	v_cmp_eq_u32_e64 s1, 4, v39
	s_delay_alu instid0(VALU_DEP_1) | instskip(SKIP_1) | instid1(VALU_DEP_1)
	v_dual_cndmask_b32 v36, v36, v11, s1 :: v_dual_cndmask_b32 v37, v37, v10, s1
	v_cmp_eq_u32_e64 s1, 5, v39
	v_dual_cndmask_b32 v36, v36, v13, s1 :: v_dual_cndmask_b32 v37, v37, v12, s1
	v_cmp_eq_u32_e64 s1, 6, v39
	s_delay_alu instid0(VALU_DEP_1) | instskip(SKIP_1) | instid1(VALU_DEP_1)
	;; [unrolled: 5-line block ×4, first 2 shown]
	v_dual_cndmask_b32 v36, v36, v23, s1 :: v_dual_cndmask_b32 v37, v37, v22, s1
	v_cmp_eq_u32_e64 s1, 11, v39
	v_dual_cndmask_b32 v36, v36, v25, s1 :: v_dual_cndmask_b32 v37, v37, v24, s1
	v_cmp_eq_u32_e64 s1, 12, v39
	s_delay_alu instid0(VALU_DEP_1) | instskip(SKIP_3) | instid1(VALU_DEP_1)
	v_dual_cndmask_b32 v40, v36, v27, s1 :: v_dual_cndmask_b32 v41, v37, v26, s1
	ds_load_b64 v[36:37], v38 offset:32
	v_cmp_eq_u32_e64 s1, 14, v39
	v_dual_cndmask_b32 v40, v40, v29, s2 :: v_dual_cndmask_b32 v41, v41, v28, s2
	v_dual_cndmask_b32 v40, v40, v31, s1 :: v_dual_cndmask_b32 v42, v41, v30, s1
	v_cmp_eq_u32_e64 s1, 15, v39
	s_delay_alu instid0(VALU_DEP_1) | instskip(SKIP_1) | instid1(VALU_DEP_1)
	v_dual_cndmask_b32 v41, v40, v33, s1 :: v_dual_cndmask_b32 v40, v42, v32, s1
	s_wait_dscnt 0x0
	v_fmac_f64_e32 v[34:35], v[40:41], v[36:37]
	v_cmpx_ne_u32_e32 3, v0
	s_cbranch_execz .LBB15_54
; %bb.49:
	v_add_nc_u32_e32 v39, 5, v0
	s_delay_alu instid0(VALU_DEP_1) | instskip(NEXT) | instid1(VALU_DEP_1)
	v_cmp_eq_u32_e64 s1, 1, v39
	v_dual_cndmask_b32 v36, v3, v5, s1 :: v_dual_cndmask_b32 v37, v2, v4, s1
	v_cmp_eq_u32_e64 s1, 2, v39
	v_cmp_eq_u32_e64 s2, 13, v39
	s_delay_alu instid0(VALU_DEP_2) | instskip(SKIP_1) | instid1(VALU_DEP_1)
	v_dual_cndmask_b32 v36, v36, v7, s1 :: v_dual_cndmask_b32 v37, v37, v6, s1
	v_cmp_eq_u32_e64 s1, 3, v39
	v_dual_cndmask_b32 v36, v36, v9, s1 :: v_dual_cndmask_b32 v37, v37, v8, s1
	v_cmp_eq_u32_e64 s1, 4, v39
	s_delay_alu instid0(VALU_DEP_1) | instskip(SKIP_1) | instid1(VALU_DEP_1)
	v_dual_cndmask_b32 v36, v36, v11, s1 :: v_dual_cndmask_b32 v37, v37, v10, s1
	v_cmp_eq_u32_e64 s1, 5, v39
	v_dual_cndmask_b32 v36, v36, v13, s1 :: v_dual_cndmask_b32 v37, v37, v12, s1
	v_cmp_eq_u32_e64 s1, 6, v39
	s_delay_alu instid0(VALU_DEP_1) | instskip(SKIP_1) | instid1(VALU_DEP_1)
	;; [unrolled: 5-line block ×4, first 2 shown]
	v_dual_cndmask_b32 v36, v36, v23, s1 :: v_dual_cndmask_b32 v37, v37, v22, s1
	v_cmp_eq_u32_e64 s1, 11, v39
	v_dual_cndmask_b32 v36, v36, v25, s1 :: v_dual_cndmask_b32 v37, v37, v24, s1
	v_cmp_eq_u32_e64 s1, 12, v39
	s_delay_alu instid0(VALU_DEP_1) | instskip(SKIP_3) | instid1(VALU_DEP_1)
	v_dual_cndmask_b32 v40, v36, v27, s1 :: v_dual_cndmask_b32 v41, v37, v26, s1
	ds_load_b64 v[36:37], v38 offset:40
	v_cmp_eq_u32_e64 s1, 14, v39
	v_dual_cndmask_b32 v40, v40, v29, s2 :: v_dual_cndmask_b32 v41, v41, v28, s2
	v_dual_cndmask_b32 v40, v40, v31, s1 :: v_dual_cndmask_b32 v42, v41, v30, s1
	v_cmp_eq_u32_e64 s1, 15, v39
	s_delay_alu instid0(VALU_DEP_1) | instskip(SKIP_1) | instid1(VALU_DEP_1)
	v_dual_cndmask_b32 v41, v40, v33, s1 :: v_dual_cndmask_b32 v40, v42, v32, s1
	s_wait_dscnt 0x0
	v_fmac_f64_e32 v[34:35], v[40:41], v[36:37]
	s_and_saveexec_b32 s2, vcc_lo
	s_cbranch_execz .LBB15_53
; %bb.50:
	v_or_b32_e32 v36, 6, v0
	s_delay_alu instid0(VALU_DEP_1) | instskip(SKIP_3) | instid1(VALU_DEP_3)
	v_cmp_eq_u32_e32 vcc_lo, 1, v36
	v_dual_cndmask_b32 v37, v3, v5, vcc_lo :: v_dual_cndmask_b32 v39, v2, v4, vcc_lo
	v_cmp_eq_u32_e32 vcc_lo, 2, v36
	v_cmp_eq_u32_e64 s1, 13, v36
	v_dual_cndmask_b32 v37, v37, v7, vcc_lo :: v_dual_cndmask_b32 v39, v39, v6, vcc_lo
	v_cmp_eq_u32_e32 vcc_lo, 3, v36
	s_delay_alu instid0(VALU_DEP_2) | instskip(SKIP_1) | instid1(VALU_DEP_2)
	v_dual_cndmask_b32 v37, v37, v9, vcc_lo :: v_dual_cndmask_b32 v39, v39, v8, vcc_lo
	v_cmp_eq_u32_e32 vcc_lo, 4, v36
	v_dual_cndmask_b32 v37, v37, v11, vcc_lo :: v_dual_cndmask_b32 v39, v39, v10, vcc_lo
	v_cmp_eq_u32_e32 vcc_lo, 5, v36
	s_delay_alu instid0(VALU_DEP_2) | instskip(SKIP_1) | instid1(VALU_DEP_2)
	v_dual_cndmask_b32 v37, v37, v13, vcc_lo :: v_dual_cndmask_b32 v39, v39, v12, vcc_lo
	v_cmp_eq_u32_e32 vcc_lo, 6, v36
	;; [unrolled: 5-line block ×3, first 2 shown]
	v_dual_cndmask_b32 v19, v37, v19 :: v_dual_cndmask_b32 v18, v39, v18
	v_cmp_eq_u32_e32 vcc_lo, 9, v36
	s_delay_alu instid0(VALU_DEP_2) | instskip(SKIP_1) | instid1(VALU_DEP_2)
	v_dual_cndmask_b32 v19, v19, v21 :: v_dual_cndmask_b32 v18, v18, v20
	v_cmp_eq_u32_e32 vcc_lo, 10, v36
	v_dual_cndmask_b32 v19, v19, v23 :: v_dual_cndmask_b32 v18, v18, v22
	v_cmp_eq_u32_e32 vcc_lo, 11, v36
	s_delay_alu instid0(VALU_DEP_2) | instskip(SKIP_1) | instid1(VALU_DEP_2)
	v_dual_cndmask_b32 v19, v19, v25 :: v_dual_cndmask_b32 v18, v18, v24
	v_cmp_eq_u32_e32 vcc_lo, 12, v36
	v_dual_cndmask_b32 v37, v19, v27, vcc_lo :: v_dual_cndmask_b32 v39, v18, v26, vcc_lo
	ds_load_b64 v[18:19], v38 offset:48
	v_cmp_eq_u32_e32 vcc_lo, 14, v36
	v_dual_cndmask_b32 v37, v37, v29, s1 :: v_dual_cndmask_b32 v39, v39, v28, s1
	s_delay_alu instid0(VALU_DEP_1) | instskip(SKIP_1) | instid1(VALU_DEP_2)
	v_dual_cndmask_b32 v37, v37, v31, vcc_lo :: v_dual_cndmask_b32 v39, v39, v30, vcc_lo
	v_cmp_eq_u32_e32 vcc_lo, 15, v36
	v_dual_cndmask_b32 v37, v37, v33 :: v_dual_cndmask_b32 v36, v39, v32
	s_wait_dscnt 0x0
	s_delay_alu instid0(VALU_DEP_1)
	v_fmac_f64_e32 v[34:35], v[36:37], v[18:19]
	s_and_saveexec_b32 s1, s0
	s_cbranch_execz .LBB15_52
; %bb.51:
	ds_load_b64 v[18:19], v38 offset:56
	s_wait_dscnt 0x0
	v_fmac_f64_e32 v[34:35], v[16:17], v[18:19]
.LBB15_52:
	s_or_b32 exec_lo, exec_lo, s1
.LBB15_53:
	s_delay_alu instid0(SALU_CYCLE_1)
	s_or_b32 exec_lo, exec_lo, s2
.LBB15_54:
	s_delay_alu instid0(SALU_CYCLE_1)
	s_or_b32 exec_lo, exec_lo, s8
.LBB15_55:
	s_delay_alu instid0(SALU_CYCLE_1)
	s_or_b32 exec_lo, exec_lo, s3
.LBB15_56:
	s_delay_alu instid0(SALU_CYCLE_1)
	s_or_b32 exec_lo, exec_lo, s7
.LBB15_57:
	s_delay_alu instid0(SALU_CYCLE_1)
	s_or_b32 exec_lo, exec_lo, s4
.LBB15_58:
	s_delay_alu instid0(SALU_CYCLE_1)
	s_or_b32 exec_lo, exec_lo, s6
	v_mov_b32_e32 v18, 0
	ds_load_b64 v[18:19], v18 offset:64
	s_wait_dscnt 0x0
	v_mul_f64_e32 v[18:19], v[34:35], v[18:19]
.LBB15_59:
	s_or_b32 exec_lo, exec_lo, s5
	s_delay_alu instid0(SALU_CYCLE_1)
	s_mov_b32 s1, exec_lo
	s_barrier_signal -1
	s_barrier_wait -1
	ds_store_b64 v38, v[20:21]
	s_wait_dscnt 0x0
	s_barrier_signal -1
	s_barrier_wait -1
	v_cmpx_gt_u32_e32 9, v0
	s_cbranch_execz .LBB15_63
; %bb.60:
	v_mov_b64_e32 v[34:35], 0
	v_mov_b64_e32 v[36:37], v[0:1]
	v_lshl_add_u32 v39, v0, 3, 0x80
	s_mov_b32 s2, 0
.LBB15_61:                              ; =>This Inner Loop Header: Depth=1
	s_delay_alu instid0(VALU_DEP_2) | instskip(SKIP_3) | instid1(VALU_DEP_2)
	v_cmp_eq_u32_e32 vcc_lo, 1, v36
	v_cmp_eq_u32_e64 s0, 2, v36
	v_dual_cndmask_b32 v40, v3, v5 :: v_dual_cndmask_b32 v41, v2, v4
	v_cmp_eq_u32_e32 vcc_lo, 3, v36
	v_dual_cndmask_b32 v40, v40, v7, s0 :: v_dual_cndmask_b32 v41, v41, v6, s0
	v_cmp_eq_u32_e64 s0, 4, v36
	s_delay_alu instid0(VALU_DEP_2) | instskip(SKIP_1) | instid1(VALU_DEP_2)
	v_dual_cndmask_b32 v40, v40, v9 :: v_dual_cndmask_b32 v41, v41, v8
	v_cmp_eq_u32_e32 vcc_lo, 5, v36
	v_dual_cndmask_b32 v40, v40, v11, s0 :: v_dual_cndmask_b32 v41, v41, v10, s0
	v_cmp_eq_u32_e64 s0, 6, v36
	s_delay_alu instid0(VALU_DEP_2) | instskip(SKIP_1) | instid1(VALU_DEP_2)
	;; [unrolled: 5-line block ×4, first 2 shown]
	v_dual_cndmask_b32 v40, v40, v21 :: v_dual_cndmask_b32 v41, v41, v20
	v_cmp_eq_u32_e32 vcc_lo, 11, v36
	v_dual_cndmask_b32 v40, v40, v23, s0 :: v_dual_cndmask_b32 v41, v41, v22, s0
	v_cmp_eq_u32_e64 s0, 12, v36
	s_delay_alu instid0(VALU_DEP_2)
	v_dual_cndmask_b32 v42, v40, v25 :: v_dual_cndmask_b32 v43, v41, v24
	ds_load_b64 v[40:41], v39
	v_cmp_eq_u32_e32 vcc_lo, 13, v36
	v_add_nc_u32_e32 v39, 8, v39
	v_dual_cndmask_b32 v42, v42, v27, s0 :: v_dual_cndmask_b32 v43, v43, v26, s0
	v_cmp_eq_u32_e64 s0, 14, v36
	s_delay_alu instid0(VALU_DEP_2) | instskip(SKIP_2) | instid1(VALU_DEP_3)
	v_dual_cndmask_b32 v42, v42, v29 :: v_dual_cndmask_b32 v43, v43, v28
	v_cmp_eq_u32_e32 vcc_lo, 15, v36
	v_add_nc_u64_e32 v[36:37], 1, v[36:37]
	v_dual_cndmask_b32 v42, v42, v31, s0 :: v_dual_cndmask_b32 v44, v43, v30, s0
	s_delay_alu instid0(VALU_DEP_1) | instskip(SKIP_1) | instid1(VALU_DEP_1)
	v_dual_cndmask_b32 v43, v42, v33 :: v_dual_cndmask_b32 v42, v44, v32
	s_wait_dscnt 0x0
	v_fmac_f64_e32 v[34:35], v[42:43], v[40:41]
	s_delay_alu instid0(VALU_DEP_4) | instskip(NEXT) | instid1(VALU_DEP_1)
	v_add_nc_u32_e32 v40, -1, v36
	v_cmp_lt_u32_e32 vcc_lo, 7, v40
	s_or_b32 s2, vcc_lo, s2
	s_delay_alu instid0(SALU_CYCLE_1)
	s_and_not1_b32 exec_lo, exec_lo, s2
	s_cbranch_execnz .LBB15_61
; %bb.62:
	s_or_b32 exec_lo, exec_lo, s2
	v_mov_b32_e32 v20, 0
	ds_load_b64 v[20:21], v20 offset:72
	s_wait_dscnt 0x0
	v_mul_f64_e32 v[20:21], v[34:35], v[20:21]
.LBB15_63:
	s_or_b32 exec_lo, exec_lo, s1
	s_delay_alu instid0(SALU_CYCLE_1)
	s_mov_b32 s1, exec_lo
	s_barrier_signal -1
	s_barrier_wait -1
	ds_store_b64 v38, v[22:23]
	s_wait_dscnt 0x0
	s_barrier_signal -1
	s_barrier_wait -1
	v_cmpx_gt_u32_e32 10, v0
	s_cbranch_execz .LBB15_67
; %bb.64:
	v_mov_b64_e32 v[34:35], 0
	v_mov_b64_e32 v[36:37], v[0:1]
	v_lshl_add_u32 v39, v0, 3, 0x80
	s_mov_b32 s2, 0
.LBB15_65:                              ; =>This Inner Loop Header: Depth=1
	s_delay_alu instid0(VALU_DEP_2) | instskip(SKIP_3) | instid1(VALU_DEP_2)
	v_cmp_eq_u32_e32 vcc_lo, 1, v36
	v_cmp_eq_u32_e64 s0, 2, v36
	v_dual_cndmask_b32 v40, v3, v5 :: v_dual_cndmask_b32 v41, v2, v4
	v_cmp_eq_u32_e32 vcc_lo, 3, v36
	v_dual_cndmask_b32 v40, v40, v7, s0 :: v_dual_cndmask_b32 v41, v41, v6, s0
	v_cmp_eq_u32_e64 s0, 4, v36
	s_delay_alu instid0(VALU_DEP_2) | instskip(SKIP_1) | instid1(VALU_DEP_2)
	v_dual_cndmask_b32 v40, v40, v9 :: v_dual_cndmask_b32 v41, v41, v8
	v_cmp_eq_u32_e32 vcc_lo, 5, v36
	v_dual_cndmask_b32 v40, v40, v11, s0 :: v_dual_cndmask_b32 v41, v41, v10, s0
	v_cmp_eq_u32_e64 s0, 6, v36
	s_delay_alu instid0(VALU_DEP_2) | instskip(SKIP_1) | instid1(VALU_DEP_2)
	v_dual_cndmask_b32 v40, v40, v13 :: v_dual_cndmask_b32 v41, v41, v12
	v_cmp_eq_u32_e32 vcc_lo, 7, v36
	v_dual_cndmask_b32 v40, v40, v15, s0 :: v_dual_cndmask_b32 v41, v41, v14, s0
	v_cmp_eq_u32_e64 s0, 8, v36
	s_delay_alu instid0(VALU_DEP_2) | instskip(SKIP_1) | instid1(VALU_DEP_2)
	v_dual_cndmask_b32 v40, v40, v17 :: v_dual_cndmask_b32 v41, v41, v16
	v_cmp_eq_u32_e32 vcc_lo, 9, v36
	v_dual_cndmask_b32 v40, v40, v19, s0 :: v_dual_cndmask_b32 v41, v41, v18, s0
	v_cmp_eq_u32_e64 s0, 10, v36
	s_delay_alu instid0(VALU_DEP_2) | instskip(SKIP_1) | instid1(VALU_DEP_2)
	v_dual_cndmask_b32 v40, v40, v21 :: v_dual_cndmask_b32 v41, v41, v20
	v_cmp_eq_u32_e32 vcc_lo, 11, v36
	v_dual_cndmask_b32 v40, v40, v23, s0 :: v_dual_cndmask_b32 v41, v41, v22, s0
	v_cmp_eq_u32_e64 s0, 12, v36
	s_delay_alu instid0(VALU_DEP_2)
	v_dual_cndmask_b32 v42, v40, v25 :: v_dual_cndmask_b32 v43, v41, v24
	ds_load_b64 v[40:41], v39
	v_cmp_eq_u32_e32 vcc_lo, 13, v36
	v_add_nc_u32_e32 v39, 8, v39
	v_dual_cndmask_b32 v42, v42, v27, s0 :: v_dual_cndmask_b32 v43, v43, v26, s0
	v_cmp_eq_u32_e64 s0, 14, v36
	s_delay_alu instid0(VALU_DEP_2) | instskip(SKIP_2) | instid1(VALU_DEP_3)
	v_dual_cndmask_b32 v42, v42, v29 :: v_dual_cndmask_b32 v43, v43, v28
	v_cmp_eq_u32_e32 vcc_lo, 15, v36
	v_add_nc_u64_e32 v[36:37], 1, v[36:37]
	v_dual_cndmask_b32 v42, v42, v31, s0 :: v_dual_cndmask_b32 v44, v43, v30, s0
	s_delay_alu instid0(VALU_DEP_1) | instskip(SKIP_1) | instid1(VALU_DEP_1)
	v_dual_cndmask_b32 v43, v42, v33 :: v_dual_cndmask_b32 v42, v44, v32
	s_wait_dscnt 0x0
	v_fmac_f64_e32 v[34:35], v[42:43], v[40:41]
	s_delay_alu instid0(VALU_DEP_4) | instskip(NEXT) | instid1(VALU_DEP_1)
	v_add_nc_u32_e32 v40, -1, v36
	v_cmp_lt_u32_e32 vcc_lo, 8, v40
	s_or_b32 s2, vcc_lo, s2
	s_delay_alu instid0(SALU_CYCLE_1)
	s_and_not1_b32 exec_lo, exec_lo, s2
	s_cbranch_execnz .LBB15_65
; %bb.66:
	s_or_b32 exec_lo, exec_lo, s2
	v_mov_b32_e32 v22, 0
	ds_load_b64 v[22:23], v22 offset:80
	s_wait_dscnt 0x0
	v_mul_f64_e32 v[22:23], v[34:35], v[22:23]
.LBB15_67:
	s_or_b32 exec_lo, exec_lo, s1
	s_delay_alu instid0(SALU_CYCLE_1)
	s_mov_b32 s1, exec_lo
	s_barrier_signal -1
	s_barrier_wait -1
	ds_store_b64 v38, v[24:25]
	s_wait_dscnt 0x0
	s_barrier_signal -1
	s_barrier_wait -1
	v_cmpx_gt_u32_e32 11, v0
	s_cbranch_execz .LBB15_71
; %bb.68:
	v_mov_b64_e32 v[34:35], 0
	v_mov_b64_e32 v[36:37], v[0:1]
	v_lshl_add_u32 v39, v0, 3, 0x80
	s_mov_b32 s2, 0
.LBB15_69:                              ; =>This Inner Loop Header: Depth=1
	s_delay_alu instid0(VALU_DEP_2) | instskip(SKIP_3) | instid1(VALU_DEP_2)
	v_cmp_eq_u32_e32 vcc_lo, 1, v36
	v_cmp_eq_u32_e64 s0, 2, v36
	v_dual_cndmask_b32 v40, v3, v5 :: v_dual_cndmask_b32 v41, v2, v4
	v_cmp_eq_u32_e32 vcc_lo, 3, v36
	v_dual_cndmask_b32 v40, v40, v7, s0 :: v_dual_cndmask_b32 v41, v41, v6, s0
	v_cmp_eq_u32_e64 s0, 4, v36
	s_delay_alu instid0(VALU_DEP_2) | instskip(SKIP_1) | instid1(VALU_DEP_2)
	v_dual_cndmask_b32 v40, v40, v9 :: v_dual_cndmask_b32 v41, v41, v8
	v_cmp_eq_u32_e32 vcc_lo, 5, v36
	v_dual_cndmask_b32 v40, v40, v11, s0 :: v_dual_cndmask_b32 v41, v41, v10, s0
	v_cmp_eq_u32_e64 s0, 6, v36
	s_delay_alu instid0(VALU_DEP_2) | instskip(SKIP_1) | instid1(VALU_DEP_2)
	;; [unrolled: 5-line block ×4, first 2 shown]
	v_dual_cndmask_b32 v40, v40, v21 :: v_dual_cndmask_b32 v41, v41, v20
	v_cmp_eq_u32_e32 vcc_lo, 11, v36
	v_dual_cndmask_b32 v40, v40, v23, s0 :: v_dual_cndmask_b32 v41, v41, v22, s0
	v_cmp_eq_u32_e64 s0, 12, v36
	s_delay_alu instid0(VALU_DEP_2)
	v_dual_cndmask_b32 v42, v40, v25 :: v_dual_cndmask_b32 v43, v41, v24
	ds_load_b64 v[40:41], v39
	v_cmp_eq_u32_e32 vcc_lo, 13, v36
	v_add_nc_u32_e32 v39, 8, v39
	v_dual_cndmask_b32 v42, v42, v27, s0 :: v_dual_cndmask_b32 v43, v43, v26, s0
	v_cmp_eq_u32_e64 s0, 14, v36
	s_delay_alu instid0(VALU_DEP_2) | instskip(SKIP_2) | instid1(VALU_DEP_3)
	v_dual_cndmask_b32 v42, v42, v29 :: v_dual_cndmask_b32 v43, v43, v28
	v_cmp_eq_u32_e32 vcc_lo, 15, v36
	v_add_nc_u64_e32 v[36:37], 1, v[36:37]
	v_dual_cndmask_b32 v42, v42, v31, s0 :: v_dual_cndmask_b32 v44, v43, v30, s0
	s_delay_alu instid0(VALU_DEP_1) | instskip(SKIP_1) | instid1(VALU_DEP_1)
	v_dual_cndmask_b32 v43, v42, v33 :: v_dual_cndmask_b32 v42, v44, v32
	s_wait_dscnt 0x0
	v_fmac_f64_e32 v[34:35], v[42:43], v[40:41]
	s_delay_alu instid0(VALU_DEP_4) | instskip(NEXT) | instid1(VALU_DEP_1)
	v_add_nc_u32_e32 v40, -1, v36
	v_cmp_lt_u32_e32 vcc_lo, 9, v40
	s_or_b32 s2, vcc_lo, s2
	s_delay_alu instid0(SALU_CYCLE_1)
	s_and_not1_b32 exec_lo, exec_lo, s2
	s_cbranch_execnz .LBB15_69
; %bb.70:
	s_or_b32 exec_lo, exec_lo, s2
	v_mov_b32_e32 v24, 0
	ds_load_b64 v[24:25], v24 offset:88
	s_wait_dscnt 0x0
	v_mul_f64_e32 v[24:25], v[34:35], v[24:25]
.LBB15_71:
	s_or_b32 exec_lo, exec_lo, s1
	s_delay_alu instid0(SALU_CYCLE_1)
	s_mov_b32 s1, exec_lo
	s_barrier_signal -1
	s_barrier_wait -1
	ds_store_b64 v38, v[26:27]
	s_wait_dscnt 0x0
	s_barrier_signal -1
	s_barrier_wait -1
	v_cmpx_gt_u32_e32 12, v0
	s_cbranch_execz .LBB15_75
; %bb.72:
	v_mov_b64_e32 v[34:35], 0
	v_mov_b64_e32 v[36:37], v[0:1]
	v_lshl_add_u32 v39, v0, 3, 0x80
	s_mov_b32 s2, 0
.LBB15_73:                              ; =>This Inner Loop Header: Depth=1
	s_delay_alu instid0(VALU_DEP_2) | instskip(SKIP_3) | instid1(VALU_DEP_2)
	v_cmp_eq_u32_e32 vcc_lo, 1, v36
	v_cmp_eq_u32_e64 s0, 2, v36
	v_dual_cndmask_b32 v40, v3, v5 :: v_dual_cndmask_b32 v41, v2, v4
	v_cmp_eq_u32_e32 vcc_lo, 3, v36
	v_dual_cndmask_b32 v40, v40, v7, s0 :: v_dual_cndmask_b32 v41, v41, v6, s0
	v_cmp_eq_u32_e64 s0, 4, v36
	s_delay_alu instid0(VALU_DEP_2) | instskip(SKIP_1) | instid1(VALU_DEP_2)
	v_dual_cndmask_b32 v40, v40, v9 :: v_dual_cndmask_b32 v41, v41, v8
	v_cmp_eq_u32_e32 vcc_lo, 5, v36
	v_dual_cndmask_b32 v40, v40, v11, s0 :: v_dual_cndmask_b32 v41, v41, v10, s0
	v_cmp_eq_u32_e64 s0, 6, v36
	s_delay_alu instid0(VALU_DEP_2) | instskip(SKIP_1) | instid1(VALU_DEP_2)
	;; [unrolled: 5-line block ×4, first 2 shown]
	v_dual_cndmask_b32 v40, v40, v21 :: v_dual_cndmask_b32 v41, v41, v20
	v_cmp_eq_u32_e32 vcc_lo, 11, v36
	v_dual_cndmask_b32 v40, v40, v23, s0 :: v_dual_cndmask_b32 v41, v41, v22, s0
	v_cmp_eq_u32_e64 s0, 12, v36
	s_delay_alu instid0(VALU_DEP_2)
	v_dual_cndmask_b32 v42, v40, v25 :: v_dual_cndmask_b32 v43, v41, v24
	ds_load_b64 v[40:41], v39
	v_cmp_eq_u32_e32 vcc_lo, 13, v36
	v_add_nc_u32_e32 v39, 8, v39
	v_dual_cndmask_b32 v42, v42, v27, s0 :: v_dual_cndmask_b32 v43, v43, v26, s0
	v_cmp_eq_u32_e64 s0, 14, v36
	s_delay_alu instid0(VALU_DEP_2) | instskip(SKIP_2) | instid1(VALU_DEP_3)
	v_dual_cndmask_b32 v42, v42, v29 :: v_dual_cndmask_b32 v43, v43, v28
	v_cmp_eq_u32_e32 vcc_lo, 15, v36
	v_add_nc_u64_e32 v[36:37], 1, v[36:37]
	v_dual_cndmask_b32 v42, v42, v31, s0 :: v_dual_cndmask_b32 v44, v43, v30, s0
	s_delay_alu instid0(VALU_DEP_1) | instskip(SKIP_1) | instid1(VALU_DEP_1)
	v_dual_cndmask_b32 v43, v42, v33 :: v_dual_cndmask_b32 v42, v44, v32
	s_wait_dscnt 0x0
	v_fmac_f64_e32 v[34:35], v[42:43], v[40:41]
	s_delay_alu instid0(VALU_DEP_4) | instskip(NEXT) | instid1(VALU_DEP_1)
	v_add_nc_u32_e32 v40, -1, v36
	v_cmp_lt_u32_e32 vcc_lo, 10, v40
	s_or_b32 s2, vcc_lo, s2
	s_delay_alu instid0(SALU_CYCLE_1)
	s_and_not1_b32 exec_lo, exec_lo, s2
	s_cbranch_execnz .LBB15_73
; %bb.74:
	s_or_b32 exec_lo, exec_lo, s2
	v_mov_b32_e32 v26, 0
	ds_load_b64 v[26:27], v26 offset:96
	s_wait_dscnt 0x0
	v_mul_f64_e32 v[26:27], v[34:35], v[26:27]
.LBB15_75:
	s_or_b32 exec_lo, exec_lo, s1
	s_delay_alu instid0(SALU_CYCLE_1)
	s_mov_b32 s1, exec_lo
	s_barrier_signal -1
	s_barrier_wait -1
	ds_store_b64 v38, v[28:29]
	s_wait_dscnt 0x0
	s_barrier_signal -1
	s_barrier_wait -1
	v_cmpx_gt_u32_e32 13, v0
	s_cbranch_execz .LBB15_79
; %bb.76:
	v_mov_b64_e32 v[34:35], 0
	v_mov_b64_e32 v[36:37], v[0:1]
	v_lshl_add_u32 v39, v0, 3, 0x80
	s_mov_b32 s2, 0
.LBB15_77:                              ; =>This Inner Loop Header: Depth=1
	s_delay_alu instid0(VALU_DEP_2) | instskip(SKIP_3) | instid1(VALU_DEP_2)
	v_cmp_eq_u32_e32 vcc_lo, 1, v36
	v_cmp_eq_u32_e64 s0, 2, v36
	v_dual_cndmask_b32 v40, v3, v5 :: v_dual_cndmask_b32 v41, v2, v4
	v_cmp_eq_u32_e32 vcc_lo, 3, v36
	v_dual_cndmask_b32 v40, v40, v7, s0 :: v_dual_cndmask_b32 v41, v41, v6, s0
	v_cmp_eq_u32_e64 s0, 4, v36
	s_delay_alu instid0(VALU_DEP_2) | instskip(SKIP_1) | instid1(VALU_DEP_2)
	v_dual_cndmask_b32 v40, v40, v9 :: v_dual_cndmask_b32 v41, v41, v8
	v_cmp_eq_u32_e32 vcc_lo, 5, v36
	v_dual_cndmask_b32 v40, v40, v11, s0 :: v_dual_cndmask_b32 v41, v41, v10, s0
	v_cmp_eq_u32_e64 s0, 6, v36
	s_delay_alu instid0(VALU_DEP_2) | instskip(SKIP_1) | instid1(VALU_DEP_2)
	;; [unrolled: 5-line block ×4, first 2 shown]
	v_dual_cndmask_b32 v40, v40, v21 :: v_dual_cndmask_b32 v41, v41, v20
	v_cmp_eq_u32_e32 vcc_lo, 11, v36
	v_dual_cndmask_b32 v40, v40, v23, s0 :: v_dual_cndmask_b32 v41, v41, v22, s0
	v_cmp_eq_u32_e64 s0, 12, v36
	s_delay_alu instid0(VALU_DEP_2)
	v_dual_cndmask_b32 v42, v40, v25 :: v_dual_cndmask_b32 v43, v41, v24
	ds_load_b64 v[40:41], v39
	v_cmp_eq_u32_e32 vcc_lo, 13, v36
	v_add_nc_u32_e32 v39, 8, v39
	v_dual_cndmask_b32 v42, v42, v27, s0 :: v_dual_cndmask_b32 v43, v43, v26, s0
	v_cmp_eq_u32_e64 s0, 14, v36
	s_delay_alu instid0(VALU_DEP_2) | instskip(SKIP_2) | instid1(VALU_DEP_3)
	v_dual_cndmask_b32 v42, v42, v29 :: v_dual_cndmask_b32 v43, v43, v28
	v_cmp_eq_u32_e32 vcc_lo, 15, v36
	v_add_nc_u64_e32 v[36:37], 1, v[36:37]
	v_dual_cndmask_b32 v42, v42, v31, s0 :: v_dual_cndmask_b32 v44, v43, v30, s0
	s_delay_alu instid0(VALU_DEP_1) | instskip(SKIP_1) | instid1(VALU_DEP_1)
	v_dual_cndmask_b32 v43, v42, v33 :: v_dual_cndmask_b32 v42, v44, v32
	s_wait_dscnt 0x0
	v_fmac_f64_e32 v[34:35], v[42:43], v[40:41]
	s_delay_alu instid0(VALU_DEP_4) | instskip(NEXT) | instid1(VALU_DEP_1)
	v_add_nc_u32_e32 v40, -1, v36
	v_cmp_lt_u32_e32 vcc_lo, 11, v40
	s_or_b32 s2, vcc_lo, s2
	s_delay_alu instid0(SALU_CYCLE_1)
	s_and_not1_b32 exec_lo, exec_lo, s2
	s_cbranch_execnz .LBB15_77
; %bb.78:
	s_or_b32 exec_lo, exec_lo, s2
	v_mov_b32_e32 v28, 0
	ds_load_b64 v[28:29], v28 offset:104
	s_wait_dscnt 0x0
	v_mul_f64_e32 v[28:29], v[34:35], v[28:29]
.LBB15_79:
	s_or_b32 exec_lo, exec_lo, s1
	s_delay_alu instid0(SALU_CYCLE_1)
	s_mov_b32 s1, exec_lo
	s_barrier_signal -1
	s_barrier_wait -1
	ds_store_b64 v38, v[30:31]
	s_wait_dscnt 0x0
	s_barrier_signal -1
	s_barrier_wait -1
	v_cmpx_gt_u32_e32 14, v0
	s_cbranch_execz .LBB15_83
; %bb.80:
	v_mov_b64_e32 v[34:35], 0
	v_mov_b64_e32 v[36:37], v[0:1]
	v_lshl_add_u32 v39, v0, 3, 0x80
	s_mov_b32 s2, 0
.LBB15_81:                              ; =>This Inner Loop Header: Depth=1
	s_delay_alu instid0(VALU_DEP_2) | instskip(SKIP_3) | instid1(VALU_DEP_2)
	v_cmp_eq_u32_e32 vcc_lo, 1, v36
	v_cmp_eq_u32_e64 s0, 2, v36
	v_dual_cndmask_b32 v40, v3, v5 :: v_dual_cndmask_b32 v41, v2, v4
	v_cmp_eq_u32_e32 vcc_lo, 3, v36
	v_dual_cndmask_b32 v40, v40, v7, s0 :: v_dual_cndmask_b32 v41, v41, v6, s0
	v_cmp_eq_u32_e64 s0, 4, v36
	s_delay_alu instid0(VALU_DEP_2) | instskip(SKIP_1) | instid1(VALU_DEP_2)
	v_dual_cndmask_b32 v40, v40, v9 :: v_dual_cndmask_b32 v41, v41, v8
	v_cmp_eq_u32_e32 vcc_lo, 5, v36
	v_dual_cndmask_b32 v40, v40, v11, s0 :: v_dual_cndmask_b32 v41, v41, v10, s0
	v_cmp_eq_u32_e64 s0, 6, v36
	s_delay_alu instid0(VALU_DEP_2) | instskip(SKIP_1) | instid1(VALU_DEP_2)
	;; [unrolled: 5-line block ×4, first 2 shown]
	v_dual_cndmask_b32 v40, v40, v21 :: v_dual_cndmask_b32 v41, v41, v20
	v_cmp_eq_u32_e32 vcc_lo, 11, v36
	v_dual_cndmask_b32 v40, v40, v23, s0 :: v_dual_cndmask_b32 v41, v41, v22, s0
	v_cmp_eq_u32_e64 s0, 12, v36
	s_delay_alu instid0(VALU_DEP_2)
	v_dual_cndmask_b32 v42, v40, v25 :: v_dual_cndmask_b32 v43, v41, v24
	ds_load_b64 v[40:41], v39
	v_cmp_eq_u32_e32 vcc_lo, 13, v36
	v_add_nc_u32_e32 v39, 8, v39
	v_dual_cndmask_b32 v42, v42, v27, s0 :: v_dual_cndmask_b32 v43, v43, v26, s0
	v_cmp_eq_u32_e64 s0, 14, v36
	s_delay_alu instid0(VALU_DEP_2) | instskip(SKIP_2) | instid1(VALU_DEP_3)
	v_dual_cndmask_b32 v42, v42, v29 :: v_dual_cndmask_b32 v43, v43, v28
	v_cmp_eq_u32_e32 vcc_lo, 15, v36
	v_add_nc_u64_e32 v[36:37], 1, v[36:37]
	v_dual_cndmask_b32 v42, v42, v31, s0 :: v_dual_cndmask_b32 v44, v43, v30, s0
	s_delay_alu instid0(VALU_DEP_1) | instskip(SKIP_1) | instid1(VALU_DEP_1)
	v_dual_cndmask_b32 v43, v42, v33 :: v_dual_cndmask_b32 v42, v44, v32
	s_wait_dscnt 0x0
	v_fmac_f64_e32 v[34:35], v[42:43], v[40:41]
	s_delay_alu instid0(VALU_DEP_4) | instskip(NEXT) | instid1(VALU_DEP_1)
	v_add_nc_u32_e32 v40, -1, v36
	v_cmp_lt_u32_e32 vcc_lo, 12, v40
	s_or_b32 s2, vcc_lo, s2
	s_delay_alu instid0(SALU_CYCLE_1)
	s_and_not1_b32 exec_lo, exec_lo, s2
	s_cbranch_execnz .LBB15_81
; %bb.82:
	s_or_b32 exec_lo, exec_lo, s2
	v_mov_b32_e32 v30, 0
	ds_load_b64 v[30:31], v30 offset:112
	s_wait_dscnt 0x0
	v_mul_f64_e32 v[30:31], v[34:35], v[30:31]
.LBB15_83:
	s_or_b32 exec_lo, exec_lo, s1
	s_delay_alu instid0(SALU_CYCLE_1)
	s_mov_b32 s1, exec_lo
	s_barrier_signal -1
	s_barrier_wait -1
	ds_store_b64 v38, v[32:33]
	s_wait_dscnt 0x0
	s_barrier_signal -1
	s_barrier_wait -1
	v_cmpx_ne_u32_e32 15, v0
	s_cbranch_execz .LBB15_87
; %bb.84:
	v_mov_b64_e32 v[34:35], 0
	v_mov_b64_e32 v[36:37], v[0:1]
	v_lshl_add_u32 v38, v0, 3, 0x80
	s_mov_b32 s2, 0
.LBB15_85:                              ; =>This Inner Loop Header: Depth=1
	s_delay_alu instid0(VALU_DEP_2)
	v_cmp_eq_u32_e32 vcc_lo, 1, v36
	v_cmp_eq_u32_e64 s0, 2, v36
	ds_load_b64 v[40:41], v38
	v_dual_cndmask_b32 v1, v3, v5 :: v_dual_add_nc_u32 v38, 8, v38
	v_cndmask_b32_e32 v39, v2, v4, vcc_lo
	v_cmp_eq_u32_e32 vcc_lo, 3, v36
	s_delay_alu instid0(VALU_DEP_2) | instskip(SKIP_1) | instid1(VALU_DEP_2)
	v_dual_cndmask_b32 v1, v1, v7, s0 :: v_dual_cndmask_b32 v39, v39, v6, s0
	v_cmp_eq_u32_e64 s0, 4, v36
	v_dual_cndmask_b32 v1, v1, v9, vcc_lo :: v_dual_cndmask_b32 v39, v39, v8, vcc_lo
	v_cmp_eq_u32_e32 vcc_lo, 5, v36
	s_delay_alu instid0(VALU_DEP_2) | instskip(SKIP_1) | instid1(VALU_DEP_2)
	v_dual_cndmask_b32 v1, v1, v11, s0 :: v_dual_cndmask_b32 v39, v39, v10, s0
	v_cmp_eq_u32_e64 s0, 6, v36
	v_dual_cndmask_b32 v1, v1, v13, vcc_lo :: v_dual_cndmask_b32 v39, v39, v12, vcc_lo
	;; [unrolled: 5-line block ×6, first 2 shown]
	v_cmp_eq_u32_e32 vcc_lo, 15, v36
	v_add_nc_u64_e32 v[36:37], 1, v[36:37]
	s_delay_alu instid0(VALU_DEP_3) | instskip(NEXT) | instid1(VALU_DEP_1)
	v_dual_cndmask_b32 v1, v1, v31, s0 :: v_dual_cndmask_b32 v39, v39, v30, s0
	v_dual_cndmask_b32 v43, v1, v33 :: v_dual_cndmask_b32 v42, v39, v32
	s_delay_alu instid0(VALU_DEP_3) | instskip(SKIP_1) | instid1(VALU_DEP_2)
	v_add_nc_u32_e32 v1, -1, v36
	s_wait_dscnt 0x0
	v_fmac_f64_e32 v[34:35], v[42:43], v[40:41]
	s_delay_alu instid0(VALU_DEP_2) | instskip(SKIP_1) | instid1(SALU_CYCLE_1)
	v_cmp_lt_u32_e32 vcc_lo, 13, v1
	s_or_b32 s2, vcc_lo, s2
	s_and_not1_b32 exec_lo, exec_lo, s2
	s_cbranch_execnz .LBB15_85
; %bb.86:
	s_or_b32 exec_lo, exec_lo, s2
	v_mov_b32_e32 v1, 0
	ds_load_b64 v[32:33], v1 offset:120
	s_wait_dscnt 0x0
	v_mul_f64_e32 v[32:33], v[34:35], v[32:33]
.LBB15_87:
	s_or_b32 exec_lo, exec_lo, s1
	s_barrier_signal -1
	s_barrier_wait -1
	s_cbranch_execnz .LBB15_15
	s_branch .LBB15_16
.LBB15_88:
	s_wait_xcnt 0x0
	v_lshl_add_u32 v1, v0, 3, 0x80
	s_mov_b32 s0, exec_lo
	v_cmpx_eq_u32_e32 15, v0
	s_cbranch_execz .LBB15_90
; %bb.89:
	v_mov_b64_e32 v[62:63], v[32:33]
	v_mov_b64_e32 v[60:61], v[30:31]
	;; [unrolled: 1-line block ×16, first 2 shown]
	s_mov_b32 s1, 0
	ds_store_b64 v1, v[30:31]
	v_dual_mov_b32 v60, s1 :: v_dual_mov_b32 v61, s1
	v_mov_b64_e32 v[2:3], v[32:33]
	v_mov_b64_e32 v[4:5], v[34:35]
	;; [unrolled: 1-line block ×16, first 2 shown]
.LBB15_90:
	s_or_b32 exec_lo, exec_lo, s0
	v_mov_b32_e32 v62, 0
	s_wait_storecnt_dscnt 0x0
	s_barrier_signal -1
	s_barrier_wait -1
	ds_load_b64 v[34:35], v62 offset:248
	s_mov_b32 s0, exec_lo
	s_wait_dscnt 0x0
	v_fma_f64 v[34:35], v[32:33], v[34:35], 0
	s_delay_alu instid0(VALU_DEP_1)
	v_add_f64_e64 v[30:31], v[30:31], -v[34:35]
	v_cmpx_lt_u32_e32 13, v0
	s_cbranch_execz .LBB15_92
; %bb.91:
	v_mov_b64_e32 v[60:61], v[32:33]
	s_delay_alu instid0(VALU_DEP_3)
	v_mov_b64_e32 v[58:59], v[30:31]
	v_mov_b64_e32 v[56:57], v[28:29]
	;; [unrolled: 1-line block ×15, first 2 shown]
	s_mov_b32 s1, 0
	ds_store_b64 v1, v[28:29]
	v_dual_mov_b32 v56, s1 :: v_dual_mov_b32 v57, s1
	v_mov_b64_e32 v[2:3], v[30:31]
	v_mov_b64_e32 v[4:5], v[32:33]
	;; [unrolled: 1-line block ×16, first 2 shown]
.LBB15_92:
	s_or_b32 exec_lo, exec_lo, s0
	s_wait_dscnt 0x0
	s_barrier_signal -1
	s_barrier_wait -1
	ds_load_b128 v[34:37], v62 offset:240
	s_mov_b32 s0, exec_lo
	s_wait_dscnt 0x0
	v_fma_f64 v[34:35], v[30:31], v[34:35], 0
	s_delay_alu instid0(VALU_DEP_1) | instskip(NEXT) | instid1(VALU_DEP_1)
	v_fmac_f64_e32 v[34:35], v[32:33], v[36:37]
	v_add_f64_e64 v[28:29], v[28:29], -v[34:35]
	v_cmpx_lt_u32_e32 12, v0
	s_cbranch_execz .LBB15_94
; %bb.93:
	v_mov_b64_e32 v[58:59], v[32:33]
	v_mov_b64_e32 v[56:57], v[30:31]
	s_delay_alu instid0(VALU_DEP_4)
	v_mov_b64_e32 v[54:55], v[28:29]
	v_mov_b64_e32 v[52:53], v[26:27]
	;; [unrolled: 1-line block ×14, first 2 shown]
	s_mov_b32 s1, 0
	ds_store_b64 v1, v[26:27]
	v_dual_mov_b32 v52, s1 :: v_dual_mov_b32 v53, s1
	v_mov_b64_e32 v[2:3], v[28:29]
	v_mov_b64_e32 v[4:5], v[30:31]
	;; [unrolled: 1-line block ×16, first 2 shown]
.LBB15_94:
	s_or_b32 exec_lo, exec_lo, s0
	v_mov_b32_e32 v58, 0
	s_wait_dscnt 0x0
	s_barrier_signal -1
	s_barrier_wait -1
	ds_load_2addr_b64 v[34:37], v58 offset0:29 offset1:30
	ds_load_b64 v[38:39], v58 offset:248
	s_mov_b32 s0, exec_lo
	s_wait_dscnt 0x1
	v_fma_f64 v[34:35], v[28:29], v[34:35], 0
	s_delay_alu instid0(VALU_DEP_1) | instskip(SKIP_1) | instid1(VALU_DEP_1)
	v_fmac_f64_e32 v[34:35], v[30:31], v[36:37]
	s_wait_dscnt 0x0
	v_fmac_f64_e32 v[34:35], v[32:33], v[38:39]
	s_delay_alu instid0(VALU_DEP_1)
	v_add_f64_e64 v[26:27], v[26:27], -v[34:35]
	v_cmpx_lt_u32_e32 11, v0
	s_cbranch_execz .LBB15_96
; %bb.95:
	v_mov_b64_e32 v[56:57], v[32:33]
	v_mov_b64_e32 v[54:55], v[30:31]
	;; [unrolled: 1-line block ×16, first 2 shown]
	s_mov_b32 s1, 0
	ds_store_b64 v1, v[24:25]
	v_dual_mov_b32 v48, s1 :: v_dual_mov_b32 v49, s1
	v_mov_b64_e32 v[2:3], v[26:27]
	v_mov_b64_e32 v[4:5], v[28:29]
	v_mov_b64_e32 v[6:7], v[30:31]
	v_mov_b64_e32 v[8:9], v[32:33]
	v_mov_b64_e32 v[10:11], v[34:35]
	v_mov_b64_e32 v[12:13], v[36:37]
	v_mov_b64_e32 v[14:15], v[38:39]
	v_mov_b64_e32 v[16:17], v[40:41]
	v_mov_b64_e32 v[18:19], v[42:43]
	v_mov_b64_e32 v[20:21], v[44:45]
	v_mov_b64_e32 v[22:23], v[46:47]
	v_mov_b64_e32 v[24:25], v[48:49]
	v_mov_b64_e32 v[26:27], v[50:51]
	v_mov_b64_e32 v[28:29], v[52:53]
	v_mov_b64_e32 v[30:31], v[54:55]
	v_mov_b64_e32 v[32:33], v[56:57]
.LBB15_96:
	s_or_b32 exec_lo, exec_lo, s0
	s_wait_dscnt 0x0
	s_barrier_signal -1
	s_barrier_wait -1
	ds_load_b128 v[34:37], v58 offset:224
	ds_load_b128 v[38:41], v58 offset:240
	s_mov_b32 s0, exec_lo
	s_wait_dscnt 0x1
	v_fma_f64 v[34:35], v[26:27], v[34:35], 0
	s_delay_alu instid0(VALU_DEP_1) | instskip(SKIP_1) | instid1(VALU_DEP_1)
	v_fmac_f64_e32 v[34:35], v[28:29], v[36:37]
	s_wait_dscnt 0x0
	v_fmac_f64_e32 v[34:35], v[30:31], v[38:39]
	s_delay_alu instid0(VALU_DEP_1) | instskip(NEXT) | instid1(VALU_DEP_1)
	v_fmac_f64_e32 v[34:35], v[32:33], v[40:41]
	v_add_f64_e64 v[24:25], v[24:25], -v[34:35]
	v_cmpx_lt_u32_e32 10, v0
	s_cbranch_execz .LBB15_98
; %bb.97:
	v_mov_b64_e32 v[54:55], v[32:33]
	v_mov_b64_e32 v[52:53], v[30:31]
	;; [unrolled: 1-line block ×16, first 2 shown]
	s_mov_b32 s1, 0
	ds_store_b64 v1, v[22:23]
	v_dual_mov_b32 v44, s1 :: v_dual_mov_b32 v45, s1
	v_mov_b64_e32 v[2:3], v[24:25]
	v_mov_b64_e32 v[4:5], v[26:27]
	;; [unrolled: 1-line block ×16, first 2 shown]
.LBB15_98:
	s_or_b32 exec_lo, exec_lo, s0
	v_mov_b32_e32 v54, 0
	s_wait_dscnt 0x0
	s_barrier_signal -1
	s_barrier_wait -1
	ds_load_2addr_b64 v[34:37], v54 offset0:27 offset1:28
	ds_load_2addr_b64 v[38:41], v54 offset0:29 offset1:30
	s_mov_b32 s0, exec_lo
	s_wait_dscnt 0x1
	v_fma_f64 v[34:35], v[24:25], v[34:35], 0
	s_delay_alu instid0(VALU_DEP_1) | instskip(SKIP_3) | instid1(VALU_DEP_1)
	v_fmac_f64_e32 v[34:35], v[26:27], v[36:37]
	ds_load_b64 v[36:37], v54 offset:248
	s_wait_dscnt 0x1
	v_fmac_f64_e32 v[34:35], v[28:29], v[38:39]
	v_fmac_f64_e32 v[34:35], v[30:31], v[40:41]
	s_wait_dscnt 0x0
	s_delay_alu instid0(VALU_DEP_1) | instskip(NEXT) | instid1(VALU_DEP_1)
	v_fmac_f64_e32 v[34:35], v[32:33], v[36:37]
	v_add_f64_e64 v[22:23], v[22:23], -v[34:35]
	v_cmpx_lt_u32_e32 9, v0
	s_cbranch_execz .LBB15_100
; %bb.99:
	v_mov_b64_e32 v[52:53], v[32:33]
	v_mov_b64_e32 v[50:51], v[30:31]
	;; [unrolled: 1-line block ×16, first 2 shown]
	s_mov_b32 s1, 0
	ds_store_b64 v1, v[20:21]
	v_dual_mov_b32 v40, s1 :: v_dual_mov_b32 v41, s1
	v_mov_b64_e32 v[2:3], v[22:23]
	v_mov_b64_e32 v[4:5], v[24:25]
	;; [unrolled: 1-line block ×16, first 2 shown]
.LBB15_100:
	s_or_b32 exec_lo, exec_lo, s0
	s_wait_dscnt 0x0
	s_barrier_signal -1
	s_barrier_wait -1
	ds_load_b128 v[34:37], v54 offset:208
	ds_load_b128 v[38:41], v54 offset:224
	s_mov_b32 s0, exec_lo
	s_wait_dscnt 0x1
	v_fma_f64 v[42:43], v[22:23], v[34:35], 0
	s_delay_alu instid0(VALU_DEP_1) | instskip(SKIP_3) | instid1(VALU_DEP_1)
	v_fmac_f64_e32 v[42:43], v[24:25], v[36:37]
	ds_load_b128 v[34:37], v54 offset:240
	s_wait_dscnt 0x1
	v_fmac_f64_e32 v[42:43], v[26:27], v[38:39]
	v_fmac_f64_e32 v[42:43], v[28:29], v[40:41]
	s_wait_dscnt 0x0
	s_delay_alu instid0(VALU_DEP_1) | instskip(NEXT) | instid1(VALU_DEP_1)
	v_fmac_f64_e32 v[42:43], v[30:31], v[34:35]
	v_fmac_f64_e32 v[42:43], v[32:33], v[36:37]
	s_delay_alu instid0(VALU_DEP_1)
	v_add_f64_e64 v[20:21], v[20:21], -v[42:43]
	v_cmpx_lt_u32_e32 8, v0
	s_cbranch_execz .LBB15_102
; %bb.101:
	v_mov_b64_e32 v[50:51], v[32:33]
	v_mov_b64_e32 v[48:49], v[30:31]
	;; [unrolled: 1-line block ×16, first 2 shown]
	s_mov_b32 s1, 0
	ds_store_b64 v1, v[18:19]
	v_dual_mov_b32 v36, s1 :: v_dual_mov_b32 v37, s1
	v_mov_b64_e32 v[2:3], v[20:21]
	v_mov_b64_e32 v[4:5], v[22:23]
	;; [unrolled: 1-line block ×16, first 2 shown]
.LBB15_102:
	s_or_b32 exec_lo, exec_lo, s0
	v_mov_b32_e32 v50, 0
	s_wait_dscnt 0x0
	s_barrier_signal -1
	s_barrier_wait -1
	ds_load_2addr_b64 v[34:37], v50 offset0:25 offset1:26
	ds_load_2addr_b64 v[38:41], v50 offset0:27 offset1:28
	s_mov_b32 s0, exec_lo
	s_wait_dscnt 0x1
	v_fma_f64 v[42:43], v[20:21], v[34:35], 0
	s_delay_alu instid0(VALU_DEP_1) | instskip(SKIP_1) | instid1(VALU_DEP_1)
	v_fmac_f64_e32 v[42:43], v[22:23], v[36:37]
	s_wait_dscnt 0x0
	v_fmac_f64_e32 v[42:43], v[24:25], v[38:39]
	ds_load_2addr_b64 v[34:37], v50 offset0:29 offset1:30
	ds_load_b64 v[38:39], v50 offset:248
	v_fmac_f64_e32 v[42:43], v[26:27], v[40:41]
	s_wait_dscnt 0x1
	s_delay_alu instid0(VALU_DEP_1) | instskip(NEXT) | instid1(VALU_DEP_1)
	v_fmac_f64_e32 v[42:43], v[28:29], v[34:35]
	v_fmac_f64_e32 v[42:43], v[30:31], v[36:37]
	s_wait_dscnt 0x0
	s_delay_alu instid0(VALU_DEP_1) | instskip(NEXT) | instid1(VALU_DEP_1)
	v_fmac_f64_e32 v[42:43], v[32:33], v[38:39]
	v_add_f64_e64 v[18:19], v[18:19], -v[42:43]
	v_cmpx_lt_u32_e32 7, v0
	s_cbranch_execz .LBB15_104
; %bb.103:
	v_mov_b64_e32 v[48:49], v[32:33]
	v_mov_b64_e32 v[46:47], v[30:31]
	v_mov_b64_e32 v[44:45], v[28:29]
	v_mov_b64_e32 v[42:43], v[26:27]
	v_mov_b64_e32 v[40:41], v[24:25]
	v_mov_b64_e32 v[38:39], v[22:23]
	v_mov_b64_e32 v[36:37], v[20:21]
	v_mov_b64_e32 v[34:35], v[18:19]
	v_mov_b64_e32 v[32:33], v[16:17]
	v_mov_b64_e32 v[30:31], v[14:15]
	v_mov_b64_e32 v[28:29], v[12:13]
	v_mov_b64_e32 v[26:27], v[10:11]
	v_mov_b64_e32 v[24:25], v[8:9]
	v_mov_b64_e32 v[22:23], v[6:7]
	v_mov_b64_e32 v[20:21], v[4:5]
	v_mov_b64_e32 v[18:19], v[2:3]
	s_mov_b32 s1, 0
	ds_store_b64 v1, v[16:17]
	v_dual_mov_b32 v32, s1 :: v_dual_mov_b32 v33, s1
	v_mov_b64_e32 v[2:3], v[18:19]
	v_mov_b64_e32 v[4:5], v[20:21]
	v_mov_b64_e32 v[6:7], v[22:23]
	v_mov_b64_e32 v[8:9], v[24:25]
	v_mov_b64_e32 v[10:11], v[26:27]
	v_mov_b64_e32 v[12:13], v[28:29]
	v_mov_b64_e32 v[14:15], v[30:31]
	v_mov_b64_e32 v[16:17], v[32:33]
	v_mov_b64_e32 v[18:19], v[34:35]
	v_mov_b64_e32 v[20:21], v[36:37]
	v_mov_b64_e32 v[22:23], v[38:39]
	v_mov_b64_e32 v[24:25], v[40:41]
	v_mov_b64_e32 v[26:27], v[42:43]
	v_mov_b64_e32 v[28:29], v[44:45]
	v_mov_b64_e32 v[30:31], v[46:47]
	v_mov_b64_e32 v[32:33], v[48:49]
.LBB15_104:
	s_or_b32 exec_lo, exec_lo, s0
	s_wait_dscnt 0x0
	s_barrier_signal -1
	s_barrier_wait -1
	ds_load_b128 v[34:37], v50 offset:192
	ds_load_b128 v[38:41], v50 offset:208
	s_mov_b32 s0, exec_lo
	s_wait_dscnt 0x1
	v_fma_f64 v[42:43], v[18:19], v[34:35], 0
	s_delay_alu instid0(VALU_DEP_1) | instskip(SKIP_1) | instid1(VALU_DEP_1)
	v_fmac_f64_e32 v[42:43], v[20:21], v[36:37]
	s_wait_dscnt 0x0
	v_fmac_f64_e32 v[42:43], v[22:23], v[38:39]
	s_delay_alu instid0(VALU_DEP_1) | instskip(SKIP_4) | instid1(VALU_DEP_1)
	v_fmac_f64_e32 v[42:43], v[24:25], v[40:41]
	ds_load_b128 v[34:37], v50 offset:224
	ds_load_b128 v[38:41], v50 offset:240
	s_wait_dscnt 0x1
	v_fmac_f64_e32 v[42:43], v[26:27], v[34:35]
	v_fmac_f64_e32 v[42:43], v[28:29], v[36:37]
	s_wait_dscnt 0x0
	s_delay_alu instid0(VALU_DEP_1) | instskip(NEXT) | instid1(VALU_DEP_1)
	v_fmac_f64_e32 v[42:43], v[30:31], v[38:39]
	v_fmac_f64_e32 v[42:43], v[32:33], v[40:41]
	s_delay_alu instid0(VALU_DEP_1)
	v_add_f64_e64 v[16:17], v[16:17], -v[42:43]
	v_cmpx_lt_u32_e32 6, v0
	s_cbranch_execz .LBB15_106
; %bb.105:
	v_mov_b64_e32 v[46:47], v[32:33]
	v_mov_b64_e32 v[44:45], v[30:31]
	;; [unrolled: 1-line block ×16, first 2 shown]
	s_mov_b32 s1, 0
	ds_store_b64 v1, v[14:15]
	v_dual_mov_b32 v28, s1 :: v_dual_mov_b32 v29, s1
	v_mov_b64_e32 v[2:3], v[16:17]
	v_mov_b64_e32 v[4:5], v[18:19]
	;; [unrolled: 1-line block ×16, first 2 shown]
.LBB15_106:
	s_or_b32 exec_lo, exec_lo, s0
	v_mov_b32_e32 v46, 0
	s_wait_dscnt 0x0
	s_barrier_signal -1
	s_barrier_wait -1
	ds_load_2addr_b64 v[34:37], v46 offset0:23 offset1:24
	ds_load_2addr_b64 v[38:41], v46 offset0:25 offset1:26
	s_mov_b32 s0, exec_lo
	s_wait_dscnt 0x1
	v_fma_f64 v[42:43], v[16:17], v[34:35], 0
	s_delay_alu instid0(VALU_DEP_1) | instskip(SKIP_1) | instid1(VALU_DEP_1)
	v_fmac_f64_e32 v[42:43], v[18:19], v[36:37]
	s_wait_dscnt 0x0
	v_fmac_f64_e32 v[42:43], v[20:21], v[38:39]
	s_delay_alu instid0(VALU_DEP_1)
	v_fmac_f64_e32 v[42:43], v[22:23], v[40:41]
	ds_load_2addr_b64 v[34:37], v46 offset0:27 offset1:28
	ds_load_2addr_b64 v[38:41], v46 offset0:29 offset1:30
	s_wait_dscnt 0x1
	v_fmac_f64_e32 v[42:43], v[24:25], v[34:35]
	ds_load_b64 v[34:35], v46 offset:248
	v_fmac_f64_e32 v[42:43], v[26:27], v[36:37]
	s_wait_dscnt 0x1
	s_delay_alu instid0(VALU_DEP_1) | instskip(NEXT) | instid1(VALU_DEP_1)
	v_fmac_f64_e32 v[42:43], v[28:29], v[38:39]
	v_fmac_f64_e32 v[42:43], v[30:31], v[40:41]
	s_wait_dscnt 0x0
	s_delay_alu instid0(VALU_DEP_1) | instskip(NEXT) | instid1(VALU_DEP_1)
	v_fmac_f64_e32 v[42:43], v[32:33], v[34:35]
	v_add_f64_e64 v[14:15], v[14:15], -v[42:43]
	v_cmpx_lt_u32_e32 5, v0
	s_cbranch_execz .LBB15_108
; %bb.107:
	v_mov_b64_e32 v[44:45], v[32:33]
	v_mov_b64_e32 v[42:43], v[30:31]
	;; [unrolled: 1-line block ×16, first 2 shown]
	s_mov_b32 s1, 0
	ds_store_b64 v1, v[12:13]
	v_dual_mov_b32 v24, s1 :: v_dual_mov_b32 v25, s1
	v_mov_b64_e32 v[2:3], v[14:15]
	v_mov_b64_e32 v[4:5], v[16:17]
	;; [unrolled: 1-line block ×16, first 2 shown]
.LBB15_108:
	s_or_b32 exec_lo, exec_lo, s0
	s_wait_dscnt 0x0
	s_barrier_signal -1
	s_barrier_wait -1
	ds_load_b128 v[34:37], v46 offset:176
	ds_load_b128 v[38:41], v46 offset:192
	s_mov_b32 s0, exec_lo
	s_wait_dscnt 0x1
	v_fma_f64 v[42:43], v[14:15], v[34:35], 0
	s_delay_alu instid0(VALU_DEP_1) | instskip(SKIP_1) | instid1(VALU_DEP_1)
	v_fmac_f64_e32 v[42:43], v[16:17], v[36:37]
	s_wait_dscnt 0x0
	v_fmac_f64_e32 v[42:43], v[18:19], v[38:39]
	s_delay_alu instid0(VALU_DEP_1) | instskip(SKIP_4) | instid1(VALU_DEP_1)
	v_fmac_f64_e32 v[42:43], v[20:21], v[40:41]
	ds_load_b128 v[34:37], v46 offset:208
	ds_load_b128 v[38:41], v46 offset:224
	s_wait_dscnt 0x1
	v_fmac_f64_e32 v[42:43], v[22:23], v[34:35]
	v_fmac_f64_e32 v[42:43], v[24:25], v[36:37]
	ds_load_b128 v[34:37], v46 offset:240
	s_wait_dscnt 0x1
	v_fmac_f64_e32 v[42:43], v[26:27], v[38:39]
	s_delay_alu instid0(VALU_DEP_1) | instskip(SKIP_1) | instid1(VALU_DEP_1)
	v_fmac_f64_e32 v[42:43], v[28:29], v[40:41]
	s_wait_dscnt 0x0
	v_fmac_f64_e32 v[42:43], v[30:31], v[34:35]
	s_delay_alu instid0(VALU_DEP_1) | instskip(NEXT) | instid1(VALU_DEP_1)
	v_fmac_f64_e32 v[42:43], v[32:33], v[36:37]
	v_add_f64_e64 v[12:13], v[12:13], -v[42:43]
	v_cmpx_lt_u32_e32 4, v0
	s_cbranch_execz .LBB15_110
; %bb.109:
	v_mov_b64_e32 v[42:43], v[32:33]
	v_mov_b64_e32 v[40:41], v[30:31]
	;; [unrolled: 1-line block ×16, first 2 shown]
	s_mov_b32 s1, 0
	ds_store_b64 v1, v[10:11]
	v_dual_mov_b32 v20, s1 :: v_dual_mov_b32 v21, s1
	v_mov_b64_e32 v[2:3], v[12:13]
	v_mov_b64_e32 v[4:5], v[14:15]
	;; [unrolled: 1-line block ×16, first 2 shown]
.LBB15_110:
	s_or_b32 exec_lo, exec_lo, s0
	v_mov_b32_e32 v42, 0
	s_wait_dscnt 0x0
	s_barrier_signal -1
	s_barrier_wait -1
	ds_load_2addr_b64 v[34:37], v42 offset0:21 offset1:22
	ds_load_2addr_b64 v[38:41], v42 offset0:23 offset1:24
	s_mov_b32 s0, exec_lo
	s_wait_dscnt 0x1
	v_fma_f64 v[44:45], v[12:13], v[34:35], 0
	s_delay_alu instid0(VALU_DEP_1) | instskip(SKIP_1) | instid1(VALU_DEP_1)
	v_fmac_f64_e32 v[44:45], v[14:15], v[36:37]
	s_wait_dscnt 0x0
	v_fmac_f64_e32 v[44:45], v[16:17], v[38:39]
	s_delay_alu instid0(VALU_DEP_1) | instskip(SKIP_4) | instid1(VALU_DEP_1)
	v_fmac_f64_e32 v[44:45], v[18:19], v[40:41]
	ds_load_2addr_b64 v[34:37], v42 offset0:25 offset1:26
	ds_load_2addr_b64 v[38:41], v42 offset0:27 offset1:28
	s_wait_dscnt 0x1
	v_fmac_f64_e32 v[44:45], v[20:21], v[34:35]
	v_fmac_f64_e32 v[44:45], v[22:23], v[36:37]
	s_wait_dscnt 0x0
	s_delay_alu instid0(VALU_DEP_1) | instskip(SKIP_4) | instid1(VALU_DEP_1)
	v_fmac_f64_e32 v[44:45], v[24:25], v[38:39]
	ds_load_2addr_b64 v[34:37], v42 offset0:29 offset1:30
	ds_load_b64 v[38:39], v42 offset:248
	v_fmac_f64_e32 v[44:45], v[26:27], v[40:41]
	s_wait_dscnt 0x1
	v_fmac_f64_e32 v[44:45], v[28:29], v[34:35]
	s_delay_alu instid0(VALU_DEP_1) | instskip(SKIP_1) | instid1(VALU_DEP_1)
	v_fmac_f64_e32 v[44:45], v[30:31], v[36:37]
	s_wait_dscnt 0x0
	v_fmac_f64_e32 v[44:45], v[32:33], v[38:39]
	s_delay_alu instid0(VALU_DEP_1)
	v_add_f64_e64 v[10:11], v[10:11], -v[44:45]
	v_cmpx_lt_u32_e32 3, v0
	s_cbranch_execz .LBB15_112
; %bb.111:
	v_mov_b64_e32 v[40:41], v[32:33]
	v_mov_b64_e32 v[38:39], v[30:31]
	;; [unrolled: 1-line block ×16, first 2 shown]
	s_mov_b32 s1, 0
	ds_store_b64 v1, v[8:9]
	v_dual_mov_b32 v16, s1 :: v_dual_mov_b32 v17, s1
	v_mov_b64_e32 v[2:3], v[10:11]
	v_mov_b64_e32 v[4:5], v[12:13]
	v_mov_b64_e32 v[6:7], v[14:15]
	s_delay_alu instid0(VALU_DEP_4)
	v_mov_b64_e32 v[8:9], v[16:17]
	v_mov_b64_e32 v[10:11], v[18:19]
	;; [unrolled: 1-line block ×13, first 2 shown]
.LBB15_112:
	s_or_b32 exec_lo, exec_lo, s0
	s_wait_dscnt 0x0
	s_barrier_signal -1
	s_barrier_wait -1
	ds_load_b128 v[34:37], v42 offset:160
	ds_load_b128 v[38:41], v42 offset:176
	s_mov_b32 s0, exec_lo
	s_wait_dscnt 0x1
	v_fma_f64 v[44:45], v[10:11], v[34:35], 0
	s_delay_alu instid0(VALU_DEP_1) | instskip(SKIP_1) | instid1(VALU_DEP_1)
	v_fmac_f64_e32 v[44:45], v[12:13], v[36:37]
	s_wait_dscnt 0x0
	v_fmac_f64_e32 v[44:45], v[14:15], v[38:39]
	s_delay_alu instid0(VALU_DEP_1) | instskip(SKIP_4) | instid1(VALU_DEP_1)
	v_fmac_f64_e32 v[44:45], v[16:17], v[40:41]
	ds_load_b128 v[34:37], v42 offset:192
	ds_load_b128 v[38:41], v42 offset:208
	s_wait_dscnt 0x1
	v_fmac_f64_e32 v[44:45], v[18:19], v[34:35]
	v_fmac_f64_e32 v[44:45], v[20:21], v[36:37]
	s_wait_dscnt 0x0
	s_delay_alu instid0(VALU_DEP_1) | instskip(NEXT) | instid1(VALU_DEP_1)
	v_fmac_f64_e32 v[44:45], v[22:23], v[38:39]
	v_fmac_f64_e32 v[44:45], v[24:25], v[40:41]
	ds_load_b128 v[34:37], v42 offset:224
	ds_load_b128 v[38:41], v42 offset:240
	s_wait_dscnt 0x1
	v_fmac_f64_e32 v[44:45], v[26:27], v[34:35]
	s_delay_alu instid0(VALU_DEP_1) | instskip(SKIP_1) | instid1(VALU_DEP_1)
	v_fmac_f64_e32 v[44:45], v[28:29], v[36:37]
	s_wait_dscnt 0x0
	v_fmac_f64_e32 v[44:45], v[30:31], v[38:39]
	s_delay_alu instid0(VALU_DEP_1) | instskip(NEXT) | instid1(VALU_DEP_1)
	v_fmac_f64_e32 v[44:45], v[32:33], v[40:41]
	v_add_f64_e64 v[8:9], v[8:9], -v[44:45]
	v_cmpx_lt_u32_e32 2, v0
	s_cbranch_execz .LBB15_114
; %bb.113:
	v_mov_b64_e32 v[38:39], v[32:33]
	v_mov_b64_e32 v[36:37], v[30:31]
	;; [unrolled: 1-line block ×16, first 2 shown]
	s_mov_b32 s1, 0
	ds_store_b64 v1, v[6:7]
	v_dual_mov_b32 v12, s1 :: v_dual_mov_b32 v13, s1
	v_mov_b64_e32 v[2:3], v[8:9]
	v_mov_b64_e32 v[4:5], v[10:11]
	s_delay_alu instid0(VALU_DEP_3)
	v_mov_b64_e32 v[6:7], v[12:13]
	v_mov_b64_e32 v[8:9], v[14:15]
	;; [unrolled: 1-line block ×14, first 2 shown]
.LBB15_114:
	s_or_b32 exec_lo, exec_lo, s0
	v_mov_b32_e32 v38, 0
	s_wait_dscnt 0x0
	s_barrier_signal -1
	s_barrier_wait -1
	ds_load_2addr_b64 v[34:37], v38 offset0:19 offset1:20
	ds_load_2addr_b64 v[40:43], v38 offset0:21 offset1:22
	s_mov_b32 s0, exec_lo
	s_wait_dscnt 0x1
	v_fma_f64 v[44:45], v[8:9], v[34:35], 0
	s_delay_alu instid0(VALU_DEP_1) | instskip(SKIP_1) | instid1(VALU_DEP_1)
	v_fmac_f64_e32 v[44:45], v[10:11], v[36:37]
	s_wait_dscnt 0x0
	v_fmac_f64_e32 v[44:45], v[12:13], v[40:41]
	s_delay_alu instid0(VALU_DEP_1) | instskip(SKIP_4) | instid1(VALU_DEP_1)
	v_fmac_f64_e32 v[44:45], v[14:15], v[42:43]
	ds_load_2addr_b64 v[34:37], v38 offset0:23 offset1:24
	ds_load_2addr_b64 v[40:43], v38 offset0:25 offset1:26
	s_wait_dscnt 0x1
	v_fmac_f64_e32 v[44:45], v[16:17], v[34:35]
	v_fmac_f64_e32 v[44:45], v[18:19], v[36:37]
	s_wait_dscnt 0x0
	s_delay_alu instid0(VALU_DEP_1) | instskip(NEXT) | instid1(VALU_DEP_1)
	v_fmac_f64_e32 v[44:45], v[20:21], v[40:41]
	v_fmac_f64_e32 v[44:45], v[22:23], v[42:43]
	ds_load_2addr_b64 v[34:37], v38 offset0:27 offset1:28
	ds_load_2addr_b64 v[40:43], v38 offset0:29 offset1:30
	s_wait_dscnt 0x1
	v_fmac_f64_e32 v[44:45], v[24:25], v[34:35]
	ds_load_b64 v[34:35], v38 offset:248
	v_fmac_f64_e32 v[44:45], v[26:27], v[36:37]
	s_wait_dscnt 0x1
	s_delay_alu instid0(VALU_DEP_1) | instskip(NEXT) | instid1(VALU_DEP_1)
	v_fmac_f64_e32 v[44:45], v[28:29], v[40:41]
	v_fmac_f64_e32 v[44:45], v[30:31], v[42:43]
	s_wait_dscnt 0x0
	s_delay_alu instid0(VALU_DEP_1) | instskip(NEXT) | instid1(VALU_DEP_1)
	v_fmac_f64_e32 v[44:45], v[32:33], v[34:35]
	v_add_f64_e64 v[6:7], v[6:7], -v[44:45]
	v_cmpx_lt_u32_e32 1, v0
	s_cbranch_execz .LBB15_116
; %bb.115:
	v_mov_b64_e32 v[36:37], v[32:33]
	v_mov_b64_e32 v[34:35], v[30:31]
	;; [unrolled: 1-line block ×16, first 2 shown]
	s_mov_b32 s1, 0
	ds_store_b64 v1, v[4:5]
	v_dual_mov_b32 v8, s1 :: v_dual_mov_b32 v9, s1
	v_mov_b64_e32 v[2:3], v[6:7]
	s_delay_alu instid0(VALU_DEP_2)
	v_mov_b64_e32 v[4:5], v[8:9]
	v_mov_b64_e32 v[6:7], v[10:11]
	;; [unrolled: 1-line block ×15, first 2 shown]
.LBB15_116:
	s_or_b32 exec_lo, exec_lo, s0
	s_wait_dscnt 0x0
	s_barrier_signal -1
	s_barrier_wait -1
	ds_load_b128 v[34:37], v38 offset:144
	ds_load_b128 v[40:43], v38 offset:160
	v_dual_ashrrev_i32 v65, 31, v64 :: v_dual_ashrrev_i32 v71, 31, v70
	v_dual_ashrrev_i32 v69, 31, v68 :: v_dual_ashrrev_i32 v75, 31, v74
	;; [unrolled: 1-line block ×5, first 2 shown]
	v_ashrrev_i32_e32 v85, 31, v84
	v_ashrrev_i32_e32 v89, 31, v88
	;; [unrolled: 1-line block ×3, first 2 shown]
	s_mov_b32 s1, 0
	s_mov_b32 s0, exec_lo
	v_ashrrev_i32_e32 v67, 31, v66
	s_wait_dscnt 0x1
	v_fma_f64 v[44:45], v[6:7], v[34:35], 0
	s_delay_alu instid0(VALU_DEP_1) | instskip(SKIP_1) | instid1(VALU_DEP_1)
	v_fmac_f64_e32 v[44:45], v[8:9], v[36:37]
	s_wait_dscnt 0x0
	v_fmac_f64_e32 v[44:45], v[10:11], v[40:41]
	s_delay_alu instid0(VALU_DEP_1) | instskip(SKIP_4) | instid1(VALU_DEP_1)
	v_fmac_f64_e32 v[44:45], v[12:13], v[42:43]
	ds_load_b128 v[34:37], v38 offset:176
	ds_load_b128 v[40:43], v38 offset:192
	s_wait_dscnt 0x1
	v_fmac_f64_e32 v[44:45], v[14:15], v[34:35]
	v_fmac_f64_e32 v[44:45], v[16:17], v[36:37]
	s_wait_dscnt 0x0
	s_delay_alu instid0(VALU_DEP_1) | instskip(NEXT) | instid1(VALU_DEP_1)
	v_fmac_f64_e32 v[44:45], v[18:19], v[40:41]
	v_fmac_f64_e32 v[44:45], v[20:21], v[42:43]
	ds_load_b128 v[34:37], v38 offset:208
	ds_load_b128 v[40:43], v38 offset:224
	s_wait_dscnt 0x1
	v_fmac_f64_e32 v[44:45], v[22:23], v[34:35]
	s_delay_alu instid0(VALU_DEP_1) | instskip(SKIP_3) | instid1(VALU_DEP_1)
	v_fmac_f64_e32 v[44:45], v[24:25], v[36:37]
	ds_load_b128 v[34:37], v38 offset:240
	s_wait_dscnt 0x1
	v_fmac_f64_e32 v[44:45], v[26:27], v[40:41]
	v_fmac_f64_e32 v[44:45], v[28:29], v[42:43]
	s_wait_dscnt 0x0
	s_delay_alu instid0(VALU_DEP_1) | instskip(NEXT) | instid1(VALU_DEP_1)
	v_fmac_f64_e32 v[44:45], v[30:31], v[34:35]
	v_fmac_f64_e32 v[44:45], v[32:33], v[36:37]
	s_delay_alu instid0(VALU_DEP_1)
	v_add_f64_e64 v[4:5], v[4:5], -v[44:45]
	v_cmpx_ne_u32_e32 0, v0
	s_cbranch_execz .LBB15_118
; %bb.117:
	v_mov_b64_e32 v[34:35], v[32:33]
	v_mov_b64_e32 v[32:33], v[30:31]
	;; [unrolled: 1-line block ×16, first 2 shown]
	v_dual_mov_b32 v4, s1 :: v_dual_mov_b32 v5, s1
	ds_store_b64 v1, v[2:3]
	v_mov_b64_e32 v[2:3], v[4:5]
	v_mov_b64_e32 v[4:5], v[6:7]
	;; [unrolled: 1-line block ×16, first 2 shown]
.LBB15_118:
	s_or_b32 exec_lo, exec_lo, s0
	v_mov_b32_e32 v0, 0
	s_wait_dscnt 0x0
	s_barrier_signal -1
	s_barrier_wait -1
	ds_load_2addr_b64 v[34:37], v0 offset0:17 offset1:18
	ds_load_2addr_b64 v[38:41], v0 offset0:19 offset1:20
	s_and_b32 vcc_lo, exec_lo, s24
	s_wait_dscnt 0x1
	v_fma_f64 v[42:43], v[4:5], v[34:35], 0
	s_delay_alu instid0(VALU_DEP_1) | instskip(SKIP_1) | instid1(VALU_DEP_1)
	v_fmac_f64_e32 v[42:43], v[6:7], v[36:37]
	s_wait_dscnt 0x0
	v_fmac_f64_e32 v[42:43], v[8:9], v[38:39]
	s_delay_alu instid0(VALU_DEP_1) | instskip(SKIP_4) | instid1(VALU_DEP_1)
	v_fmac_f64_e32 v[42:43], v[10:11], v[40:41]
	ds_load_2addr_b64 v[34:37], v0 offset0:21 offset1:22
	ds_load_2addr_b64 v[38:41], v0 offset0:23 offset1:24
	s_wait_dscnt 0x1
	v_fmac_f64_e32 v[42:43], v[12:13], v[34:35]
	v_fmac_f64_e32 v[42:43], v[14:15], v[36:37]
	s_wait_dscnt 0x0
	s_delay_alu instid0(VALU_DEP_1) | instskip(NEXT) | instid1(VALU_DEP_1)
	v_fmac_f64_e32 v[42:43], v[16:17], v[38:39]
	v_fmac_f64_e32 v[42:43], v[18:19], v[40:41]
	ds_load_2addr_b64 v[34:37], v0 offset0:25 offset1:26
	ds_load_2addr_b64 v[38:41], v0 offset0:27 offset1:28
	s_wait_dscnt 0x1
	v_fmac_f64_e32 v[42:43], v[20:21], v[34:35]
	s_delay_alu instid0(VALU_DEP_1) | instskip(SKIP_1) | instid1(VALU_DEP_1)
	v_fmac_f64_e32 v[42:43], v[22:23], v[36:37]
	s_wait_dscnt 0x0
	v_fmac_f64_e32 v[42:43], v[24:25], v[38:39]
	ds_load_2addr_b64 v[34:37], v0 offset0:29 offset1:30
	ds_load_b64 v[38:39], v0 offset:248
	v_fmac_f64_e32 v[42:43], v[26:27], v[40:41]
	s_wait_dscnt 0x1
	s_delay_alu instid0(VALU_DEP_1) | instskip(NEXT) | instid1(VALU_DEP_1)
	v_fmac_f64_e32 v[42:43], v[28:29], v[34:35]
	v_fmac_f64_e32 v[42:43], v[30:31], v[36:37]
	s_wait_dscnt 0x0
	s_delay_alu instid0(VALU_DEP_1) | instskip(NEXT) | instid1(VALU_DEP_1)
	v_fmac_f64_e32 v[42:43], v[32:33], v[38:39]
	v_add_f64_e64 v[2:3], v[2:3], -v[42:43]
	s_cbranch_vccz .LBB15_149
; %bb.119:
	global_load_b32 v0, v0, s[20:21] offset:56
	s_wait_loadcnt 0x0
	v_readfirstlane_b32 s0, v0
	s_add_co_i32 s0, s0, -1
	s_delay_alu instid0(SALU_CYCLE_1)
	s_cmp_lg_u32 s0, 14
	s_cbranch_scc0 .LBB15_121
; %bb.120:
	s_lshl_b32 m0, s0, 1
	v_movrels_b32_e32 v0, v2
	v_movrels_b32_e32 v1, v3
	v_mov_b64_e32 v[62:63], v[32:33]
	v_mov_b64_e32 v[60:61], v[30:31]
	;; [unrolled: 1-line block ×16, first 2 shown]
	v_dual_mov_b32 v60, v0 :: v_dual_mov_b32 v61, v1
	s_delay_alu instid0(VALU_DEP_2) | instskip(NEXT) | instid1(VALU_DEP_3)
	v_movreld_b32_e32 v32, v30
	v_movreld_b32_e32 v33, v31
	v_mov_b64_e32 v[2:3], v[32:33]
	v_mov_b64_e32 v[4:5], v[34:35]
	;; [unrolled: 1-line block ×16, first 2 shown]
.LBB15_121:
	v_mov_b32_e32 v0, 0
	global_load_b32 v1, v0, s[20:21] offset:52
	s_wait_loadcnt 0x0
	v_readfirstlane_b32 s0, v1
	s_add_co_i32 s0, s0, -1
	s_delay_alu instid0(SALU_CYCLE_1)
	s_cmp_eq_u32 s0, 13
	s_cbranch_scc1 .LBB15_123
; %bb.122:
	s_lshl_b32 m0, s0, 1
	v_movrels_b32_e32 v1, v2
	v_movrels_b32_e32 v62, v3
	v_mov_b64_e32 v[60:61], v[32:33]
	v_mov_b64_e32 v[58:59], v[30:31]
	;; [unrolled: 1-line block ×16, first 2 shown]
	v_dual_mov_b32 v56, v1 :: v_dual_mov_b32 v57, v62
	s_delay_alu instid0(VALU_DEP_2) | instskip(NEXT) | instid1(VALU_DEP_3)
	v_movreld_b32_e32 v30, v28
	v_movreld_b32_e32 v31, v29
	v_mov_b64_e32 v[2:3], v[30:31]
	v_mov_b64_e32 v[4:5], v[32:33]
	;; [unrolled: 1-line block ×16, first 2 shown]
.LBB15_123:
	global_load_b32 v0, v0, s[20:21] offset:48
	s_wait_loadcnt 0x0
	v_readfirstlane_b32 s0, v0
	s_add_co_i32 s0, s0, -1
	s_delay_alu instid0(SALU_CYCLE_1)
	s_cmp_eq_u32 s0, 12
	s_cbranch_scc1 .LBB15_125
; %bb.124:
	s_lshl_b32 m0, s0, 1
	v_movrels_b32_e32 v0, v2
	v_movrels_b32_e32 v1, v3
	v_mov_b64_e32 v[58:59], v[32:33]
	v_mov_b64_e32 v[56:57], v[30:31]
	;; [unrolled: 1-line block ×16, first 2 shown]
	v_dual_mov_b32 v52, v0 :: v_dual_mov_b32 v53, v1
	s_delay_alu instid0(VALU_DEP_2) | instskip(NEXT) | instid1(VALU_DEP_3)
	v_movreld_b32_e32 v28, v26
	v_movreld_b32_e32 v29, v27
	v_mov_b64_e32 v[2:3], v[28:29]
	v_mov_b64_e32 v[4:5], v[30:31]
	;; [unrolled: 1-line block ×16, first 2 shown]
.LBB15_125:
	v_mov_b32_e32 v0, 0
	global_load_b32 v1, v0, s[20:21] offset:44
	s_wait_loadcnt 0x0
	v_readfirstlane_b32 s0, v1
	s_add_co_i32 s0, s0, -1
	s_delay_alu instid0(SALU_CYCLE_1)
	s_cmp_eq_u32 s0, 11
	s_cbranch_scc1 .LBB15_127
; %bb.126:
	s_lshl_b32 m0, s0, 1
	v_movrels_b32_e32 v1, v2
	v_movrels_b32_e32 v58, v3
	v_mov_b64_e32 v[56:57], v[32:33]
	v_mov_b64_e32 v[54:55], v[30:31]
	;; [unrolled: 1-line block ×16, first 2 shown]
	v_dual_mov_b32 v48, v1 :: v_dual_mov_b32 v49, v58
	s_delay_alu instid0(VALU_DEP_2) | instskip(NEXT) | instid1(VALU_DEP_3)
	v_movreld_b32_e32 v26, v24
	v_movreld_b32_e32 v27, v25
	v_mov_b64_e32 v[2:3], v[26:27]
	v_mov_b64_e32 v[4:5], v[28:29]
	;; [unrolled: 1-line block ×16, first 2 shown]
.LBB15_127:
	global_load_b32 v0, v0, s[20:21] offset:40
	s_wait_loadcnt 0x0
	v_readfirstlane_b32 s0, v0
	s_add_co_i32 s0, s0, -1
	s_delay_alu instid0(SALU_CYCLE_1)
	s_cmp_eq_u32 s0, 10
	s_cbranch_scc1 .LBB15_129
; %bb.128:
	s_lshl_b32 m0, s0, 1
	v_movrels_b32_e32 v0, v2
	v_movrels_b32_e32 v1, v3
	v_mov_b64_e32 v[54:55], v[32:33]
	v_mov_b64_e32 v[52:53], v[30:31]
	v_mov_b64_e32 v[50:51], v[28:29]
	v_mov_b64_e32 v[48:49], v[26:27]
	v_mov_b64_e32 v[46:47], v[24:25]
	v_mov_b64_e32 v[44:45], v[22:23]
	v_mov_b64_e32 v[42:43], v[20:21]
	v_mov_b64_e32 v[40:41], v[18:19]
	v_mov_b64_e32 v[38:39], v[16:17]
	v_mov_b64_e32 v[36:37], v[14:15]
	v_mov_b64_e32 v[34:35], v[12:13]
	v_mov_b64_e32 v[32:33], v[10:11]
	v_mov_b64_e32 v[30:31], v[8:9]
	v_mov_b64_e32 v[28:29], v[6:7]
	v_mov_b64_e32 v[26:27], v[4:5]
	v_mov_b64_e32 v[24:25], v[2:3]
	v_dual_mov_b32 v44, v0 :: v_dual_mov_b32 v45, v1
	s_delay_alu instid0(VALU_DEP_2) | instskip(NEXT) | instid1(VALU_DEP_3)
	v_movreld_b32_e32 v24, v22
	v_movreld_b32_e32 v25, v23
	v_mov_b64_e32 v[2:3], v[24:25]
	v_mov_b64_e32 v[4:5], v[26:27]
	;; [unrolled: 1-line block ×16, first 2 shown]
.LBB15_129:
	v_mov_b32_e32 v0, 0
	global_load_b32 v1, v0, s[20:21] offset:36
	s_wait_loadcnt 0x0
	v_readfirstlane_b32 s0, v1
	s_add_co_i32 s0, s0, -1
	s_delay_alu instid0(SALU_CYCLE_1)
	s_cmp_eq_u32 s0, 9
	s_cbranch_scc1 .LBB15_131
; %bb.130:
	s_lshl_b32 m0, s0, 1
	v_movrels_b32_e32 v1, v2
	v_movrels_b32_e32 v54, v3
	v_mov_b64_e32 v[52:53], v[32:33]
	v_mov_b64_e32 v[50:51], v[30:31]
	;; [unrolled: 1-line block ×16, first 2 shown]
	v_dual_mov_b32 v40, v1 :: v_dual_mov_b32 v41, v54
	s_delay_alu instid0(VALU_DEP_2) | instskip(NEXT) | instid1(VALU_DEP_3)
	v_movreld_b32_e32 v22, v20
	v_movreld_b32_e32 v23, v21
	v_mov_b64_e32 v[2:3], v[22:23]
	v_mov_b64_e32 v[4:5], v[24:25]
	;; [unrolled: 1-line block ×16, first 2 shown]
.LBB15_131:
	global_load_b32 v0, v0, s[20:21] offset:32
	s_wait_loadcnt 0x0
	v_readfirstlane_b32 s0, v0
	s_add_co_i32 s0, s0, -1
	s_delay_alu instid0(SALU_CYCLE_1)
	s_cmp_eq_u32 s0, 8
	s_cbranch_scc1 .LBB15_133
; %bb.132:
	s_lshl_b32 m0, s0, 1
	v_movrels_b32_e32 v0, v2
	v_movrels_b32_e32 v1, v3
	v_mov_b64_e32 v[50:51], v[32:33]
	v_mov_b64_e32 v[48:49], v[30:31]
	;; [unrolled: 1-line block ×16, first 2 shown]
	v_dual_mov_b32 v36, v0 :: v_dual_mov_b32 v37, v1
	s_delay_alu instid0(VALU_DEP_2) | instskip(NEXT) | instid1(VALU_DEP_3)
	v_movreld_b32_e32 v20, v18
	v_movreld_b32_e32 v21, v19
	v_mov_b64_e32 v[2:3], v[20:21]
	v_mov_b64_e32 v[4:5], v[22:23]
	v_mov_b64_e32 v[6:7], v[24:25]
	v_mov_b64_e32 v[8:9], v[26:27]
	v_mov_b64_e32 v[10:11], v[28:29]
	v_mov_b64_e32 v[12:13], v[30:31]
	v_mov_b64_e32 v[14:15], v[32:33]
	v_mov_b64_e32 v[16:17], v[34:35]
	v_mov_b64_e32 v[18:19], v[36:37]
	v_mov_b64_e32 v[20:21], v[38:39]
	v_mov_b64_e32 v[22:23], v[40:41]
	v_mov_b64_e32 v[24:25], v[42:43]
	v_mov_b64_e32 v[26:27], v[44:45]
	v_mov_b64_e32 v[28:29], v[46:47]
	v_mov_b64_e32 v[30:31], v[48:49]
	v_mov_b64_e32 v[32:33], v[50:51]
.LBB15_133:
	v_mov_b32_e32 v0, 0
	global_load_b32 v1, v0, s[20:21] offset:28
	s_wait_loadcnt 0x0
	v_readfirstlane_b32 s0, v1
	s_add_co_i32 s0, s0, -1
	s_delay_alu instid0(SALU_CYCLE_1)
	s_cmp_eq_u32 s0, 7
	s_cbranch_scc1 .LBB15_135
; %bb.134:
	s_lshl_b32 m0, s0, 1
	v_movrels_b32_e32 v1, v2
	v_movrels_b32_e32 v50, v3
	v_mov_b64_e32 v[48:49], v[32:33]
	v_mov_b64_e32 v[46:47], v[30:31]
	v_mov_b64_e32 v[44:45], v[28:29]
	v_mov_b64_e32 v[42:43], v[26:27]
	v_mov_b64_e32 v[40:41], v[24:25]
	v_mov_b64_e32 v[38:39], v[22:23]
	v_mov_b64_e32 v[36:37], v[20:21]
	v_mov_b64_e32 v[34:35], v[18:19]
	v_mov_b64_e32 v[32:33], v[16:17]
	v_mov_b64_e32 v[30:31], v[14:15]
	v_mov_b64_e32 v[28:29], v[12:13]
	v_mov_b64_e32 v[26:27], v[10:11]
	v_mov_b64_e32 v[24:25], v[8:9]
	v_mov_b64_e32 v[22:23], v[6:7]
	v_mov_b64_e32 v[20:21], v[4:5]
	v_mov_b64_e32 v[18:19], v[2:3]
	v_dual_mov_b32 v32, v1 :: v_dual_mov_b32 v33, v50
	s_delay_alu instid0(VALU_DEP_2) | instskip(NEXT) | instid1(VALU_DEP_3)
	v_movreld_b32_e32 v18, v16
	v_movreld_b32_e32 v19, v17
	v_mov_b64_e32 v[2:3], v[18:19]
	v_mov_b64_e32 v[4:5], v[20:21]
	;; [unrolled: 1-line block ×16, first 2 shown]
.LBB15_135:
	global_load_b32 v0, v0, s[20:21] offset:24
	s_wait_loadcnt 0x0
	v_readfirstlane_b32 s0, v0
	s_add_co_i32 s0, s0, -1
	s_delay_alu instid0(SALU_CYCLE_1)
	s_cmp_eq_u32 s0, 6
	s_cbranch_scc1 .LBB15_137
; %bb.136:
	s_lshl_b32 m0, s0, 1
	v_movrels_b32_e32 v0, v2
	v_movrels_b32_e32 v1, v3
	v_mov_b64_e32 v[46:47], v[32:33]
	v_mov_b64_e32 v[44:45], v[30:31]
	;; [unrolled: 1-line block ×16, first 2 shown]
	v_dual_mov_b32 v28, v0 :: v_dual_mov_b32 v29, v1
	s_delay_alu instid0(VALU_DEP_2) | instskip(NEXT) | instid1(VALU_DEP_3)
	v_movreld_b32_e32 v16, v14
	v_movreld_b32_e32 v17, v15
	v_mov_b64_e32 v[2:3], v[16:17]
	v_mov_b64_e32 v[4:5], v[18:19]
	;; [unrolled: 1-line block ×16, first 2 shown]
.LBB15_137:
	v_mov_b32_e32 v0, 0
	global_load_b32 v1, v0, s[20:21] offset:20
	s_wait_loadcnt 0x0
	v_readfirstlane_b32 s0, v1
	s_add_co_i32 s0, s0, -1
	s_delay_alu instid0(SALU_CYCLE_1)
	s_cmp_eq_u32 s0, 5
	s_cbranch_scc1 .LBB15_139
; %bb.138:
	s_lshl_b32 m0, s0, 1
	v_movrels_b32_e32 v1, v2
	v_movrels_b32_e32 v46, v3
	v_mov_b64_e32 v[44:45], v[32:33]
	v_mov_b64_e32 v[42:43], v[30:31]
	;; [unrolled: 1-line block ×16, first 2 shown]
	v_dual_mov_b32 v24, v1 :: v_dual_mov_b32 v25, v46
	s_delay_alu instid0(VALU_DEP_2) | instskip(NEXT) | instid1(VALU_DEP_3)
	v_movreld_b32_e32 v14, v12
	v_movreld_b32_e32 v15, v13
	v_mov_b64_e32 v[2:3], v[14:15]
	v_mov_b64_e32 v[4:5], v[16:17]
	;; [unrolled: 1-line block ×16, first 2 shown]
.LBB15_139:
	global_load_b32 v0, v0, s[20:21] offset:16
	s_wait_loadcnt 0x0
	v_readfirstlane_b32 s0, v0
	s_add_co_i32 s0, s0, -1
	s_delay_alu instid0(SALU_CYCLE_1)
	s_cmp_eq_u32 s0, 4
	s_cbranch_scc1 .LBB15_141
; %bb.140:
	s_lshl_b32 m0, s0, 1
	v_movrels_b32_e32 v0, v2
	v_movrels_b32_e32 v1, v3
	v_mov_b64_e32 v[42:43], v[32:33]
	v_mov_b64_e32 v[40:41], v[30:31]
	;; [unrolled: 1-line block ×16, first 2 shown]
	v_dual_mov_b32 v20, v0 :: v_dual_mov_b32 v21, v1
	s_delay_alu instid0(VALU_DEP_2) | instskip(NEXT) | instid1(VALU_DEP_3)
	v_movreld_b32_e32 v12, v10
	v_movreld_b32_e32 v13, v11
	v_mov_b64_e32 v[2:3], v[12:13]
	v_mov_b64_e32 v[4:5], v[14:15]
	;; [unrolled: 1-line block ×16, first 2 shown]
.LBB15_141:
	v_mov_b32_e32 v0, 0
	global_load_b32 v1, v0, s[20:21] offset:12
	s_wait_loadcnt 0x0
	v_readfirstlane_b32 s0, v1
	s_add_co_i32 s0, s0, -1
	s_delay_alu instid0(SALU_CYCLE_1)
	s_cmp_eq_u32 s0, 3
	s_cbranch_scc1 .LBB15_143
; %bb.142:
	s_lshl_b32 m0, s0, 1
	v_movrels_b32_e32 v1, v2
	v_movrels_b32_e32 v42, v3
	v_mov_b64_e32 v[40:41], v[32:33]
	v_mov_b64_e32 v[38:39], v[30:31]
	;; [unrolled: 1-line block ×16, first 2 shown]
	v_dual_mov_b32 v16, v1 :: v_dual_mov_b32 v17, v42
	s_delay_alu instid0(VALU_DEP_2) | instskip(NEXT) | instid1(VALU_DEP_3)
	v_movreld_b32_e32 v10, v8
	v_movreld_b32_e32 v11, v9
	v_mov_b64_e32 v[2:3], v[10:11]
	v_mov_b64_e32 v[4:5], v[12:13]
	v_mov_b64_e32 v[6:7], v[14:15]
	v_mov_b64_e32 v[8:9], v[16:17]
	v_mov_b64_e32 v[10:11], v[18:19]
	v_mov_b64_e32 v[12:13], v[20:21]
	v_mov_b64_e32 v[14:15], v[22:23]
	v_mov_b64_e32 v[16:17], v[24:25]
	v_mov_b64_e32 v[18:19], v[26:27]
	v_mov_b64_e32 v[20:21], v[28:29]
	v_mov_b64_e32 v[22:23], v[30:31]
	v_mov_b64_e32 v[24:25], v[32:33]
	v_mov_b64_e32 v[26:27], v[34:35]
	v_mov_b64_e32 v[28:29], v[36:37]
	v_mov_b64_e32 v[30:31], v[38:39]
	v_mov_b64_e32 v[32:33], v[40:41]
.LBB15_143:
	global_load_b32 v0, v0, s[20:21] offset:8
	s_wait_loadcnt 0x0
	v_readfirstlane_b32 s0, v0
	s_add_co_i32 s0, s0, -1
	s_delay_alu instid0(SALU_CYCLE_1)
	s_cmp_eq_u32 s0, 2
	s_cbranch_scc1 .LBB15_145
; %bb.144:
	s_lshl_b32 m0, s0, 1
	v_movrels_b32_e32 v0, v2
	v_movrels_b32_e32 v1, v3
	v_mov_b64_e32 v[38:39], v[32:33]
	v_mov_b64_e32 v[36:37], v[30:31]
	;; [unrolled: 1-line block ×16, first 2 shown]
	v_dual_mov_b32 v12, v0 :: v_dual_mov_b32 v13, v1
	s_delay_alu instid0(VALU_DEP_2) | instskip(NEXT) | instid1(VALU_DEP_3)
	v_movreld_b32_e32 v8, v6
	v_movreld_b32_e32 v9, v7
	v_mov_b64_e32 v[2:3], v[8:9]
	v_mov_b64_e32 v[4:5], v[10:11]
	;; [unrolled: 1-line block ×16, first 2 shown]
.LBB15_145:
	v_mov_b32_e32 v0, 0
	global_load_b32 v1, v0, s[20:21] offset:4
	s_wait_loadcnt 0x0
	v_readfirstlane_b32 s0, v1
	s_add_co_i32 s0, s0, -1
	s_delay_alu instid0(SALU_CYCLE_1)
	s_cmp_eq_u32 s0, 1
	s_cbranch_scc1 .LBB15_147
; %bb.146:
	s_lshl_b32 m0, s0, 1
	v_movrels_b32_e32 v1, v2
	v_movrels_b32_e32 v38, v3
	v_mov_b64_e32 v[36:37], v[32:33]
	v_mov_b64_e32 v[34:35], v[30:31]
	;; [unrolled: 1-line block ×16, first 2 shown]
	v_dual_mov_b32 v8, v1 :: v_dual_mov_b32 v9, v38
	s_delay_alu instid0(VALU_DEP_2) | instskip(NEXT) | instid1(VALU_DEP_3)
	v_movreld_b32_e32 v6, v4
	v_movreld_b32_e32 v7, v5
	v_mov_b64_e32 v[2:3], v[6:7]
	s_delay_alu instid0(VALU_DEP_4)
	v_mov_b64_e32 v[4:5], v[8:9]
	v_mov_b64_e32 v[6:7], v[10:11]
	;; [unrolled: 1-line block ×15, first 2 shown]
.LBB15_147:
	global_load_b32 v0, v0, s[20:21]
	s_wait_loadcnt 0x0
	v_readfirstlane_b32 s0, v0
	s_add_co_i32 s0, s0, -1
	s_delay_alu instid0(SALU_CYCLE_1)
	s_cmp_eq_u32 s0, 0
	s_cbranch_scc1 .LBB15_149
; %bb.148:
	s_lshl_b32 m0, s0, 1
	v_movrels_b32_e32 v0, v2
	v_movrels_b32_e32 v1, v3
	v_mov_b64_e32 v[34:35], v[32:33]
	v_mov_b64_e32 v[32:33], v[30:31]
	;; [unrolled: 1-line block ×16, first 2 shown]
	v_dual_mov_b32 v4, v0 :: v_dual_mov_b32 v5, v1
	s_delay_alu instid0(VALU_DEP_1) | instskip(NEXT) | instid1(VALU_DEP_2)
	v_movreld_b32_e32 v4, v2
	v_movreld_b32_e32 v5, v3
	v_mov_b64_e32 v[2:3], v[4:5]
	v_mov_b64_e32 v[4:5], v[6:7]
	;; [unrolled: 1-line block ×16, first 2 shown]
.LBB15_149:
	v_lshl_add_u64 v[58:59], v[64:65], 3, s[16:17]
	v_lshl_add_u64 v[56:57], v[66:67], 3, s[16:17]
	;; [unrolled: 1-line block ×14, first 2 shown]
	s_clause 0xf
	global_store_b64 v[78:79], v[2:3], off
	global_store_b64 v[82:83], v[4:5], off
	;; [unrolled: 1-line block ×16, first 2 shown]
	s_sendmsg sendmsg(MSG_DEALLOC_VGPRS)
	s_endpgm
	.section	.rodata,"a",@progbits
	.p2align	6, 0x0
	.amdhsa_kernel _ZN9rocsolver6v33100L18getri_kernel_smallILi16EdPdEEvT1_iilPiilS4_bb
		.amdhsa_group_segment_fixed_size 264
		.amdhsa_private_segment_fixed_size 0
		.amdhsa_kernarg_size 60
		.amdhsa_user_sgpr_count 2
		.amdhsa_user_sgpr_dispatch_ptr 0
		.amdhsa_user_sgpr_queue_ptr 0
		.amdhsa_user_sgpr_kernarg_segment_ptr 1
		.amdhsa_user_sgpr_dispatch_id 0
		.amdhsa_user_sgpr_kernarg_preload_length 0
		.amdhsa_user_sgpr_kernarg_preload_offset 0
		.amdhsa_user_sgpr_private_segment_size 0
		.amdhsa_wavefront_size32 1
		.amdhsa_uses_dynamic_stack 0
		.amdhsa_enable_private_segment 0
		.amdhsa_system_sgpr_workgroup_id_x 1
		.amdhsa_system_sgpr_workgroup_id_y 0
		.amdhsa_system_sgpr_workgroup_id_z 0
		.amdhsa_system_sgpr_workgroup_info 0
		.amdhsa_system_vgpr_workitem_id 0
		.amdhsa_next_free_vgpr 96
		.amdhsa_next_free_sgpr 25
		.amdhsa_named_barrier_count 0
		.amdhsa_reserve_vcc 1
		.amdhsa_float_round_mode_32 0
		.amdhsa_float_round_mode_16_64 0
		.amdhsa_float_denorm_mode_32 3
		.amdhsa_float_denorm_mode_16_64 3
		.amdhsa_fp16_overflow 0
		.amdhsa_memory_ordered 1
		.amdhsa_forward_progress 1
		.amdhsa_inst_pref_size 139
		.amdhsa_round_robin_scheduling 0
		.amdhsa_exception_fp_ieee_invalid_op 0
		.amdhsa_exception_fp_denorm_src 0
		.amdhsa_exception_fp_ieee_div_zero 0
		.amdhsa_exception_fp_ieee_overflow 0
		.amdhsa_exception_fp_ieee_underflow 0
		.amdhsa_exception_fp_ieee_inexact 0
		.amdhsa_exception_int_div_zero 0
	.end_amdhsa_kernel
	.section	.text._ZN9rocsolver6v33100L18getri_kernel_smallILi16EdPdEEvT1_iilPiilS4_bb,"axG",@progbits,_ZN9rocsolver6v33100L18getri_kernel_smallILi16EdPdEEvT1_iilPiilS4_bb,comdat
.Lfunc_end15:
	.size	_ZN9rocsolver6v33100L18getri_kernel_smallILi16EdPdEEvT1_iilPiilS4_bb, .Lfunc_end15-_ZN9rocsolver6v33100L18getri_kernel_smallILi16EdPdEEvT1_iilPiilS4_bb
                                        ; -- End function
	.set _ZN9rocsolver6v33100L18getri_kernel_smallILi16EdPdEEvT1_iilPiilS4_bb.num_vgpr, 96
	.set _ZN9rocsolver6v33100L18getri_kernel_smallILi16EdPdEEvT1_iilPiilS4_bb.num_agpr, 0
	.set _ZN9rocsolver6v33100L18getri_kernel_smallILi16EdPdEEvT1_iilPiilS4_bb.numbered_sgpr, 25
	.set _ZN9rocsolver6v33100L18getri_kernel_smallILi16EdPdEEvT1_iilPiilS4_bb.num_named_barrier, 0
	.set _ZN9rocsolver6v33100L18getri_kernel_smallILi16EdPdEEvT1_iilPiilS4_bb.private_seg_size, 0
	.set _ZN9rocsolver6v33100L18getri_kernel_smallILi16EdPdEEvT1_iilPiilS4_bb.uses_vcc, 1
	.set _ZN9rocsolver6v33100L18getri_kernel_smallILi16EdPdEEvT1_iilPiilS4_bb.uses_flat_scratch, 0
	.set _ZN9rocsolver6v33100L18getri_kernel_smallILi16EdPdEEvT1_iilPiilS4_bb.has_dyn_sized_stack, 0
	.set _ZN9rocsolver6v33100L18getri_kernel_smallILi16EdPdEEvT1_iilPiilS4_bb.has_recursion, 0
	.set _ZN9rocsolver6v33100L18getri_kernel_smallILi16EdPdEEvT1_iilPiilS4_bb.has_indirect_call, 0
	.section	.AMDGPU.csdata,"",@progbits
; Kernel info:
; codeLenInByte = 17712
; TotalNumSgprs: 27
; NumVgprs: 96
; ScratchSize: 0
; MemoryBound: 0
; FloatMode: 240
; IeeeMode: 1
; LDSByteSize: 264 bytes/workgroup (compile time only)
; SGPRBlocks: 0
; VGPRBlocks: 5
; NumSGPRsForWavesPerEU: 27
; NumVGPRsForWavesPerEU: 96
; NamedBarCnt: 0
; Occupancy: 10
; WaveLimiterHint : 0
; COMPUTE_PGM_RSRC2:SCRATCH_EN: 0
; COMPUTE_PGM_RSRC2:USER_SGPR: 2
; COMPUTE_PGM_RSRC2:TRAP_HANDLER: 0
; COMPUTE_PGM_RSRC2:TGID_X_EN: 1
; COMPUTE_PGM_RSRC2:TGID_Y_EN: 0
; COMPUTE_PGM_RSRC2:TGID_Z_EN: 0
; COMPUTE_PGM_RSRC2:TIDIG_COMP_CNT: 0
	.section	.text._ZN9rocsolver6v33100L18getri_kernel_smallILi17EdPdEEvT1_iilPiilS4_bb,"axG",@progbits,_ZN9rocsolver6v33100L18getri_kernel_smallILi17EdPdEEvT1_iilPiilS4_bb,comdat
	.globl	_ZN9rocsolver6v33100L18getri_kernel_smallILi17EdPdEEvT1_iilPiilS4_bb ; -- Begin function _ZN9rocsolver6v33100L18getri_kernel_smallILi17EdPdEEvT1_iilPiilS4_bb
	.p2align	8
	.type	_ZN9rocsolver6v33100L18getri_kernel_smallILi17EdPdEEvT1_iilPiilS4_bb,@function
_ZN9rocsolver6v33100L18getri_kernel_smallILi17EdPdEEvT1_iilPiilS4_bb: ; @_ZN9rocsolver6v33100L18getri_kernel_smallILi17EdPdEEvT1_iilPiilS4_bb
; %bb.0:
	v_and_b32_e32 v38, 0x3ff, v0
	s_mov_b32 s4, exec_lo
	s_delay_alu instid0(VALU_DEP_1)
	v_cmpx_gt_u32_e32 17, v38
	s_cbranch_execz .LBB16_78
; %bb.1:
	s_clause 0x2
	s_load_b32 s8, s[2:3], 0x38
	s_load_b128 s[12:15], s[2:3], 0x10
	s_load_b128 s[4:7], s[2:3], 0x28
	s_getreg_b32 s11, hwreg(HW_REG_IB_STS2, 6, 4)
                                        ; implicit-def: $sgpr16_sgpr17
	s_wait_kmcnt 0x0
	s_bitcmp1_b32 s8, 8
	s_cselect_b32 s20, -1, 0
	s_bfe_u32 s9, ttmp6, 0x4000c
	s_and_b32 s10, ttmp6, 15
	s_add_co_i32 s9, s9, 1
	s_delay_alu instid0(SALU_CYCLE_1) | instskip(NEXT) | instid1(SALU_CYCLE_1)
	s_mul_i32 s9, ttmp9, s9
	s_add_co_i32 s10, s10, s9
	s_cmp_eq_u32 s11, 0
	s_cselect_b32 s18, ttmp9, s10
	s_bfe_u32 s8, s8, 0x10008
	s_ashr_i32 s19, s18, 31
	s_cmp_eq_u32 s8, 0
	s_cbranch_scc1 .LBB16_3
; %bb.2:
	s_load_b32 s8, s[2:3], 0x20
	s_mul_u64 s[4:5], s[4:5], s[18:19]
	s_delay_alu instid0(SALU_CYCLE_1) | instskip(NEXT) | instid1(SALU_CYCLE_1)
	s_lshl_b64 s[4:5], s[4:5], 2
	s_add_nc_u64 s[4:5], s[14:15], s[4:5]
	s_wait_kmcnt 0x0
	s_ashr_i32 s9, s8, 31
	s_delay_alu instid0(SALU_CYCLE_1) | instskip(NEXT) | instid1(SALU_CYCLE_1)
	s_lshl_b64 s[8:9], s[8:9], 2
	s_add_nc_u64 s[16:17], s[4:5], s[8:9]
.LBB16_3:
	s_clause 0x1
	s_load_b128 s[8:11], s[2:3], 0x0
	s_load_b32 s14, s[2:3], 0x38
	s_mul_u64 s[4:5], s[12:13], s[18:19]
	v_bfe_u32 v1, v0, 10, 10
	s_lshl_b64 s[4:5], s[4:5], 3
	v_bfe_u32 v0, v0, 20, 10
	v_lshlrev_b32_e32 v2, 3, v38
	s_wait_kmcnt 0x0
	v_add3_u32 v8, s11, s11, v38
	s_ashr_i32 s3, s10, 31
	s_mov_b32 s2, s10
	s_add_nc_u64 s[4:5], s[8:9], s[4:5]
	s_lshl_b64 s[2:3], s[2:3], 3
	v_add_nc_u32_e32 v10, s11, v8
	s_add_nc_u64 s[2:3], s[4:5], s[2:3]
	s_ashr_i32 s5, s11, 31
	s_mov_b32 s4, s11
	s_delay_alu instid0(VALU_DEP_1) | instskip(NEXT) | instid1(VALU_DEP_1)
	v_add_nc_u32_e32 v12, s11, v10
	v_add_nc_u32_e32 v14, s11, v12
	s_delay_alu instid0(VALU_DEP_1) | instskip(NEXT) | instid1(VALU_DEP_1)
	v_add_nc_u32_e32 v16, s11, v14
	v_add_nc_u32_e32 v18, s11, v16
	s_delay_alu instid0(VALU_DEP_1) | instskip(NEXT) | instid1(VALU_DEP_1)
	v_add_nc_u32_e32 v20, s11, v18
	v_dual_mov_b32 v3, 0 :: v_dual_add_nc_u32 v22, s11, v20
	s_delay_alu instid0(VALU_DEP_1) | instskip(NEXT) | instid1(VALU_DEP_2)
	v_add_nc_u32_e32 v24, s11, v22
	v_add_nc_u64_e32 v[4:5], s[2:3], v[2:3]
	s_delay_alu instid0(VALU_DEP_2) | instskip(NEXT) | instid1(VALU_DEP_2)
	v_add_nc_u32_e32 v26, s11, v24
	v_lshl_add_u64 v[6:7], s[4:5], 3, v[4:5]
	s_load_b64 s[4:5], s[0:1], 0x4
	s_delay_alu instid0(VALU_DEP_2)
	v_add_nc_u32_e32 v28, s11, v26
	s_clause 0x9
	global_load_b64 v[42:43], v38, s[2:3] scale_offset
	global_load_b64 v[44:45], v[6:7], off
	global_load_b64 v[46:47], v8, s[2:3] scale_offset
	global_load_b64 v[48:49], v10, s[2:3] scale_offset
	;; [unrolled: 1-line block ×8, first 2 shown]
	v_add_nc_u32_e32 v30, s11, v28
	s_mov_b32 s1, -1
	s_delay_alu instid0(VALU_DEP_1) | instskip(NEXT) | instid1(VALU_DEP_1)
	v_add_nc_u32_e32 v32, s11, v30
	v_add_nc_u32_e32 v34, s11, v32
	s_wait_kmcnt 0x0
	s_lshr_b32 s0, s4, 16
	s_delay_alu instid0(VALU_DEP_1)
	v_add_nc_u32_e32 v36, s11, v34
	s_clause 0x3
	global_load_b64 v[62:63], v24, s[2:3] scale_offset
	global_load_b64 v[64:65], v26, s[2:3] scale_offset
	;; [unrolled: 1-line block ×4, first 2 shown]
	s_mul_i32 s0, s0, s5
	s_clause 0x2
	global_load_b64 v[70:71], v32, s[2:3] scale_offset
	global_load_b64 v[72:73], v34, s[2:3] scale_offset
	global_load_b64 v[74:75], v36, s[2:3] scale_offset
	v_mul_u32_u24_e32 v3, s0, v38
	v_mul_u32_u24_e32 v1, s5, v1
	s_bitcmp0_b32 s14, 0
	s_delay_alu instid0(VALU_DEP_1) | instskip(NEXT) | instid1(VALU_DEP_1)
	v_add3_u32 v0, v3, v1, v0
	v_mul_lo_u32 v3, 0x88, v0
	s_wait_loadcnt 0xf
	ds_store_b128 v3, v[42:45] offset:288
	s_wait_loadcnt 0xd
	ds_store_b128 v3, v[46:49] offset:304
	;; [unrolled: 2-line block ×8, first 2 shown]
	v_add_nc_u32_e32 v40, 0x120, v3
	s_wait_loadcnt 0x0
	ds_store_b64 v3, v[74:75] offset:416
	s_cbranch_scc1 .LBB16_76
; %bb.4:
	v_cmp_eq_u32_e64 s0, 0, v38
	s_and_saveexec_b32 s1, s0
; %bb.5:
	v_mov_b32_e32 v0, 0
	ds_store_b32 v0, v0 offset:136
; %bb.6:
	s_or_b32 exec_lo, exec_lo, s1
	v_lshl_add_u32 v0, v38, 3, v40
	s_wait_dscnt 0x0
	s_barrier_signal -1
	s_barrier_wait -1
	ds_load_b64 v[42:43], v0
	s_mov_b32 s4, exec_lo
	s_wait_dscnt 0x0
	v_cmpx_eq_f64_e32 0, v[42:43]
	s_cbranch_execz .LBB16_10
; %bb.7:
	v_mov_b32_e32 v1, 0
	s_mov_b32 s5, 0
	ds_load_b32 v9, v1 offset:136
	s_wait_dscnt 0x0
	v_readfirstlane_b32 s1, v9
	v_add_nc_u32_e32 v9, 1, v38
	s_cmp_eq_u32 s1, 0
	s_delay_alu instid0(VALU_DEP_1) | instskip(SKIP_1) | instid1(SALU_CYCLE_1)
	v_cmp_gt_i32_e32 vcc_lo, s1, v9
	s_cselect_b32 s8, -1, 0
	s_or_b32 s8, s8, vcc_lo
	s_delay_alu instid0(SALU_CYCLE_1)
	s_and_b32 exec_lo, exec_lo, s8
	s_cbranch_execz .LBB16_10
; %bb.8:
	v_mov_b32_e32 v11, s1
.LBB16_9:                               ; =>This Inner Loop Header: Depth=1
	ds_cmpstore_rtn_b32 v11, v1, v9, v11 offset:136
	s_wait_dscnt 0x0
	v_cmp_ne_u32_e32 vcc_lo, 0, v11
	v_cmp_le_i32_e64 s1, v11, v9
	s_and_b32 s1, vcc_lo, s1
	s_delay_alu instid0(SALU_CYCLE_1) | instskip(NEXT) | instid1(SALU_CYCLE_1)
	s_and_b32 s1, exec_lo, s1
	s_or_b32 s5, s1, s5
	s_delay_alu instid0(SALU_CYCLE_1)
	s_and_not1_b32 exec_lo, exec_lo, s5
	s_cbranch_execnz .LBB16_9
.LBB16_10:
	s_or_b32 exec_lo, exec_lo, s4
	v_mov_b32_e32 v1, 0
	s_barrier_signal -1
	s_barrier_wait -1
	ds_load_b32 v9, v1 offset:136
	s_and_saveexec_b32 s1, s0
	s_cbranch_execz .LBB16_12
; %bb.11:
	s_lshl_b64 s[4:5], s[18:19], 2
	s_delay_alu instid0(SALU_CYCLE_1)
	s_add_nc_u64 s[4:5], s[6:7], s[4:5]
	s_wait_dscnt 0x0
	global_store_b32 v1, v9, s[4:5]
.LBB16_12:
	s_wait_xcnt 0x0
	s_or_b32 exec_lo, exec_lo, s1
	s_wait_dscnt 0x0
	v_cmp_ne_u32_e32 vcc_lo, 0, v9
	s_mov_b32 s1, 0
	s_cbranch_vccnz .LBB16_76
; %bb.13:
	ds_load_b64 v[42:43], v0
	v_add_nc_u32_e32 v9, 0x90, v2
	s_wait_dscnt 0x0
	v_div_scale_f64 v[44:45], null, v[42:43], v[42:43], 1.0
	v_div_scale_f64 v[50:51], vcc_lo, 1.0, v[42:43], 1.0
	s_delay_alu instid0(VALU_DEP_2) | instskip(SKIP_1) | instid1(TRANS32_DEP_1)
	v_rcp_f64_e32 v[46:47], v[44:45]
	v_nop
	v_fma_f64 v[48:49], -v[44:45], v[46:47], 1.0
	s_delay_alu instid0(VALU_DEP_1) | instskip(NEXT) | instid1(VALU_DEP_1)
	v_fmac_f64_e32 v[46:47], v[46:47], v[48:49]
	v_fma_f64 v[48:49], -v[44:45], v[46:47], 1.0
	s_delay_alu instid0(VALU_DEP_1) | instskip(NEXT) | instid1(VALU_DEP_1)
	v_fmac_f64_e32 v[46:47], v[46:47], v[48:49]
	v_mul_f64_e32 v[48:49], v[50:51], v[46:47]
	s_delay_alu instid0(VALU_DEP_1) | instskip(NEXT) | instid1(VALU_DEP_1)
	v_fma_f64 v[44:45], -v[44:45], v[48:49], v[50:51]
	v_div_fmas_f64 v[44:45], v[44:45], v[46:47], v[48:49]
	s_delay_alu instid0(VALU_DEP_1)
	v_div_fixup_f64 v[42:43], v[44:45], v[42:43], 1.0
	ds_store_b64 v0, v[42:43]
	ds_load_b64 v[44:45], v40 offset:8
	v_xor_b32_e32 v43, 0x80000000, v43
	s_wait_dscnt 0x0
	ds_store_2addr_b64 v2, v[42:43], v[44:45] offset1:18
	s_wait_storecnt_dscnt 0x0
	s_barrier_signal -1
	s_barrier_wait -1
	s_and_saveexec_b32 s1, s0
	s_cbranch_execz .LBB16_15
; %bb.14:
	ds_load_b64 v[42:43], v0
	ds_load_b64 v[44:45], v9
	s_wait_dscnt 0x0
	v_fma_f64 v[42:43], v[42:43], v[44:45], 0
	v_mov_b32_e32 v1, 0
	ds_load_b64 v[46:47], v1 offset:8
	s_wait_dscnt 0x0
	v_mul_f64_e32 v[42:43], v[42:43], v[46:47]
	ds_store_b64 v40, v[42:43] offset:8
.LBB16_15:
	s_or_b32 exec_lo, exec_lo, s1
	s_wait_dscnt 0x0
	s_barrier_signal -1
	s_barrier_wait -1
	ds_load_b64 v[42:43], v40 offset:16
	s_mov_b32 s1, exec_lo
	s_wait_dscnt 0x0
	ds_store_b64 v9, v[42:43]
	s_wait_dscnt 0x0
	s_barrier_signal -1
	s_barrier_wait -1
	v_cmpx_gt_u32_e32 2, v38
	s_cbranch_execz .LBB16_19
; %bb.16:
	ds_load_b64 v[0:1], v0
	ds_load_b64 v[42:43], v9
	s_wait_dscnt 0x0
	v_fma_f64 v[0:1], v[0:1], v[42:43], 0
	s_and_saveexec_b32 s4, s0
	s_cbranch_execz .LBB16_18
; %bb.17:
	v_mov_b32_e32 v11, 0
	ds_load_b64 v[42:43], v40 offset:8
	ds_load_b64 v[44:45], v11 offset:152
	s_wait_dscnt 0x0
	v_fmac_f64_e32 v[0:1], v[42:43], v[44:45]
.LBB16_18:
	s_or_b32 exec_lo, exec_lo, s4
	v_mov_b32_e32 v11, 0
	ds_load_b64 v[42:43], v11 offset:16
	s_wait_dscnt 0x0
	v_mul_f64_e32 v[0:1], v[0:1], v[42:43]
	ds_store_b64 v40, v[0:1] offset:16
.LBB16_19:
	s_or_b32 exec_lo, exec_lo, s1
	s_wait_dscnt 0x0
	s_barrier_signal -1
	s_barrier_wait -1
	ds_load_b64 v[0:1], v40 offset:24
	v_add_nc_u32_e32 v11, -1, v38
	s_mov_b32 s0, exec_lo
	s_wait_dscnt 0x0
	ds_store_b64 v9, v[0:1]
	s_wait_dscnt 0x0
	s_barrier_signal -1
	s_barrier_wait -1
	v_cmpx_gt_u32_e32 3, v38
	s_cbranch_execz .LBB16_23
; %bb.20:
	v_mov_b64_e32 v[0:1], 0
	v_add_nc_u32_e32 v13, -1, v38
	v_add_nc_u32_e32 v15, 0x90, v2
	v_add3_u32 v17, v3, v2, 0x120
	s_mov_b32 s1, 0
.LBB16_21:                              ; =>This Inner Loop Header: Depth=1
	ds_load_b64 v[42:43], v17
	ds_load_b64 v[44:45], v15
	v_dual_add_nc_u32 v13, 1, v13 :: v_dual_add_nc_u32 v15, 8, v15
	v_add_nc_u32_e32 v17, 8, v17
	s_delay_alu instid0(VALU_DEP_2)
	v_cmp_lt_u32_e32 vcc_lo, 1, v13
	s_or_b32 s1, vcc_lo, s1
	s_wait_dscnt 0x0
	v_fmac_f64_e32 v[0:1], v[42:43], v[44:45]
	s_and_not1_b32 exec_lo, exec_lo, s1
	s_cbranch_execnz .LBB16_21
; %bb.22:
	s_or_b32 exec_lo, exec_lo, s1
	v_mov_b32_e32 v13, 0
	ds_load_b64 v[42:43], v13 offset:24
	s_wait_dscnt 0x0
	v_mul_f64_e32 v[0:1], v[0:1], v[42:43]
	ds_store_b64 v40, v[0:1] offset:24
.LBB16_23:
	s_or_b32 exec_lo, exec_lo, s0
	s_wait_dscnt 0x0
	s_barrier_signal -1
	s_barrier_wait -1
	ds_load_b64 v[0:1], v40 offset:32
	s_mov_b32 s0, exec_lo
	s_wait_dscnt 0x0
	ds_store_b64 v9, v[0:1]
	s_wait_dscnt 0x0
	s_barrier_signal -1
	s_barrier_wait -1
	v_cmpx_gt_u32_e32 4, v38
	s_cbranch_execz .LBB16_27
; %bb.24:
	v_mov_b64_e32 v[0:1], 0
	v_add_nc_u32_e32 v13, -1, v38
	v_add_nc_u32_e32 v15, 0x90, v2
	v_add3_u32 v17, v3, v2, 0x120
	s_mov_b32 s1, 0
.LBB16_25:                              ; =>This Inner Loop Header: Depth=1
	ds_load_b64 v[42:43], v17
	ds_load_b64 v[44:45], v15
	v_dual_add_nc_u32 v13, 1, v13 :: v_dual_add_nc_u32 v15, 8, v15
	v_add_nc_u32_e32 v17, 8, v17
	s_delay_alu instid0(VALU_DEP_2)
	v_cmp_lt_u32_e32 vcc_lo, 2, v13
	s_or_b32 s1, vcc_lo, s1
	s_wait_dscnt 0x0
	v_fmac_f64_e32 v[0:1], v[42:43], v[44:45]
	s_and_not1_b32 exec_lo, exec_lo, s1
	s_cbranch_execnz .LBB16_25
; %bb.26:
	s_or_b32 exec_lo, exec_lo, s1
	v_mov_b32_e32 v13, 0
	ds_load_b64 v[42:43], v13 offset:32
	s_wait_dscnt 0x0
	v_mul_f64_e32 v[0:1], v[0:1], v[42:43]
	ds_store_b64 v40, v[0:1] offset:32
.LBB16_27:
	s_or_b32 exec_lo, exec_lo, s0
	s_wait_dscnt 0x0
	s_barrier_signal -1
	s_barrier_wait -1
	ds_load_b64 v[0:1], v40 offset:40
	;; [unrolled: 39-line block ×13, first 2 shown]
	s_mov_b32 s0, exec_lo
	s_wait_dscnt 0x0
	ds_store_b64 v9, v[0:1]
	s_wait_dscnt 0x0
	s_barrier_signal -1
	s_barrier_wait -1
	v_cmpx_ne_u32_e32 16, v38
	s_cbranch_execz .LBB16_75
; %bb.72:
	v_mov_b64_e32 v[0:1], 0
	v_add3_u32 v2, v3, v2, 0x120
	s_mov_b32 s1, 0
.LBB16_73:                              ; =>This Inner Loop Header: Depth=1
	ds_load_b64 v[42:43], v2
	ds_load_b64 v[44:45], v9
	v_dual_add_nc_u32 v11, 1, v11 :: v_dual_add_nc_u32 v9, 8, v9
	v_add_nc_u32_e32 v2, 8, v2
	s_delay_alu instid0(VALU_DEP_2)
	v_cmp_lt_u32_e32 vcc_lo, 14, v11
	s_or_b32 s1, vcc_lo, s1
	s_wait_dscnt 0x0
	v_fmac_f64_e32 v[0:1], v[42:43], v[44:45]
	s_and_not1_b32 exec_lo, exec_lo, s1
	s_cbranch_execnz .LBB16_73
; %bb.74:
	s_or_b32 exec_lo, exec_lo, s1
	v_mov_b32_e32 v2, 0
	ds_load_b64 v[2:3], v2 offset:128
	s_wait_dscnt 0x0
	v_mul_f64_e32 v[0:1], v[0:1], v[2:3]
	ds_store_b64 v40, v[0:1] offset:128
.LBB16_75:
	s_or_b32 exec_lo, exec_lo, s0
	s_mov_b32 s1, -1
	s_wait_dscnt 0x0
	s_barrier_signal -1
	s_barrier_wait -1
.LBB16_76:
	s_and_b32 vcc_lo, exec_lo, s1
	s_cbranch_vccz .LBB16_78
; %bb.77:
	v_mov_b32_e32 v0, 0
	s_lshl_b64 s[0:1], s[18:19], 2
	s_delay_alu instid0(SALU_CYCLE_1)
	s_add_nc_u64 s[0:1], s[6:7], s[0:1]
	global_load_b32 v0, v0, s[0:1]
	s_wait_loadcnt 0x0
	v_cmp_ne_u32_e32 vcc_lo, 0, v0
	s_cbranch_vccz .LBB16_79
.LBB16_78:
	s_sendmsg sendmsg(MSG_DEALLOC_VGPRS)
	s_endpgm
.LBB16_79:
	s_wait_xcnt 0x0
	v_lshl_add_u32 v0, v38, 3, 0x90
	s_mov_b32 s0, exec_lo
	v_cmpx_eq_u32_e32 16, v38
	s_cbranch_execz .LBB16_81
; %bb.80:
	ds_load_b64 v[2:3], v40 offset:120
	v_mov_b64_e32 v[42:43], 0
	s_wait_dscnt 0x0
	ds_store_b64 v0, v[2:3]
	ds_store_b64 v40, v[42:43] offset:120
.LBB16_81:
	s_or_b32 exec_lo, exec_lo, s0
	v_mov_b32_e32 v1, 0
	s_wait_storecnt_dscnt 0x0
	s_barrier_signal -1
	s_barrier_wait -1
	ds_load_2addr_b64 v[42:45], v40 offset0:15 offset1:16
	ds_load_b64 v[2:3], v1 offset:272
	s_mov_b32 s0, exec_lo
	s_wait_dscnt 0x0
	v_fma_f64 v[2:3], v[44:45], v[2:3], 0
	s_delay_alu instid0(VALU_DEP_1)
	v_add_f64_e64 v[2:3], v[42:43], -v[2:3]
	ds_store_b64 v40, v[2:3] offset:120
	v_cmpx_lt_u32_e32 14, v38
	s_cbranch_execz .LBB16_83
; %bb.82:
	ds_load_b64 v[2:3], v40 offset:112
	v_mov_b64_e32 v[42:43], 0
	s_wait_dscnt 0x0
	ds_store_b64 v0, v[2:3]
	ds_store_b64 v40, v[42:43] offset:112
.LBB16_83:
	s_or_b32 exec_lo, exec_lo, s0
	s_wait_dscnt 0x0
	s_barrier_signal -1
	s_barrier_wait -1
	ds_load_2addr_b64 v[42:45], v1 offset0:33 offset1:34
	ds_load_b128 v[46:49], v40 offset:112
	ds_load_b64 v[2:3], v40 offset:128
	s_mov_b32 s0, exec_lo
	s_wait_dscnt 0x1
	v_fma_f64 v[42:43], v[48:49], v[42:43], 0
	s_wait_dscnt 0x0
	s_delay_alu instid0(VALU_DEP_1) | instskip(NEXT) | instid1(VALU_DEP_1)
	v_fmac_f64_e32 v[42:43], v[2:3], v[44:45]
	v_add_f64_e64 v[2:3], v[46:47], -v[42:43]
	ds_store_b64 v40, v[2:3] offset:112
	v_cmpx_lt_u32_e32 13, v38
	s_cbranch_execz .LBB16_85
; %bb.84:
	ds_load_b64 v[2:3], v40 offset:104
	v_mov_b64_e32 v[42:43], 0
	s_wait_dscnt 0x0
	ds_store_b64 v0, v[2:3]
	ds_store_b64 v40, v[42:43] offset:104
.LBB16_85:
	s_or_b32 exec_lo, exec_lo, s0
	v_mov_b32_e32 v1, 0
	s_wait_dscnt 0x0
	s_barrier_signal -1
	s_barrier_wait -1
	ds_load_2addr_b64 v[42:45], v40 offset0:13 offset1:14
	ds_load_b128 v[46:49], v1 offset:256
	ds_load_b64 v[2:3], v1 offset:272
	ds_load_2addr_b64 v[50:53], v40 offset0:15 offset1:16
	s_mov_b32 s0, exec_lo
	s_wait_dscnt 0x2
	v_fma_f64 v[44:45], v[44:45], v[46:47], 0
	s_wait_dscnt 0x0
	s_delay_alu instid0(VALU_DEP_1) | instskip(NEXT) | instid1(VALU_DEP_1)
	v_fmac_f64_e32 v[44:45], v[50:51], v[48:49]
	v_fmac_f64_e32 v[44:45], v[52:53], v[2:3]
	s_delay_alu instid0(VALU_DEP_1)
	v_add_f64_e64 v[2:3], v[42:43], -v[44:45]
	ds_store_b64 v40, v[2:3] offset:104
	v_cmpx_lt_u32_e32 12, v38
	s_cbranch_execz .LBB16_87
; %bb.86:
	ds_load_b64 v[2:3], v40 offset:96
	v_mov_b64_e32 v[42:43], 0
	s_wait_dscnt 0x0
	ds_store_b64 v0, v[2:3]
	ds_store_b64 v40, v[42:43] offset:96
.LBB16_87:
	s_or_b32 exec_lo, exec_lo, s0
	s_wait_dscnt 0x0
	s_barrier_signal -1
	s_barrier_wait -1
	ds_load_2addr_b64 v[42:45], v1 offset0:31 offset1:32
	ds_load_b128 v[46:49], v40 offset:96
	ds_load_b128 v[50:53], v40 offset:112
	ds_load_2addr_b64 v[54:57], v1 offset0:33 offset1:34
	s_mov_b32 s0, exec_lo
	s_wait_dscnt 0x2
	v_fma_f64 v[2:3], v[48:49], v[42:43], 0
	ds_load_b64 v[42:43], v40 offset:128
	s_wait_dscnt 0x2
	v_fmac_f64_e32 v[2:3], v[50:51], v[44:45]
	s_wait_dscnt 0x1
	s_delay_alu instid0(VALU_DEP_1) | instskip(SKIP_1) | instid1(VALU_DEP_1)
	v_fmac_f64_e32 v[2:3], v[52:53], v[54:55]
	s_wait_dscnt 0x0
	v_fmac_f64_e32 v[2:3], v[42:43], v[56:57]
	s_delay_alu instid0(VALU_DEP_1)
	v_add_f64_e64 v[2:3], v[46:47], -v[2:3]
	ds_store_b64 v40, v[2:3] offset:96
	v_cmpx_lt_u32_e32 11, v38
	s_cbranch_execz .LBB16_89
; %bb.88:
	ds_load_b64 v[2:3], v40 offset:88
	v_mov_b64_e32 v[42:43], 0
	s_wait_dscnt 0x0
	ds_store_b64 v0, v[2:3]
	ds_store_b64 v40, v[42:43] offset:88
.LBB16_89:
	s_or_b32 exec_lo, exec_lo, s0
	v_mov_b32_e32 v1, 0
	s_wait_dscnt 0x0
	s_barrier_signal -1
	s_barrier_wait -1
	ds_load_2addr_b64 v[42:45], v40 offset0:11 offset1:12
	ds_load_b128 v[46:49], v1 offset:240
	ds_load_b128 v[50:53], v1 offset:256
	ds_load_2addr_b64 v[54:57], v40 offset0:13 offset1:14
	s_mov_b32 s0, exec_lo
	s_wait_dscnt 0x2
	v_fma_f64 v[2:3], v[44:45], v[46:47], 0
	ds_load_2addr_b64 v[44:47], v40 offset0:15 offset1:16
	s_wait_dscnt 0x1
	v_fmac_f64_e32 v[2:3], v[54:55], v[48:49]
	s_delay_alu instid0(VALU_DEP_1) | instskip(SKIP_1) | instid1(VALU_DEP_1)
	v_fmac_f64_e32 v[2:3], v[56:57], v[50:51]
	s_wait_dscnt 0x0
	v_fmac_f64_e32 v[2:3], v[44:45], v[52:53]
	ds_load_b64 v[44:45], v1 offset:272
	s_wait_dscnt 0x0
	v_fmac_f64_e32 v[2:3], v[46:47], v[44:45]
	s_delay_alu instid0(VALU_DEP_1)
	v_add_f64_e64 v[2:3], v[42:43], -v[2:3]
	ds_store_b64 v40, v[2:3] offset:88
	v_cmpx_lt_u32_e32 10, v38
	s_cbranch_execz .LBB16_91
; %bb.90:
	ds_load_b64 v[2:3], v40 offset:80
	v_mov_b64_e32 v[42:43], 0
	s_wait_dscnt 0x0
	ds_store_b64 v0, v[2:3]
	ds_store_b64 v40, v[42:43] offset:80
.LBB16_91:
	s_or_b32 exec_lo, exec_lo, s0
	s_wait_dscnt 0x0
	s_barrier_signal -1
	s_barrier_wait -1
	ds_load_2addr_b64 v[42:45], v1 offset0:29 offset1:30
	ds_load_b128 v[46:49], v40 offset:80
	ds_load_b128 v[50:53], v40 offset:96
	ds_load_2addr_b64 v[54:57], v1 offset0:31 offset1:32
	s_mov_b32 s0, exec_lo
	s_wait_dscnt 0x2
	v_fma_f64 v[2:3], v[48:49], v[42:43], 0
	s_wait_dscnt 0x1
	s_delay_alu instid0(VALU_DEP_1) | instskip(SKIP_1) | instid1(VALU_DEP_1)
	v_fmac_f64_e32 v[2:3], v[50:51], v[44:45]
	s_wait_dscnt 0x0
	v_fmac_f64_e32 v[2:3], v[52:53], v[54:55]
	ds_load_b128 v[42:45], v40 offset:112
	ds_load_b64 v[52:53], v40 offset:128
	ds_load_2addr_b64 v[48:51], v1 offset0:33 offset1:34
	s_wait_dscnt 0x2
	v_fmac_f64_e32 v[2:3], v[42:43], v[56:57]
	s_wait_dscnt 0x0
	s_delay_alu instid0(VALU_DEP_1) | instskip(NEXT) | instid1(VALU_DEP_1)
	v_fmac_f64_e32 v[2:3], v[44:45], v[48:49]
	v_fmac_f64_e32 v[2:3], v[52:53], v[50:51]
	s_delay_alu instid0(VALU_DEP_1)
	v_add_f64_e64 v[2:3], v[46:47], -v[2:3]
	ds_store_b64 v40, v[2:3] offset:80
	v_cmpx_lt_u32_e32 9, v38
	s_cbranch_execz .LBB16_93
; %bb.92:
	ds_load_b64 v[2:3], v40 offset:72
	v_mov_b64_e32 v[42:43], 0
	s_wait_dscnt 0x0
	ds_store_b64 v0, v[2:3]
	ds_store_b64 v40, v[42:43] offset:72
.LBB16_93:
	s_or_b32 exec_lo, exec_lo, s0
	v_mov_b32_e32 v1, 0
	s_wait_dscnt 0x0
	s_barrier_signal -1
	s_barrier_wait -1
	ds_load_2addr_b64 v[42:45], v40 offset0:9 offset1:10
	ds_load_b128 v[46:49], v1 offset:224
	ds_load_b128 v[50:53], v1 offset:240
	ds_load_2addr_b64 v[54:57], v40 offset0:11 offset1:12
	s_mov_b32 s0, exec_lo
	s_wait_dscnt 0x2
	v_fma_f64 v[2:3], v[44:45], v[46:47], 0
	s_wait_dscnt 0x0
	s_delay_alu instid0(VALU_DEP_1) | instskip(NEXT) | instid1(VALU_DEP_1)
	v_fmac_f64_e32 v[2:3], v[54:55], v[48:49]
	v_fmac_f64_e32 v[2:3], v[56:57], v[50:51]
	ds_load_2addr_b64 v[44:47], v40 offset0:13 offset1:14
	ds_load_2addr_b64 v[48:51], v40 offset0:15 offset1:16
	s_wait_dscnt 0x1
	v_fmac_f64_e32 v[2:3], v[44:45], v[52:53]
	ds_load_b128 v[52:55], v1 offset:256
	ds_load_b64 v[44:45], v1 offset:272
	s_wait_dscnt 0x1
	v_fmac_f64_e32 v[2:3], v[46:47], v[52:53]
	s_delay_alu instid0(VALU_DEP_1) | instskip(SKIP_1) | instid1(VALU_DEP_1)
	v_fmac_f64_e32 v[2:3], v[48:49], v[54:55]
	s_wait_dscnt 0x0
	v_fmac_f64_e32 v[2:3], v[50:51], v[44:45]
	s_delay_alu instid0(VALU_DEP_1)
	v_add_f64_e64 v[2:3], v[42:43], -v[2:3]
	ds_store_b64 v40, v[2:3] offset:72
	v_cmpx_lt_u32_e32 8, v38
	s_cbranch_execz .LBB16_95
; %bb.94:
	ds_load_b64 v[2:3], v40 offset:64
	v_mov_b64_e32 v[42:43], 0
	s_wait_dscnt 0x0
	ds_store_b64 v0, v[2:3]
	ds_store_b64 v40, v[42:43] offset:64
.LBB16_95:
	s_or_b32 exec_lo, exec_lo, s0
	s_wait_dscnt 0x0
	s_barrier_signal -1
	s_barrier_wait -1
	ds_load_2addr_b64 v[42:45], v1 offset0:27 offset1:28
	ds_load_b128 v[46:49], v40 offset:64
	ds_load_b128 v[50:53], v40 offset:80
	ds_load_2addr_b64 v[54:57], v1 offset0:29 offset1:30
	s_mov_b32 s0, exec_lo
	s_wait_dscnt 0x2
	v_fma_f64 v[2:3], v[48:49], v[42:43], 0
	s_wait_dscnt 0x1
	s_delay_alu instid0(VALU_DEP_1)
	v_fmac_f64_e32 v[2:3], v[50:51], v[44:45]
	ds_load_b128 v[42:45], v40 offset:96
	ds_load_b128 v[48:51], v40 offset:112
	s_wait_dscnt 0x2
	v_fmac_f64_e32 v[2:3], v[52:53], v[54:55]
	s_wait_dscnt 0x1
	s_delay_alu instid0(VALU_DEP_1)
	v_fmac_f64_e32 v[2:3], v[42:43], v[56:57]
	ds_load_2addr_b64 v[52:55], v1 offset0:31 offset1:32
	ds_load_2addr_b64 v[56:59], v1 offset0:33 offset1:34
	ds_load_b64 v[42:43], v40 offset:128
	s_wait_dscnt 0x2
	v_fmac_f64_e32 v[2:3], v[44:45], v[52:53]
	s_delay_alu instid0(VALU_DEP_1) | instskip(SKIP_1) | instid1(VALU_DEP_1)
	v_fmac_f64_e32 v[2:3], v[48:49], v[54:55]
	s_wait_dscnt 0x1
	v_fmac_f64_e32 v[2:3], v[50:51], v[56:57]
	s_wait_dscnt 0x0
	s_delay_alu instid0(VALU_DEP_1) | instskip(NEXT) | instid1(VALU_DEP_1)
	v_fmac_f64_e32 v[2:3], v[42:43], v[58:59]
	v_add_f64_e64 v[2:3], v[46:47], -v[2:3]
	ds_store_b64 v40, v[2:3] offset:64
	v_cmpx_lt_u32_e32 7, v38
	s_cbranch_execz .LBB16_97
; %bb.96:
	ds_load_b64 v[2:3], v40 offset:56
	v_mov_b64_e32 v[42:43], 0
	s_wait_dscnt 0x0
	ds_store_b64 v0, v[2:3]
	ds_store_b64 v40, v[42:43] offset:56
.LBB16_97:
	s_or_b32 exec_lo, exec_lo, s0
	v_mov_b32_e32 v1, 0
	s_wait_dscnt 0x0
	s_barrier_signal -1
	s_barrier_wait -1
	ds_load_2addr_b64 v[42:45], v40 offset0:7 offset1:8
	ds_load_b128 v[46:49], v1 offset:208
	ds_load_b128 v[50:53], v1 offset:224
	ds_load_2addr_b64 v[54:57], v40 offset0:9 offset1:10
	s_mov_b32 s0, exec_lo
	s_wait_dscnt 0x2
	v_fma_f64 v[2:3], v[44:45], v[46:47], 0
	s_wait_dscnt 0x0
	s_delay_alu instid0(VALU_DEP_1) | instskip(NEXT) | instid1(VALU_DEP_1)
	v_fmac_f64_e32 v[2:3], v[54:55], v[48:49]
	v_fmac_f64_e32 v[2:3], v[56:57], v[50:51]
	ds_load_2addr_b64 v[44:47], v40 offset0:11 offset1:12
	ds_load_2addr_b64 v[48:51], v40 offset0:13 offset1:14
	s_wait_dscnt 0x1
	v_fmac_f64_e32 v[2:3], v[44:45], v[52:53]
	ds_load_b128 v[52:55], v1 offset:240
	ds_load_b128 v[56:59], v1 offset:256
	s_wait_dscnt 0x1
	v_fmac_f64_e32 v[2:3], v[46:47], v[52:53]
	ds_load_2addr_b64 v[44:47], v40 offset0:15 offset1:16
	v_fmac_f64_e32 v[2:3], v[48:49], v[54:55]
	s_wait_dscnt 0x1
	s_delay_alu instid0(VALU_DEP_1) | instskip(SKIP_1) | instid1(VALU_DEP_1)
	v_fmac_f64_e32 v[2:3], v[50:51], v[56:57]
	s_wait_dscnt 0x0
	v_fmac_f64_e32 v[2:3], v[44:45], v[58:59]
	ds_load_b64 v[44:45], v1 offset:272
	s_wait_dscnt 0x0
	v_fmac_f64_e32 v[2:3], v[46:47], v[44:45]
	s_delay_alu instid0(VALU_DEP_1)
	v_add_f64_e64 v[2:3], v[42:43], -v[2:3]
	ds_store_b64 v40, v[2:3] offset:56
	v_cmpx_lt_u32_e32 6, v38
	s_cbranch_execz .LBB16_99
; %bb.98:
	ds_load_b64 v[2:3], v40 offset:48
	v_mov_b64_e32 v[42:43], 0
	s_wait_dscnt 0x0
	ds_store_b64 v0, v[2:3]
	ds_store_b64 v40, v[42:43] offset:48
.LBB16_99:
	s_or_b32 exec_lo, exec_lo, s0
	s_wait_dscnt 0x0
	s_barrier_signal -1
	s_barrier_wait -1
	ds_load_2addr_b64 v[42:45], v1 offset0:25 offset1:26
	ds_load_b128 v[46:49], v40 offset:48
	ds_load_b128 v[50:53], v40 offset:64
	ds_load_2addr_b64 v[54:57], v1 offset0:27 offset1:28
	s_mov_b32 s0, exec_lo
	s_wait_dscnt 0x2
	v_fma_f64 v[2:3], v[48:49], v[42:43], 0
	s_wait_dscnt 0x1
	s_delay_alu instid0(VALU_DEP_1)
	v_fmac_f64_e32 v[2:3], v[50:51], v[44:45]
	ds_load_b128 v[42:45], v40 offset:80
	ds_load_b128 v[48:51], v40 offset:96
	s_wait_dscnt 0x2
	v_fmac_f64_e32 v[2:3], v[52:53], v[54:55]
	s_wait_dscnt 0x1
	s_delay_alu instid0(VALU_DEP_1)
	v_fmac_f64_e32 v[2:3], v[42:43], v[56:57]
	ds_load_2addr_b64 v[52:55], v1 offset0:29 offset1:30
	ds_load_2addr_b64 v[56:59], v1 offset0:31 offset1:32
	s_wait_dscnt 0x1
	v_fmac_f64_e32 v[2:3], v[44:45], v[52:53]
	ds_load_b128 v[42:45], v40 offset:112
	ds_load_b64 v[52:53], v40 offset:128
	v_fmac_f64_e32 v[2:3], v[48:49], v[54:55]
	s_wait_dscnt 0x2
	s_delay_alu instid0(VALU_DEP_1) | instskip(SKIP_4) | instid1(VALU_DEP_1)
	v_fmac_f64_e32 v[2:3], v[50:51], v[56:57]
	ds_load_2addr_b64 v[48:51], v1 offset0:33 offset1:34
	s_wait_dscnt 0x2
	v_fmac_f64_e32 v[2:3], v[42:43], v[58:59]
	s_wait_dscnt 0x0
	v_fmac_f64_e32 v[2:3], v[44:45], v[48:49]
	s_delay_alu instid0(VALU_DEP_1) | instskip(NEXT) | instid1(VALU_DEP_1)
	v_fmac_f64_e32 v[2:3], v[52:53], v[50:51]
	v_add_f64_e64 v[2:3], v[46:47], -v[2:3]
	ds_store_b64 v40, v[2:3] offset:48
	v_cmpx_lt_u32_e32 5, v38
	s_cbranch_execz .LBB16_101
; %bb.100:
	ds_load_b64 v[2:3], v40 offset:40
	v_mov_b64_e32 v[42:43], 0
	s_wait_dscnt 0x0
	ds_store_b64 v0, v[2:3]
	ds_store_b64 v40, v[42:43] offset:40
.LBB16_101:
	s_or_b32 exec_lo, exec_lo, s0
	v_mov_b32_e32 v1, 0
	s_wait_dscnt 0x0
	s_barrier_signal -1
	s_barrier_wait -1
	ds_load_2addr_b64 v[42:45], v40 offset0:5 offset1:6
	ds_load_b128 v[46:49], v1 offset:192
	ds_load_b128 v[50:53], v1 offset:208
	ds_load_2addr_b64 v[54:57], v40 offset0:7 offset1:8
	s_mov_b32 s0, exec_lo
	s_wait_dscnt 0x2
	v_fma_f64 v[2:3], v[44:45], v[46:47], 0
	s_wait_dscnt 0x0
	s_delay_alu instid0(VALU_DEP_1) | instskip(NEXT) | instid1(VALU_DEP_1)
	v_fmac_f64_e32 v[2:3], v[54:55], v[48:49]
	v_fmac_f64_e32 v[2:3], v[56:57], v[50:51]
	ds_load_2addr_b64 v[44:47], v40 offset0:9 offset1:10
	ds_load_2addr_b64 v[48:51], v40 offset0:11 offset1:12
	s_wait_dscnt 0x1
	v_fmac_f64_e32 v[2:3], v[44:45], v[52:53]
	ds_load_b128 v[52:55], v1 offset:224
	ds_load_b128 v[56:59], v1 offset:240
	s_wait_dscnt 0x1
	v_fmac_f64_e32 v[2:3], v[46:47], v[52:53]
	s_delay_alu instid0(VALU_DEP_1) | instskip(SKIP_1) | instid1(VALU_DEP_1)
	v_fmac_f64_e32 v[2:3], v[48:49], v[54:55]
	s_wait_dscnt 0x0
	v_fmac_f64_e32 v[2:3], v[50:51], v[56:57]
	ds_load_2addr_b64 v[44:47], v40 offset0:13 offset1:14
	ds_load_2addr_b64 v[48:51], v40 offset0:15 offset1:16
	s_wait_dscnt 0x1
	v_fmac_f64_e32 v[2:3], v[44:45], v[58:59]
	ds_load_b128 v[52:55], v1 offset:256
	ds_load_b64 v[44:45], v1 offset:272
	s_wait_dscnt 0x1
	v_fmac_f64_e32 v[2:3], v[46:47], v[52:53]
	s_delay_alu instid0(VALU_DEP_1) | instskip(SKIP_1) | instid1(VALU_DEP_1)
	v_fmac_f64_e32 v[2:3], v[48:49], v[54:55]
	s_wait_dscnt 0x0
	v_fmac_f64_e32 v[2:3], v[50:51], v[44:45]
	s_delay_alu instid0(VALU_DEP_1)
	v_add_f64_e64 v[2:3], v[42:43], -v[2:3]
	ds_store_b64 v40, v[2:3] offset:40
	v_cmpx_lt_u32_e32 4, v38
	s_cbranch_execz .LBB16_103
; %bb.102:
	ds_load_b64 v[2:3], v40 offset:32
	v_mov_b64_e32 v[42:43], 0
	s_wait_dscnt 0x0
	ds_store_b64 v0, v[2:3]
	ds_store_b64 v40, v[42:43] offset:32
.LBB16_103:
	s_or_b32 exec_lo, exec_lo, s0
	s_wait_dscnt 0x0
	s_barrier_signal -1
	s_barrier_wait -1
	ds_load_2addr_b64 v[42:45], v1 offset0:23 offset1:24
	ds_load_b128 v[46:49], v40 offset:32
	ds_load_b128 v[50:53], v40 offset:48
	ds_load_2addr_b64 v[54:57], v1 offset0:25 offset1:26
	s_mov_b32 s0, exec_lo
	s_wait_dscnt 0x2
	v_fma_f64 v[2:3], v[48:49], v[42:43], 0
	s_wait_dscnt 0x1
	s_delay_alu instid0(VALU_DEP_1)
	v_fmac_f64_e32 v[2:3], v[50:51], v[44:45]
	ds_load_b128 v[42:45], v40 offset:64
	ds_load_b128 v[48:51], v40 offset:80
	s_wait_dscnt 0x2
	v_fmac_f64_e32 v[2:3], v[52:53], v[54:55]
	s_wait_dscnt 0x1
	s_delay_alu instid0(VALU_DEP_1) | instskip(SKIP_4) | instid1(VALU_DEP_1)
	v_fmac_f64_e32 v[2:3], v[42:43], v[56:57]
	ds_load_2addr_b64 v[52:55], v1 offset0:27 offset1:28
	ds_load_2addr_b64 v[56:59], v1 offset0:29 offset1:30
	s_wait_dscnt 0x1
	v_fmac_f64_e32 v[2:3], v[44:45], v[52:53]
	v_fmac_f64_e32 v[2:3], v[48:49], v[54:55]
	s_wait_dscnt 0x0
	s_delay_alu instid0(VALU_DEP_1)
	v_fmac_f64_e32 v[2:3], v[50:51], v[56:57]
	ds_load_b128 v[42:45], v40 offset:96
	ds_load_b128 v[48:51], v40 offset:112
	s_wait_dscnt 0x1
	v_fmac_f64_e32 v[2:3], v[42:43], v[58:59]
	ds_load_2addr_b64 v[52:55], v1 offset0:31 offset1:32
	ds_load_2addr_b64 v[56:59], v1 offset0:33 offset1:34
	ds_load_b64 v[42:43], v40 offset:128
	s_wait_dscnt 0x2
	v_fmac_f64_e32 v[2:3], v[44:45], v[52:53]
	s_delay_alu instid0(VALU_DEP_1) | instskip(SKIP_1) | instid1(VALU_DEP_1)
	v_fmac_f64_e32 v[2:3], v[48:49], v[54:55]
	s_wait_dscnt 0x1
	v_fmac_f64_e32 v[2:3], v[50:51], v[56:57]
	s_wait_dscnt 0x0
	s_delay_alu instid0(VALU_DEP_1) | instskip(NEXT) | instid1(VALU_DEP_1)
	v_fmac_f64_e32 v[2:3], v[42:43], v[58:59]
	v_add_f64_e64 v[2:3], v[46:47], -v[2:3]
	ds_store_b64 v40, v[2:3] offset:32
	v_cmpx_lt_u32_e32 3, v38
	s_cbranch_execz .LBB16_105
; %bb.104:
	ds_load_b64 v[2:3], v40 offset:24
	v_mov_b64_e32 v[42:43], 0
	s_wait_dscnt 0x0
	ds_store_b64 v0, v[2:3]
	ds_store_b64 v40, v[42:43] offset:24
.LBB16_105:
	s_or_b32 exec_lo, exec_lo, s0
	v_mov_b32_e32 v1, 0
	s_wait_dscnt 0x0
	s_barrier_signal -1
	s_barrier_wait -1
	ds_load_2addr_b64 v[42:45], v40 offset0:3 offset1:4
	ds_load_b128 v[46:49], v1 offset:176
	ds_load_b128 v[50:53], v1 offset:192
	ds_load_2addr_b64 v[54:57], v40 offset0:5 offset1:6
	s_mov_b32 s0, exec_lo
	s_wait_dscnt 0x2
	v_fma_f64 v[2:3], v[44:45], v[46:47], 0
	s_wait_dscnt 0x0
	s_delay_alu instid0(VALU_DEP_1) | instskip(NEXT) | instid1(VALU_DEP_1)
	v_fmac_f64_e32 v[2:3], v[54:55], v[48:49]
	v_fmac_f64_e32 v[2:3], v[56:57], v[50:51]
	ds_load_2addr_b64 v[44:47], v40 offset0:7 offset1:8
	ds_load_2addr_b64 v[48:51], v40 offset0:9 offset1:10
	s_wait_dscnt 0x1
	v_fmac_f64_e32 v[2:3], v[44:45], v[52:53]
	ds_load_b128 v[52:55], v1 offset:208
	ds_load_b128 v[56:59], v1 offset:224
	s_wait_dscnt 0x1
	v_fmac_f64_e32 v[2:3], v[46:47], v[52:53]
	s_delay_alu instid0(VALU_DEP_1) | instskip(SKIP_1) | instid1(VALU_DEP_1)
	v_fmac_f64_e32 v[2:3], v[48:49], v[54:55]
	s_wait_dscnt 0x0
	v_fmac_f64_e32 v[2:3], v[50:51], v[56:57]
	ds_load_2addr_b64 v[44:47], v40 offset0:11 offset1:12
	ds_load_2addr_b64 v[48:51], v40 offset0:13 offset1:14
	s_wait_dscnt 0x1
	v_fmac_f64_e32 v[2:3], v[44:45], v[58:59]
	ds_load_b128 v[52:55], v1 offset:240
	ds_load_b128 v[56:59], v1 offset:256
	s_wait_dscnt 0x1
	v_fmac_f64_e32 v[2:3], v[46:47], v[52:53]
	ds_load_2addr_b64 v[44:47], v40 offset0:15 offset1:16
	v_fmac_f64_e32 v[2:3], v[48:49], v[54:55]
	s_wait_dscnt 0x1
	s_delay_alu instid0(VALU_DEP_1) | instskip(SKIP_1) | instid1(VALU_DEP_1)
	v_fmac_f64_e32 v[2:3], v[50:51], v[56:57]
	s_wait_dscnt 0x0
	v_fmac_f64_e32 v[2:3], v[44:45], v[58:59]
	ds_load_b64 v[44:45], v1 offset:272
	s_wait_dscnt 0x0
	v_fmac_f64_e32 v[2:3], v[46:47], v[44:45]
	s_delay_alu instid0(VALU_DEP_1)
	v_add_f64_e64 v[2:3], v[42:43], -v[2:3]
	ds_store_b64 v40, v[2:3] offset:24
	v_cmpx_lt_u32_e32 2, v38
	s_cbranch_execz .LBB16_107
; %bb.106:
	ds_load_b64 v[2:3], v40 offset:16
	v_mov_b64_e32 v[42:43], 0
	s_wait_dscnt 0x0
	ds_store_b64 v0, v[2:3]
	ds_store_b64 v40, v[42:43] offset:16
.LBB16_107:
	s_or_b32 exec_lo, exec_lo, s0
	s_wait_dscnt 0x0
	s_barrier_signal -1
	s_barrier_wait -1
	ds_load_2addr_b64 v[42:45], v1 offset0:21 offset1:22
	ds_load_b128 v[46:49], v40 offset:16
	ds_load_b128 v[50:53], v40 offset:32
	ds_load_2addr_b64 v[54:57], v1 offset0:23 offset1:24
	s_mov_b32 s0, exec_lo
	s_wait_dscnt 0x2
	v_fma_f64 v[2:3], v[48:49], v[42:43], 0
	s_wait_dscnt 0x1
	s_delay_alu instid0(VALU_DEP_1)
	v_fmac_f64_e32 v[2:3], v[50:51], v[44:45]
	ds_load_b128 v[42:45], v40 offset:48
	ds_load_b128 v[48:51], v40 offset:64
	s_wait_dscnt 0x2
	v_fmac_f64_e32 v[2:3], v[52:53], v[54:55]
	s_wait_dscnt 0x1
	s_delay_alu instid0(VALU_DEP_1) | instskip(SKIP_4) | instid1(VALU_DEP_1)
	v_fmac_f64_e32 v[2:3], v[42:43], v[56:57]
	ds_load_2addr_b64 v[52:55], v1 offset0:25 offset1:26
	ds_load_2addr_b64 v[56:59], v1 offset0:27 offset1:28
	s_wait_dscnt 0x1
	v_fmac_f64_e32 v[2:3], v[44:45], v[52:53]
	v_fmac_f64_e32 v[2:3], v[48:49], v[54:55]
	s_wait_dscnt 0x0
	s_delay_alu instid0(VALU_DEP_1)
	v_fmac_f64_e32 v[2:3], v[50:51], v[56:57]
	ds_load_b128 v[42:45], v40 offset:80
	ds_load_b128 v[48:51], v40 offset:96
	s_wait_dscnt 0x1
	v_fmac_f64_e32 v[2:3], v[42:43], v[58:59]
	ds_load_2addr_b64 v[52:55], v1 offset0:29 offset1:30
	ds_load_2addr_b64 v[56:59], v1 offset0:31 offset1:32
	s_wait_dscnt 0x1
	v_fmac_f64_e32 v[2:3], v[44:45], v[52:53]
	ds_load_b128 v[42:45], v40 offset:112
	ds_load_b64 v[52:53], v40 offset:128
	v_fmac_f64_e32 v[2:3], v[48:49], v[54:55]
	s_wait_dscnt 0x2
	s_delay_alu instid0(VALU_DEP_1) | instskip(SKIP_4) | instid1(VALU_DEP_1)
	v_fmac_f64_e32 v[2:3], v[50:51], v[56:57]
	ds_load_2addr_b64 v[48:51], v1 offset0:33 offset1:34
	s_wait_dscnt 0x2
	v_fmac_f64_e32 v[2:3], v[42:43], v[58:59]
	s_wait_dscnt 0x0
	v_fmac_f64_e32 v[2:3], v[44:45], v[48:49]
	s_delay_alu instid0(VALU_DEP_1) | instskip(NEXT) | instid1(VALU_DEP_1)
	v_fmac_f64_e32 v[2:3], v[52:53], v[50:51]
	v_add_f64_e64 v[2:3], v[46:47], -v[2:3]
	ds_store_b64 v40, v[2:3] offset:16
	v_cmpx_lt_u32_e32 1, v38
	s_cbranch_execz .LBB16_109
; %bb.108:
	ds_load_b64 v[2:3], v40 offset:8
	v_mov_b64_e32 v[42:43], 0
	s_wait_dscnt 0x0
	ds_store_b64 v0, v[2:3]
	ds_store_b64 v40, v[42:43] offset:8
.LBB16_109:
	s_or_b32 exec_lo, exec_lo, s0
	v_mov_b32_e32 v39, 0
	s_wait_dscnt 0x0
	s_barrier_signal -1
	s_barrier_wait -1
	ds_load_2addr_b64 v[42:45], v40 offset0:1 offset1:2
	ds_load_b128 v[46:49], v39 offset:160
	ds_load_b128 v[50:53], v39 offset:176
	ds_load_2addr_b64 v[54:57], v40 offset0:3 offset1:4
	v_dual_ashrrev_i32 v9, 31, v8 :: v_dual_ashrrev_i32 v11, 31, v10
	v_dual_ashrrev_i32 v13, 31, v12 :: v_dual_ashrrev_i32 v15, 31, v14
	;; [unrolled: 1-line block ×7, first 2 shown]
	v_ashrrev_i32_e32 v37, 31, v36
	s_mov_b32 s0, exec_lo
	s_wait_dscnt 0x2
	v_fma_f64 v[2:3], v[44:45], v[46:47], 0
	s_wait_dscnt 0x0
	s_delay_alu instid0(VALU_DEP_1) | instskip(NEXT) | instid1(VALU_DEP_1)
	v_fmac_f64_e32 v[2:3], v[54:55], v[48:49]
	v_fmac_f64_e32 v[2:3], v[56:57], v[50:51]
	ds_load_2addr_b64 v[44:47], v40 offset0:5 offset1:6
	ds_load_2addr_b64 v[48:51], v40 offset0:7 offset1:8
	s_wait_dscnt 0x1
	v_fmac_f64_e32 v[2:3], v[44:45], v[52:53]
	ds_load_b128 v[52:55], v39 offset:192
	ds_load_b128 v[56:59], v39 offset:208
	s_wait_dscnt 0x1
	v_fmac_f64_e32 v[2:3], v[46:47], v[52:53]
	s_delay_alu instid0(VALU_DEP_1) | instskip(SKIP_1) | instid1(VALU_DEP_1)
	v_fmac_f64_e32 v[2:3], v[48:49], v[54:55]
	s_wait_dscnt 0x0
	v_fmac_f64_e32 v[2:3], v[50:51], v[56:57]
	ds_load_2addr_b64 v[44:47], v40 offset0:9 offset1:10
	ds_load_2addr_b64 v[48:51], v40 offset0:11 offset1:12
	s_wait_dscnt 0x1
	v_fmac_f64_e32 v[2:3], v[44:45], v[58:59]
	ds_load_b128 v[52:55], v39 offset:224
	ds_load_b128 v[56:59], v39 offset:240
	s_wait_dscnt 0x1
	v_fmac_f64_e32 v[2:3], v[46:47], v[52:53]
	s_delay_alu instid0(VALU_DEP_1) | instskip(SKIP_1) | instid1(VALU_DEP_1)
	v_fmac_f64_e32 v[2:3], v[48:49], v[54:55]
	s_wait_dscnt 0x0
	v_fmac_f64_e32 v[2:3], v[50:51], v[56:57]
	ds_load_2addr_b64 v[44:47], v40 offset0:13 offset1:14
	ds_load_2addr_b64 v[48:51], v40 offset0:15 offset1:16
	s_wait_dscnt 0x1
	v_fmac_f64_e32 v[2:3], v[44:45], v[58:59]
	ds_load_b128 v[52:55], v39 offset:256
	ds_load_b64 v[44:45], v39 offset:272
	s_wait_dscnt 0x1
	v_fmac_f64_e32 v[2:3], v[46:47], v[52:53]
	s_delay_alu instid0(VALU_DEP_1) | instskip(SKIP_1) | instid1(VALU_DEP_1)
	v_fmac_f64_e32 v[2:3], v[48:49], v[54:55]
	s_wait_dscnt 0x0
	v_fmac_f64_e32 v[2:3], v[50:51], v[44:45]
	s_delay_alu instid0(VALU_DEP_1)
	v_add_f64_e64 v[2:3], v[42:43], -v[2:3]
	ds_store_b64 v40, v[2:3] offset:8
	v_cmpx_ne_u32_e32 0, v38
	s_cbranch_execz .LBB16_111
; %bb.110:
	ds_load_b64 v[2:3], v40
	v_mov_b64_e32 v[42:43], 0
	s_wait_dscnt 0x0
	ds_store_b64 v0, v[2:3]
	ds_store_b64 v40, v[42:43]
.LBB16_111:
	s_or_b32 exec_lo, exec_lo, s0
	s_wait_dscnt 0x0
	s_barrier_signal -1
	s_barrier_wait -1
	ds_load_2addr_b64 v[0:3], v39 offset0:19 offset1:20
	ds_load_b128 v[42:45], v40
	ds_load_b128 v[46:49], v40 offset:16
	ds_load_2addr_b64 v[50:53], v39 offset0:21 offset1:22
	s_and_b32 vcc_lo, exec_lo, s20
	s_wait_dscnt 0x2
	v_fma_f64 v[56:57], v[44:45], v[0:1], 0
	s_wait_dscnt 0x1
	s_delay_alu instid0(VALU_DEP_1)
	v_fmac_f64_e32 v[56:57], v[46:47], v[2:3]
	ds_load_b128 v[0:3], v40 offset:32
	ds_load_b128 v[44:47], v40 offset:48
	s_wait_dscnt 0x2
	v_fmac_f64_e32 v[56:57], v[48:49], v[50:51]
	s_wait_dscnt 0x1
	s_delay_alu instid0(VALU_DEP_1) | instskip(SKIP_4) | instid1(VALU_DEP_1)
	v_fmac_f64_e32 v[56:57], v[0:1], v[52:53]
	ds_load_2addr_b64 v[48:51], v39 offset0:23 offset1:24
	ds_load_2addr_b64 v[52:55], v39 offset0:25 offset1:26
	s_wait_dscnt 0x1
	v_fmac_f64_e32 v[56:57], v[2:3], v[48:49]
	v_fmac_f64_e32 v[56:57], v[44:45], v[50:51]
	s_wait_dscnt 0x0
	s_delay_alu instid0(VALU_DEP_1)
	v_fmac_f64_e32 v[56:57], v[46:47], v[52:53]
	ds_load_b128 v[0:3], v40 offset:64
	ds_load_b128 v[44:47], v40 offset:80
	s_wait_dscnt 0x1
	v_fmac_f64_e32 v[56:57], v[0:1], v[54:55]
	ds_load_2addr_b64 v[48:51], v39 offset0:27 offset1:28
	ds_load_2addr_b64 v[52:55], v39 offset0:29 offset1:30
	s_wait_dscnt 0x1
	v_fmac_f64_e32 v[56:57], v[2:3], v[48:49]
	s_delay_alu instid0(VALU_DEP_1) | instskip(SKIP_1) | instid1(VALU_DEP_1)
	v_fmac_f64_e32 v[56:57], v[44:45], v[50:51]
	s_wait_dscnt 0x0
	v_fmac_f64_e32 v[56:57], v[46:47], v[52:53]
	ds_load_b128 v[44:47], v40 offset:96
	ds_load_b128 v[0:3], v40 offset:112
	s_wait_dscnt 0x1
	v_fmac_f64_e32 v[56:57], v[44:45], v[54:55]
	ds_load_2addr_b64 v[48:51], v39 offset0:31 offset1:32
	ds_load_2addr_b64 v[52:55], v39 offset0:33 offset1:34
	s_wait_dscnt 0x1
	v_fmac_f64_e32 v[56:57], v[46:47], v[48:49]
	s_delay_alu instid0(VALU_DEP_1) | instskip(SKIP_4) | instid1(VALU_DEP_1)
	v_fmac_f64_e32 v[56:57], v[0:1], v[50:51]
	ds_load_b64 v[0:1], v40 offset:128
	s_wait_dscnt 0x1
	v_fmac_f64_e32 v[56:57], v[2:3], v[52:53]
	s_wait_dscnt 0x0
	v_fmac_f64_e32 v[56:57], v[0:1], v[54:55]
	s_delay_alu instid0(VALU_DEP_1)
	v_add_f64_e64 v[0:1], v[42:43], -v[56:57]
	ds_store_b64 v40, v[0:1]
	s_cbranch_vccz .LBB16_144
; %bb.112:
	v_mov_b32_e32 v0, 0
	global_load_b32 v1, v0, s[16:17] offset:60
	s_wait_loadcnt 0x0
	v_add_nc_u32_e32 v1, -1, v1
	s_delay_alu instid0(VALU_DEP_1)
	v_cmp_ne_u32_e32 vcc_lo, 15, v1
	s_cbranch_vccz .LBB16_114
; %bb.113:
	v_lshl_add_u32 v1, v1, 3, v40
	ds_load_b64 v[38:39], v1
	s_wait_dscnt 0x0
	ds_store_b64 v40, v[38:39] offset:120
	ds_store_b64 v1, v[2:3]
.LBB16_114:
	global_load_b32 v0, v0, s[16:17] offset:56
	s_wait_loadcnt 0x0
	v_add_nc_u32_e32 v0, -1, v0
	s_delay_alu instid0(VALU_DEP_1)
	v_cmp_eq_u32_e32 vcc_lo, 14, v0
	s_cbranch_vccnz .LBB16_116
; %bb.115:
	v_lshl_add_u32 v38, v0, 3, v40
	ds_load_b64 v[0:1], v38
	ds_load_b64 v[2:3], v40 offset:112
	s_wait_dscnt 0x1
	ds_store_b64 v40, v[0:1] offset:112
	s_wait_dscnt 0x1
	ds_store_b64 v38, v[2:3]
.LBB16_116:
	v_mov_b32_e32 v0, 0
	global_load_b32 v1, v0, s[16:17] offset:52
	s_wait_loadcnt 0x0
	v_add_nc_u32_e32 v1, -1, v1
	s_delay_alu instid0(VALU_DEP_1)
	v_cmp_eq_u32_e32 vcc_lo, 13, v1
	s_cbranch_vccnz .LBB16_118
; %bb.117:
	v_lshl_add_u32 v1, v1, 3, v40
	ds_load_b64 v[2:3], v1
	ds_load_b64 v[38:39], v40 offset:104
	s_wait_dscnt 0x1
	ds_store_b64 v40, v[2:3] offset:104
	s_wait_dscnt 0x1
	ds_store_b64 v1, v[38:39]
.LBB16_118:
	global_load_b32 v0, v0, s[16:17] offset:48
	s_wait_loadcnt 0x0
	v_add_nc_u32_e32 v0, -1, v0
	s_delay_alu instid0(VALU_DEP_1)
	v_cmp_eq_u32_e32 vcc_lo, 12, v0
	s_cbranch_vccnz .LBB16_120
; %bb.119:
	v_lshl_add_u32 v38, v0, 3, v40
	ds_load_b64 v[0:1], v38
	ds_load_b64 v[2:3], v40 offset:96
	s_wait_dscnt 0x1
	ds_store_b64 v40, v[0:1] offset:96
	s_wait_dscnt 0x1
	ds_store_b64 v38, v[2:3]
.LBB16_120:
	v_mov_b32_e32 v0, 0
	global_load_b32 v1, v0, s[16:17] offset:44
	s_wait_loadcnt 0x0
	v_add_nc_u32_e32 v1, -1, v1
	s_delay_alu instid0(VALU_DEP_1)
	v_cmp_eq_u32_e32 vcc_lo, 11, v1
	s_cbranch_vccnz .LBB16_122
; %bb.121:
	v_lshl_add_u32 v1, v1, 3, v40
	ds_load_b64 v[2:3], v1
	ds_load_b64 v[38:39], v40 offset:88
	s_wait_dscnt 0x1
	ds_store_b64 v40, v[2:3] offset:88
	s_wait_dscnt 0x1
	ds_store_b64 v1, v[38:39]
.LBB16_122:
	;; [unrolled: 31-line block ×7, first 2 shown]
	global_load_b32 v2, v0, s[16:17]
	s_wait_xcnt 0x0
	ds_load_b64 v[0:1], v40
	s_wait_loadcnt 0x0
	v_add_nc_u32_e32 v2, -1, v2
	s_delay_alu instid0(VALU_DEP_1)
	v_cmp_eq_u32_e32 vcc_lo, 0, v2
	s_cbranch_vccnz .LBB16_144
; %bb.143:
	v_lshl_add_u32 v38, v2, 3, v40
	ds_load_b64 v[2:3], v38
	s_wait_dscnt 0x0
	ds_store_b64 v40, v[2:3]
	ds_store_b64 v38, v[0:1]
	ds_load_b64 v[0:1], v40
.LBB16_144:
	v_lshl_add_u64 v[38:39], v[8:9], 3, s[2:3]
	v_lshl_add_u64 v[2:3], v[34:35], 3, s[2:3]
	;; [unrolled: 1-line block ×3, first 2 shown]
	ds_load_2addr_b64 v[34:37], v40 offset0:1 offset1:2
	ds_load_2addr_b64 v[42:45], v40 offset0:3 offset1:4
	;; [unrolled: 1-line block ×8, first 2 shown]
	v_lshl_add_u64 v[10:11], v[10:11], 3, s[2:3]
	v_lshl_add_u64 v[12:13], v[12:13], 3, s[2:3]
	;; [unrolled: 1-line block ×12, first 2 shown]
	s_wait_dscnt 0x8
	global_store_b64 v[4:5], v[0:1], off
	s_wait_dscnt 0x7
	s_clause 0x1
	global_store_b64 v[6:7], v[34:35], off
	global_store_b64 v[38:39], v[36:37], off
	s_wait_dscnt 0x6
	s_clause 0x1
	global_store_b64 v[10:11], v[42:43], off
	;; [unrolled: 4-line block ×8, first 2 shown]
	global_store_b64 v[8:9], v[68:69], off
	s_sendmsg sendmsg(MSG_DEALLOC_VGPRS)
	s_endpgm
	.section	.rodata,"a",@progbits
	.p2align	6, 0x0
	.amdhsa_kernel _ZN9rocsolver6v33100L18getri_kernel_smallILi17EdPdEEvT1_iilPiilS4_bb
		.amdhsa_group_segment_fixed_size 8992
		.amdhsa_private_segment_fixed_size 0
		.amdhsa_kernarg_size 60
		.amdhsa_user_sgpr_count 4
		.amdhsa_user_sgpr_dispatch_ptr 1
		.amdhsa_user_sgpr_queue_ptr 0
		.amdhsa_user_sgpr_kernarg_segment_ptr 1
		.amdhsa_user_sgpr_dispatch_id 0
		.amdhsa_user_sgpr_kernarg_preload_length 0
		.amdhsa_user_sgpr_kernarg_preload_offset 0
		.amdhsa_user_sgpr_private_segment_size 0
		.amdhsa_wavefront_size32 1
		.amdhsa_uses_dynamic_stack 0
		.amdhsa_enable_private_segment 0
		.amdhsa_system_sgpr_workgroup_id_x 1
		.amdhsa_system_sgpr_workgroup_id_y 0
		.amdhsa_system_sgpr_workgroup_id_z 0
		.amdhsa_system_sgpr_workgroup_info 0
		.amdhsa_system_vgpr_workitem_id 2
		.amdhsa_next_free_vgpr 76
		.amdhsa_next_free_sgpr 21
		.amdhsa_named_barrier_count 0
		.amdhsa_reserve_vcc 1
		.amdhsa_float_round_mode_32 0
		.amdhsa_float_round_mode_16_64 0
		.amdhsa_float_denorm_mode_32 3
		.amdhsa_float_denorm_mode_16_64 3
		.amdhsa_fp16_overflow 0
		.amdhsa_memory_ordered 1
		.amdhsa_forward_progress 1
		.amdhsa_inst_pref_size 76
		.amdhsa_round_robin_scheduling 0
		.amdhsa_exception_fp_ieee_invalid_op 0
		.amdhsa_exception_fp_denorm_src 0
		.amdhsa_exception_fp_ieee_div_zero 0
		.amdhsa_exception_fp_ieee_overflow 0
		.amdhsa_exception_fp_ieee_underflow 0
		.amdhsa_exception_fp_ieee_inexact 0
		.amdhsa_exception_int_div_zero 0
	.end_amdhsa_kernel
	.section	.text._ZN9rocsolver6v33100L18getri_kernel_smallILi17EdPdEEvT1_iilPiilS4_bb,"axG",@progbits,_ZN9rocsolver6v33100L18getri_kernel_smallILi17EdPdEEvT1_iilPiilS4_bb,comdat
.Lfunc_end16:
	.size	_ZN9rocsolver6v33100L18getri_kernel_smallILi17EdPdEEvT1_iilPiilS4_bb, .Lfunc_end16-_ZN9rocsolver6v33100L18getri_kernel_smallILi17EdPdEEvT1_iilPiilS4_bb
                                        ; -- End function
	.set _ZN9rocsolver6v33100L18getri_kernel_smallILi17EdPdEEvT1_iilPiilS4_bb.num_vgpr, 76
	.set _ZN9rocsolver6v33100L18getri_kernel_smallILi17EdPdEEvT1_iilPiilS4_bb.num_agpr, 0
	.set _ZN9rocsolver6v33100L18getri_kernel_smallILi17EdPdEEvT1_iilPiilS4_bb.numbered_sgpr, 21
	.set _ZN9rocsolver6v33100L18getri_kernel_smallILi17EdPdEEvT1_iilPiilS4_bb.num_named_barrier, 0
	.set _ZN9rocsolver6v33100L18getri_kernel_smallILi17EdPdEEvT1_iilPiilS4_bb.private_seg_size, 0
	.set _ZN9rocsolver6v33100L18getri_kernel_smallILi17EdPdEEvT1_iilPiilS4_bb.uses_vcc, 1
	.set _ZN9rocsolver6v33100L18getri_kernel_smallILi17EdPdEEvT1_iilPiilS4_bb.uses_flat_scratch, 0
	.set _ZN9rocsolver6v33100L18getri_kernel_smallILi17EdPdEEvT1_iilPiilS4_bb.has_dyn_sized_stack, 0
	.set _ZN9rocsolver6v33100L18getri_kernel_smallILi17EdPdEEvT1_iilPiilS4_bb.has_recursion, 0
	.set _ZN9rocsolver6v33100L18getri_kernel_smallILi17EdPdEEvT1_iilPiilS4_bb.has_indirect_call, 0
	.section	.AMDGPU.csdata,"",@progbits
; Kernel info:
; codeLenInByte = 9660
; TotalNumSgprs: 23
; NumVgprs: 76
; ScratchSize: 0
; MemoryBound: 0
; FloatMode: 240
; IeeeMode: 1
; LDSByteSize: 8992 bytes/workgroup (compile time only)
; SGPRBlocks: 0
; VGPRBlocks: 4
; NumSGPRsForWavesPerEU: 23
; NumVGPRsForWavesPerEU: 76
; NamedBarCnt: 0
; Occupancy: 9
; WaveLimiterHint : 0
; COMPUTE_PGM_RSRC2:SCRATCH_EN: 0
; COMPUTE_PGM_RSRC2:USER_SGPR: 4
; COMPUTE_PGM_RSRC2:TRAP_HANDLER: 0
; COMPUTE_PGM_RSRC2:TGID_X_EN: 1
; COMPUTE_PGM_RSRC2:TGID_Y_EN: 0
; COMPUTE_PGM_RSRC2:TGID_Z_EN: 0
; COMPUTE_PGM_RSRC2:TIDIG_COMP_CNT: 2
	.section	.text._ZN9rocsolver6v33100L18getri_kernel_smallILi18EdPdEEvT1_iilPiilS4_bb,"axG",@progbits,_ZN9rocsolver6v33100L18getri_kernel_smallILi18EdPdEEvT1_iilPiilS4_bb,comdat
	.globl	_ZN9rocsolver6v33100L18getri_kernel_smallILi18EdPdEEvT1_iilPiilS4_bb ; -- Begin function _ZN9rocsolver6v33100L18getri_kernel_smallILi18EdPdEEvT1_iilPiilS4_bb
	.p2align	8
	.type	_ZN9rocsolver6v33100L18getri_kernel_smallILi18EdPdEEvT1_iilPiilS4_bb,@function
_ZN9rocsolver6v33100L18getri_kernel_smallILi18EdPdEEvT1_iilPiilS4_bb: ; @_ZN9rocsolver6v33100L18getri_kernel_smallILi18EdPdEEvT1_iilPiilS4_bb
; %bb.0:
	v_and_b32_e32 v41, 0x3ff, v0
	s_mov_b32 s4, exec_lo
	s_delay_alu instid0(VALU_DEP_1)
	v_cmpx_gt_u32_e32 18, v41
	s_cbranch_execz .LBB17_82
; %bb.1:
	s_clause 0x2
	s_load_b32 s8, s[2:3], 0x38
	s_load_b128 s[12:15], s[2:3], 0x10
	s_load_b128 s[4:7], s[2:3], 0x28
	s_getreg_b32 s11, hwreg(HW_REG_IB_STS2, 6, 4)
                                        ; implicit-def: $sgpr16_sgpr17
	s_wait_kmcnt 0x0
	s_bitcmp1_b32 s8, 8
	s_cselect_b32 s20, -1, 0
	s_bfe_u32 s9, ttmp6, 0x4000c
	s_and_b32 s10, ttmp6, 15
	s_add_co_i32 s9, s9, 1
	s_delay_alu instid0(SALU_CYCLE_1) | instskip(NEXT) | instid1(SALU_CYCLE_1)
	s_mul_i32 s9, ttmp9, s9
	s_add_co_i32 s10, s10, s9
	s_cmp_eq_u32 s11, 0
	s_cselect_b32 s18, ttmp9, s10
	s_bfe_u32 s8, s8, 0x10008
	s_ashr_i32 s19, s18, 31
	s_cmp_eq_u32 s8, 0
	s_cbranch_scc1 .LBB17_3
; %bb.2:
	s_load_b32 s8, s[2:3], 0x20
	s_mul_u64 s[4:5], s[4:5], s[18:19]
	s_delay_alu instid0(SALU_CYCLE_1) | instskip(NEXT) | instid1(SALU_CYCLE_1)
	s_lshl_b64 s[4:5], s[4:5], 2
	s_add_nc_u64 s[4:5], s[14:15], s[4:5]
	s_wait_kmcnt 0x0
	s_ashr_i32 s9, s8, 31
	s_delay_alu instid0(SALU_CYCLE_1) | instskip(NEXT) | instid1(SALU_CYCLE_1)
	s_lshl_b64 s[8:9], s[8:9], 2
	s_add_nc_u64 s[16:17], s[4:5], s[8:9]
.LBB17_3:
	s_clause 0x1
	s_load_b128 s[8:11], s[2:3], 0x0
	s_load_b32 s14, s[2:3], 0x38
	s_mul_u64 s[4:5], s[12:13], s[18:19]
	v_bfe_u32 v1, v0, 10, 10
	s_lshl_b64 s[4:5], s[4:5], 3
	v_bfe_u32 v0, v0, 20, 10
	v_dual_mov_b32 v3, 0 :: v_dual_lshlrev_b32 v2, 3, v41
	s_wait_kmcnt 0x0
	v_add3_u32 v8, s11, s11, v41
	s_ashr_i32 s3, s10, 31
	s_mov_b32 s2, s10
	s_add_nc_u64 s[4:5], s[8:9], s[4:5]
	s_lshl_b64 s[2:3], s[2:3], 3
	v_add_nc_u32_e32 v10, s11, v8
	s_add_nc_u64 s[2:3], s[4:5], s[2:3]
	s_ashr_i32 s5, s11, 31
	s_mov_b32 s4, s11
	v_add_nc_u64_e32 v[4:5], s[2:3], v[2:3]
	v_add_nc_u32_e32 v12, s11, v10
	s_delay_alu instid0(VALU_DEP_1) | instskip(NEXT) | instid1(VALU_DEP_3)
	v_add_nc_u32_e32 v14, s11, v12
	v_lshl_add_u64 v[6:7], s[4:5], 3, v[4:5]
	s_load_b64 s[4:5], s[0:1], 0x4
	s_wait_xcnt 0x0
	s_mov_b32 s1, -1
	s_clause 0x1
	global_load_b64 v[42:43], v41, s[2:3] scale_offset
	global_load_b64 v[44:45], v[6:7], off
	v_add_nc_u32_e32 v16, s11, v14
	s_delay_alu instid0(VALU_DEP_1) | instskip(NEXT) | instid1(VALU_DEP_1)
	v_add_nc_u32_e32 v18, s11, v16
	v_add_nc_u32_e32 v20, s11, v18
	s_clause 0x3
	global_load_b64 v[46:47], v8, s[2:3] scale_offset
	global_load_b64 v[48:49], v10, s[2:3] scale_offset
	;; [unrolled: 1-line block ×4, first 2 shown]
	v_add_nc_u32_e32 v22, s11, v20
	s_clause 0x3
	global_load_b64 v[54:55], v16, s[2:3] scale_offset
	global_load_b64 v[56:57], v18, s[2:3] scale_offset
	;; [unrolled: 1-line block ×4, first 2 shown]
	s_wait_kmcnt 0x0
	s_lshr_b32 s0, s4, 16
	v_mul_u32_u24_e32 v1, s5, v1
	v_add_nc_u32_e32 v24, s11, v22
	s_bitcmp0_b32 s14, 0
	s_mul_i32 s0, s0, s5
	s_delay_alu instid0(SALU_CYCLE_1) | instskip(NEXT) | instid1(VALU_DEP_2)
	v_mul_u32_u24_e32 v3, s0, v41
	v_add_nc_u32_e32 v26, s11, v24
	s_delay_alu instid0(VALU_DEP_2) | instskip(NEXT) | instid1(VALU_DEP_2)
	v_add3_u32 v0, v3, v1, v0
	v_add_nc_u32_e32 v28, s11, v26
	s_delay_alu instid0(VALU_DEP_2) | instskip(NEXT) | instid1(VALU_DEP_2)
	v_mul_lo_u32 v3, 0x90, v0
	v_add_nc_u32_e32 v30, s11, v28
	s_delay_alu instid0(VALU_DEP_1) | instskip(NEXT) | instid1(VALU_DEP_1)
	v_add_nc_u32_e32 v32, s11, v30
	v_add_nc_u32_e32 v34, s11, v32
	s_delay_alu instid0(VALU_DEP_4) | instskip(NEXT) | instid1(VALU_DEP_2)
	v_add_nc_u32_e32 v40, 0x130, v3
	v_add_nc_u32_e32 v36, s11, v34
	s_clause 0x3
	global_load_b64 v[62:63], v24, s[2:3] scale_offset
	global_load_b64 v[64:65], v26, s[2:3] scale_offset
	;; [unrolled: 1-line block ×4, first 2 shown]
	v_add_nc_u32_e32 v38, s11, v36
	s_clause 0x3
	global_load_b64 v[70:71], v32, s[2:3] scale_offset
	global_load_b64 v[72:73], v34, s[2:3] scale_offset
	;; [unrolled: 1-line block ×4, first 2 shown]
	s_wait_loadcnt 0x10
	ds_store_b128 v3, v[42:45] offset:304
	s_wait_loadcnt 0xe
	ds_store_b128 v3, v[46:49] offset:320
	;; [unrolled: 2-line block ×9, first 2 shown]
	s_cbranch_scc1 .LBB17_80
; %bb.4:
	v_cmp_eq_u32_e64 s0, 0, v41
	s_and_saveexec_b32 s1, s0
; %bb.5:
	v_mov_b32_e32 v0, 0
	ds_store_b32 v0, v0 offset:288
; %bb.6:
	s_or_b32 exec_lo, exec_lo, s1
	v_lshl_add_u32 v0, v41, 3, v40
	s_wait_dscnt 0x0
	s_barrier_signal -1
	s_barrier_wait -1
	ds_load_b64 v[42:43], v0
	s_mov_b32 s4, exec_lo
	s_wait_dscnt 0x0
	v_cmpx_eq_f64_e32 0, v[42:43]
	s_cbranch_execz .LBB17_10
; %bb.7:
	v_mov_b32_e32 v1, 0
	s_mov_b32 s5, 0
	ds_load_b32 v9, v1 offset:288
	s_wait_dscnt 0x0
	v_readfirstlane_b32 s1, v9
	v_add_nc_u32_e32 v9, 1, v41
	s_cmp_eq_u32 s1, 0
	s_delay_alu instid0(VALU_DEP_1) | instskip(SKIP_1) | instid1(SALU_CYCLE_1)
	v_cmp_gt_i32_e32 vcc_lo, s1, v9
	s_cselect_b32 s8, -1, 0
	s_or_b32 s8, s8, vcc_lo
	s_delay_alu instid0(SALU_CYCLE_1)
	s_and_b32 exec_lo, exec_lo, s8
	s_cbranch_execz .LBB17_10
; %bb.8:
	v_mov_b32_e32 v11, s1
.LBB17_9:                               ; =>This Inner Loop Header: Depth=1
	ds_cmpstore_rtn_b32 v11, v1, v9, v11 offset:288
	s_wait_dscnt 0x0
	v_cmp_ne_u32_e32 vcc_lo, 0, v11
	v_cmp_le_i32_e64 s1, v11, v9
	s_and_b32 s1, vcc_lo, s1
	s_delay_alu instid0(SALU_CYCLE_1) | instskip(NEXT) | instid1(SALU_CYCLE_1)
	s_and_b32 s1, exec_lo, s1
	s_or_b32 s5, s1, s5
	s_delay_alu instid0(SALU_CYCLE_1)
	s_and_not1_b32 exec_lo, exec_lo, s5
	s_cbranch_execnz .LBB17_9
.LBB17_10:
	s_or_b32 exec_lo, exec_lo, s4
	v_mov_b32_e32 v1, 0
	s_barrier_signal -1
	s_barrier_wait -1
	ds_load_b32 v9, v1 offset:288
	s_and_saveexec_b32 s1, s0
	s_cbranch_execz .LBB17_12
; %bb.11:
	s_lshl_b64 s[4:5], s[18:19], 2
	s_delay_alu instid0(SALU_CYCLE_1)
	s_add_nc_u64 s[4:5], s[6:7], s[4:5]
	s_wait_dscnt 0x0
	global_store_b32 v1, v9, s[4:5]
.LBB17_12:
	s_wait_xcnt 0x0
	s_or_b32 exec_lo, exec_lo, s1
	s_wait_dscnt 0x0
	v_cmp_ne_u32_e32 vcc_lo, 0, v9
	s_mov_b32 s1, 0
	s_cbranch_vccnz .LBB17_80
; %bb.13:
	ds_load_b64 v[42:43], v0
	v_add_nc_u32_e32 v9, 0x90, v2
	s_wait_dscnt 0x0
	v_div_scale_f64 v[44:45], null, v[42:43], v[42:43], 1.0
	v_div_scale_f64 v[50:51], vcc_lo, 1.0, v[42:43], 1.0
	s_delay_alu instid0(VALU_DEP_2) | instskip(SKIP_1) | instid1(TRANS32_DEP_1)
	v_rcp_f64_e32 v[46:47], v[44:45]
	v_nop
	v_fma_f64 v[48:49], -v[44:45], v[46:47], 1.0
	s_delay_alu instid0(VALU_DEP_1) | instskip(NEXT) | instid1(VALU_DEP_1)
	v_fmac_f64_e32 v[46:47], v[46:47], v[48:49]
	v_fma_f64 v[48:49], -v[44:45], v[46:47], 1.0
	s_delay_alu instid0(VALU_DEP_1) | instskip(NEXT) | instid1(VALU_DEP_1)
	v_fmac_f64_e32 v[46:47], v[46:47], v[48:49]
	v_mul_f64_e32 v[48:49], v[50:51], v[46:47]
	s_delay_alu instid0(VALU_DEP_1) | instskip(NEXT) | instid1(VALU_DEP_1)
	v_fma_f64 v[44:45], -v[44:45], v[48:49], v[50:51]
	v_div_fmas_f64 v[44:45], v[44:45], v[46:47], v[48:49]
	s_delay_alu instid0(VALU_DEP_1)
	v_div_fixup_f64 v[42:43], v[44:45], v[42:43], 1.0
	ds_store_b64 v0, v[42:43]
	ds_load_b64 v[44:45], v40 offset:8
	v_xor_b32_e32 v43, 0x80000000, v43
	s_wait_dscnt 0x0
	ds_store_2addr_b64 v2, v[42:43], v[44:45] offset1:18
	s_wait_storecnt_dscnt 0x0
	s_barrier_signal -1
	s_barrier_wait -1
	s_and_saveexec_b32 s1, s0
	s_cbranch_execz .LBB17_15
; %bb.14:
	ds_load_b64 v[42:43], v0
	ds_load_b64 v[44:45], v9
	s_wait_dscnt 0x0
	v_fma_f64 v[42:43], v[42:43], v[44:45], 0
	v_mov_b32_e32 v1, 0
	ds_load_b64 v[46:47], v1 offset:8
	s_wait_dscnt 0x0
	v_mul_f64_e32 v[42:43], v[42:43], v[46:47]
	ds_store_b64 v40, v[42:43] offset:8
.LBB17_15:
	s_or_b32 exec_lo, exec_lo, s1
	s_wait_dscnt 0x0
	s_barrier_signal -1
	s_barrier_wait -1
	ds_load_b64 v[42:43], v40 offset:16
	s_mov_b32 s1, exec_lo
	s_wait_dscnt 0x0
	ds_store_b64 v9, v[42:43]
	s_wait_dscnt 0x0
	s_barrier_signal -1
	s_barrier_wait -1
	v_cmpx_gt_u32_e32 2, v41
	s_cbranch_execz .LBB17_19
; %bb.16:
	ds_load_b64 v[0:1], v0
	ds_load_b64 v[42:43], v9
	s_wait_dscnt 0x0
	v_fma_f64 v[0:1], v[0:1], v[42:43], 0
	s_and_saveexec_b32 s4, s0
	s_cbranch_execz .LBB17_18
; %bb.17:
	v_mov_b32_e32 v11, 0
	ds_load_b64 v[42:43], v40 offset:8
	ds_load_b64 v[44:45], v11 offset:152
	s_wait_dscnt 0x0
	v_fmac_f64_e32 v[0:1], v[42:43], v[44:45]
.LBB17_18:
	s_or_b32 exec_lo, exec_lo, s4
	v_mov_b32_e32 v11, 0
	ds_load_b64 v[42:43], v11 offset:16
	s_wait_dscnt 0x0
	v_mul_f64_e32 v[0:1], v[0:1], v[42:43]
	ds_store_b64 v40, v[0:1] offset:16
.LBB17_19:
	s_or_b32 exec_lo, exec_lo, s1
	s_wait_dscnt 0x0
	s_barrier_signal -1
	s_barrier_wait -1
	ds_load_b64 v[0:1], v40 offset:24
	v_add_nc_u32_e32 v11, -1, v41
	s_mov_b32 s0, exec_lo
	s_wait_dscnt 0x0
	ds_store_b64 v9, v[0:1]
	s_wait_dscnt 0x0
	s_barrier_signal -1
	s_barrier_wait -1
	v_cmpx_gt_u32_e32 3, v41
	s_cbranch_execz .LBB17_23
; %bb.20:
	v_mov_b64_e32 v[0:1], 0
	v_add_nc_u32_e32 v13, -1, v41
	v_add_nc_u32_e32 v15, 0x90, v2
	v_add3_u32 v17, v3, v2, 0x130
	s_mov_b32 s1, 0
.LBB17_21:                              ; =>This Inner Loop Header: Depth=1
	ds_load_b64 v[42:43], v17
	ds_load_b64 v[44:45], v15
	v_dual_add_nc_u32 v13, 1, v13 :: v_dual_add_nc_u32 v15, 8, v15
	v_add_nc_u32_e32 v17, 8, v17
	s_delay_alu instid0(VALU_DEP_2)
	v_cmp_lt_u32_e32 vcc_lo, 1, v13
	s_or_b32 s1, vcc_lo, s1
	s_wait_dscnt 0x0
	v_fmac_f64_e32 v[0:1], v[42:43], v[44:45]
	s_and_not1_b32 exec_lo, exec_lo, s1
	s_cbranch_execnz .LBB17_21
; %bb.22:
	s_or_b32 exec_lo, exec_lo, s1
	v_mov_b32_e32 v13, 0
	ds_load_b64 v[42:43], v13 offset:24
	s_wait_dscnt 0x0
	v_mul_f64_e32 v[0:1], v[0:1], v[42:43]
	ds_store_b64 v40, v[0:1] offset:24
.LBB17_23:
	s_or_b32 exec_lo, exec_lo, s0
	s_wait_dscnt 0x0
	s_barrier_signal -1
	s_barrier_wait -1
	ds_load_b64 v[0:1], v40 offset:32
	s_mov_b32 s0, exec_lo
	s_wait_dscnt 0x0
	ds_store_b64 v9, v[0:1]
	s_wait_dscnt 0x0
	s_barrier_signal -1
	s_barrier_wait -1
	v_cmpx_gt_u32_e32 4, v41
	s_cbranch_execz .LBB17_27
; %bb.24:
	v_mov_b64_e32 v[0:1], 0
	v_add_nc_u32_e32 v13, -1, v41
	v_add_nc_u32_e32 v15, 0x90, v2
	v_add3_u32 v17, v3, v2, 0x130
	s_mov_b32 s1, 0
.LBB17_25:                              ; =>This Inner Loop Header: Depth=1
	ds_load_b64 v[42:43], v17
	ds_load_b64 v[44:45], v15
	v_dual_add_nc_u32 v13, 1, v13 :: v_dual_add_nc_u32 v15, 8, v15
	v_add_nc_u32_e32 v17, 8, v17
	s_delay_alu instid0(VALU_DEP_2)
	v_cmp_lt_u32_e32 vcc_lo, 2, v13
	s_or_b32 s1, vcc_lo, s1
	s_wait_dscnt 0x0
	v_fmac_f64_e32 v[0:1], v[42:43], v[44:45]
	s_and_not1_b32 exec_lo, exec_lo, s1
	s_cbranch_execnz .LBB17_25
; %bb.26:
	s_or_b32 exec_lo, exec_lo, s1
	v_mov_b32_e32 v13, 0
	ds_load_b64 v[42:43], v13 offset:32
	s_wait_dscnt 0x0
	v_mul_f64_e32 v[0:1], v[0:1], v[42:43]
	ds_store_b64 v40, v[0:1] offset:32
.LBB17_27:
	s_or_b32 exec_lo, exec_lo, s0
	s_wait_dscnt 0x0
	s_barrier_signal -1
	s_barrier_wait -1
	ds_load_b64 v[0:1], v40 offset:40
	s_mov_b32 s0, exec_lo
	s_wait_dscnt 0x0
	ds_store_b64 v9, v[0:1]
	s_wait_dscnt 0x0
	s_barrier_signal -1
	s_barrier_wait -1
	v_cmpx_gt_u32_e32 5, v41
	s_cbranch_execz .LBB17_31
; %bb.28:
	v_mov_b64_e32 v[0:1], 0
	v_add_nc_u32_e32 v13, -1, v41
	v_add_nc_u32_e32 v15, 0x90, v2
	v_add3_u32 v17, v3, v2, 0x130
	s_mov_b32 s1, 0
.LBB17_29:                              ; =>This Inner Loop Header: Depth=1
	ds_load_b64 v[42:43], v17
	ds_load_b64 v[44:45], v15
	v_dual_add_nc_u32 v13, 1, v13 :: v_dual_add_nc_u32 v15, 8, v15
	v_add_nc_u32_e32 v17, 8, v17
	s_delay_alu instid0(VALU_DEP_2)
	v_cmp_lt_u32_e32 vcc_lo, 3, v13
	s_or_b32 s1, vcc_lo, s1
	s_wait_dscnt 0x0
	v_fmac_f64_e32 v[0:1], v[42:43], v[44:45]
	s_and_not1_b32 exec_lo, exec_lo, s1
	s_cbranch_execnz .LBB17_29
; %bb.30:
	s_or_b32 exec_lo, exec_lo, s1
	v_mov_b32_e32 v13, 0
	ds_load_b64 v[42:43], v13 offset:40
	s_wait_dscnt 0x0
	v_mul_f64_e32 v[0:1], v[0:1], v[42:43]
	ds_store_b64 v40, v[0:1] offset:40
.LBB17_31:
	s_or_b32 exec_lo, exec_lo, s0
	s_wait_dscnt 0x0
	s_barrier_signal -1
	s_barrier_wait -1
	ds_load_b64 v[0:1], v40 offset:48
	s_mov_b32 s0, exec_lo
	s_wait_dscnt 0x0
	ds_store_b64 v9, v[0:1]
	s_wait_dscnt 0x0
	s_barrier_signal -1
	s_barrier_wait -1
	v_cmpx_gt_u32_e32 6, v41
	s_cbranch_execz .LBB17_35
; %bb.32:
	v_mov_b64_e32 v[0:1], 0
	v_add_nc_u32_e32 v13, -1, v41
	v_add_nc_u32_e32 v15, 0x90, v2
	v_add3_u32 v17, v3, v2, 0x130
	s_mov_b32 s1, 0
.LBB17_33:                              ; =>This Inner Loop Header: Depth=1
	ds_load_b64 v[42:43], v17
	ds_load_b64 v[44:45], v15
	v_dual_add_nc_u32 v13, 1, v13 :: v_dual_add_nc_u32 v15, 8, v15
	v_add_nc_u32_e32 v17, 8, v17
	s_delay_alu instid0(VALU_DEP_2)
	v_cmp_lt_u32_e32 vcc_lo, 4, v13
	s_or_b32 s1, vcc_lo, s1
	s_wait_dscnt 0x0
	v_fmac_f64_e32 v[0:1], v[42:43], v[44:45]
	s_and_not1_b32 exec_lo, exec_lo, s1
	s_cbranch_execnz .LBB17_33
; %bb.34:
	s_or_b32 exec_lo, exec_lo, s1
	v_mov_b32_e32 v13, 0
	ds_load_b64 v[42:43], v13 offset:48
	s_wait_dscnt 0x0
	v_mul_f64_e32 v[0:1], v[0:1], v[42:43]
	ds_store_b64 v40, v[0:1] offset:48
.LBB17_35:
	s_or_b32 exec_lo, exec_lo, s0
	s_wait_dscnt 0x0
	s_barrier_signal -1
	s_barrier_wait -1
	ds_load_b64 v[0:1], v40 offset:56
	s_mov_b32 s0, exec_lo
	s_wait_dscnt 0x0
	ds_store_b64 v9, v[0:1]
	s_wait_dscnt 0x0
	s_barrier_signal -1
	s_barrier_wait -1
	v_cmpx_gt_u32_e32 7, v41
	s_cbranch_execz .LBB17_39
; %bb.36:
	v_mov_b64_e32 v[0:1], 0
	v_add_nc_u32_e32 v13, -1, v41
	v_add_nc_u32_e32 v15, 0x90, v2
	v_add3_u32 v17, v3, v2, 0x130
	s_mov_b32 s1, 0
.LBB17_37:                              ; =>This Inner Loop Header: Depth=1
	ds_load_b64 v[42:43], v17
	ds_load_b64 v[44:45], v15
	v_dual_add_nc_u32 v13, 1, v13 :: v_dual_add_nc_u32 v15, 8, v15
	v_add_nc_u32_e32 v17, 8, v17
	s_delay_alu instid0(VALU_DEP_2)
	v_cmp_lt_u32_e32 vcc_lo, 5, v13
	s_or_b32 s1, vcc_lo, s1
	s_wait_dscnt 0x0
	v_fmac_f64_e32 v[0:1], v[42:43], v[44:45]
	s_and_not1_b32 exec_lo, exec_lo, s1
	s_cbranch_execnz .LBB17_37
; %bb.38:
	s_or_b32 exec_lo, exec_lo, s1
	v_mov_b32_e32 v13, 0
	ds_load_b64 v[42:43], v13 offset:56
	s_wait_dscnt 0x0
	v_mul_f64_e32 v[0:1], v[0:1], v[42:43]
	ds_store_b64 v40, v[0:1] offset:56
.LBB17_39:
	s_or_b32 exec_lo, exec_lo, s0
	s_wait_dscnt 0x0
	s_barrier_signal -1
	s_barrier_wait -1
	ds_load_b64 v[0:1], v40 offset:64
	s_mov_b32 s0, exec_lo
	s_wait_dscnt 0x0
	ds_store_b64 v9, v[0:1]
	s_wait_dscnt 0x0
	s_barrier_signal -1
	s_barrier_wait -1
	v_cmpx_gt_u32_e32 8, v41
	s_cbranch_execz .LBB17_43
; %bb.40:
	v_mov_b64_e32 v[0:1], 0
	v_add_nc_u32_e32 v13, -1, v41
	v_add_nc_u32_e32 v15, 0x90, v2
	v_add3_u32 v17, v3, v2, 0x130
	s_mov_b32 s1, 0
.LBB17_41:                              ; =>This Inner Loop Header: Depth=1
	ds_load_b64 v[42:43], v17
	ds_load_b64 v[44:45], v15
	v_dual_add_nc_u32 v13, 1, v13 :: v_dual_add_nc_u32 v15, 8, v15
	v_add_nc_u32_e32 v17, 8, v17
	s_delay_alu instid0(VALU_DEP_2)
	v_cmp_lt_u32_e32 vcc_lo, 6, v13
	s_or_b32 s1, vcc_lo, s1
	s_wait_dscnt 0x0
	v_fmac_f64_e32 v[0:1], v[42:43], v[44:45]
	s_and_not1_b32 exec_lo, exec_lo, s1
	s_cbranch_execnz .LBB17_41
; %bb.42:
	s_or_b32 exec_lo, exec_lo, s1
	v_mov_b32_e32 v13, 0
	ds_load_b64 v[42:43], v13 offset:64
	s_wait_dscnt 0x0
	v_mul_f64_e32 v[0:1], v[0:1], v[42:43]
	ds_store_b64 v40, v[0:1] offset:64
.LBB17_43:
	s_or_b32 exec_lo, exec_lo, s0
	s_wait_dscnt 0x0
	s_barrier_signal -1
	s_barrier_wait -1
	ds_load_b64 v[0:1], v40 offset:72
	s_mov_b32 s0, exec_lo
	s_wait_dscnt 0x0
	ds_store_b64 v9, v[0:1]
	s_wait_dscnt 0x0
	s_barrier_signal -1
	s_barrier_wait -1
	v_cmpx_gt_u32_e32 9, v41
	s_cbranch_execz .LBB17_47
; %bb.44:
	v_mov_b64_e32 v[0:1], 0
	v_add_nc_u32_e32 v13, -1, v41
	v_add_nc_u32_e32 v15, 0x90, v2
	v_add3_u32 v17, v3, v2, 0x130
	s_mov_b32 s1, 0
.LBB17_45:                              ; =>This Inner Loop Header: Depth=1
	ds_load_b64 v[42:43], v17
	ds_load_b64 v[44:45], v15
	v_dual_add_nc_u32 v13, 1, v13 :: v_dual_add_nc_u32 v15, 8, v15
	v_add_nc_u32_e32 v17, 8, v17
	s_delay_alu instid0(VALU_DEP_2)
	v_cmp_lt_u32_e32 vcc_lo, 7, v13
	s_or_b32 s1, vcc_lo, s1
	s_wait_dscnt 0x0
	v_fmac_f64_e32 v[0:1], v[42:43], v[44:45]
	s_and_not1_b32 exec_lo, exec_lo, s1
	s_cbranch_execnz .LBB17_45
; %bb.46:
	s_or_b32 exec_lo, exec_lo, s1
	v_mov_b32_e32 v13, 0
	ds_load_b64 v[42:43], v13 offset:72
	s_wait_dscnt 0x0
	v_mul_f64_e32 v[0:1], v[0:1], v[42:43]
	ds_store_b64 v40, v[0:1] offset:72
.LBB17_47:
	s_or_b32 exec_lo, exec_lo, s0
	s_wait_dscnt 0x0
	s_barrier_signal -1
	s_barrier_wait -1
	ds_load_b64 v[0:1], v40 offset:80
	s_mov_b32 s0, exec_lo
	s_wait_dscnt 0x0
	ds_store_b64 v9, v[0:1]
	s_wait_dscnt 0x0
	s_barrier_signal -1
	s_barrier_wait -1
	v_cmpx_gt_u32_e32 10, v41
	s_cbranch_execz .LBB17_51
; %bb.48:
	v_mov_b64_e32 v[0:1], 0
	v_add_nc_u32_e32 v13, -1, v41
	v_add_nc_u32_e32 v15, 0x90, v2
	v_add3_u32 v17, v3, v2, 0x130
	s_mov_b32 s1, 0
.LBB17_49:                              ; =>This Inner Loop Header: Depth=1
	ds_load_b64 v[42:43], v17
	ds_load_b64 v[44:45], v15
	v_dual_add_nc_u32 v13, 1, v13 :: v_dual_add_nc_u32 v15, 8, v15
	v_add_nc_u32_e32 v17, 8, v17
	s_delay_alu instid0(VALU_DEP_2)
	v_cmp_lt_u32_e32 vcc_lo, 8, v13
	s_or_b32 s1, vcc_lo, s1
	s_wait_dscnt 0x0
	v_fmac_f64_e32 v[0:1], v[42:43], v[44:45]
	s_and_not1_b32 exec_lo, exec_lo, s1
	s_cbranch_execnz .LBB17_49
; %bb.50:
	s_or_b32 exec_lo, exec_lo, s1
	v_mov_b32_e32 v13, 0
	ds_load_b64 v[42:43], v13 offset:80
	s_wait_dscnt 0x0
	v_mul_f64_e32 v[0:1], v[0:1], v[42:43]
	ds_store_b64 v40, v[0:1] offset:80
.LBB17_51:
	s_or_b32 exec_lo, exec_lo, s0
	s_wait_dscnt 0x0
	s_barrier_signal -1
	s_barrier_wait -1
	ds_load_b64 v[0:1], v40 offset:88
	s_mov_b32 s0, exec_lo
	s_wait_dscnt 0x0
	ds_store_b64 v9, v[0:1]
	s_wait_dscnt 0x0
	s_barrier_signal -1
	s_barrier_wait -1
	v_cmpx_gt_u32_e32 11, v41
	s_cbranch_execz .LBB17_55
; %bb.52:
	v_mov_b64_e32 v[0:1], 0
	v_add_nc_u32_e32 v13, -1, v41
	v_add_nc_u32_e32 v15, 0x90, v2
	v_add3_u32 v17, v3, v2, 0x130
	s_mov_b32 s1, 0
.LBB17_53:                              ; =>This Inner Loop Header: Depth=1
	ds_load_b64 v[42:43], v17
	ds_load_b64 v[44:45], v15
	v_dual_add_nc_u32 v13, 1, v13 :: v_dual_add_nc_u32 v15, 8, v15
	v_add_nc_u32_e32 v17, 8, v17
	s_delay_alu instid0(VALU_DEP_2)
	v_cmp_lt_u32_e32 vcc_lo, 9, v13
	s_or_b32 s1, vcc_lo, s1
	s_wait_dscnt 0x0
	v_fmac_f64_e32 v[0:1], v[42:43], v[44:45]
	s_and_not1_b32 exec_lo, exec_lo, s1
	s_cbranch_execnz .LBB17_53
; %bb.54:
	s_or_b32 exec_lo, exec_lo, s1
	v_mov_b32_e32 v13, 0
	ds_load_b64 v[42:43], v13 offset:88
	s_wait_dscnt 0x0
	v_mul_f64_e32 v[0:1], v[0:1], v[42:43]
	ds_store_b64 v40, v[0:1] offset:88
.LBB17_55:
	s_or_b32 exec_lo, exec_lo, s0
	s_wait_dscnt 0x0
	s_barrier_signal -1
	s_barrier_wait -1
	ds_load_b64 v[0:1], v40 offset:96
	s_mov_b32 s0, exec_lo
	s_wait_dscnt 0x0
	ds_store_b64 v9, v[0:1]
	s_wait_dscnt 0x0
	s_barrier_signal -1
	s_barrier_wait -1
	v_cmpx_gt_u32_e32 12, v41
	s_cbranch_execz .LBB17_59
; %bb.56:
	v_mov_b64_e32 v[0:1], 0
	v_add_nc_u32_e32 v13, -1, v41
	v_add_nc_u32_e32 v15, 0x90, v2
	v_add3_u32 v17, v3, v2, 0x130
	s_mov_b32 s1, 0
.LBB17_57:                              ; =>This Inner Loop Header: Depth=1
	ds_load_b64 v[42:43], v17
	ds_load_b64 v[44:45], v15
	v_dual_add_nc_u32 v13, 1, v13 :: v_dual_add_nc_u32 v15, 8, v15
	v_add_nc_u32_e32 v17, 8, v17
	s_delay_alu instid0(VALU_DEP_2)
	v_cmp_lt_u32_e32 vcc_lo, 10, v13
	s_or_b32 s1, vcc_lo, s1
	s_wait_dscnt 0x0
	v_fmac_f64_e32 v[0:1], v[42:43], v[44:45]
	s_and_not1_b32 exec_lo, exec_lo, s1
	s_cbranch_execnz .LBB17_57
; %bb.58:
	s_or_b32 exec_lo, exec_lo, s1
	v_mov_b32_e32 v13, 0
	ds_load_b64 v[42:43], v13 offset:96
	s_wait_dscnt 0x0
	v_mul_f64_e32 v[0:1], v[0:1], v[42:43]
	ds_store_b64 v40, v[0:1] offset:96
.LBB17_59:
	s_or_b32 exec_lo, exec_lo, s0
	s_wait_dscnt 0x0
	s_barrier_signal -1
	s_barrier_wait -1
	ds_load_b64 v[0:1], v40 offset:104
	s_mov_b32 s0, exec_lo
	s_wait_dscnt 0x0
	ds_store_b64 v9, v[0:1]
	s_wait_dscnt 0x0
	s_barrier_signal -1
	s_barrier_wait -1
	v_cmpx_gt_u32_e32 13, v41
	s_cbranch_execz .LBB17_63
; %bb.60:
	v_mov_b64_e32 v[0:1], 0
	v_add_nc_u32_e32 v13, -1, v41
	v_add_nc_u32_e32 v15, 0x90, v2
	v_add3_u32 v17, v3, v2, 0x130
	s_mov_b32 s1, 0
.LBB17_61:                              ; =>This Inner Loop Header: Depth=1
	ds_load_b64 v[42:43], v17
	ds_load_b64 v[44:45], v15
	v_dual_add_nc_u32 v13, 1, v13 :: v_dual_add_nc_u32 v15, 8, v15
	v_add_nc_u32_e32 v17, 8, v17
	s_delay_alu instid0(VALU_DEP_2)
	v_cmp_lt_u32_e32 vcc_lo, 11, v13
	s_or_b32 s1, vcc_lo, s1
	s_wait_dscnt 0x0
	v_fmac_f64_e32 v[0:1], v[42:43], v[44:45]
	s_and_not1_b32 exec_lo, exec_lo, s1
	s_cbranch_execnz .LBB17_61
; %bb.62:
	s_or_b32 exec_lo, exec_lo, s1
	v_mov_b32_e32 v13, 0
	ds_load_b64 v[42:43], v13 offset:104
	s_wait_dscnt 0x0
	v_mul_f64_e32 v[0:1], v[0:1], v[42:43]
	ds_store_b64 v40, v[0:1] offset:104
.LBB17_63:
	s_or_b32 exec_lo, exec_lo, s0
	s_wait_dscnt 0x0
	s_barrier_signal -1
	s_barrier_wait -1
	ds_load_b64 v[0:1], v40 offset:112
	s_mov_b32 s0, exec_lo
	s_wait_dscnt 0x0
	ds_store_b64 v9, v[0:1]
	s_wait_dscnt 0x0
	s_barrier_signal -1
	s_barrier_wait -1
	v_cmpx_gt_u32_e32 14, v41
	s_cbranch_execz .LBB17_67
; %bb.64:
	v_mov_b64_e32 v[0:1], 0
	v_add_nc_u32_e32 v13, -1, v41
	v_add_nc_u32_e32 v15, 0x90, v2
	v_add3_u32 v17, v3, v2, 0x130
	s_mov_b32 s1, 0
.LBB17_65:                              ; =>This Inner Loop Header: Depth=1
	ds_load_b64 v[42:43], v17
	ds_load_b64 v[44:45], v15
	v_dual_add_nc_u32 v13, 1, v13 :: v_dual_add_nc_u32 v15, 8, v15
	v_add_nc_u32_e32 v17, 8, v17
	s_delay_alu instid0(VALU_DEP_2)
	v_cmp_lt_u32_e32 vcc_lo, 12, v13
	s_or_b32 s1, vcc_lo, s1
	s_wait_dscnt 0x0
	v_fmac_f64_e32 v[0:1], v[42:43], v[44:45]
	s_and_not1_b32 exec_lo, exec_lo, s1
	s_cbranch_execnz .LBB17_65
; %bb.66:
	s_or_b32 exec_lo, exec_lo, s1
	v_mov_b32_e32 v13, 0
	ds_load_b64 v[42:43], v13 offset:112
	s_wait_dscnt 0x0
	v_mul_f64_e32 v[0:1], v[0:1], v[42:43]
	ds_store_b64 v40, v[0:1] offset:112
.LBB17_67:
	s_or_b32 exec_lo, exec_lo, s0
	s_wait_dscnt 0x0
	s_barrier_signal -1
	s_barrier_wait -1
	ds_load_b64 v[0:1], v40 offset:120
	s_mov_b32 s0, exec_lo
	s_wait_dscnt 0x0
	ds_store_b64 v9, v[0:1]
	s_wait_dscnt 0x0
	s_barrier_signal -1
	s_barrier_wait -1
	v_cmpx_gt_u32_e32 15, v41
	s_cbranch_execz .LBB17_71
; %bb.68:
	v_mov_b64_e32 v[0:1], 0
	v_add_nc_u32_e32 v13, -1, v41
	v_add_nc_u32_e32 v15, 0x90, v2
	v_add3_u32 v17, v3, v2, 0x130
	s_mov_b32 s1, 0
.LBB17_69:                              ; =>This Inner Loop Header: Depth=1
	ds_load_b64 v[42:43], v17
	ds_load_b64 v[44:45], v15
	v_dual_add_nc_u32 v13, 1, v13 :: v_dual_add_nc_u32 v15, 8, v15
	v_add_nc_u32_e32 v17, 8, v17
	s_delay_alu instid0(VALU_DEP_2)
	v_cmp_lt_u32_e32 vcc_lo, 13, v13
	s_or_b32 s1, vcc_lo, s1
	s_wait_dscnt 0x0
	v_fmac_f64_e32 v[0:1], v[42:43], v[44:45]
	s_and_not1_b32 exec_lo, exec_lo, s1
	s_cbranch_execnz .LBB17_69
; %bb.70:
	s_or_b32 exec_lo, exec_lo, s1
	v_mov_b32_e32 v13, 0
	ds_load_b64 v[42:43], v13 offset:120
	s_wait_dscnt 0x0
	v_mul_f64_e32 v[0:1], v[0:1], v[42:43]
	ds_store_b64 v40, v[0:1] offset:120
.LBB17_71:
	s_or_b32 exec_lo, exec_lo, s0
	s_wait_dscnt 0x0
	s_barrier_signal -1
	s_barrier_wait -1
	ds_load_b64 v[0:1], v40 offset:128
	s_mov_b32 s0, exec_lo
	s_wait_dscnt 0x0
	ds_store_b64 v9, v[0:1]
	s_wait_dscnt 0x0
	s_barrier_signal -1
	s_barrier_wait -1
	v_cmpx_gt_u32_e32 16, v41
	s_cbranch_execz .LBB17_75
; %bb.72:
	v_mov_b64_e32 v[0:1], 0
	v_add_nc_u32_e32 v13, -1, v41
	v_add_nc_u32_e32 v15, 0x90, v2
	v_add3_u32 v17, v3, v2, 0x130
	s_mov_b32 s1, 0
.LBB17_73:                              ; =>This Inner Loop Header: Depth=1
	ds_load_b64 v[42:43], v17
	ds_load_b64 v[44:45], v15
	v_dual_add_nc_u32 v13, 1, v13 :: v_dual_add_nc_u32 v15, 8, v15
	v_add_nc_u32_e32 v17, 8, v17
	s_delay_alu instid0(VALU_DEP_2)
	v_cmp_lt_u32_e32 vcc_lo, 14, v13
	s_or_b32 s1, vcc_lo, s1
	s_wait_dscnt 0x0
	v_fmac_f64_e32 v[0:1], v[42:43], v[44:45]
	s_and_not1_b32 exec_lo, exec_lo, s1
	s_cbranch_execnz .LBB17_73
; %bb.74:
	s_or_b32 exec_lo, exec_lo, s1
	v_mov_b32_e32 v13, 0
	ds_load_b64 v[42:43], v13 offset:128
	s_wait_dscnt 0x0
	v_mul_f64_e32 v[0:1], v[0:1], v[42:43]
	ds_store_b64 v40, v[0:1] offset:128
.LBB17_75:
	s_or_b32 exec_lo, exec_lo, s0
	s_wait_dscnt 0x0
	s_barrier_signal -1
	s_barrier_wait -1
	ds_load_b64 v[0:1], v40 offset:136
	s_mov_b32 s0, exec_lo
	s_wait_dscnt 0x0
	ds_store_b64 v9, v[0:1]
	s_wait_dscnt 0x0
	s_barrier_signal -1
	s_barrier_wait -1
	v_cmpx_ne_u32_e32 17, v41
	s_cbranch_execz .LBB17_79
; %bb.76:
	v_mov_b64_e32 v[0:1], 0
	v_add3_u32 v2, v3, v2, 0x130
	s_mov_b32 s1, 0
.LBB17_77:                              ; =>This Inner Loop Header: Depth=1
	ds_load_b64 v[42:43], v2
	ds_load_b64 v[44:45], v9
	v_dual_add_nc_u32 v11, 1, v11 :: v_dual_add_nc_u32 v9, 8, v9
	v_add_nc_u32_e32 v2, 8, v2
	s_delay_alu instid0(VALU_DEP_2)
	v_cmp_lt_u32_e32 vcc_lo, 15, v11
	s_or_b32 s1, vcc_lo, s1
	s_wait_dscnt 0x0
	v_fmac_f64_e32 v[0:1], v[42:43], v[44:45]
	s_and_not1_b32 exec_lo, exec_lo, s1
	s_cbranch_execnz .LBB17_77
; %bb.78:
	s_or_b32 exec_lo, exec_lo, s1
	v_mov_b32_e32 v2, 0
	ds_load_b64 v[2:3], v2 offset:136
	s_wait_dscnt 0x0
	v_mul_f64_e32 v[0:1], v[0:1], v[2:3]
	ds_store_b64 v40, v[0:1] offset:136
.LBB17_79:
	s_or_b32 exec_lo, exec_lo, s0
	s_mov_b32 s1, -1
	s_wait_dscnt 0x0
	s_barrier_signal -1
	s_barrier_wait -1
.LBB17_80:
	s_and_b32 vcc_lo, exec_lo, s1
	s_cbranch_vccz .LBB17_82
; %bb.81:
	v_mov_b32_e32 v0, 0
	s_lshl_b64 s[0:1], s[18:19], 2
	s_delay_alu instid0(SALU_CYCLE_1)
	s_add_nc_u64 s[0:1], s[6:7], s[0:1]
	global_load_b32 v0, v0, s[0:1]
	s_wait_loadcnt 0x0
	v_cmp_ne_u32_e32 vcc_lo, 0, v0
	s_cbranch_vccz .LBB17_83
.LBB17_82:
	s_sendmsg sendmsg(MSG_DEALLOC_VGPRS)
	s_endpgm
.LBB17_83:
	s_wait_xcnt 0x0
	v_lshl_add_u32 v0, v41, 3, 0x90
	s_mov_b32 s0, exec_lo
	v_cmpx_eq_u32_e32 17, v41
	s_cbranch_execz .LBB17_85
; %bb.84:
	ds_load_b64 v[2:3], v40 offset:128
	v_mov_b64_e32 v[42:43], 0
	s_wait_dscnt 0x0
	ds_store_b64 v0, v[2:3]
	ds_store_b64 v40, v[42:43] offset:128
.LBB17_85:
	s_or_b32 exec_lo, exec_lo, s0
	v_mov_b32_e32 v1, 0
	s_wait_storecnt_dscnt 0x0
	s_barrier_signal -1
	s_barrier_wait -1
	ds_load_b128 v[42:45], v40 offset:128
	ds_load_b64 v[2:3], v1 offset:280
	s_mov_b32 s0, exec_lo
	s_wait_dscnt 0x0
	v_fma_f64 v[2:3], v[44:45], v[2:3], 0
	s_delay_alu instid0(VALU_DEP_1)
	v_add_f64_e64 v[2:3], v[42:43], -v[2:3]
	ds_store_b64 v40, v[2:3] offset:128
	v_cmpx_lt_u32_e32 15, v41
	s_cbranch_execz .LBB17_87
; %bb.86:
	ds_load_b64 v[2:3], v40 offset:120
	v_mov_b64_e32 v[42:43], 0
	s_wait_dscnt 0x0
	ds_store_b64 v0, v[2:3]
	ds_store_b64 v40, v[42:43] offset:120
.LBB17_87:
	s_or_b32 exec_lo, exec_lo, s0
	s_wait_dscnt 0x0
	s_barrier_signal -1
	s_barrier_wait -1
	ds_load_b128 v[42:45], v1 offset:272
	ds_load_2addr_b64 v[46:49], v40 offset0:15 offset1:16
	ds_load_b64 v[2:3], v40 offset:136
	s_mov_b32 s0, exec_lo
	s_wait_dscnt 0x1
	v_fma_f64 v[42:43], v[48:49], v[42:43], 0
	s_wait_dscnt 0x0
	s_delay_alu instid0(VALU_DEP_1) | instskip(NEXT) | instid1(VALU_DEP_1)
	v_fmac_f64_e32 v[42:43], v[2:3], v[44:45]
	v_add_f64_e64 v[2:3], v[46:47], -v[42:43]
	ds_store_b64 v40, v[2:3] offset:120
	v_cmpx_lt_u32_e32 14, v41
	s_cbranch_execz .LBB17_89
; %bb.88:
	ds_load_b64 v[2:3], v40 offset:112
	v_mov_b64_e32 v[42:43], 0
	s_wait_dscnt 0x0
	ds_store_b64 v0, v[2:3]
	ds_store_b64 v40, v[42:43] offset:112
.LBB17_89:
	s_or_b32 exec_lo, exec_lo, s0
	v_mov_b32_e32 v1, 0
	s_wait_dscnt 0x0
	s_barrier_signal -1
	s_barrier_wait -1
	ds_load_2addr_b64 v[42:45], v1 offset0:33 offset1:34
	ds_load_b128 v[46:49], v40 offset:112
	ds_load_b128 v[50:53], v40 offset:128
	ds_load_b64 v[2:3], v1 offset:280
	s_mov_b32 s0, exec_lo
	s_wait_dscnt 0x2
	v_fma_f64 v[42:43], v[48:49], v[42:43], 0
	s_wait_dscnt 0x1
	s_delay_alu instid0(VALU_DEP_1) | instskip(SKIP_1) | instid1(VALU_DEP_1)
	v_fmac_f64_e32 v[42:43], v[50:51], v[44:45]
	s_wait_dscnt 0x0
	v_fmac_f64_e32 v[42:43], v[52:53], v[2:3]
	s_delay_alu instid0(VALU_DEP_1)
	v_add_f64_e64 v[2:3], v[46:47], -v[42:43]
	ds_store_b64 v40, v[2:3] offset:112
	v_cmpx_lt_u32_e32 13, v41
	s_cbranch_execz .LBB17_91
; %bb.90:
	ds_load_b64 v[2:3], v40 offset:104
	v_mov_b64_e32 v[42:43], 0
	s_wait_dscnt 0x0
	ds_store_b64 v0, v[2:3]
	ds_store_b64 v40, v[42:43] offset:104
.LBB17_91:
	s_or_b32 exec_lo, exec_lo, s0
	s_wait_dscnt 0x0
	s_barrier_signal -1
	s_barrier_wait -1
	ds_load_2addr_b64 v[42:45], v40 offset0:13 offset1:14
	ds_load_b128 v[46:49], v1 offset:256
	ds_load_b128 v[50:53], v1 offset:272
	ds_load_2addr_b64 v[54:57], v40 offset0:15 offset1:16
	s_mov_b32 s0, exec_lo
	s_wait_dscnt 0x2
	v_fma_f64 v[2:3], v[44:45], v[46:47], 0
	ds_load_b64 v[44:45], v40 offset:136
	s_wait_dscnt 0x1
	v_fmac_f64_e32 v[2:3], v[54:55], v[48:49]
	s_delay_alu instid0(VALU_DEP_1) | instskip(SKIP_1) | instid1(VALU_DEP_1)
	v_fmac_f64_e32 v[2:3], v[56:57], v[50:51]
	s_wait_dscnt 0x0
	v_fmac_f64_e32 v[2:3], v[44:45], v[52:53]
	s_delay_alu instid0(VALU_DEP_1)
	v_add_f64_e64 v[2:3], v[42:43], -v[2:3]
	ds_store_b64 v40, v[2:3] offset:104
	v_cmpx_lt_u32_e32 12, v41
	s_cbranch_execz .LBB17_93
; %bb.92:
	ds_load_b64 v[2:3], v40 offset:96
	v_mov_b64_e32 v[42:43], 0
	s_wait_dscnt 0x0
	ds_store_b64 v0, v[2:3]
	ds_store_b64 v40, v[42:43] offset:96
.LBB17_93:
	s_or_b32 exec_lo, exec_lo, s0
	v_mov_b32_e32 v1, 0
	s_wait_dscnt 0x0
	s_barrier_signal -1
	s_barrier_wait -1
	ds_load_2addr_b64 v[42:45], v1 offset0:31 offset1:32
	ds_load_b128 v[46:49], v40 offset:96
	ds_load_b128 v[50:53], v40 offset:112
	ds_load_2addr_b64 v[54:57], v1 offset0:33 offset1:34
	s_mov_b32 s0, exec_lo
	s_wait_dscnt 0x2
	v_fma_f64 v[2:3], v[48:49], v[42:43], 0
	s_wait_dscnt 0x1
	s_delay_alu instid0(VALU_DEP_1) | instskip(SKIP_4) | instid1(VALU_DEP_1)
	v_fmac_f64_e32 v[2:3], v[50:51], v[44:45]
	ds_load_b128 v[42:45], v40 offset:128
	s_wait_dscnt 0x1
	v_fmac_f64_e32 v[2:3], v[52:53], v[54:55]
	s_wait_dscnt 0x0
	v_fmac_f64_e32 v[2:3], v[42:43], v[56:57]
	ds_load_b64 v[42:43], v1 offset:280
	s_wait_dscnt 0x0
	v_fmac_f64_e32 v[2:3], v[44:45], v[42:43]
	s_delay_alu instid0(VALU_DEP_1)
	v_add_f64_e64 v[2:3], v[46:47], -v[2:3]
	ds_store_b64 v40, v[2:3] offset:96
	v_cmpx_lt_u32_e32 11, v41
	s_cbranch_execz .LBB17_95
; %bb.94:
	ds_load_b64 v[2:3], v40 offset:88
	v_mov_b64_e32 v[42:43], 0
	s_wait_dscnt 0x0
	ds_store_b64 v0, v[2:3]
	ds_store_b64 v40, v[42:43] offset:88
.LBB17_95:
	s_or_b32 exec_lo, exec_lo, s0
	s_wait_dscnt 0x0
	s_barrier_signal -1
	s_barrier_wait -1
	ds_load_2addr_b64 v[42:45], v40 offset0:11 offset1:12
	ds_load_b128 v[46:49], v1 offset:240
	ds_load_b128 v[50:53], v1 offset:256
	ds_load_2addr_b64 v[54:57], v40 offset0:13 offset1:14
	s_mov_b32 s0, exec_lo
	s_wait_dscnt 0x2
	v_fma_f64 v[2:3], v[44:45], v[46:47], 0
	s_wait_dscnt 0x0
	s_delay_alu instid0(VALU_DEP_1)
	v_fmac_f64_e32 v[2:3], v[54:55], v[48:49]
	ds_load_2addr_b64 v[44:47], v40 offset0:15 offset1:16
	ds_load_b64 v[54:55], v40 offset:136
	v_fmac_f64_e32 v[2:3], v[56:57], v[50:51]
	ds_load_b128 v[48:51], v1 offset:272
	s_wait_dscnt 0x2
	v_fmac_f64_e32 v[2:3], v[44:45], v[52:53]
	s_wait_dscnt 0x0
	s_delay_alu instid0(VALU_DEP_1) | instskip(NEXT) | instid1(VALU_DEP_1)
	v_fmac_f64_e32 v[2:3], v[46:47], v[48:49]
	v_fmac_f64_e32 v[2:3], v[54:55], v[50:51]
	s_delay_alu instid0(VALU_DEP_1)
	v_add_f64_e64 v[2:3], v[42:43], -v[2:3]
	ds_store_b64 v40, v[2:3] offset:88
	v_cmpx_lt_u32_e32 10, v41
	s_cbranch_execz .LBB17_97
; %bb.96:
	ds_load_b64 v[2:3], v40 offset:80
	v_mov_b64_e32 v[42:43], 0
	s_wait_dscnt 0x0
	ds_store_b64 v0, v[2:3]
	ds_store_b64 v40, v[42:43] offset:80
.LBB17_97:
	s_or_b32 exec_lo, exec_lo, s0
	v_mov_b32_e32 v1, 0
	s_wait_dscnt 0x0
	s_barrier_signal -1
	s_barrier_wait -1
	ds_load_2addr_b64 v[42:45], v1 offset0:29 offset1:30
	ds_load_b128 v[46:49], v40 offset:80
	ds_load_b128 v[50:53], v40 offset:96
	ds_load_2addr_b64 v[54:57], v1 offset0:31 offset1:32
	s_mov_b32 s0, exec_lo
	s_wait_dscnt 0x2
	v_fma_f64 v[2:3], v[48:49], v[42:43], 0
	s_wait_dscnt 0x1
	s_delay_alu instid0(VALU_DEP_1)
	v_fmac_f64_e32 v[2:3], v[50:51], v[44:45]
	ds_load_b128 v[42:45], v40 offset:112
	ds_load_b128 v[48:51], v40 offset:128
	s_wait_dscnt 0x2
	v_fmac_f64_e32 v[2:3], v[52:53], v[54:55]
	s_wait_dscnt 0x1
	s_delay_alu instid0(VALU_DEP_1) | instskip(SKIP_4) | instid1(VALU_DEP_1)
	v_fmac_f64_e32 v[2:3], v[42:43], v[56:57]
	ds_load_2addr_b64 v[52:55], v1 offset0:33 offset1:34
	ds_load_b64 v[42:43], v1 offset:280
	s_wait_dscnt 0x1
	v_fmac_f64_e32 v[2:3], v[44:45], v[52:53]
	v_fmac_f64_e32 v[2:3], v[48:49], v[54:55]
	s_wait_dscnt 0x0
	s_delay_alu instid0(VALU_DEP_1) | instskip(NEXT) | instid1(VALU_DEP_1)
	v_fmac_f64_e32 v[2:3], v[50:51], v[42:43]
	v_add_f64_e64 v[2:3], v[46:47], -v[2:3]
	ds_store_b64 v40, v[2:3] offset:80
	v_cmpx_lt_u32_e32 9, v41
	s_cbranch_execz .LBB17_99
; %bb.98:
	ds_load_b64 v[2:3], v40 offset:72
	v_mov_b64_e32 v[42:43], 0
	s_wait_dscnt 0x0
	ds_store_b64 v0, v[2:3]
	ds_store_b64 v40, v[42:43] offset:72
.LBB17_99:
	s_or_b32 exec_lo, exec_lo, s0
	s_wait_dscnt 0x0
	s_barrier_signal -1
	s_barrier_wait -1
	ds_load_2addr_b64 v[42:45], v40 offset0:9 offset1:10
	ds_load_b128 v[46:49], v1 offset:224
	ds_load_b128 v[50:53], v1 offset:240
	ds_load_2addr_b64 v[54:57], v40 offset0:11 offset1:12
	s_mov_b32 s0, exec_lo
	s_wait_dscnt 0x2
	v_fma_f64 v[2:3], v[44:45], v[46:47], 0
	s_wait_dscnt 0x0
	s_delay_alu instid0(VALU_DEP_1) | instskip(NEXT) | instid1(VALU_DEP_1)
	v_fmac_f64_e32 v[2:3], v[54:55], v[48:49]
	v_fmac_f64_e32 v[2:3], v[56:57], v[50:51]
	ds_load_2addr_b64 v[44:47], v40 offset0:13 offset1:14
	ds_load_2addr_b64 v[48:51], v40 offset0:15 offset1:16
	s_wait_dscnt 0x1
	v_fmac_f64_e32 v[2:3], v[44:45], v[52:53]
	ds_load_b128 v[52:55], v1 offset:256
	ds_load_b128 v[56:59], v1 offset:272
	ds_load_b64 v[44:45], v40 offset:136
	s_wait_dscnt 0x2
	v_fmac_f64_e32 v[2:3], v[46:47], v[52:53]
	s_delay_alu instid0(VALU_DEP_1) | instskip(SKIP_1) | instid1(VALU_DEP_1)
	v_fmac_f64_e32 v[2:3], v[48:49], v[54:55]
	s_wait_dscnt 0x1
	v_fmac_f64_e32 v[2:3], v[50:51], v[56:57]
	s_wait_dscnt 0x0
	s_delay_alu instid0(VALU_DEP_1) | instskip(NEXT) | instid1(VALU_DEP_1)
	v_fmac_f64_e32 v[2:3], v[44:45], v[58:59]
	v_add_f64_e64 v[2:3], v[42:43], -v[2:3]
	ds_store_b64 v40, v[2:3] offset:72
	v_cmpx_lt_u32_e32 8, v41
	s_cbranch_execz .LBB17_101
; %bb.100:
	ds_load_b64 v[2:3], v40 offset:64
	v_mov_b64_e32 v[42:43], 0
	s_wait_dscnt 0x0
	ds_store_b64 v0, v[2:3]
	ds_store_b64 v40, v[42:43] offset:64
.LBB17_101:
	s_or_b32 exec_lo, exec_lo, s0
	v_mov_b32_e32 v1, 0
	s_wait_dscnt 0x0
	s_barrier_signal -1
	s_barrier_wait -1
	ds_load_2addr_b64 v[42:45], v1 offset0:27 offset1:28
	ds_load_b128 v[46:49], v40 offset:64
	ds_load_b128 v[50:53], v40 offset:80
	ds_load_2addr_b64 v[54:57], v1 offset0:29 offset1:30
	s_mov_b32 s0, exec_lo
	s_wait_dscnt 0x2
	v_fma_f64 v[2:3], v[48:49], v[42:43], 0
	s_wait_dscnt 0x1
	s_delay_alu instid0(VALU_DEP_1)
	v_fmac_f64_e32 v[2:3], v[50:51], v[44:45]
	ds_load_b128 v[42:45], v40 offset:96
	ds_load_b128 v[48:51], v40 offset:112
	s_wait_dscnt 0x2
	v_fmac_f64_e32 v[2:3], v[52:53], v[54:55]
	s_wait_dscnt 0x1
	s_delay_alu instid0(VALU_DEP_1)
	v_fmac_f64_e32 v[2:3], v[42:43], v[56:57]
	ds_load_2addr_b64 v[52:55], v1 offset0:31 offset1:32
	ds_load_2addr_b64 v[56:59], v1 offset0:33 offset1:34
	s_wait_dscnt 0x1
	v_fmac_f64_e32 v[2:3], v[44:45], v[52:53]
	ds_load_b128 v[42:45], v40 offset:128
	v_fmac_f64_e32 v[2:3], v[48:49], v[54:55]
	s_wait_dscnt 0x1
	s_delay_alu instid0(VALU_DEP_1) | instskip(SKIP_1) | instid1(VALU_DEP_1)
	v_fmac_f64_e32 v[2:3], v[50:51], v[56:57]
	s_wait_dscnt 0x0
	v_fmac_f64_e32 v[2:3], v[42:43], v[58:59]
	ds_load_b64 v[42:43], v1 offset:280
	s_wait_dscnt 0x0
	v_fmac_f64_e32 v[2:3], v[44:45], v[42:43]
	s_delay_alu instid0(VALU_DEP_1)
	v_add_f64_e64 v[2:3], v[46:47], -v[2:3]
	ds_store_b64 v40, v[2:3] offset:64
	v_cmpx_lt_u32_e32 7, v41
	s_cbranch_execz .LBB17_103
; %bb.102:
	ds_load_b64 v[2:3], v40 offset:56
	v_mov_b64_e32 v[42:43], 0
	s_wait_dscnt 0x0
	ds_store_b64 v0, v[2:3]
	ds_store_b64 v40, v[42:43] offset:56
.LBB17_103:
	s_or_b32 exec_lo, exec_lo, s0
	s_wait_dscnt 0x0
	s_barrier_signal -1
	s_barrier_wait -1
	ds_load_2addr_b64 v[42:45], v40 offset0:7 offset1:8
	ds_load_b128 v[46:49], v1 offset:208
	ds_load_b128 v[50:53], v1 offset:224
	ds_load_2addr_b64 v[54:57], v40 offset0:9 offset1:10
	s_mov_b32 s0, exec_lo
	s_wait_dscnt 0x2
	v_fma_f64 v[2:3], v[44:45], v[46:47], 0
	s_wait_dscnt 0x0
	s_delay_alu instid0(VALU_DEP_1) | instskip(NEXT) | instid1(VALU_DEP_1)
	v_fmac_f64_e32 v[2:3], v[54:55], v[48:49]
	v_fmac_f64_e32 v[2:3], v[56:57], v[50:51]
	ds_load_2addr_b64 v[44:47], v40 offset0:11 offset1:12
	ds_load_2addr_b64 v[48:51], v40 offset0:13 offset1:14
	s_wait_dscnt 0x1
	v_fmac_f64_e32 v[2:3], v[44:45], v[52:53]
	ds_load_b128 v[52:55], v1 offset:240
	ds_load_b128 v[56:59], v1 offset:256
	s_wait_dscnt 0x1
	v_fmac_f64_e32 v[2:3], v[46:47], v[52:53]
	ds_load_2addr_b64 v[44:47], v40 offset0:15 offset1:16
	ds_load_b64 v[52:53], v40 offset:136
	v_fmac_f64_e32 v[2:3], v[48:49], v[54:55]
	s_wait_dscnt 0x2
	s_delay_alu instid0(VALU_DEP_1) | instskip(SKIP_4) | instid1(VALU_DEP_1)
	v_fmac_f64_e32 v[2:3], v[50:51], v[56:57]
	ds_load_b128 v[48:51], v1 offset:272
	s_wait_dscnt 0x2
	v_fmac_f64_e32 v[2:3], v[44:45], v[58:59]
	s_wait_dscnt 0x0
	v_fmac_f64_e32 v[2:3], v[46:47], v[48:49]
	s_delay_alu instid0(VALU_DEP_1) | instskip(NEXT) | instid1(VALU_DEP_1)
	v_fmac_f64_e32 v[2:3], v[52:53], v[50:51]
	v_add_f64_e64 v[2:3], v[42:43], -v[2:3]
	ds_store_b64 v40, v[2:3] offset:56
	v_cmpx_lt_u32_e32 6, v41
	s_cbranch_execz .LBB17_105
; %bb.104:
	ds_load_b64 v[2:3], v40 offset:48
	v_mov_b64_e32 v[42:43], 0
	s_wait_dscnt 0x0
	ds_store_b64 v0, v[2:3]
	ds_store_b64 v40, v[42:43] offset:48
.LBB17_105:
	s_or_b32 exec_lo, exec_lo, s0
	v_mov_b32_e32 v1, 0
	s_wait_dscnt 0x0
	s_barrier_signal -1
	s_barrier_wait -1
	ds_load_2addr_b64 v[42:45], v1 offset0:25 offset1:26
	ds_load_b128 v[46:49], v40 offset:48
	ds_load_b128 v[50:53], v40 offset:64
	ds_load_2addr_b64 v[54:57], v1 offset0:27 offset1:28
	s_mov_b32 s0, exec_lo
	s_wait_dscnt 0x2
	v_fma_f64 v[2:3], v[48:49], v[42:43], 0
	s_wait_dscnt 0x1
	s_delay_alu instid0(VALU_DEP_1)
	v_fmac_f64_e32 v[2:3], v[50:51], v[44:45]
	ds_load_b128 v[42:45], v40 offset:80
	ds_load_b128 v[48:51], v40 offset:96
	s_wait_dscnt 0x2
	v_fmac_f64_e32 v[2:3], v[52:53], v[54:55]
	s_wait_dscnt 0x1
	s_delay_alu instid0(VALU_DEP_1) | instskip(SKIP_4) | instid1(VALU_DEP_1)
	v_fmac_f64_e32 v[2:3], v[42:43], v[56:57]
	ds_load_2addr_b64 v[52:55], v1 offset0:29 offset1:30
	ds_load_2addr_b64 v[56:59], v1 offset0:31 offset1:32
	s_wait_dscnt 0x1
	v_fmac_f64_e32 v[2:3], v[44:45], v[52:53]
	v_fmac_f64_e32 v[2:3], v[48:49], v[54:55]
	s_wait_dscnt 0x0
	s_delay_alu instid0(VALU_DEP_1)
	v_fmac_f64_e32 v[2:3], v[50:51], v[56:57]
	ds_load_b128 v[42:45], v40 offset:112
	ds_load_b128 v[48:51], v40 offset:128
	s_wait_dscnt 0x1
	v_fmac_f64_e32 v[2:3], v[42:43], v[58:59]
	ds_load_2addr_b64 v[52:55], v1 offset0:33 offset1:34
	ds_load_b64 v[42:43], v1 offset:280
	s_wait_dscnt 0x1
	v_fmac_f64_e32 v[2:3], v[44:45], v[52:53]
	s_delay_alu instid0(VALU_DEP_1) | instskip(SKIP_1) | instid1(VALU_DEP_1)
	v_fmac_f64_e32 v[2:3], v[48:49], v[54:55]
	s_wait_dscnt 0x0
	v_fmac_f64_e32 v[2:3], v[50:51], v[42:43]
	s_delay_alu instid0(VALU_DEP_1)
	v_add_f64_e64 v[2:3], v[46:47], -v[2:3]
	ds_store_b64 v40, v[2:3] offset:48
	v_cmpx_lt_u32_e32 5, v41
	s_cbranch_execz .LBB17_107
; %bb.106:
	ds_load_b64 v[2:3], v40 offset:40
	v_mov_b64_e32 v[42:43], 0
	s_wait_dscnt 0x0
	ds_store_b64 v0, v[2:3]
	ds_store_b64 v40, v[42:43] offset:40
.LBB17_107:
	s_or_b32 exec_lo, exec_lo, s0
	s_wait_dscnt 0x0
	s_barrier_signal -1
	s_barrier_wait -1
	ds_load_2addr_b64 v[42:45], v40 offset0:5 offset1:6
	ds_load_b128 v[46:49], v1 offset:192
	ds_load_b128 v[50:53], v1 offset:208
	ds_load_2addr_b64 v[54:57], v40 offset0:7 offset1:8
	s_mov_b32 s0, exec_lo
	s_wait_dscnt 0x2
	v_fma_f64 v[2:3], v[44:45], v[46:47], 0
	s_wait_dscnt 0x0
	s_delay_alu instid0(VALU_DEP_1) | instskip(NEXT) | instid1(VALU_DEP_1)
	v_fmac_f64_e32 v[2:3], v[54:55], v[48:49]
	v_fmac_f64_e32 v[2:3], v[56:57], v[50:51]
	ds_load_2addr_b64 v[44:47], v40 offset0:9 offset1:10
	ds_load_2addr_b64 v[48:51], v40 offset0:11 offset1:12
	s_wait_dscnt 0x1
	v_fmac_f64_e32 v[2:3], v[44:45], v[52:53]
	ds_load_b128 v[52:55], v1 offset:224
	ds_load_b128 v[56:59], v1 offset:240
	s_wait_dscnt 0x1
	v_fmac_f64_e32 v[2:3], v[46:47], v[52:53]
	s_delay_alu instid0(VALU_DEP_1) | instskip(SKIP_1) | instid1(VALU_DEP_1)
	v_fmac_f64_e32 v[2:3], v[48:49], v[54:55]
	s_wait_dscnt 0x0
	v_fmac_f64_e32 v[2:3], v[50:51], v[56:57]
	ds_load_2addr_b64 v[44:47], v40 offset0:13 offset1:14
	ds_load_2addr_b64 v[48:51], v40 offset0:15 offset1:16
	s_wait_dscnt 0x1
	v_fmac_f64_e32 v[2:3], v[44:45], v[58:59]
	ds_load_b128 v[52:55], v1 offset:256
	ds_load_b128 v[56:59], v1 offset:272
	ds_load_b64 v[44:45], v40 offset:136
	s_wait_dscnt 0x2
	v_fmac_f64_e32 v[2:3], v[46:47], v[52:53]
	s_delay_alu instid0(VALU_DEP_1) | instskip(SKIP_1) | instid1(VALU_DEP_1)
	v_fmac_f64_e32 v[2:3], v[48:49], v[54:55]
	s_wait_dscnt 0x1
	v_fmac_f64_e32 v[2:3], v[50:51], v[56:57]
	s_wait_dscnt 0x0
	s_delay_alu instid0(VALU_DEP_1) | instskip(NEXT) | instid1(VALU_DEP_1)
	v_fmac_f64_e32 v[2:3], v[44:45], v[58:59]
	v_add_f64_e64 v[2:3], v[42:43], -v[2:3]
	ds_store_b64 v40, v[2:3] offset:40
	v_cmpx_lt_u32_e32 4, v41
	s_cbranch_execz .LBB17_109
; %bb.108:
	ds_load_b64 v[2:3], v40 offset:32
	v_mov_b64_e32 v[42:43], 0
	s_wait_dscnt 0x0
	ds_store_b64 v0, v[2:3]
	ds_store_b64 v40, v[42:43] offset:32
.LBB17_109:
	s_or_b32 exec_lo, exec_lo, s0
	v_mov_b32_e32 v1, 0
	s_wait_dscnt 0x0
	s_barrier_signal -1
	s_barrier_wait -1
	ds_load_2addr_b64 v[42:45], v1 offset0:23 offset1:24
	ds_load_b128 v[46:49], v40 offset:32
	ds_load_b128 v[50:53], v40 offset:48
	ds_load_2addr_b64 v[54:57], v1 offset0:25 offset1:26
	s_mov_b32 s0, exec_lo
	s_wait_dscnt 0x2
	v_fma_f64 v[2:3], v[48:49], v[42:43], 0
	s_wait_dscnt 0x1
	s_delay_alu instid0(VALU_DEP_1)
	v_fmac_f64_e32 v[2:3], v[50:51], v[44:45]
	ds_load_b128 v[42:45], v40 offset:64
	ds_load_b128 v[48:51], v40 offset:80
	s_wait_dscnt 0x2
	v_fmac_f64_e32 v[2:3], v[52:53], v[54:55]
	s_wait_dscnt 0x1
	s_delay_alu instid0(VALU_DEP_1) | instskip(SKIP_4) | instid1(VALU_DEP_1)
	v_fmac_f64_e32 v[2:3], v[42:43], v[56:57]
	ds_load_2addr_b64 v[52:55], v1 offset0:27 offset1:28
	ds_load_2addr_b64 v[56:59], v1 offset0:29 offset1:30
	s_wait_dscnt 0x1
	v_fmac_f64_e32 v[2:3], v[44:45], v[52:53]
	v_fmac_f64_e32 v[2:3], v[48:49], v[54:55]
	s_wait_dscnt 0x0
	s_delay_alu instid0(VALU_DEP_1)
	v_fmac_f64_e32 v[2:3], v[50:51], v[56:57]
	ds_load_b128 v[42:45], v40 offset:96
	ds_load_b128 v[48:51], v40 offset:112
	s_wait_dscnt 0x1
	v_fmac_f64_e32 v[2:3], v[42:43], v[58:59]
	ds_load_2addr_b64 v[52:55], v1 offset0:31 offset1:32
	ds_load_2addr_b64 v[56:59], v1 offset0:33 offset1:34
	s_wait_dscnt 0x1
	v_fmac_f64_e32 v[2:3], v[44:45], v[52:53]
	ds_load_b128 v[42:45], v40 offset:128
	v_fmac_f64_e32 v[2:3], v[48:49], v[54:55]
	s_wait_dscnt 0x1
	s_delay_alu instid0(VALU_DEP_1) | instskip(SKIP_1) | instid1(VALU_DEP_1)
	v_fmac_f64_e32 v[2:3], v[50:51], v[56:57]
	s_wait_dscnt 0x0
	v_fmac_f64_e32 v[2:3], v[42:43], v[58:59]
	ds_load_b64 v[42:43], v1 offset:280
	s_wait_dscnt 0x0
	v_fmac_f64_e32 v[2:3], v[44:45], v[42:43]
	s_delay_alu instid0(VALU_DEP_1)
	v_add_f64_e64 v[2:3], v[46:47], -v[2:3]
	ds_store_b64 v40, v[2:3] offset:32
	v_cmpx_lt_u32_e32 3, v41
	s_cbranch_execz .LBB17_111
; %bb.110:
	ds_load_b64 v[2:3], v40 offset:24
	v_mov_b64_e32 v[42:43], 0
	s_wait_dscnt 0x0
	ds_store_b64 v0, v[2:3]
	ds_store_b64 v40, v[42:43] offset:24
.LBB17_111:
	s_or_b32 exec_lo, exec_lo, s0
	s_wait_dscnt 0x0
	s_barrier_signal -1
	s_barrier_wait -1
	ds_load_2addr_b64 v[42:45], v40 offset0:3 offset1:4
	ds_load_b128 v[46:49], v1 offset:176
	ds_load_b128 v[50:53], v1 offset:192
	ds_load_2addr_b64 v[54:57], v40 offset0:5 offset1:6
	s_mov_b32 s0, exec_lo
	s_wait_dscnt 0x2
	v_fma_f64 v[2:3], v[44:45], v[46:47], 0
	s_wait_dscnt 0x0
	s_delay_alu instid0(VALU_DEP_1) | instskip(NEXT) | instid1(VALU_DEP_1)
	v_fmac_f64_e32 v[2:3], v[54:55], v[48:49]
	v_fmac_f64_e32 v[2:3], v[56:57], v[50:51]
	ds_load_2addr_b64 v[44:47], v40 offset0:7 offset1:8
	ds_load_2addr_b64 v[48:51], v40 offset0:9 offset1:10
	s_wait_dscnt 0x1
	v_fmac_f64_e32 v[2:3], v[44:45], v[52:53]
	ds_load_b128 v[52:55], v1 offset:208
	ds_load_b128 v[56:59], v1 offset:224
	s_wait_dscnt 0x1
	v_fmac_f64_e32 v[2:3], v[46:47], v[52:53]
	s_delay_alu instid0(VALU_DEP_1) | instskip(SKIP_1) | instid1(VALU_DEP_1)
	v_fmac_f64_e32 v[2:3], v[48:49], v[54:55]
	s_wait_dscnt 0x0
	v_fmac_f64_e32 v[2:3], v[50:51], v[56:57]
	ds_load_2addr_b64 v[44:47], v40 offset0:11 offset1:12
	ds_load_2addr_b64 v[48:51], v40 offset0:13 offset1:14
	s_wait_dscnt 0x1
	v_fmac_f64_e32 v[2:3], v[44:45], v[58:59]
	ds_load_b128 v[52:55], v1 offset:240
	ds_load_b128 v[56:59], v1 offset:256
	s_wait_dscnt 0x1
	v_fmac_f64_e32 v[2:3], v[46:47], v[52:53]
	ds_load_2addr_b64 v[44:47], v40 offset0:15 offset1:16
	ds_load_b64 v[52:53], v40 offset:136
	v_fmac_f64_e32 v[2:3], v[48:49], v[54:55]
	s_wait_dscnt 0x2
	s_delay_alu instid0(VALU_DEP_1) | instskip(SKIP_4) | instid1(VALU_DEP_1)
	v_fmac_f64_e32 v[2:3], v[50:51], v[56:57]
	ds_load_b128 v[48:51], v1 offset:272
	s_wait_dscnt 0x2
	v_fmac_f64_e32 v[2:3], v[44:45], v[58:59]
	s_wait_dscnt 0x0
	v_fmac_f64_e32 v[2:3], v[46:47], v[48:49]
	s_delay_alu instid0(VALU_DEP_1) | instskip(NEXT) | instid1(VALU_DEP_1)
	v_fmac_f64_e32 v[2:3], v[52:53], v[50:51]
	v_add_f64_e64 v[2:3], v[42:43], -v[2:3]
	ds_store_b64 v40, v[2:3] offset:24
	v_cmpx_lt_u32_e32 2, v41
	s_cbranch_execz .LBB17_113
; %bb.112:
	ds_load_b64 v[2:3], v40 offset:16
	v_mov_b64_e32 v[42:43], 0
	s_wait_dscnt 0x0
	ds_store_b64 v0, v[2:3]
	ds_store_b64 v40, v[42:43] offset:16
.LBB17_113:
	s_or_b32 exec_lo, exec_lo, s0
	v_mov_b32_e32 v1, 0
	s_wait_dscnt 0x0
	s_barrier_signal -1
	s_barrier_wait -1
	ds_load_2addr_b64 v[42:45], v1 offset0:21 offset1:22
	ds_load_b128 v[46:49], v40 offset:16
	ds_load_b128 v[50:53], v40 offset:32
	ds_load_2addr_b64 v[54:57], v1 offset0:23 offset1:24
	s_mov_b32 s0, exec_lo
	s_wait_dscnt 0x2
	v_fma_f64 v[2:3], v[48:49], v[42:43], 0
	s_wait_dscnt 0x1
	s_delay_alu instid0(VALU_DEP_1)
	v_fmac_f64_e32 v[2:3], v[50:51], v[44:45]
	ds_load_b128 v[42:45], v40 offset:48
	ds_load_b128 v[48:51], v40 offset:64
	s_wait_dscnt 0x2
	v_fmac_f64_e32 v[2:3], v[52:53], v[54:55]
	s_wait_dscnt 0x1
	s_delay_alu instid0(VALU_DEP_1) | instskip(SKIP_4) | instid1(VALU_DEP_1)
	v_fmac_f64_e32 v[2:3], v[42:43], v[56:57]
	ds_load_2addr_b64 v[52:55], v1 offset0:25 offset1:26
	ds_load_2addr_b64 v[56:59], v1 offset0:27 offset1:28
	s_wait_dscnt 0x1
	v_fmac_f64_e32 v[2:3], v[44:45], v[52:53]
	v_fmac_f64_e32 v[2:3], v[48:49], v[54:55]
	s_wait_dscnt 0x0
	s_delay_alu instid0(VALU_DEP_1)
	v_fmac_f64_e32 v[2:3], v[50:51], v[56:57]
	ds_load_b128 v[42:45], v40 offset:80
	ds_load_b128 v[48:51], v40 offset:96
	s_wait_dscnt 0x1
	v_fmac_f64_e32 v[2:3], v[42:43], v[58:59]
	ds_load_2addr_b64 v[52:55], v1 offset0:29 offset1:30
	ds_load_2addr_b64 v[56:59], v1 offset0:31 offset1:32
	s_wait_dscnt 0x1
	v_fmac_f64_e32 v[2:3], v[44:45], v[52:53]
	s_delay_alu instid0(VALU_DEP_1) | instskip(SKIP_1) | instid1(VALU_DEP_1)
	v_fmac_f64_e32 v[2:3], v[48:49], v[54:55]
	s_wait_dscnt 0x0
	v_fmac_f64_e32 v[2:3], v[50:51], v[56:57]
	ds_load_b128 v[42:45], v40 offset:112
	ds_load_b128 v[48:51], v40 offset:128
	s_wait_dscnt 0x1
	v_fmac_f64_e32 v[2:3], v[42:43], v[58:59]
	ds_load_2addr_b64 v[52:55], v1 offset0:33 offset1:34
	ds_load_b64 v[42:43], v1 offset:280
	s_wait_dscnt 0x1
	v_fmac_f64_e32 v[2:3], v[44:45], v[52:53]
	s_delay_alu instid0(VALU_DEP_1) | instskip(SKIP_1) | instid1(VALU_DEP_1)
	v_fmac_f64_e32 v[2:3], v[48:49], v[54:55]
	s_wait_dscnt 0x0
	v_fmac_f64_e32 v[2:3], v[50:51], v[42:43]
	s_delay_alu instid0(VALU_DEP_1)
	v_add_f64_e64 v[2:3], v[46:47], -v[2:3]
	ds_store_b64 v40, v[2:3] offset:16
	v_cmpx_lt_u32_e32 1, v41
	s_cbranch_execz .LBB17_115
; %bb.114:
	ds_load_b64 v[2:3], v40 offset:8
	v_mov_b64_e32 v[42:43], 0
	s_wait_dscnt 0x0
	ds_store_b64 v0, v[2:3]
	ds_store_b64 v40, v[42:43] offset:8
.LBB17_115:
	s_or_b32 exec_lo, exec_lo, s0
	s_wait_dscnt 0x0
	s_barrier_signal -1
	s_barrier_wait -1
	ds_load_2addr_b64 v[42:45], v40 offset0:1 offset1:2
	ds_load_b128 v[46:49], v1 offset:160
	ds_load_b128 v[50:53], v1 offset:176
	ds_load_2addr_b64 v[54:57], v40 offset0:3 offset1:4
	v_dual_ashrrev_i32 v11, 31, v10 :: v_dual_ashrrev_i32 v13, 31, v12
	v_dual_ashrrev_i32 v15, 31, v14 :: v_dual_ashrrev_i32 v17, 31, v16
	;; [unrolled: 1-line block ×7, first 2 shown]
	v_ashrrev_i32_e32 v39, 31, v38
	s_mov_b32 s0, exec_lo
	v_ashrrev_i32_e32 v9, 31, v8
	s_wait_dscnt 0x2
	v_fma_f64 v[2:3], v[44:45], v[46:47], 0
	s_wait_dscnt 0x0
	s_delay_alu instid0(VALU_DEP_1) | instskip(NEXT) | instid1(VALU_DEP_1)
	v_fmac_f64_e32 v[2:3], v[54:55], v[48:49]
	v_fmac_f64_e32 v[2:3], v[56:57], v[50:51]
	ds_load_2addr_b64 v[44:47], v40 offset0:5 offset1:6
	ds_load_2addr_b64 v[48:51], v40 offset0:7 offset1:8
	s_wait_dscnt 0x1
	v_fmac_f64_e32 v[2:3], v[44:45], v[52:53]
	ds_load_b128 v[52:55], v1 offset:192
	ds_load_b128 v[56:59], v1 offset:208
	s_wait_dscnt 0x1
	v_fmac_f64_e32 v[2:3], v[46:47], v[52:53]
	s_delay_alu instid0(VALU_DEP_1) | instskip(SKIP_1) | instid1(VALU_DEP_1)
	v_fmac_f64_e32 v[2:3], v[48:49], v[54:55]
	s_wait_dscnt 0x0
	v_fmac_f64_e32 v[2:3], v[50:51], v[56:57]
	ds_load_2addr_b64 v[44:47], v40 offset0:9 offset1:10
	ds_load_2addr_b64 v[48:51], v40 offset0:11 offset1:12
	s_wait_dscnt 0x1
	v_fmac_f64_e32 v[2:3], v[44:45], v[58:59]
	ds_load_b128 v[52:55], v1 offset:224
	ds_load_b128 v[56:59], v1 offset:240
	s_wait_dscnt 0x1
	v_fmac_f64_e32 v[2:3], v[46:47], v[52:53]
	s_delay_alu instid0(VALU_DEP_1) | instskip(SKIP_1) | instid1(VALU_DEP_1)
	v_fmac_f64_e32 v[2:3], v[48:49], v[54:55]
	s_wait_dscnt 0x0
	v_fmac_f64_e32 v[2:3], v[50:51], v[56:57]
	ds_load_2addr_b64 v[44:47], v40 offset0:13 offset1:14
	ds_load_2addr_b64 v[48:51], v40 offset0:15 offset1:16
	s_wait_dscnt 0x1
	v_fmac_f64_e32 v[2:3], v[44:45], v[58:59]
	ds_load_b128 v[52:55], v1 offset:256
	ds_load_b128 v[56:59], v1 offset:272
	ds_load_b64 v[44:45], v40 offset:136
	s_wait_dscnt 0x2
	v_fmac_f64_e32 v[2:3], v[46:47], v[52:53]
	s_delay_alu instid0(VALU_DEP_1) | instskip(SKIP_1) | instid1(VALU_DEP_1)
	v_fmac_f64_e32 v[2:3], v[48:49], v[54:55]
	s_wait_dscnt 0x1
	v_fmac_f64_e32 v[2:3], v[50:51], v[56:57]
	s_wait_dscnt 0x0
	s_delay_alu instid0(VALU_DEP_1) | instskip(NEXT) | instid1(VALU_DEP_1)
	v_fmac_f64_e32 v[2:3], v[44:45], v[58:59]
	v_add_f64_e64 v[2:3], v[42:43], -v[2:3]
	ds_store_b64 v40, v[2:3] offset:8
	v_cmpx_ne_u32_e32 0, v41
	s_cbranch_execz .LBB17_117
; %bb.116:
	ds_load_b64 v[2:3], v40
	v_mov_b64_e32 v[42:43], 0
	s_wait_dscnt 0x0
	ds_store_b64 v0, v[2:3]
	ds_store_b64 v40, v[42:43]
.LBB17_117:
	s_or_b32 exec_lo, exec_lo, s0
	v_mov_b32_e32 v41, 0
	s_wait_dscnt 0x0
	s_barrier_signal -1
	s_barrier_wait -1
	ds_load_2addr_b64 v[0:3], v41 offset0:19 offset1:20
	ds_load_b128 v[42:45], v40
	ds_load_b128 v[46:49], v40 offset:16
	ds_load_2addr_b64 v[50:53], v41 offset0:21 offset1:22
	s_and_b32 vcc_lo, exec_lo, s20
	s_wait_dscnt 0x2
	v_fma_f64 v[56:57], v[44:45], v[0:1], 0
	s_wait_dscnt 0x1
	s_delay_alu instid0(VALU_DEP_1)
	v_fmac_f64_e32 v[56:57], v[46:47], v[2:3]
	ds_load_b128 v[0:3], v40 offset:32
	ds_load_b128 v[44:47], v40 offset:48
	s_wait_dscnt 0x2
	v_fmac_f64_e32 v[56:57], v[48:49], v[50:51]
	s_wait_dscnt 0x1
	s_delay_alu instid0(VALU_DEP_1) | instskip(SKIP_4) | instid1(VALU_DEP_1)
	v_fmac_f64_e32 v[56:57], v[0:1], v[52:53]
	ds_load_2addr_b64 v[48:51], v41 offset0:23 offset1:24
	ds_load_2addr_b64 v[52:55], v41 offset0:25 offset1:26
	s_wait_dscnt 0x1
	v_fmac_f64_e32 v[56:57], v[2:3], v[48:49]
	v_fmac_f64_e32 v[56:57], v[44:45], v[50:51]
	s_wait_dscnt 0x0
	s_delay_alu instid0(VALU_DEP_1)
	v_fmac_f64_e32 v[56:57], v[46:47], v[52:53]
	ds_load_b128 v[0:3], v40 offset:64
	ds_load_b128 v[44:47], v40 offset:80
	s_wait_dscnt 0x1
	v_fmac_f64_e32 v[56:57], v[0:1], v[54:55]
	ds_load_2addr_b64 v[48:51], v41 offset0:27 offset1:28
	ds_load_2addr_b64 v[52:55], v41 offset0:29 offset1:30
	s_wait_dscnt 0x1
	v_fmac_f64_e32 v[56:57], v[2:3], v[48:49]
	s_delay_alu instid0(VALU_DEP_1) | instskip(SKIP_1) | instid1(VALU_DEP_1)
	v_fmac_f64_e32 v[56:57], v[44:45], v[50:51]
	s_wait_dscnt 0x0
	v_fmac_f64_e32 v[56:57], v[46:47], v[52:53]
	ds_load_b128 v[0:3], v40 offset:96
	ds_load_b128 v[44:47], v40 offset:112
	s_wait_dscnt 0x1
	v_fmac_f64_e32 v[56:57], v[0:1], v[54:55]
	ds_load_2addr_b64 v[48:51], v41 offset0:31 offset1:32
	ds_load_2addr_b64 v[52:55], v41 offset0:33 offset1:34
	s_wait_dscnt 0x1
	v_fmac_f64_e32 v[56:57], v[2:3], v[48:49]
	ds_load_b128 v[0:3], v40 offset:128
	v_fmac_f64_e32 v[56:57], v[44:45], v[50:51]
	ds_load_b64 v[44:45], v41 offset:280
	s_wait_dscnt 0x2
	v_fmac_f64_e32 v[56:57], v[46:47], v[52:53]
	s_wait_dscnt 0x1
	s_delay_alu instid0(VALU_DEP_1) | instskip(SKIP_1) | instid1(VALU_DEP_1)
	v_fmac_f64_e32 v[56:57], v[0:1], v[54:55]
	s_wait_dscnt 0x0
	v_fmac_f64_e32 v[56:57], v[2:3], v[44:45]
	s_delay_alu instid0(VALU_DEP_1)
	v_add_f64_e64 v[2:3], v[42:43], -v[56:57]
	ds_store_b64 v40, v[2:3]
	s_cbranch_vccz .LBB17_152
; %bb.118:
	global_load_b32 v2, v41, s[16:17] offset:64
	s_wait_loadcnt 0x0
	v_add_nc_u32_e32 v2, -1, v2
	s_delay_alu instid0(VALU_DEP_1)
	v_cmp_ne_u32_e32 vcc_lo, 16, v2
	s_cbranch_vccz .LBB17_120
; %bb.119:
	v_lshl_add_u32 v41, v2, 3, v40
	ds_load_b64 v[2:3], v41
	s_wait_dscnt 0x0
	ds_store_b64 v40, v[2:3] offset:128
	ds_store_b64 v41, v[0:1]
.LBB17_120:
	v_mov_b32_e32 v0, 0
	global_load_b32 v1, v0, s[16:17] offset:60
	s_wait_loadcnt 0x0
	v_add_nc_u32_e32 v1, -1, v1
	s_delay_alu instid0(VALU_DEP_1)
	v_cmp_eq_u32_e32 vcc_lo, 15, v1
	s_cbranch_vccnz .LBB17_122
; %bb.121:
	v_lshl_add_u32 v1, v1, 3, v40
	ds_load_b64 v[2:3], v1
	ds_load_b64 v[42:43], v40 offset:120
	s_wait_dscnt 0x1
	ds_store_b64 v40, v[2:3] offset:120
	s_wait_dscnt 0x1
	ds_store_b64 v1, v[42:43]
.LBB17_122:
	global_load_b32 v0, v0, s[16:17] offset:56
	s_wait_loadcnt 0x0
	v_add_nc_u32_e32 v0, -1, v0
	s_delay_alu instid0(VALU_DEP_1)
	v_cmp_eq_u32_e32 vcc_lo, 14, v0
	s_cbranch_vccnz .LBB17_124
; %bb.123:
	v_lshl_add_u32 v41, v0, 3, v40
	ds_load_b64 v[0:1], v41
	ds_load_b64 v[2:3], v40 offset:112
	s_wait_dscnt 0x1
	ds_store_b64 v40, v[0:1] offset:112
	s_wait_dscnt 0x1
	ds_store_b64 v41, v[2:3]
.LBB17_124:
	v_mov_b32_e32 v0, 0
	global_load_b32 v1, v0, s[16:17] offset:52
	s_wait_loadcnt 0x0
	v_add_nc_u32_e32 v1, -1, v1
	s_delay_alu instid0(VALU_DEP_1)
	v_cmp_eq_u32_e32 vcc_lo, 13, v1
	s_cbranch_vccnz .LBB17_126
; %bb.125:
	v_lshl_add_u32 v1, v1, 3, v40
	ds_load_b64 v[2:3], v1
	ds_load_b64 v[42:43], v40 offset:104
	s_wait_dscnt 0x1
	ds_store_b64 v40, v[2:3] offset:104
	s_wait_dscnt 0x1
	ds_store_b64 v1, v[42:43]
.LBB17_126:
	global_load_b32 v0, v0, s[16:17] offset:48
	s_wait_loadcnt 0x0
	v_add_nc_u32_e32 v0, -1, v0
	s_delay_alu instid0(VALU_DEP_1)
	v_cmp_eq_u32_e32 vcc_lo, 12, v0
	s_cbranch_vccnz .LBB17_128
; %bb.127:
	v_lshl_add_u32 v41, v0, 3, v40
	ds_load_b64 v[0:1], v41
	ds_load_b64 v[2:3], v40 offset:96
	s_wait_dscnt 0x1
	ds_store_b64 v40, v[0:1] offset:96
	s_wait_dscnt 0x1
	ds_store_b64 v41, v[2:3]
.LBB17_128:
	;; [unrolled: 31-line block ×7, first 2 shown]
	v_mov_b32_e32 v0, 0
	global_load_b32 v1, v0, s[16:17] offset:4
	s_wait_loadcnt 0x0
	v_add_nc_u32_e32 v1, -1, v1
	s_delay_alu instid0(VALU_DEP_1)
	v_cmp_eq_u32_e32 vcc_lo, 1, v1
	s_cbranch_vccnz .LBB17_150
; %bb.149:
	v_lshl_add_u32 v1, v1, 3, v40
	ds_load_b64 v[2:3], v1
	ds_load_b64 v[42:43], v40 offset:8
	s_wait_dscnt 0x1
	ds_store_b64 v40, v[2:3] offset:8
	s_wait_dscnt 0x1
	ds_store_b64 v1, v[42:43]
.LBB17_150:
	global_load_b32 v0, v0, s[16:17]
	ds_load_b64 v[2:3], v40
	s_wait_loadcnt 0x0
	v_add_nc_u32_e32 v0, -1, v0
	s_delay_alu instid0(VALU_DEP_1)
	v_cmp_eq_u32_e32 vcc_lo, 0, v0
	s_cbranch_vccnz .LBB17_152
; %bb.151:
	v_lshl_add_u32 v41, v0, 3, v40
	ds_load_b64 v[0:1], v41
	s_wait_dscnt 0x0
	ds_store_b64 v40, v[0:1]
	ds_store_b64 v41, v[2:3]
	ds_load_b64 v[2:3], v40
.LBB17_152:
	v_lshl_add_u64 v[0:1], v[8:9], 3, s[2:3]
	v_lshl_add_u64 v[8:9], v[10:11], 3, s[2:3]
	v_lshl_add_u64 v[10:11], v[12:13], 3, s[2:3]
	v_lshl_add_u64 v[12:13], v[14:15], 3, s[2:3]
	v_lshl_add_u64 v[14:15], v[16:17], 3, s[2:3]
	v_lshl_add_u64 v[16:17], v[18:19], 3, s[2:3]
	v_lshl_add_u64 v[18:19], v[20:21], 3, s[2:3]
	v_lshl_add_u64 v[20:21], v[22:23], 3, s[2:3]
	v_lshl_add_u64 v[22:23], v[24:25], 3, s[2:3]
	v_lshl_add_u64 v[24:25], v[26:27], 3, s[2:3]
	v_lshl_add_u64 v[26:27], v[28:29], 3, s[2:3]
	v_lshl_add_u64 v[28:29], v[30:31], 3, s[2:3]
	v_lshl_add_u64 v[30:31], v[32:33], 3, s[2:3]
	v_lshl_add_u64 v[32:33], v[34:35], 3, s[2:3]
	v_lshl_add_u64 v[34:35], v[36:37], 3, s[2:3]
	v_lshl_add_u64 v[36:37], v[38:39], 3, s[2:3]
	ds_load_2addr_b64 v[42:45], v40 offset0:1 offset1:2
	ds_load_2addr_b64 v[46:49], v40 offset0:3 offset1:4
	;; [unrolled: 1-line block ×8, first 2 shown]
	ds_load_b64 v[38:39], v40 offset:136
	s_wait_dscnt 0x9
	global_store_b64 v[4:5], v[2:3], off
	s_wait_dscnt 0x8
	s_clause 0x1
	global_store_b64 v[6:7], v[42:43], off
	global_store_b64 v[0:1], v[44:45], off
	s_wait_dscnt 0x7
	s_clause 0x1
	global_store_b64 v[8:9], v[46:47], off
	;; [unrolled: 4-line block ×8, first 2 shown]
	global_store_b64 v[34:35], v[72:73], off
	s_wait_dscnt 0x0
	global_store_b64 v[36:37], v[38:39], off
	s_sendmsg sendmsg(MSG_DEALLOC_VGPRS)
	s_endpgm
	.section	.rodata,"a",@progbits
	.p2align	6, 0x0
	.amdhsa_kernel _ZN9rocsolver6v33100L18getri_kernel_smallILi18EdPdEEvT1_iilPiilS4_bb
		.amdhsa_group_segment_fixed_size 9520
		.amdhsa_private_segment_fixed_size 0
		.amdhsa_kernarg_size 60
		.amdhsa_user_sgpr_count 4
		.amdhsa_user_sgpr_dispatch_ptr 1
		.amdhsa_user_sgpr_queue_ptr 0
		.amdhsa_user_sgpr_kernarg_segment_ptr 1
		.amdhsa_user_sgpr_dispatch_id 0
		.amdhsa_user_sgpr_kernarg_preload_length 0
		.amdhsa_user_sgpr_kernarg_preload_offset 0
		.amdhsa_user_sgpr_private_segment_size 0
		.amdhsa_wavefront_size32 1
		.amdhsa_uses_dynamic_stack 0
		.amdhsa_enable_private_segment 0
		.amdhsa_system_sgpr_workgroup_id_x 1
		.amdhsa_system_sgpr_workgroup_id_y 0
		.amdhsa_system_sgpr_workgroup_id_z 0
		.amdhsa_system_sgpr_workgroup_info 0
		.amdhsa_system_vgpr_workitem_id 2
		.amdhsa_next_free_vgpr 78
		.amdhsa_next_free_sgpr 21
		.amdhsa_named_barrier_count 0
		.amdhsa_reserve_vcc 1
		.amdhsa_float_round_mode_32 0
		.amdhsa_float_round_mode_16_64 0
		.amdhsa_float_denorm_mode_32 3
		.amdhsa_float_denorm_mode_16_64 3
		.amdhsa_fp16_overflow 0
		.amdhsa_memory_ordered 1
		.amdhsa_forward_progress 1
		.amdhsa_inst_pref_size 81
		.amdhsa_round_robin_scheduling 0
		.amdhsa_exception_fp_ieee_invalid_op 0
		.amdhsa_exception_fp_denorm_src 0
		.amdhsa_exception_fp_ieee_div_zero 0
		.amdhsa_exception_fp_ieee_overflow 0
		.amdhsa_exception_fp_ieee_underflow 0
		.amdhsa_exception_fp_ieee_inexact 0
		.amdhsa_exception_int_div_zero 0
	.end_amdhsa_kernel
	.section	.text._ZN9rocsolver6v33100L18getri_kernel_smallILi18EdPdEEvT1_iilPiilS4_bb,"axG",@progbits,_ZN9rocsolver6v33100L18getri_kernel_smallILi18EdPdEEvT1_iilPiilS4_bb,comdat
.Lfunc_end17:
	.size	_ZN9rocsolver6v33100L18getri_kernel_smallILi18EdPdEEvT1_iilPiilS4_bb, .Lfunc_end17-_ZN9rocsolver6v33100L18getri_kernel_smallILi18EdPdEEvT1_iilPiilS4_bb
                                        ; -- End function
	.set _ZN9rocsolver6v33100L18getri_kernel_smallILi18EdPdEEvT1_iilPiilS4_bb.num_vgpr, 78
	.set _ZN9rocsolver6v33100L18getri_kernel_smallILi18EdPdEEvT1_iilPiilS4_bb.num_agpr, 0
	.set _ZN9rocsolver6v33100L18getri_kernel_smallILi18EdPdEEvT1_iilPiilS4_bb.numbered_sgpr, 21
	.set _ZN9rocsolver6v33100L18getri_kernel_smallILi18EdPdEEvT1_iilPiilS4_bb.num_named_barrier, 0
	.set _ZN9rocsolver6v33100L18getri_kernel_smallILi18EdPdEEvT1_iilPiilS4_bb.private_seg_size, 0
	.set _ZN9rocsolver6v33100L18getri_kernel_smallILi18EdPdEEvT1_iilPiilS4_bb.uses_vcc, 1
	.set _ZN9rocsolver6v33100L18getri_kernel_smallILi18EdPdEEvT1_iilPiilS4_bb.uses_flat_scratch, 0
	.set _ZN9rocsolver6v33100L18getri_kernel_smallILi18EdPdEEvT1_iilPiilS4_bb.has_dyn_sized_stack, 0
	.set _ZN9rocsolver6v33100L18getri_kernel_smallILi18EdPdEEvT1_iilPiilS4_bb.has_recursion, 0
	.set _ZN9rocsolver6v33100L18getri_kernel_smallILi18EdPdEEvT1_iilPiilS4_bb.has_indirect_call, 0
	.section	.AMDGPU.csdata,"",@progbits
; Kernel info:
; codeLenInByte = 10348
; TotalNumSgprs: 23
; NumVgprs: 78
; ScratchSize: 0
; MemoryBound: 0
; FloatMode: 240
; IeeeMode: 1
; LDSByteSize: 9520 bytes/workgroup (compile time only)
; SGPRBlocks: 0
; VGPRBlocks: 4
; NumSGPRsForWavesPerEU: 23
; NumVGPRsForWavesPerEU: 78
; NamedBarCnt: 0
; Occupancy: 9
; WaveLimiterHint : 0
; COMPUTE_PGM_RSRC2:SCRATCH_EN: 0
; COMPUTE_PGM_RSRC2:USER_SGPR: 4
; COMPUTE_PGM_RSRC2:TRAP_HANDLER: 0
; COMPUTE_PGM_RSRC2:TGID_X_EN: 1
; COMPUTE_PGM_RSRC2:TGID_Y_EN: 0
; COMPUTE_PGM_RSRC2:TGID_Z_EN: 0
; COMPUTE_PGM_RSRC2:TIDIG_COMP_CNT: 2
	.section	.text._ZN9rocsolver6v33100L18getri_kernel_smallILi19EdPdEEvT1_iilPiilS4_bb,"axG",@progbits,_ZN9rocsolver6v33100L18getri_kernel_smallILi19EdPdEEvT1_iilPiilS4_bb,comdat
	.globl	_ZN9rocsolver6v33100L18getri_kernel_smallILi19EdPdEEvT1_iilPiilS4_bb ; -- Begin function _ZN9rocsolver6v33100L18getri_kernel_smallILi19EdPdEEvT1_iilPiilS4_bb
	.p2align	8
	.type	_ZN9rocsolver6v33100L18getri_kernel_smallILi19EdPdEEvT1_iilPiilS4_bb,@function
_ZN9rocsolver6v33100L18getri_kernel_smallILi19EdPdEEvT1_iilPiilS4_bb: ; @_ZN9rocsolver6v33100L18getri_kernel_smallILi19EdPdEEvT1_iilPiilS4_bb
; %bb.0:
	v_and_b32_e32 v42, 0x3ff, v0
	s_mov_b32 s4, exec_lo
	s_delay_alu instid0(VALU_DEP_1)
	v_cmpx_gt_u32_e32 19, v42
	s_cbranch_execz .LBB18_86
; %bb.1:
	s_clause 0x2
	s_load_b32 s8, s[2:3], 0x38
	s_load_b128 s[12:15], s[2:3], 0x10
	s_load_b128 s[4:7], s[2:3], 0x28
	s_getreg_b32 s11, hwreg(HW_REG_IB_STS2, 6, 4)
                                        ; implicit-def: $sgpr16_sgpr17
	s_wait_kmcnt 0x0
	s_bitcmp1_b32 s8, 8
	s_cselect_b32 s20, -1, 0
	s_bfe_u32 s9, ttmp6, 0x4000c
	s_and_b32 s10, ttmp6, 15
	s_add_co_i32 s9, s9, 1
	s_delay_alu instid0(SALU_CYCLE_1) | instskip(NEXT) | instid1(SALU_CYCLE_1)
	s_mul_i32 s9, ttmp9, s9
	s_add_co_i32 s10, s10, s9
	s_cmp_eq_u32 s11, 0
	s_cselect_b32 s18, ttmp9, s10
	s_bfe_u32 s8, s8, 0x10008
	s_ashr_i32 s19, s18, 31
	s_cmp_eq_u32 s8, 0
	s_cbranch_scc1 .LBB18_3
; %bb.2:
	s_load_b32 s8, s[2:3], 0x20
	s_mul_u64 s[4:5], s[4:5], s[18:19]
	s_delay_alu instid0(SALU_CYCLE_1) | instskip(NEXT) | instid1(SALU_CYCLE_1)
	s_lshl_b64 s[4:5], s[4:5], 2
	s_add_nc_u64 s[4:5], s[14:15], s[4:5]
	s_wait_kmcnt 0x0
	s_ashr_i32 s9, s8, 31
	s_delay_alu instid0(SALU_CYCLE_1) | instskip(NEXT) | instid1(SALU_CYCLE_1)
	s_lshl_b64 s[8:9], s[8:9], 2
	s_add_nc_u64 s[16:17], s[4:5], s[8:9]
.LBB18_3:
	s_clause 0x1
	s_load_b128 s[8:11], s[2:3], 0x0
	s_load_b32 s14, s[2:3], 0x38
	s_wait_xcnt 0x0
	s_mul_u64 s[2:3], s[12:13], s[18:19]
	v_bfe_u32 v1, v0, 10, 10
	s_lshl_b64 s[2:3], s[2:3], 3
	v_bfe_u32 v0, v0, 20, 10
	v_dual_mov_b32 v3, 0 :: v_dual_lshlrev_b32 v2, 3, v42
	s_wait_kmcnt 0x0
	v_add3_u32 v8, s11, s11, v42
	s_ashr_i32 s5, s10, 31
	s_mov_b32 s4, s10
	s_add_nc_u64 s[2:3], s[8:9], s[2:3]
	s_lshl_b64 s[4:5], s[4:5], 3
	v_add_nc_u32_e32 v10, s11, v8
	s_add_nc_u64 s[2:3], s[2:3], s[4:5]
	s_ashr_i32 s5, s11, 31
	s_mov_b32 s4, s11
	v_add_nc_u64_e32 v[4:5], s[2:3], v[2:3]
	v_add_nc_u32_e32 v12, s11, v10
	s_delay_alu instid0(VALU_DEP_1) | instskip(NEXT) | instid1(VALU_DEP_3)
	v_add_nc_u32_e32 v14, s11, v12
	v_lshl_add_u64 v[6:7], s[4:5], 3, v[4:5]
	s_load_b64 s[4:5], s[0:1], 0x4
	s_wait_xcnt 0x0
	s_mov_b32 s1, -1
	s_clause 0x1
	global_load_b64 v[46:47], v42, s[2:3] scale_offset
	global_load_b64 v[48:49], v[6:7], off
	v_add_nc_u32_e32 v16, s11, v14
	s_delay_alu instid0(VALU_DEP_1) | instskip(NEXT) | instid1(VALU_DEP_1)
	v_add_nc_u32_e32 v18, s11, v16
	v_add_nc_u32_e32 v20, s11, v18
	s_clause 0x3
	global_load_b64 v[50:51], v8, s[2:3] scale_offset
	global_load_b64 v[52:53], v10, s[2:3] scale_offset
	;; [unrolled: 1-line block ×4, first 2 shown]
	v_add_nc_u32_e32 v22, s11, v20
	s_clause 0x3
	global_load_b64 v[58:59], v16, s[2:3] scale_offset
	global_load_b64 v[60:61], v18, s[2:3] scale_offset
	;; [unrolled: 1-line block ×4, first 2 shown]
	s_wait_kmcnt 0x0
	s_lshr_b32 s0, s4, 16
	v_mul_u32_u24_e32 v1, s5, v1
	v_add_nc_u32_e32 v24, s11, v22
	s_bitcmp0_b32 s14, 0
	s_mul_i32 s0, s0, s5
	s_delay_alu instid0(SALU_CYCLE_1) | instskip(NEXT) | instid1(VALU_DEP_2)
	v_mul_u32_u24_e32 v3, s0, v42
	v_add_nc_u32_e32 v26, s11, v24
	s_delay_alu instid0(VALU_DEP_2) | instskip(NEXT) | instid1(VALU_DEP_2)
	v_add3_u32 v0, v3, v1, v0
	v_add_nc_u32_e32 v28, s11, v26
	s_delay_alu instid0(VALU_DEP_2) | instskip(NEXT) | instid1(VALU_DEP_2)
	v_mul_lo_u32 v3, 0x98, v0
	v_add_nc_u32_e32 v30, s11, v28
	s_delay_alu instid0(VALU_DEP_1) | instskip(NEXT) | instid1(VALU_DEP_1)
	v_add_nc_u32_e32 v32, s11, v30
	v_add_nc_u32_e32 v34, s11, v32
	s_delay_alu instid0(VALU_DEP_4) | instskip(NEXT) | instid1(VALU_DEP_2)
	v_add_nc_u32_e32 v44, 0x140, v3
	v_add_nc_u32_e32 v36, s11, v34
	s_clause 0x3
	global_load_b64 v[66:67], v24, s[2:3] scale_offset
	global_load_b64 v[68:69], v26, s[2:3] scale_offset
	;; [unrolled: 1-line block ×4, first 2 shown]
	v_add_nc_u32_e32 v38, s11, v36
	s_delay_alu instid0(VALU_DEP_1)
	v_add_nc_u32_e32 v40, s11, v38
	s_clause 0x4
	global_load_b64 v[74:75], v32, s[2:3] scale_offset
	global_load_b64 v[76:77], v34, s[2:3] scale_offset
	;; [unrolled: 1-line block ×5, first 2 shown]
	s_wait_loadcnt 0x11
	ds_store_b128 v3, v[46:49] offset:320
	s_wait_loadcnt 0xf
	ds_store_b128 v3, v[50:53] offset:336
	;; [unrolled: 2-line block ×9, first 2 shown]
	s_wait_loadcnt 0x0
	ds_store_b64 v3, v[82:83] offset:464
	s_cbranch_scc1 .LBB18_84
; %bb.4:
	v_cmp_eq_u32_e64 s0, 0, v42
	s_and_saveexec_b32 s1, s0
; %bb.5:
	v_mov_b32_e32 v0, 0
	ds_store_b32 v0, v0 offset:152
; %bb.6:
	s_or_b32 exec_lo, exec_lo, s1
	v_lshl_add_u32 v0, v42, 3, v44
	s_wait_dscnt 0x0
	s_barrier_signal -1
	s_barrier_wait -1
	ds_load_b64 v[46:47], v0
	s_mov_b32 s4, exec_lo
	s_wait_dscnt 0x0
	v_cmpx_eq_f64_e32 0, v[46:47]
	s_cbranch_execz .LBB18_10
; %bb.7:
	v_mov_b32_e32 v1, 0
	s_mov_b32 s5, 0
	ds_load_b32 v9, v1 offset:152
	s_wait_dscnt 0x0
	v_readfirstlane_b32 s1, v9
	v_add_nc_u32_e32 v9, 1, v42
	s_cmp_eq_u32 s1, 0
	s_delay_alu instid0(VALU_DEP_1) | instskip(SKIP_1) | instid1(SALU_CYCLE_1)
	v_cmp_gt_i32_e32 vcc_lo, s1, v9
	s_cselect_b32 s8, -1, 0
	s_or_b32 s8, s8, vcc_lo
	s_delay_alu instid0(SALU_CYCLE_1)
	s_and_b32 exec_lo, exec_lo, s8
	s_cbranch_execz .LBB18_10
; %bb.8:
	v_mov_b32_e32 v11, s1
.LBB18_9:                               ; =>This Inner Loop Header: Depth=1
	ds_cmpstore_rtn_b32 v11, v1, v9, v11 offset:152
	s_wait_dscnt 0x0
	v_cmp_ne_u32_e32 vcc_lo, 0, v11
	v_cmp_le_i32_e64 s1, v11, v9
	s_and_b32 s1, vcc_lo, s1
	s_delay_alu instid0(SALU_CYCLE_1) | instskip(NEXT) | instid1(SALU_CYCLE_1)
	s_and_b32 s1, exec_lo, s1
	s_or_b32 s5, s1, s5
	s_delay_alu instid0(SALU_CYCLE_1)
	s_and_not1_b32 exec_lo, exec_lo, s5
	s_cbranch_execnz .LBB18_9
.LBB18_10:
	s_or_b32 exec_lo, exec_lo, s4
	v_mov_b32_e32 v1, 0
	s_barrier_signal -1
	s_barrier_wait -1
	ds_load_b32 v9, v1 offset:152
	s_and_saveexec_b32 s1, s0
	s_cbranch_execz .LBB18_12
; %bb.11:
	s_lshl_b64 s[4:5], s[18:19], 2
	s_delay_alu instid0(SALU_CYCLE_1)
	s_add_nc_u64 s[4:5], s[6:7], s[4:5]
	s_wait_dscnt 0x0
	global_store_b32 v1, v9, s[4:5]
.LBB18_12:
	s_wait_xcnt 0x0
	s_or_b32 exec_lo, exec_lo, s1
	s_wait_dscnt 0x0
	v_cmp_ne_u32_e32 vcc_lo, 0, v9
	s_mov_b32 s1, 0
	s_cbranch_vccnz .LBB18_84
; %bb.13:
	ds_load_b64 v[46:47], v0
	v_add_nc_u32_e32 v9, 0xa0, v2
	s_wait_dscnt 0x0
	v_div_scale_f64 v[48:49], null, v[46:47], v[46:47], 1.0
	v_div_scale_f64 v[54:55], vcc_lo, 1.0, v[46:47], 1.0
	s_delay_alu instid0(VALU_DEP_2) | instskip(SKIP_1) | instid1(TRANS32_DEP_1)
	v_rcp_f64_e32 v[50:51], v[48:49]
	v_nop
	v_fma_f64 v[52:53], -v[48:49], v[50:51], 1.0
	s_delay_alu instid0(VALU_DEP_1) | instskip(NEXT) | instid1(VALU_DEP_1)
	v_fmac_f64_e32 v[50:51], v[50:51], v[52:53]
	v_fma_f64 v[52:53], -v[48:49], v[50:51], 1.0
	s_delay_alu instid0(VALU_DEP_1) | instskip(NEXT) | instid1(VALU_DEP_1)
	v_fmac_f64_e32 v[50:51], v[50:51], v[52:53]
	v_mul_f64_e32 v[52:53], v[54:55], v[50:51]
	s_delay_alu instid0(VALU_DEP_1) | instskip(NEXT) | instid1(VALU_DEP_1)
	v_fma_f64 v[48:49], -v[48:49], v[52:53], v[54:55]
	v_div_fmas_f64 v[48:49], v[48:49], v[50:51], v[52:53]
	s_delay_alu instid0(VALU_DEP_1)
	v_div_fixup_f64 v[46:47], v[48:49], v[46:47], 1.0
	ds_store_b64 v0, v[46:47]
	ds_load_b64 v[48:49], v44 offset:8
	v_xor_b32_e32 v47, 0x80000000, v47
	s_wait_dscnt 0x0
	ds_store_2addr_b64 v2, v[46:47], v[48:49] offset1:20
	s_wait_storecnt_dscnt 0x0
	s_barrier_signal -1
	s_barrier_wait -1
	s_and_saveexec_b32 s1, s0
	s_cbranch_execz .LBB18_15
; %bb.14:
	ds_load_b64 v[46:47], v0
	ds_load_b64 v[48:49], v9
	s_wait_dscnt 0x0
	v_fma_f64 v[46:47], v[46:47], v[48:49], 0
	v_mov_b32_e32 v1, 0
	ds_load_b64 v[50:51], v1 offset:8
	s_wait_dscnt 0x0
	v_mul_f64_e32 v[46:47], v[46:47], v[50:51]
	ds_store_b64 v44, v[46:47] offset:8
.LBB18_15:
	s_or_b32 exec_lo, exec_lo, s1
	s_wait_dscnt 0x0
	s_barrier_signal -1
	s_barrier_wait -1
	ds_load_b64 v[46:47], v44 offset:16
	s_mov_b32 s1, exec_lo
	s_wait_dscnt 0x0
	ds_store_b64 v9, v[46:47]
	s_wait_dscnt 0x0
	s_barrier_signal -1
	s_barrier_wait -1
	v_cmpx_gt_u32_e32 2, v42
	s_cbranch_execz .LBB18_19
; %bb.16:
	ds_load_b64 v[0:1], v0
	ds_load_b64 v[46:47], v9
	s_wait_dscnt 0x0
	v_fma_f64 v[0:1], v[0:1], v[46:47], 0
	s_and_saveexec_b32 s4, s0
	s_cbranch_execz .LBB18_18
; %bb.17:
	v_mov_b32_e32 v11, 0
	ds_load_b64 v[46:47], v44 offset:8
	ds_load_b64 v[48:49], v11 offset:168
	s_wait_dscnt 0x0
	v_fmac_f64_e32 v[0:1], v[46:47], v[48:49]
.LBB18_18:
	s_or_b32 exec_lo, exec_lo, s4
	v_mov_b32_e32 v11, 0
	ds_load_b64 v[46:47], v11 offset:16
	s_wait_dscnt 0x0
	v_mul_f64_e32 v[0:1], v[0:1], v[46:47]
	ds_store_b64 v44, v[0:1] offset:16
.LBB18_19:
	s_or_b32 exec_lo, exec_lo, s1
	s_wait_dscnt 0x0
	s_barrier_signal -1
	s_barrier_wait -1
	ds_load_b64 v[0:1], v44 offset:24
	v_add_nc_u32_e32 v11, -1, v42
	s_mov_b32 s0, exec_lo
	s_wait_dscnt 0x0
	ds_store_b64 v9, v[0:1]
	s_wait_dscnt 0x0
	s_barrier_signal -1
	s_barrier_wait -1
	v_cmpx_gt_u32_e32 3, v42
	s_cbranch_execz .LBB18_23
; %bb.20:
	v_mov_b64_e32 v[0:1], 0
	v_add_nc_u32_e32 v13, -1, v42
	v_add_nc_u32_e32 v15, 0xa0, v2
	v_add3_u32 v17, v3, v2, 0x140
	s_mov_b32 s1, 0
.LBB18_21:                              ; =>This Inner Loop Header: Depth=1
	ds_load_b64 v[46:47], v17
	ds_load_b64 v[48:49], v15
	v_dual_add_nc_u32 v13, 1, v13 :: v_dual_add_nc_u32 v15, 8, v15
	v_add_nc_u32_e32 v17, 8, v17
	s_delay_alu instid0(VALU_DEP_2)
	v_cmp_lt_u32_e32 vcc_lo, 1, v13
	s_or_b32 s1, vcc_lo, s1
	s_wait_dscnt 0x0
	v_fmac_f64_e32 v[0:1], v[46:47], v[48:49]
	s_and_not1_b32 exec_lo, exec_lo, s1
	s_cbranch_execnz .LBB18_21
; %bb.22:
	s_or_b32 exec_lo, exec_lo, s1
	v_mov_b32_e32 v13, 0
	ds_load_b64 v[46:47], v13 offset:24
	s_wait_dscnt 0x0
	v_mul_f64_e32 v[0:1], v[0:1], v[46:47]
	ds_store_b64 v44, v[0:1] offset:24
.LBB18_23:
	s_or_b32 exec_lo, exec_lo, s0
	s_wait_dscnt 0x0
	s_barrier_signal -1
	s_barrier_wait -1
	ds_load_b64 v[0:1], v44 offset:32
	s_mov_b32 s0, exec_lo
	s_wait_dscnt 0x0
	ds_store_b64 v9, v[0:1]
	s_wait_dscnt 0x0
	s_barrier_signal -1
	s_barrier_wait -1
	v_cmpx_gt_u32_e32 4, v42
	s_cbranch_execz .LBB18_27
; %bb.24:
	v_mov_b64_e32 v[0:1], 0
	v_add_nc_u32_e32 v13, -1, v42
	v_add_nc_u32_e32 v15, 0xa0, v2
	v_add3_u32 v17, v3, v2, 0x140
	s_mov_b32 s1, 0
.LBB18_25:                              ; =>This Inner Loop Header: Depth=1
	ds_load_b64 v[46:47], v17
	ds_load_b64 v[48:49], v15
	v_dual_add_nc_u32 v13, 1, v13 :: v_dual_add_nc_u32 v15, 8, v15
	v_add_nc_u32_e32 v17, 8, v17
	s_delay_alu instid0(VALU_DEP_2)
	v_cmp_lt_u32_e32 vcc_lo, 2, v13
	s_or_b32 s1, vcc_lo, s1
	s_wait_dscnt 0x0
	v_fmac_f64_e32 v[0:1], v[46:47], v[48:49]
	s_and_not1_b32 exec_lo, exec_lo, s1
	s_cbranch_execnz .LBB18_25
; %bb.26:
	s_or_b32 exec_lo, exec_lo, s1
	v_mov_b32_e32 v13, 0
	ds_load_b64 v[46:47], v13 offset:32
	s_wait_dscnt 0x0
	v_mul_f64_e32 v[0:1], v[0:1], v[46:47]
	ds_store_b64 v44, v[0:1] offset:32
.LBB18_27:
	s_or_b32 exec_lo, exec_lo, s0
	s_wait_dscnt 0x0
	s_barrier_signal -1
	s_barrier_wait -1
	ds_load_b64 v[0:1], v44 offset:40
	;; [unrolled: 39-line block ×15, first 2 shown]
	s_mov_b32 s0, exec_lo
	s_wait_dscnt 0x0
	ds_store_b64 v9, v[0:1]
	s_wait_dscnt 0x0
	s_barrier_signal -1
	s_barrier_wait -1
	v_cmpx_ne_u32_e32 18, v42
	s_cbranch_execz .LBB18_83
; %bb.80:
	v_mov_b64_e32 v[0:1], 0
	v_add3_u32 v2, v3, v2, 0x140
	s_mov_b32 s1, 0
.LBB18_81:                              ; =>This Inner Loop Header: Depth=1
	ds_load_b64 v[46:47], v2
	ds_load_b64 v[48:49], v9
	v_dual_add_nc_u32 v11, 1, v11 :: v_dual_add_nc_u32 v9, 8, v9
	v_add_nc_u32_e32 v2, 8, v2
	s_delay_alu instid0(VALU_DEP_2)
	v_cmp_lt_u32_e32 vcc_lo, 16, v11
	s_or_b32 s1, vcc_lo, s1
	s_wait_dscnt 0x0
	v_fmac_f64_e32 v[0:1], v[46:47], v[48:49]
	s_and_not1_b32 exec_lo, exec_lo, s1
	s_cbranch_execnz .LBB18_81
; %bb.82:
	s_or_b32 exec_lo, exec_lo, s1
	v_mov_b32_e32 v2, 0
	ds_load_b64 v[2:3], v2 offset:144
	s_wait_dscnt 0x0
	v_mul_f64_e32 v[0:1], v[0:1], v[2:3]
	ds_store_b64 v44, v[0:1] offset:144
.LBB18_83:
	s_or_b32 exec_lo, exec_lo, s0
	s_mov_b32 s1, -1
	s_wait_dscnt 0x0
	s_barrier_signal -1
	s_barrier_wait -1
.LBB18_84:
	s_and_b32 vcc_lo, exec_lo, s1
	s_cbranch_vccz .LBB18_86
; %bb.85:
	v_mov_b32_e32 v0, 0
	s_lshl_b64 s[0:1], s[18:19], 2
	s_delay_alu instid0(SALU_CYCLE_1)
	s_add_nc_u64 s[0:1], s[6:7], s[0:1]
	global_load_b32 v0, v0, s[0:1]
	s_wait_loadcnt 0x0
	v_cmp_ne_u32_e32 vcc_lo, 0, v0
	s_cbranch_vccz .LBB18_87
.LBB18_86:
	s_sendmsg sendmsg(MSG_DEALLOC_VGPRS)
	s_endpgm
.LBB18_87:
	s_wait_xcnt 0x0
	v_lshl_add_u32 v0, v42, 3, 0xa0
	s_mov_b32 s0, exec_lo
	v_cmpx_eq_u32_e32 18, v42
	s_cbranch_execz .LBB18_89
; %bb.88:
	ds_load_b64 v[2:3], v44 offset:136
	v_mov_b64_e32 v[46:47], 0
	s_wait_dscnt 0x0
	ds_store_b64 v0, v[2:3]
	ds_store_b64 v44, v[46:47] offset:136
.LBB18_89:
	s_or_b32 exec_lo, exec_lo, s0
	v_mov_b32_e32 v1, 0
	s_wait_storecnt_dscnt 0x0
	s_barrier_signal -1
	s_barrier_wait -1
	ds_load_2addr_b64 v[46:49], v44 offset0:17 offset1:18
	ds_load_b64 v[2:3], v1 offset:304
	s_mov_b32 s0, exec_lo
	s_wait_dscnt 0x0
	v_fma_f64 v[2:3], v[48:49], v[2:3], 0
	s_delay_alu instid0(VALU_DEP_1)
	v_add_f64_e64 v[2:3], v[46:47], -v[2:3]
	ds_store_b64 v44, v[2:3] offset:136
	v_cmpx_lt_u32_e32 16, v42
	s_cbranch_execz .LBB18_91
; %bb.90:
	ds_load_b64 v[2:3], v44 offset:128
	v_mov_b64_e32 v[46:47], 0
	s_wait_dscnt 0x0
	ds_store_b64 v0, v[2:3]
	ds_store_b64 v44, v[46:47] offset:128
.LBB18_91:
	s_or_b32 exec_lo, exec_lo, s0
	s_wait_dscnt 0x0
	s_barrier_signal -1
	s_barrier_wait -1
	ds_load_2addr_b64 v[46:49], v1 offset0:37 offset1:38
	ds_load_b128 v[50:53], v44 offset:128
	ds_load_b64 v[2:3], v44 offset:144
	s_mov_b32 s0, exec_lo
	s_wait_dscnt 0x1
	v_fma_f64 v[46:47], v[52:53], v[46:47], 0
	s_wait_dscnt 0x0
	s_delay_alu instid0(VALU_DEP_1) | instskip(NEXT) | instid1(VALU_DEP_1)
	v_fmac_f64_e32 v[46:47], v[2:3], v[48:49]
	v_add_f64_e64 v[2:3], v[50:51], -v[46:47]
	ds_store_b64 v44, v[2:3] offset:128
	v_cmpx_lt_u32_e32 15, v42
	s_cbranch_execz .LBB18_93
; %bb.92:
	ds_load_b64 v[2:3], v44 offset:120
	v_mov_b64_e32 v[46:47], 0
	s_wait_dscnt 0x0
	ds_store_b64 v0, v[2:3]
	ds_store_b64 v44, v[46:47] offset:120
.LBB18_93:
	s_or_b32 exec_lo, exec_lo, s0
	v_mov_b32_e32 v1, 0
	s_wait_dscnt 0x0
	s_barrier_signal -1
	s_barrier_wait -1
	ds_load_2addr_b64 v[46:49], v44 offset0:15 offset1:16
	ds_load_b128 v[50:53], v1 offset:288
	ds_load_b64 v[2:3], v1 offset:304
	ds_load_2addr_b64 v[54:57], v44 offset0:17 offset1:18
	s_mov_b32 s0, exec_lo
	s_wait_dscnt 0x2
	v_fma_f64 v[48:49], v[48:49], v[50:51], 0
	s_wait_dscnt 0x0
	s_delay_alu instid0(VALU_DEP_1) | instskip(NEXT) | instid1(VALU_DEP_1)
	v_fmac_f64_e32 v[48:49], v[54:55], v[52:53]
	v_fmac_f64_e32 v[48:49], v[56:57], v[2:3]
	s_delay_alu instid0(VALU_DEP_1)
	v_add_f64_e64 v[2:3], v[46:47], -v[48:49]
	ds_store_b64 v44, v[2:3] offset:120
	v_cmpx_lt_u32_e32 14, v42
	s_cbranch_execz .LBB18_95
; %bb.94:
	ds_load_b64 v[2:3], v44 offset:112
	v_mov_b64_e32 v[46:47], 0
	s_wait_dscnt 0x0
	ds_store_b64 v0, v[2:3]
	ds_store_b64 v44, v[46:47] offset:112
.LBB18_95:
	s_or_b32 exec_lo, exec_lo, s0
	s_wait_dscnt 0x0
	s_barrier_signal -1
	s_barrier_wait -1
	ds_load_2addr_b64 v[46:49], v1 offset0:35 offset1:36
	ds_load_b128 v[50:53], v44 offset:112
	ds_load_b128 v[54:57], v44 offset:128
	ds_load_2addr_b64 v[58:61], v1 offset0:37 offset1:38
	s_mov_b32 s0, exec_lo
	s_wait_dscnt 0x2
	v_fma_f64 v[2:3], v[52:53], v[46:47], 0
	ds_load_b64 v[46:47], v44 offset:144
	s_wait_dscnt 0x2
	v_fmac_f64_e32 v[2:3], v[54:55], v[48:49]
	s_wait_dscnt 0x1
	s_delay_alu instid0(VALU_DEP_1) | instskip(SKIP_1) | instid1(VALU_DEP_1)
	v_fmac_f64_e32 v[2:3], v[56:57], v[58:59]
	s_wait_dscnt 0x0
	v_fmac_f64_e32 v[2:3], v[46:47], v[60:61]
	s_delay_alu instid0(VALU_DEP_1)
	v_add_f64_e64 v[2:3], v[50:51], -v[2:3]
	ds_store_b64 v44, v[2:3] offset:112
	v_cmpx_lt_u32_e32 13, v42
	s_cbranch_execz .LBB18_97
; %bb.96:
	ds_load_b64 v[2:3], v44 offset:104
	v_mov_b64_e32 v[46:47], 0
	s_wait_dscnt 0x0
	ds_store_b64 v0, v[2:3]
	ds_store_b64 v44, v[46:47] offset:104
.LBB18_97:
	s_or_b32 exec_lo, exec_lo, s0
	v_mov_b32_e32 v1, 0
	s_wait_dscnt 0x0
	s_barrier_signal -1
	s_barrier_wait -1
	ds_load_2addr_b64 v[46:49], v44 offset0:13 offset1:14
	ds_load_b128 v[50:53], v1 offset:272
	ds_load_b128 v[54:57], v1 offset:288
	ds_load_2addr_b64 v[58:61], v44 offset0:15 offset1:16
	s_mov_b32 s0, exec_lo
	s_wait_dscnt 0x2
	v_fma_f64 v[2:3], v[48:49], v[50:51], 0
	ds_load_2addr_b64 v[48:51], v44 offset0:17 offset1:18
	s_wait_dscnt 0x1
	v_fmac_f64_e32 v[2:3], v[58:59], v[52:53]
	s_delay_alu instid0(VALU_DEP_1) | instskip(SKIP_1) | instid1(VALU_DEP_1)
	v_fmac_f64_e32 v[2:3], v[60:61], v[54:55]
	s_wait_dscnt 0x0
	v_fmac_f64_e32 v[2:3], v[48:49], v[56:57]
	ds_load_b64 v[48:49], v1 offset:304
	s_wait_dscnt 0x0
	v_fmac_f64_e32 v[2:3], v[50:51], v[48:49]
	s_delay_alu instid0(VALU_DEP_1)
	v_add_f64_e64 v[2:3], v[46:47], -v[2:3]
	ds_store_b64 v44, v[2:3] offset:104
	v_cmpx_lt_u32_e32 12, v42
	s_cbranch_execz .LBB18_99
; %bb.98:
	ds_load_b64 v[2:3], v44 offset:96
	v_mov_b64_e32 v[46:47], 0
	s_wait_dscnt 0x0
	ds_store_b64 v0, v[2:3]
	ds_store_b64 v44, v[46:47] offset:96
.LBB18_99:
	s_or_b32 exec_lo, exec_lo, s0
	s_wait_dscnt 0x0
	s_barrier_signal -1
	s_barrier_wait -1
	ds_load_2addr_b64 v[46:49], v1 offset0:33 offset1:34
	ds_load_b128 v[50:53], v44 offset:96
	ds_load_b128 v[54:57], v44 offset:112
	ds_load_2addr_b64 v[58:61], v1 offset0:35 offset1:36
	s_mov_b32 s0, exec_lo
	s_wait_dscnt 0x2
	v_fma_f64 v[2:3], v[52:53], v[46:47], 0
	s_wait_dscnt 0x1
	s_delay_alu instid0(VALU_DEP_1) | instskip(SKIP_1) | instid1(VALU_DEP_1)
	v_fmac_f64_e32 v[2:3], v[54:55], v[48:49]
	s_wait_dscnt 0x0
	v_fmac_f64_e32 v[2:3], v[56:57], v[58:59]
	ds_load_b128 v[46:49], v44 offset:128
	ds_load_b64 v[56:57], v44 offset:144
	ds_load_2addr_b64 v[52:55], v1 offset0:37 offset1:38
	s_wait_dscnt 0x2
	v_fmac_f64_e32 v[2:3], v[46:47], v[60:61]
	s_wait_dscnt 0x0
	s_delay_alu instid0(VALU_DEP_1) | instskip(NEXT) | instid1(VALU_DEP_1)
	v_fmac_f64_e32 v[2:3], v[48:49], v[52:53]
	v_fmac_f64_e32 v[2:3], v[56:57], v[54:55]
	s_delay_alu instid0(VALU_DEP_1)
	v_add_f64_e64 v[2:3], v[50:51], -v[2:3]
	ds_store_b64 v44, v[2:3] offset:96
	v_cmpx_lt_u32_e32 11, v42
	s_cbranch_execz .LBB18_101
; %bb.100:
	ds_load_b64 v[2:3], v44 offset:88
	v_mov_b64_e32 v[46:47], 0
	s_wait_dscnt 0x0
	ds_store_b64 v0, v[2:3]
	ds_store_b64 v44, v[46:47] offset:88
.LBB18_101:
	s_or_b32 exec_lo, exec_lo, s0
	v_mov_b32_e32 v1, 0
	s_wait_dscnt 0x0
	s_barrier_signal -1
	s_barrier_wait -1
	ds_load_2addr_b64 v[46:49], v44 offset0:11 offset1:12
	ds_load_b128 v[50:53], v1 offset:256
	ds_load_b128 v[54:57], v1 offset:272
	ds_load_2addr_b64 v[58:61], v44 offset0:13 offset1:14
	s_mov_b32 s0, exec_lo
	s_wait_dscnt 0x2
	v_fma_f64 v[2:3], v[48:49], v[50:51], 0
	s_wait_dscnt 0x0
	s_delay_alu instid0(VALU_DEP_1) | instskip(NEXT) | instid1(VALU_DEP_1)
	v_fmac_f64_e32 v[2:3], v[58:59], v[52:53]
	v_fmac_f64_e32 v[2:3], v[60:61], v[54:55]
	ds_load_2addr_b64 v[48:51], v44 offset0:15 offset1:16
	ds_load_2addr_b64 v[52:55], v44 offset0:17 offset1:18
	s_wait_dscnt 0x1
	v_fmac_f64_e32 v[2:3], v[48:49], v[56:57]
	ds_load_b128 v[56:59], v1 offset:288
	ds_load_b64 v[48:49], v1 offset:304
	s_wait_dscnt 0x1
	v_fmac_f64_e32 v[2:3], v[50:51], v[56:57]
	s_delay_alu instid0(VALU_DEP_1) | instskip(SKIP_1) | instid1(VALU_DEP_1)
	v_fmac_f64_e32 v[2:3], v[52:53], v[58:59]
	s_wait_dscnt 0x0
	v_fmac_f64_e32 v[2:3], v[54:55], v[48:49]
	s_delay_alu instid0(VALU_DEP_1)
	v_add_f64_e64 v[2:3], v[46:47], -v[2:3]
	ds_store_b64 v44, v[2:3] offset:88
	v_cmpx_lt_u32_e32 10, v42
	s_cbranch_execz .LBB18_103
; %bb.102:
	ds_load_b64 v[2:3], v44 offset:80
	v_mov_b64_e32 v[46:47], 0
	s_wait_dscnt 0x0
	ds_store_b64 v0, v[2:3]
	ds_store_b64 v44, v[46:47] offset:80
.LBB18_103:
	s_or_b32 exec_lo, exec_lo, s0
	s_wait_dscnt 0x0
	s_barrier_signal -1
	s_barrier_wait -1
	ds_load_2addr_b64 v[46:49], v1 offset0:31 offset1:32
	ds_load_b128 v[50:53], v44 offset:80
	ds_load_b128 v[54:57], v44 offset:96
	ds_load_2addr_b64 v[58:61], v1 offset0:33 offset1:34
	s_mov_b32 s0, exec_lo
	s_wait_dscnt 0x2
	v_fma_f64 v[2:3], v[52:53], v[46:47], 0
	s_wait_dscnt 0x1
	s_delay_alu instid0(VALU_DEP_1)
	v_fmac_f64_e32 v[2:3], v[54:55], v[48:49]
	ds_load_b128 v[46:49], v44 offset:112
	ds_load_b128 v[52:55], v44 offset:128
	s_wait_dscnt 0x2
	v_fmac_f64_e32 v[2:3], v[56:57], v[58:59]
	s_wait_dscnt 0x1
	s_delay_alu instid0(VALU_DEP_1)
	v_fmac_f64_e32 v[2:3], v[46:47], v[60:61]
	ds_load_2addr_b64 v[56:59], v1 offset0:35 offset1:36
	ds_load_2addr_b64 v[60:63], v1 offset0:37 offset1:38
	ds_load_b64 v[46:47], v44 offset:144
	s_wait_dscnt 0x2
	v_fmac_f64_e32 v[2:3], v[48:49], v[56:57]
	s_delay_alu instid0(VALU_DEP_1) | instskip(SKIP_1) | instid1(VALU_DEP_1)
	v_fmac_f64_e32 v[2:3], v[52:53], v[58:59]
	s_wait_dscnt 0x1
	v_fmac_f64_e32 v[2:3], v[54:55], v[60:61]
	s_wait_dscnt 0x0
	s_delay_alu instid0(VALU_DEP_1) | instskip(NEXT) | instid1(VALU_DEP_1)
	v_fmac_f64_e32 v[2:3], v[46:47], v[62:63]
	v_add_f64_e64 v[2:3], v[50:51], -v[2:3]
	ds_store_b64 v44, v[2:3] offset:80
	v_cmpx_lt_u32_e32 9, v42
	s_cbranch_execz .LBB18_105
; %bb.104:
	ds_load_b64 v[2:3], v44 offset:72
	v_mov_b64_e32 v[46:47], 0
	s_wait_dscnt 0x0
	ds_store_b64 v0, v[2:3]
	ds_store_b64 v44, v[46:47] offset:72
.LBB18_105:
	s_or_b32 exec_lo, exec_lo, s0
	v_mov_b32_e32 v1, 0
	s_wait_dscnt 0x0
	s_barrier_signal -1
	s_barrier_wait -1
	ds_load_2addr_b64 v[46:49], v44 offset0:9 offset1:10
	ds_load_b128 v[50:53], v1 offset:240
	ds_load_b128 v[54:57], v1 offset:256
	ds_load_2addr_b64 v[58:61], v44 offset0:11 offset1:12
	s_mov_b32 s0, exec_lo
	s_wait_dscnt 0x2
	v_fma_f64 v[2:3], v[48:49], v[50:51], 0
	s_wait_dscnt 0x0
	s_delay_alu instid0(VALU_DEP_1) | instskip(NEXT) | instid1(VALU_DEP_1)
	v_fmac_f64_e32 v[2:3], v[58:59], v[52:53]
	v_fmac_f64_e32 v[2:3], v[60:61], v[54:55]
	ds_load_2addr_b64 v[48:51], v44 offset0:13 offset1:14
	ds_load_2addr_b64 v[52:55], v44 offset0:15 offset1:16
	s_wait_dscnt 0x1
	v_fmac_f64_e32 v[2:3], v[48:49], v[56:57]
	ds_load_b128 v[56:59], v1 offset:272
	ds_load_b128 v[60:63], v1 offset:288
	s_wait_dscnt 0x1
	v_fmac_f64_e32 v[2:3], v[50:51], v[56:57]
	ds_load_2addr_b64 v[48:51], v44 offset0:17 offset1:18
	v_fmac_f64_e32 v[2:3], v[52:53], v[58:59]
	s_wait_dscnt 0x1
	s_delay_alu instid0(VALU_DEP_1) | instskip(SKIP_1) | instid1(VALU_DEP_1)
	v_fmac_f64_e32 v[2:3], v[54:55], v[60:61]
	s_wait_dscnt 0x0
	v_fmac_f64_e32 v[2:3], v[48:49], v[62:63]
	ds_load_b64 v[48:49], v1 offset:304
	s_wait_dscnt 0x0
	v_fmac_f64_e32 v[2:3], v[50:51], v[48:49]
	s_delay_alu instid0(VALU_DEP_1)
	v_add_f64_e64 v[2:3], v[46:47], -v[2:3]
	ds_store_b64 v44, v[2:3] offset:72
	v_cmpx_lt_u32_e32 8, v42
	s_cbranch_execz .LBB18_107
; %bb.106:
	ds_load_b64 v[2:3], v44 offset:64
	v_mov_b64_e32 v[46:47], 0
	s_wait_dscnt 0x0
	ds_store_b64 v0, v[2:3]
	ds_store_b64 v44, v[46:47] offset:64
.LBB18_107:
	s_or_b32 exec_lo, exec_lo, s0
	s_wait_dscnt 0x0
	s_barrier_signal -1
	s_barrier_wait -1
	ds_load_2addr_b64 v[46:49], v1 offset0:29 offset1:30
	ds_load_b128 v[50:53], v44 offset:64
	ds_load_b128 v[54:57], v44 offset:80
	ds_load_2addr_b64 v[58:61], v1 offset0:31 offset1:32
	s_mov_b32 s0, exec_lo
	s_wait_dscnt 0x2
	v_fma_f64 v[2:3], v[52:53], v[46:47], 0
	s_wait_dscnt 0x1
	s_delay_alu instid0(VALU_DEP_1)
	v_fmac_f64_e32 v[2:3], v[54:55], v[48:49]
	ds_load_b128 v[46:49], v44 offset:96
	ds_load_b128 v[52:55], v44 offset:112
	s_wait_dscnt 0x2
	v_fmac_f64_e32 v[2:3], v[56:57], v[58:59]
	s_wait_dscnt 0x1
	s_delay_alu instid0(VALU_DEP_1)
	v_fmac_f64_e32 v[2:3], v[46:47], v[60:61]
	ds_load_2addr_b64 v[56:59], v1 offset0:33 offset1:34
	ds_load_2addr_b64 v[60:63], v1 offset0:35 offset1:36
	s_wait_dscnt 0x1
	v_fmac_f64_e32 v[2:3], v[48:49], v[56:57]
	ds_load_b128 v[46:49], v44 offset:128
	ds_load_b64 v[56:57], v44 offset:144
	v_fmac_f64_e32 v[2:3], v[52:53], v[58:59]
	s_wait_dscnt 0x2
	s_delay_alu instid0(VALU_DEP_1) | instskip(SKIP_4) | instid1(VALU_DEP_1)
	v_fmac_f64_e32 v[2:3], v[54:55], v[60:61]
	ds_load_2addr_b64 v[52:55], v1 offset0:37 offset1:38
	s_wait_dscnt 0x2
	v_fmac_f64_e32 v[2:3], v[46:47], v[62:63]
	s_wait_dscnt 0x0
	v_fmac_f64_e32 v[2:3], v[48:49], v[52:53]
	s_delay_alu instid0(VALU_DEP_1) | instskip(NEXT) | instid1(VALU_DEP_1)
	v_fmac_f64_e32 v[2:3], v[56:57], v[54:55]
	v_add_f64_e64 v[2:3], v[50:51], -v[2:3]
	ds_store_b64 v44, v[2:3] offset:64
	v_cmpx_lt_u32_e32 7, v42
	s_cbranch_execz .LBB18_109
; %bb.108:
	ds_load_b64 v[2:3], v44 offset:56
	v_mov_b64_e32 v[46:47], 0
	s_wait_dscnt 0x0
	ds_store_b64 v0, v[2:3]
	ds_store_b64 v44, v[46:47] offset:56
.LBB18_109:
	s_or_b32 exec_lo, exec_lo, s0
	v_mov_b32_e32 v1, 0
	s_wait_dscnt 0x0
	s_barrier_signal -1
	s_barrier_wait -1
	ds_load_2addr_b64 v[46:49], v44 offset0:7 offset1:8
	ds_load_b128 v[50:53], v1 offset:224
	ds_load_b128 v[54:57], v1 offset:240
	ds_load_2addr_b64 v[58:61], v44 offset0:9 offset1:10
	s_mov_b32 s0, exec_lo
	s_wait_dscnt 0x2
	v_fma_f64 v[2:3], v[48:49], v[50:51], 0
	s_wait_dscnt 0x0
	s_delay_alu instid0(VALU_DEP_1) | instskip(NEXT) | instid1(VALU_DEP_1)
	v_fmac_f64_e32 v[2:3], v[58:59], v[52:53]
	v_fmac_f64_e32 v[2:3], v[60:61], v[54:55]
	ds_load_2addr_b64 v[48:51], v44 offset0:11 offset1:12
	ds_load_2addr_b64 v[52:55], v44 offset0:13 offset1:14
	s_wait_dscnt 0x1
	v_fmac_f64_e32 v[2:3], v[48:49], v[56:57]
	ds_load_b128 v[56:59], v1 offset:256
	ds_load_b128 v[60:63], v1 offset:272
	s_wait_dscnt 0x1
	v_fmac_f64_e32 v[2:3], v[50:51], v[56:57]
	s_delay_alu instid0(VALU_DEP_1) | instskip(SKIP_1) | instid1(VALU_DEP_1)
	v_fmac_f64_e32 v[2:3], v[52:53], v[58:59]
	s_wait_dscnt 0x0
	v_fmac_f64_e32 v[2:3], v[54:55], v[60:61]
	ds_load_2addr_b64 v[48:51], v44 offset0:15 offset1:16
	ds_load_2addr_b64 v[52:55], v44 offset0:17 offset1:18
	s_wait_dscnt 0x1
	v_fmac_f64_e32 v[2:3], v[48:49], v[62:63]
	ds_load_b128 v[56:59], v1 offset:288
	ds_load_b64 v[48:49], v1 offset:304
	s_wait_dscnt 0x1
	v_fmac_f64_e32 v[2:3], v[50:51], v[56:57]
	s_delay_alu instid0(VALU_DEP_1) | instskip(SKIP_1) | instid1(VALU_DEP_1)
	v_fmac_f64_e32 v[2:3], v[52:53], v[58:59]
	s_wait_dscnt 0x0
	v_fmac_f64_e32 v[2:3], v[54:55], v[48:49]
	s_delay_alu instid0(VALU_DEP_1)
	v_add_f64_e64 v[2:3], v[46:47], -v[2:3]
	ds_store_b64 v44, v[2:3] offset:56
	v_cmpx_lt_u32_e32 6, v42
	s_cbranch_execz .LBB18_111
; %bb.110:
	ds_load_b64 v[2:3], v44 offset:48
	v_mov_b64_e32 v[46:47], 0
	s_wait_dscnt 0x0
	ds_store_b64 v0, v[2:3]
	ds_store_b64 v44, v[46:47] offset:48
.LBB18_111:
	s_or_b32 exec_lo, exec_lo, s0
	s_wait_dscnt 0x0
	s_barrier_signal -1
	s_barrier_wait -1
	ds_load_2addr_b64 v[46:49], v1 offset0:27 offset1:28
	ds_load_b128 v[50:53], v44 offset:48
	ds_load_b128 v[54:57], v44 offset:64
	ds_load_2addr_b64 v[58:61], v1 offset0:29 offset1:30
	s_mov_b32 s0, exec_lo
	s_wait_dscnt 0x2
	v_fma_f64 v[2:3], v[52:53], v[46:47], 0
	s_wait_dscnt 0x1
	s_delay_alu instid0(VALU_DEP_1)
	v_fmac_f64_e32 v[2:3], v[54:55], v[48:49]
	ds_load_b128 v[46:49], v44 offset:80
	ds_load_b128 v[52:55], v44 offset:96
	s_wait_dscnt 0x2
	v_fmac_f64_e32 v[2:3], v[56:57], v[58:59]
	s_wait_dscnt 0x1
	s_delay_alu instid0(VALU_DEP_1) | instskip(SKIP_4) | instid1(VALU_DEP_1)
	v_fmac_f64_e32 v[2:3], v[46:47], v[60:61]
	ds_load_2addr_b64 v[56:59], v1 offset0:31 offset1:32
	ds_load_2addr_b64 v[60:63], v1 offset0:33 offset1:34
	s_wait_dscnt 0x1
	v_fmac_f64_e32 v[2:3], v[48:49], v[56:57]
	v_fmac_f64_e32 v[2:3], v[52:53], v[58:59]
	s_wait_dscnt 0x0
	s_delay_alu instid0(VALU_DEP_1)
	v_fmac_f64_e32 v[2:3], v[54:55], v[60:61]
	ds_load_b128 v[46:49], v44 offset:112
	ds_load_b128 v[52:55], v44 offset:128
	s_wait_dscnt 0x1
	v_fmac_f64_e32 v[2:3], v[46:47], v[62:63]
	ds_load_2addr_b64 v[56:59], v1 offset0:35 offset1:36
	ds_load_2addr_b64 v[60:63], v1 offset0:37 offset1:38
	ds_load_b64 v[46:47], v44 offset:144
	s_wait_dscnt 0x2
	v_fmac_f64_e32 v[2:3], v[48:49], v[56:57]
	s_delay_alu instid0(VALU_DEP_1) | instskip(SKIP_1) | instid1(VALU_DEP_1)
	v_fmac_f64_e32 v[2:3], v[52:53], v[58:59]
	s_wait_dscnt 0x1
	v_fmac_f64_e32 v[2:3], v[54:55], v[60:61]
	s_wait_dscnt 0x0
	s_delay_alu instid0(VALU_DEP_1) | instskip(NEXT) | instid1(VALU_DEP_1)
	v_fmac_f64_e32 v[2:3], v[46:47], v[62:63]
	v_add_f64_e64 v[2:3], v[50:51], -v[2:3]
	ds_store_b64 v44, v[2:3] offset:48
	v_cmpx_lt_u32_e32 5, v42
	s_cbranch_execz .LBB18_113
; %bb.112:
	ds_load_b64 v[2:3], v44 offset:40
	v_mov_b64_e32 v[46:47], 0
	s_wait_dscnt 0x0
	ds_store_b64 v0, v[2:3]
	ds_store_b64 v44, v[46:47] offset:40
.LBB18_113:
	s_or_b32 exec_lo, exec_lo, s0
	v_mov_b32_e32 v1, 0
	s_wait_dscnt 0x0
	s_barrier_signal -1
	s_barrier_wait -1
	ds_load_2addr_b64 v[46:49], v44 offset0:5 offset1:6
	ds_load_b128 v[50:53], v1 offset:208
	ds_load_b128 v[54:57], v1 offset:224
	ds_load_2addr_b64 v[58:61], v44 offset0:7 offset1:8
	s_mov_b32 s0, exec_lo
	s_wait_dscnt 0x2
	v_fma_f64 v[2:3], v[48:49], v[50:51], 0
	s_wait_dscnt 0x0
	s_delay_alu instid0(VALU_DEP_1) | instskip(NEXT) | instid1(VALU_DEP_1)
	v_fmac_f64_e32 v[2:3], v[58:59], v[52:53]
	v_fmac_f64_e32 v[2:3], v[60:61], v[54:55]
	ds_load_2addr_b64 v[48:51], v44 offset0:9 offset1:10
	ds_load_2addr_b64 v[52:55], v44 offset0:11 offset1:12
	s_wait_dscnt 0x1
	v_fmac_f64_e32 v[2:3], v[48:49], v[56:57]
	ds_load_b128 v[56:59], v1 offset:240
	ds_load_b128 v[60:63], v1 offset:256
	s_wait_dscnt 0x1
	v_fmac_f64_e32 v[2:3], v[50:51], v[56:57]
	s_delay_alu instid0(VALU_DEP_1) | instskip(SKIP_1) | instid1(VALU_DEP_1)
	v_fmac_f64_e32 v[2:3], v[52:53], v[58:59]
	s_wait_dscnt 0x0
	v_fmac_f64_e32 v[2:3], v[54:55], v[60:61]
	ds_load_2addr_b64 v[48:51], v44 offset0:13 offset1:14
	ds_load_2addr_b64 v[52:55], v44 offset0:15 offset1:16
	s_wait_dscnt 0x1
	v_fmac_f64_e32 v[2:3], v[48:49], v[62:63]
	ds_load_b128 v[56:59], v1 offset:272
	ds_load_b128 v[60:63], v1 offset:288
	s_wait_dscnt 0x1
	v_fmac_f64_e32 v[2:3], v[50:51], v[56:57]
	ds_load_2addr_b64 v[48:51], v44 offset0:17 offset1:18
	v_fmac_f64_e32 v[2:3], v[52:53], v[58:59]
	s_wait_dscnt 0x1
	s_delay_alu instid0(VALU_DEP_1) | instskip(SKIP_1) | instid1(VALU_DEP_1)
	v_fmac_f64_e32 v[2:3], v[54:55], v[60:61]
	s_wait_dscnt 0x0
	v_fmac_f64_e32 v[2:3], v[48:49], v[62:63]
	ds_load_b64 v[48:49], v1 offset:304
	s_wait_dscnt 0x0
	v_fmac_f64_e32 v[2:3], v[50:51], v[48:49]
	s_delay_alu instid0(VALU_DEP_1)
	v_add_f64_e64 v[2:3], v[46:47], -v[2:3]
	ds_store_b64 v44, v[2:3] offset:40
	v_cmpx_lt_u32_e32 4, v42
	s_cbranch_execz .LBB18_115
; %bb.114:
	ds_load_b64 v[2:3], v44 offset:32
	v_mov_b64_e32 v[46:47], 0
	s_wait_dscnt 0x0
	ds_store_b64 v0, v[2:3]
	ds_store_b64 v44, v[46:47] offset:32
.LBB18_115:
	s_or_b32 exec_lo, exec_lo, s0
	s_wait_dscnt 0x0
	s_barrier_signal -1
	s_barrier_wait -1
	ds_load_2addr_b64 v[46:49], v1 offset0:25 offset1:26
	ds_load_b128 v[50:53], v44 offset:32
	ds_load_b128 v[54:57], v44 offset:48
	ds_load_2addr_b64 v[58:61], v1 offset0:27 offset1:28
	s_mov_b32 s0, exec_lo
	s_wait_dscnt 0x2
	v_fma_f64 v[2:3], v[52:53], v[46:47], 0
	s_wait_dscnt 0x1
	s_delay_alu instid0(VALU_DEP_1)
	v_fmac_f64_e32 v[2:3], v[54:55], v[48:49]
	ds_load_b128 v[46:49], v44 offset:64
	ds_load_b128 v[52:55], v44 offset:80
	s_wait_dscnt 0x2
	v_fmac_f64_e32 v[2:3], v[56:57], v[58:59]
	s_wait_dscnt 0x1
	s_delay_alu instid0(VALU_DEP_1) | instskip(SKIP_4) | instid1(VALU_DEP_1)
	v_fmac_f64_e32 v[2:3], v[46:47], v[60:61]
	ds_load_2addr_b64 v[56:59], v1 offset0:29 offset1:30
	ds_load_2addr_b64 v[60:63], v1 offset0:31 offset1:32
	s_wait_dscnt 0x1
	v_fmac_f64_e32 v[2:3], v[48:49], v[56:57]
	v_fmac_f64_e32 v[2:3], v[52:53], v[58:59]
	s_wait_dscnt 0x0
	s_delay_alu instid0(VALU_DEP_1)
	v_fmac_f64_e32 v[2:3], v[54:55], v[60:61]
	ds_load_b128 v[46:49], v44 offset:96
	ds_load_b128 v[52:55], v44 offset:112
	s_wait_dscnt 0x1
	v_fmac_f64_e32 v[2:3], v[46:47], v[62:63]
	ds_load_2addr_b64 v[56:59], v1 offset0:33 offset1:34
	ds_load_2addr_b64 v[60:63], v1 offset0:35 offset1:36
	s_wait_dscnt 0x1
	v_fmac_f64_e32 v[2:3], v[48:49], v[56:57]
	ds_load_b128 v[46:49], v44 offset:128
	ds_load_b64 v[56:57], v44 offset:144
	v_fmac_f64_e32 v[2:3], v[52:53], v[58:59]
	s_wait_dscnt 0x2
	s_delay_alu instid0(VALU_DEP_1) | instskip(SKIP_4) | instid1(VALU_DEP_1)
	v_fmac_f64_e32 v[2:3], v[54:55], v[60:61]
	ds_load_2addr_b64 v[52:55], v1 offset0:37 offset1:38
	s_wait_dscnt 0x2
	v_fmac_f64_e32 v[2:3], v[46:47], v[62:63]
	s_wait_dscnt 0x0
	v_fmac_f64_e32 v[2:3], v[48:49], v[52:53]
	s_delay_alu instid0(VALU_DEP_1) | instskip(NEXT) | instid1(VALU_DEP_1)
	v_fmac_f64_e32 v[2:3], v[56:57], v[54:55]
	v_add_f64_e64 v[2:3], v[50:51], -v[2:3]
	ds_store_b64 v44, v[2:3] offset:32
	v_cmpx_lt_u32_e32 3, v42
	s_cbranch_execz .LBB18_117
; %bb.116:
	ds_load_b64 v[2:3], v44 offset:24
	v_mov_b64_e32 v[46:47], 0
	s_wait_dscnt 0x0
	ds_store_b64 v0, v[2:3]
	ds_store_b64 v44, v[46:47] offset:24
.LBB18_117:
	s_or_b32 exec_lo, exec_lo, s0
	v_mov_b32_e32 v1, 0
	s_wait_dscnt 0x0
	s_barrier_signal -1
	s_barrier_wait -1
	ds_load_2addr_b64 v[46:49], v44 offset0:3 offset1:4
	ds_load_b128 v[50:53], v1 offset:192
	ds_load_b128 v[54:57], v1 offset:208
	ds_load_2addr_b64 v[58:61], v44 offset0:5 offset1:6
	s_mov_b32 s0, exec_lo
	s_wait_dscnt 0x2
	v_fma_f64 v[2:3], v[48:49], v[50:51], 0
	s_wait_dscnt 0x0
	s_delay_alu instid0(VALU_DEP_1) | instskip(NEXT) | instid1(VALU_DEP_1)
	v_fmac_f64_e32 v[2:3], v[58:59], v[52:53]
	v_fmac_f64_e32 v[2:3], v[60:61], v[54:55]
	ds_load_2addr_b64 v[48:51], v44 offset0:7 offset1:8
	ds_load_2addr_b64 v[52:55], v44 offset0:9 offset1:10
	s_wait_dscnt 0x1
	v_fmac_f64_e32 v[2:3], v[48:49], v[56:57]
	ds_load_b128 v[56:59], v1 offset:224
	ds_load_b128 v[60:63], v1 offset:240
	s_wait_dscnt 0x1
	v_fmac_f64_e32 v[2:3], v[50:51], v[56:57]
	s_delay_alu instid0(VALU_DEP_1) | instskip(SKIP_1) | instid1(VALU_DEP_1)
	v_fmac_f64_e32 v[2:3], v[52:53], v[58:59]
	s_wait_dscnt 0x0
	v_fmac_f64_e32 v[2:3], v[54:55], v[60:61]
	ds_load_2addr_b64 v[48:51], v44 offset0:11 offset1:12
	ds_load_2addr_b64 v[52:55], v44 offset0:13 offset1:14
	s_wait_dscnt 0x1
	v_fmac_f64_e32 v[2:3], v[48:49], v[62:63]
	ds_load_b128 v[56:59], v1 offset:256
	ds_load_b128 v[60:63], v1 offset:272
	s_wait_dscnt 0x1
	v_fmac_f64_e32 v[2:3], v[50:51], v[56:57]
	s_delay_alu instid0(VALU_DEP_1) | instskip(SKIP_1) | instid1(VALU_DEP_1)
	v_fmac_f64_e32 v[2:3], v[52:53], v[58:59]
	s_wait_dscnt 0x0
	v_fmac_f64_e32 v[2:3], v[54:55], v[60:61]
	ds_load_2addr_b64 v[48:51], v44 offset0:15 offset1:16
	ds_load_2addr_b64 v[52:55], v44 offset0:17 offset1:18
	s_wait_dscnt 0x1
	v_fmac_f64_e32 v[2:3], v[48:49], v[62:63]
	ds_load_b128 v[56:59], v1 offset:288
	ds_load_b64 v[48:49], v1 offset:304
	s_wait_dscnt 0x1
	v_fmac_f64_e32 v[2:3], v[50:51], v[56:57]
	s_delay_alu instid0(VALU_DEP_1) | instskip(SKIP_1) | instid1(VALU_DEP_1)
	v_fmac_f64_e32 v[2:3], v[52:53], v[58:59]
	s_wait_dscnt 0x0
	v_fmac_f64_e32 v[2:3], v[54:55], v[48:49]
	s_delay_alu instid0(VALU_DEP_1)
	v_add_f64_e64 v[2:3], v[46:47], -v[2:3]
	ds_store_b64 v44, v[2:3] offset:24
	v_cmpx_lt_u32_e32 2, v42
	s_cbranch_execz .LBB18_119
; %bb.118:
	ds_load_b64 v[2:3], v44 offset:16
	v_mov_b64_e32 v[46:47], 0
	s_wait_dscnt 0x0
	ds_store_b64 v0, v[2:3]
	ds_store_b64 v44, v[46:47] offset:16
.LBB18_119:
	s_or_b32 exec_lo, exec_lo, s0
	s_wait_dscnt 0x0
	s_barrier_signal -1
	s_barrier_wait -1
	ds_load_2addr_b64 v[46:49], v1 offset0:23 offset1:24
	ds_load_b128 v[50:53], v44 offset:16
	ds_load_b128 v[54:57], v44 offset:32
	ds_load_2addr_b64 v[58:61], v1 offset0:25 offset1:26
	s_mov_b32 s0, exec_lo
	s_wait_dscnt 0x2
	v_fma_f64 v[2:3], v[52:53], v[46:47], 0
	s_wait_dscnt 0x1
	s_delay_alu instid0(VALU_DEP_1)
	v_fmac_f64_e32 v[2:3], v[54:55], v[48:49]
	ds_load_b128 v[46:49], v44 offset:48
	ds_load_b128 v[52:55], v44 offset:64
	s_wait_dscnt 0x2
	v_fmac_f64_e32 v[2:3], v[56:57], v[58:59]
	s_wait_dscnt 0x1
	s_delay_alu instid0(VALU_DEP_1) | instskip(SKIP_4) | instid1(VALU_DEP_1)
	v_fmac_f64_e32 v[2:3], v[46:47], v[60:61]
	ds_load_2addr_b64 v[56:59], v1 offset0:27 offset1:28
	ds_load_2addr_b64 v[60:63], v1 offset0:29 offset1:30
	s_wait_dscnt 0x1
	v_fmac_f64_e32 v[2:3], v[48:49], v[56:57]
	v_fmac_f64_e32 v[2:3], v[52:53], v[58:59]
	s_wait_dscnt 0x0
	s_delay_alu instid0(VALU_DEP_1)
	v_fmac_f64_e32 v[2:3], v[54:55], v[60:61]
	ds_load_b128 v[46:49], v44 offset:80
	ds_load_b128 v[52:55], v44 offset:96
	s_wait_dscnt 0x1
	v_fmac_f64_e32 v[2:3], v[46:47], v[62:63]
	ds_load_2addr_b64 v[56:59], v1 offset0:31 offset1:32
	ds_load_2addr_b64 v[60:63], v1 offset0:33 offset1:34
	s_wait_dscnt 0x1
	v_fmac_f64_e32 v[2:3], v[48:49], v[56:57]
	s_delay_alu instid0(VALU_DEP_1) | instskip(SKIP_1) | instid1(VALU_DEP_1)
	v_fmac_f64_e32 v[2:3], v[52:53], v[58:59]
	s_wait_dscnt 0x0
	v_fmac_f64_e32 v[2:3], v[54:55], v[60:61]
	ds_load_b128 v[46:49], v44 offset:112
	ds_load_b128 v[52:55], v44 offset:128
	s_wait_dscnt 0x1
	v_fmac_f64_e32 v[2:3], v[46:47], v[62:63]
	ds_load_2addr_b64 v[56:59], v1 offset0:35 offset1:36
	ds_load_2addr_b64 v[60:63], v1 offset0:37 offset1:38
	ds_load_b64 v[46:47], v44 offset:144
	s_wait_dscnt 0x2
	v_fmac_f64_e32 v[2:3], v[48:49], v[56:57]
	s_delay_alu instid0(VALU_DEP_1) | instskip(SKIP_1) | instid1(VALU_DEP_1)
	v_fmac_f64_e32 v[2:3], v[52:53], v[58:59]
	s_wait_dscnt 0x1
	v_fmac_f64_e32 v[2:3], v[54:55], v[60:61]
	s_wait_dscnt 0x0
	s_delay_alu instid0(VALU_DEP_1) | instskip(NEXT) | instid1(VALU_DEP_1)
	v_fmac_f64_e32 v[2:3], v[46:47], v[62:63]
	v_add_f64_e64 v[2:3], v[50:51], -v[2:3]
	ds_store_b64 v44, v[2:3] offset:16
	v_cmpx_lt_u32_e32 1, v42
	s_cbranch_execz .LBB18_121
; %bb.120:
	ds_load_b64 v[2:3], v44 offset:8
	v_mov_b64_e32 v[46:47], 0
	s_wait_dscnt 0x0
	ds_store_b64 v0, v[2:3]
	ds_store_b64 v44, v[46:47] offset:8
.LBB18_121:
	s_or_b32 exec_lo, exec_lo, s0
	v_mov_b32_e32 v43, 0
	s_wait_dscnt 0x0
	s_barrier_signal -1
	s_barrier_wait -1
	ds_load_2addr_b64 v[46:49], v44 offset0:1 offset1:2
	ds_load_b128 v[50:53], v43 offset:176
	ds_load_b128 v[54:57], v43 offset:192
	ds_load_2addr_b64 v[58:61], v44 offset0:3 offset1:4
	v_dual_ashrrev_i32 v9, 31, v8 :: v_dual_ashrrev_i32 v11, 31, v10
	v_dual_ashrrev_i32 v13, 31, v12 :: v_dual_ashrrev_i32 v15, 31, v14
	;; [unrolled: 1-line block ×8, first 2 shown]
	v_ashrrev_i32_e32 v41, 31, v40
	s_wait_dscnt 0x2
	v_fma_f64 v[2:3], v[48:49], v[50:51], 0
	s_mov_b32 s0, exec_lo
	s_wait_dscnt 0x0
	s_delay_alu instid0(VALU_DEP_1) | instskip(NEXT) | instid1(VALU_DEP_1)
	v_fmac_f64_e32 v[2:3], v[58:59], v[52:53]
	v_fmac_f64_e32 v[2:3], v[60:61], v[54:55]
	ds_load_2addr_b64 v[48:51], v44 offset0:5 offset1:6
	ds_load_2addr_b64 v[52:55], v44 offset0:7 offset1:8
	s_wait_dscnt 0x1
	v_fmac_f64_e32 v[2:3], v[48:49], v[56:57]
	ds_load_b128 v[56:59], v43 offset:208
	ds_load_b128 v[60:63], v43 offset:224
	s_wait_dscnt 0x1
	v_fmac_f64_e32 v[2:3], v[50:51], v[56:57]
	s_delay_alu instid0(VALU_DEP_1) | instskip(SKIP_1) | instid1(VALU_DEP_1)
	v_fmac_f64_e32 v[2:3], v[52:53], v[58:59]
	s_wait_dscnt 0x0
	v_fmac_f64_e32 v[2:3], v[54:55], v[60:61]
	ds_load_2addr_b64 v[48:51], v44 offset0:9 offset1:10
	ds_load_2addr_b64 v[52:55], v44 offset0:11 offset1:12
	s_wait_dscnt 0x1
	v_fmac_f64_e32 v[2:3], v[48:49], v[62:63]
	ds_load_b128 v[56:59], v43 offset:240
	ds_load_b128 v[60:63], v43 offset:256
	s_wait_dscnt 0x1
	v_fmac_f64_e32 v[2:3], v[50:51], v[56:57]
	s_delay_alu instid0(VALU_DEP_1) | instskip(SKIP_1) | instid1(VALU_DEP_1)
	v_fmac_f64_e32 v[2:3], v[52:53], v[58:59]
	s_wait_dscnt 0x0
	v_fmac_f64_e32 v[2:3], v[54:55], v[60:61]
	ds_load_2addr_b64 v[48:51], v44 offset0:13 offset1:14
	ds_load_2addr_b64 v[52:55], v44 offset0:15 offset1:16
	s_wait_dscnt 0x1
	v_fmac_f64_e32 v[2:3], v[48:49], v[62:63]
	ds_load_b128 v[56:59], v43 offset:272
	ds_load_b128 v[60:63], v43 offset:288
	s_wait_dscnt 0x1
	v_fmac_f64_e32 v[2:3], v[50:51], v[56:57]
	ds_load_2addr_b64 v[48:51], v44 offset0:17 offset1:18
	v_fmac_f64_e32 v[2:3], v[52:53], v[58:59]
	s_wait_dscnt 0x1
	s_delay_alu instid0(VALU_DEP_1) | instskip(SKIP_1) | instid1(VALU_DEP_1)
	v_fmac_f64_e32 v[2:3], v[54:55], v[60:61]
	s_wait_dscnt 0x0
	v_fmac_f64_e32 v[2:3], v[48:49], v[62:63]
	ds_load_b64 v[48:49], v43 offset:304
	s_wait_dscnt 0x0
	v_fmac_f64_e32 v[2:3], v[50:51], v[48:49]
	s_delay_alu instid0(VALU_DEP_1)
	v_add_f64_e64 v[2:3], v[46:47], -v[2:3]
	ds_store_b64 v44, v[2:3] offset:8
	v_cmpx_ne_u32_e32 0, v42
	s_cbranch_execz .LBB18_123
; %bb.122:
	ds_load_b64 v[2:3], v44
	v_mov_b64_e32 v[46:47], 0
	s_wait_dscnt 0x0
	ds_store_b64 v0, v[2:3]
	ds_store_b64 v44, v[46:47]
.LBB18_123:
	s_or_b32 exec_lo, exec_lo, s0
	s_wait_dscnt 0x0
	s_barrier_signal -1
	s_barrier_wait -1
	ds_load_2addr_b64 v[0:3], v43 offset0:21 offset1:22
	ds_load_b128 v[46:49], v44
	ds_load_b128 v[50:53], v44 offset:16
	ds_load_2addr_b64 v[54:57], v43 offset0:23 offset1:24
	s_and_b32 vcc_lo, exec_lo, s20
	s_wait_dscnt 0x2
	v_fma_f64 v[60:61], v[48:49], v[0:1], 0
	s_wait_dscnt 0x1
	s_delay_alu instid0(VALU_DEP_1)
	v_fmac_f64_e32 v[60:61], v[50:51], v[2:3]
	ds_load_b128 v[0:3], v44 offset:32
	ds_load_b128 v[48:51], v44 offset:48
	s_wait_dscnt 0x2
	v_fmac_f64_e32 v[60:61], v[52:53], v[54:55]
	s_wait_dscnt 0x1
	s_delay_alu instid0(VALU_DEP_1) | instskip(SKIP_4) | instid1(VALU_DEP_1)
	v_fmac_f64_e32 v[60:61], v[0:1], v[56:57]
	ds_load_2addr_b64 v[52:55], v43 offset0:25 offset1:26
	ds_load_2addr_b64 v[56:59], v43 offset0:27 offset1:28
	s_wait_dscnt 0x1
	v_fmac_f64_e32 v[60:61], v[2:3], v[52:53]
	v_fmac_f64_e32 v[60:61], v[48:49], v[54:55]
	s_wait_dscnt 0x0
	s_delay_alu instid0(VALU_DEP_1)
	v_fmac_f64_e32 v[60:61], v[50:51], v[56:57]
	ds_load_b128 v[0:3], v44 offset:64
	ds_load_b128 v[48:51], v44 offset:80
	s_wait_dscnt 0x1
	v_fmac_f64_e32 v[60:61], v[0:1], v[58:59]
	ds_load_2addr_b64 v[52:55], v43 offset0:29 offset1:30
	ds_load_2addr_b64 v[56:59], v43 offset0:31 offset1:32
	s_wait_dscnt 0x1
	v_fmac_f64_e32 v[60:61], v[2:3], v[52:53]
	s_delay_alu instid0(VALU_DEP_1) | instskip(SKIP_1) | instid1(VALU_DEP_1)
	v_fmac_f64_e32 v[60:61], v[48:49], v[54:55]
	s_wait_dscnt 0x0
	v_fmac_f64_e32 v[60:61], v[50:51], v[56:57]
	ds_load_b128 v[0:3], v44 offset:96
	ds_load_b128 v[48:51], v44 offset:112
	s_wait_dscnt 0x1
	v_fmac_f64_e32 v[60:61], v[0:1], v[58:59]
	ds_load_2addr_b64 v[52:55], v43 offset0:33 offset1:34
	ds_load_2addr_b64 v[56:59], v43 offset0:35 offset1:36
	s_wait_dscnt 0x1
	v_fmac_f64_e32 v[60:61], v[2:3], v[52:53]
	ds_load_b128 v[0:3], v44 offset:128
	ds_load_b64 v[52:53], v44 offset:144
	v_fmac_f64_e32 v[60:61], v[48:49], v[54:55]
	s_wait_dscnt 0x2
	s_delay_alu instid0(VALU_DEP_1) | instskip(SKIP_4) | instid1(VALU_DEP_1)
	v_fmac_f64_e32 v[60:61], v[50:51], v[56:57]
	ds_load_2addr_b64 v[48:51], v43 offset0:37 offset1:38
	s_wait_dscnt 0x2
	v_fmac_f64_e32 v[60:61], v[0:1], v[58:59]
	s_wait_dscnt 0x0
	v_fmac_f64_e32 v[60:61], v[2:3], v[48:49]
	s_delay_alu instid0(VALU_DEP_1) | instskip(NEXT) | instid1(VALU_DEP_1)
	v_fmac_f64_e32 v[60:61], v[52:53], v[50:51]
	v_add_f64_e64 v[0:1], v[46:47], -v[60:61]
	ds_store_b64 v44, v[0:1]
	s_cbranch_vccz .LBB18_160
; %bb.124:
	v_mov_b32_e32 v0, 0
	global_load_b32 v1, v0, s[16:17] offset:68
	s_wait_loadcnt 0x0
	v_add_nc_u32_e32 v1, -1, v1
	s_delay_alu instid0(VALU_DEP_1)
	v_cmp_ne_u32_e32 vcc_lo, 17, v1
	s_cbranch_vccz .LBB18_126
; %bb.125:
	v_lshl_add_u32 v1, v1, 3, v44
	ds_load_b64 v[42:43], v1
	s_wait_dscnt 0x0
	ds_store_b64 v44, v[42:43] offset:136
	ds_store_b64 v1, v[2:3]
.LBB18_126:
	global_load_b32 v0, v0, s[16:17] offset:64
	s_wait_loadcnt 0x0
	v_add_nc_u32_e32 v0, -1, v0
	s_delay_alu instid0(VALU_DEP_1)
	v_cmp_eq_u32_e32 vcc_lo, 16, v0
	s_cbranch_vccnz .LBB18_128
; %bb.127:
	v_lshl_add_u32 v42, v0, 3, v44
	ds_load_b64 v[0:1], v42
	ds_load_b64 v[2:3], v44 offset:128
	s_wait_dscnt 0x1
	ds_store_b64 v44, v[0:1] offset:128
	s_wait_dscnt 0x1
	ds_store_b64 v42, v[2:3]
.LBB18_128:
	v_mov_b32_e32 v0, 0
	global_load_b32 v1, v0, s[16:17] offset:60
	s_wait_loadcnt 0x0
	v_add_nc_u32_e32 v1, -1, v1
	s_delay_alu instid0(VALU_DEP_1)
	v_cmp_eq_u32_e32 vcc_lo, 15, v1
	s_cbranch_vccnz .LBB18_130
; %bb.129:
	v_lshl_add_u32 v1, v1, 3, v44
	ds_load_b64 v[2:3], v1
	ds_load_b64 v[42:43], v44 offset:120
	s_wait_dscnt 0x1
	ds_store_b64 v44, v[2:3] offset:120
	s_wait_dscnt 0x1
	ds_store_b64 v1, v[42:43]
.LBB18_130:
	global_load_b32 v0, v0, s[16:17] offset:56
	s_wait_loadcnt 0x0
	v_add_nc_u32_e32 v0, -1, v0
	s_delay_alu instid0(VALU_DEP_1)
	v_cmp_eq_u32_e32 vcc_lo, 14, v0
	s_cbranch_vccnz .LBB18_132
; %bb.131:
	v_lshl_add_u32 v42, v0, 3, v44
	ds_load_b64 v[0:1], v42
	ds_load_b64 v[2:3], v44 offset:112
	s_wait_dscnt 0x1
	ds_store_b64 v44, v[0:1] offset:112
	s_wait_dscnt 0x1
	ds_store_b64 v42, v[2:3]
.LBB18_132:
	v_mov_b32_e32 v0, 0
	global_load_b32 v1, v0, s[16:17] offset:52
	s_wait_loadcnt 0x0
	v_add_nc_u32_e32 v1, -1, v1
	s_delay_alu instid0(VALU_DEP_1)
	v_cmp_eq_u32_e32 vcc_lo, 13, v1
	s_cbranch_vccnz .LBB18_134
; %bb.133:
	v_lshl_add_u32 v1, v1, 3, v44
	ds_load_b64 v[2:3], v1
	ds_load_b64 v[42:43], v44 offset:104
	s_wait_dscnt 0x1
	ds_store_b64 v44, v[2:3] offset:104
	s_wait_dscnt 0x1
	ds_store_b64 v1, v[42:43]
.LBB18_134:
	;; [unrolled: 31-line block ×8, first 2 shown]
	global_load_b32 v2, v0, s[16:17]
	s_wait_xcnt 0x0
	ds_load_b64 v[0:1], v44
	s_wait_loadcnt 0x0
	v_add_nc_u32_e32 v2, -1, v2
	s_delay_alu instid0(VALU_DEP_1)
	v_cmp_eq_u32_e32 vcc_lo, 0, v2
	s_cbranch_vccnz .LBB18_160
; %bb.159:
	v_lshl_add_u32 v42, v2, 3, v44
	ds_load_b64 v[2:3], v42
	s_wait_dscnt 0x0
	ds_store_b64 v44, v[2:3]
	ds_store_b64 v42, v[0:1]
	ds_load_b64 v[0:1], v44
.LBB18_160:
	v_lshl_add_u64 v[42:43], v[8:9], 3, s[2:3]
	v_lshl_add_u64 v[2:3], v[38:39], 3, s[2:3]
	;; [unrolled: 1-line block ×3, first 2 shown]
	ds_load_2addr_b64 v[38:41], v44 offset0:1 offset1:2
	ds_load_2addr_b64 v[46:49], v44 offset0:3 offset1:4
	;; [unrolled: 1-line block ×9, first 2 shown]
	v_lshl_add_u64 v[10:11], v[10:11], 3, s[2:3]
	v_lshl_add_u64 v[12:13], v[12:13], 3, s[2:3]
	;; [unrolled: 1-line block ×14, first 2 shown]
	s_wait_dscnt 0x9
	global_store_b64 v[4:5], v[0:1], off
	s_wait_dscnt 0x8
	s_clause 0x1
	global_store_b64 v[6:7], v[38:39], off
	global_store_b64 v[42:43], v[40:41], off
	s_wait_dscnt 0x7
	s_clause 0x1
	global_store_b64 v[10:11], v[46:47], off
	global_store_b64 v[12:13], v[48:49], off
	s_wait_dscnt 0x6
	s_clause 0x1
	global_store_b64 v[14:15], v[50:51], off
	global_store_b64 v[16:17], v[52:53], off
	s_wait_dscnt 0x5
	s_clause 0x1
	global_store_b64 v[18:19], v[54:55], off
	global_store_b64 v[20:21], v[56:57], off
	s_wait_dscnt 0x4
	s_clause 0x1
	global_store_b64 v[22:23], v[58:59], off
	global_store_b64 v[24:25], v[60:61], off
	s_wait_dscnt 0x3
	s_clause 0x1
	global_store_b64 v[26:27], v[62:63], off
	global_store_b64 v[28:29], v[64:65], off
	s_wait_dscnt 0x2
	s_clause 0x1
	global_store_b64 v[30:31], v[66:67], off
	global_store_b64 v[32:33], v[68:69], off
	s_wait_dscnt 0x1
	s_clause 0x1
	global_store_b64 v[34:35], v[70:71], off
	global_store_b64 v[36:37], v[72:73], off
	s_wait_dscnt 0x0
	s_clause 0x1
	global_store_b64 v[2:3], v[74:75], off
	global_store_b64 v[8:9], v[76:77], off
	s_sendmsg sendmsg(MSG_DEALLOC_VGPRS)
	s_endpgm
	.section	.rodata,"a",@progbits
	.p2align	6, 0x0
	.amdhsa_kernel _ZN9rocsolver6v33100L18getri_kernel_smallILi19EdPdEEvT1_iilPiilS4_bb
		.amdhsa_group_segment_fixed_size 10048
		.amdhsa_private_segment_fixed_size 0
		.amdhsa_kernarg_size 60
		.amdhsa_user_sgpr_count 4
		.amdhsa_user_sgpr_dispatch_ptr 1
		.amdhsa_user_sgpr_queue_ptr 0
		.amdhsa_user_sgpr_kernarg_segment_ptr 1
		.amdhsa_user_sgpr_dispatch_id 0
		.amdhsa_user_sgpr_kernarg_preload_length 0
		.amdhsa_user_sgpr_kernarg_preload_offset 0
		.amdhsa_user_sgpr_private_segment_size 0
		.amdhsa_wavefront_size32 1
		.amdhsa_uses_dynamic_stack 0
		.amdhsa_enable_private_segment 0
		.amdhsa_system_sgpr_workgroup_id_x 1
		.amdhsa_system_sgpr_workgroup_id_y 0
		.amdhsa_system_sgpr_workgroup_id_z 0
		.amdhsa_system_sgpr_workgroup_info 0
		.amdhsa_system_vgpr_workitem_id 2
		.amdhsa_next_free_vgpr 84
		.amdhsa_next_free_sgpr 21
		.amdhsa_named_barrier_count 0
		.amdhsa_reserve_vcc 1
		.amdhsa_float_round_mode_32 0
		.amdhsa_float_round_mode_16_64 0
		.amdhsa_float_denorm_mode_32 3
		.amdhsa_float_denorm_mode_16_64 3
		.amdhsa_fp16_overflow 0
		.amdhsa_memory_ordered 1
		.amdhsa_forward_progress 1
		.amdhsa_inst_pref_size 87
		.amdhsa_round_robin_scheduling 0
		.amdhsa_exception_fp_ieee_invalid_op 0
		.amdhsa_exception_fp_denorm_src 0
		.amdhsa_exception_fp_ieee_div_zero 0
		.amdhsa_exception_fp_ieee_overflow 0
		.amdhsa_exception_fp_ieee_underflow 0
		.amdhsa_exception_fp_ieee_inexact 0
		.amdhsa_exception_int_div_zero 0
	.end_amdhsa_kernel
	.section	.text._ZN9rocsolver6v33100L18getri_kernel_smallILi19EdPdEEvT1_iilPiilS4_bb,"axG",@progbits,_ZN9rocsolver6v33100L18getri_kernel_smallILi19EdPdEEvT1_iilPiilS4_bb,comdat
.Lfunc_end18:
	.size	_ZN9rocsolver6v33100L18getri_kernel_smallILi19EdPdEEvT1_iilPiilS4_bb, .Lfunc_end18-_ZN9rocsolver6v33100L18getri_kernel_smallILi19EdPdEEvT1_iilPiilS4_bb
                                        ; -- End function
	.set _ZN9rocsolver6v33100L18getri_kernel_smallILi19EdPdEEvT1_iilPiilS4_bb.num_vgpr, 84
	.set _ZN9rocsolver6v33100L18getri_kernel_smallILi19EdPdEEvT1_iilPiilS4_bb.num_agpr, 0
	.set _ZN9rocsolver6v33100L18getri_kernel_smallILi19EdPdEEvT1_iilPiilS4_bb.numbered_sgpr, 21
	.set _ZN9rocsolver6v33100L18getri_kernel_smallILi19EdPdEEvT1_iilPiilS4_bb.num_named_barrier, 0
	.set _ZN9rocsolver6v33100L18getri_kernel_smallILi19EdPdEEvT1_iilPiilS4_bb.private_seg_size, 0
	.set _ZN9rocsolver6v33100L18getri_kernel_smallILi19EdPdEEvT1_iilPiilS4_bb.uses_vcc, 1
	.set _ZN9rocsolver6v33100L18getri_kernel_smallILi19EdPdEEvT1_iilPiilS4_bb.uses_flat_scratch, 0
	.set _ZN9rocsolver6v33100L18getri_kernel_smallILi19EdPdEEvT1_iilPiilS4_bb.has_dyn_sized_stack, 0
	.set _ZN9rocsolver6v33100L18getri_kernel_smallILi19EdPdEEvT1_iilPiilS4_bb.has_recursion, 0
	.set _ZN9rocsolver6v33100L18getri_kernel_smallILi19EdPdEEvT1_iilPiilS4_bb.has_indirect_call, 0
	.section	.AMDGPU.csdata,"",@progbits
; Kernel info:
; codeLenInByte = 11068
; TotalNumSgprs: 23
; NumVgprs: 84
; ScratchSize: 0
; MemoryBound: 0
; FloatMode: 240
; IeeeMode: 1
; LDSByteSize: 10048 bytes/workgroup (compile time only)
; SGPRBlocks: 0
; VGPRBlocks: 5
; NumSGPRsForWavesPerEU: 23
; NumVGPRsForWavesPerEU: 84
; NamedBarCnt: 0
; Occupancy: 8
; WaveLimiterHint : 0
; COMPUTE_PGM_RSRC2:SCRATCH_EN: 0
; COMPUTE_PGM_RSRC2:USER_SGPR: 4
; COMPUTE_PGM_RSRC2:TRAP_HANDLER: 0
; COMPUTE_PGM_RSRC2:TGID_X_EN: 1
; COMPUTE_PGM_RSRC2:TGID_Y_EN: 0
; COMPUTE_PGM_RSRC2:TGID_Z_EN: 0
; COMPUTE_PGM_RSRC2:TIDIG_COMP_CNT: 2
	.section	.text._ZN9rocsolver6v33100L18getri_kernel_smallILi20EdPdEEvT1_iilPiilS4_bb,"axG",@progbits,_ZN9rocsolver6v33100L18getri_kernel_smallILi20EdPdEEvT1_iilPiilS4_bb,comdat
	.globl	_ZN9rocsolver6v33100L18getri_kernel_smallILi20EdPdEEvT1_iilPiilS4_bb ; -- Begin function _ZN9rocsolver6v33100L18getri_kernel_smallILi20EdPdEEvT1_iilPiilS4_bb
	.p2align	8
	.type	_ZN9rocsolver6v33100L18getri_kernel_smallILi20EdPdEEvT1_iilPiilS4_bb,@function
_ZN9rocsolver6v33100L18getri_kernel_smallILi20EdPdEEvT1_iilPiilS4_bb: ; @_ZN9rocsolver6v33100L18getri_kernel_smallILi20EdPdEEvT1_iilPiilS4_bb
; %bb.0:
	s_mov_b32 s2, exec_lo
	v_cmpx_gt_u32_e32 20, v0
	s_cbranch_execz .LBB19_90
; %bb.1:
	s_clause 0x2
	s_load_b32 s2, s[0:1], 0x38
	s_load_b128 s[12:15], s[0:1], 0x10
	s_load_b128 s[4:7], s[0:1], 0x28
	s_getreg_b32 s9, hwreg(HW_REG_IB_STS2, 6, 4)
	s_wait_kmcnt 0x0
	s_bitcmp1_b32 s2, 8
	s_cselect_b32 s18, -1, 0
	s_bfe_u32 s3, ttmp6, 0x4000c
	s_and_b32 s8, ttmp6, 15
	s_add_co_i32 s3, s3, 1
	s_delay_alu instid0(SALU_CYCLE_1) | instskip(NEXT) | instid1(SALU_CYCLE_1)
	s_mul_i32 s3, ttmp9, s3
	s_add_co_i32 s8, s8, s3
	s_cmp_eq_u32 s9, 0
	s_cselect_b32 s16, ttmp9, s8
	s_bfe_u32 s2, s2, 0x10008
	s_ashr_i32 s17, s16, 31
	s_cmp_eq_u32 s2, 0
                                        ; implicit-def: $sgpr2_sgpr3
	s_cbranch_scc1 .LBB19_3
; %bb.2:
	s_load_b32 s2, s[0:1], 0x20
	s_mul_u64 s[4:5], s[4:5], s[16:17]
	s_delay_alu instid0(SALU_CYCLE_1) | instskip(NEXT) | instid1(SALU_CYCLE_1)
	s_lshl_b64 s[4:5], s[4:5], 2
	s_add_nc_u64 s[4:5], s[14:15], s[4:5]
	s_wait_kmcnt 0x0
	s_ashr_i32 s3, s2, 31
	s_delay_alu instid0(SALU_CYCLE_1) | instskip(NEXT) | instid1(SALU_CYCLE_1)
	s_lshl_b64 s[2:3], s[2:3], 2
	s_add_nc_u64 s[2:3], s[4:5], s[2:3]
.LBB19_3:
	s_clause 0x1
	s_load_b128 s[8:11], s[0:1], 0x0
	s_load_b32 s14, s[0:1], 0x38
	s_wait_xcnt 0x0
	s_mul_u64 s[0:1], s[12:13], s[16:17]
	v_dual_mov_b32 v3, 0 :: v_dual_lshlrev_b32 v2, 3, v0
	s_lshl_b64 s[0:1], s[0:1], 3
	s_wait_kmcnt 0x0
	v_add3_u32 v8, s11, s11, v0
	s_ashr_i32 s5, s10, 31
	s_mov_b32 s4, s10
	s_add_nc_u64 s[0:1], s[8:9], s[0:1]
	s_lshl_b64 s[4:5], s[4:5], 3
	v_add_nc_u32_e32 v10, s11, v8
	s_add_nc_u64 s[4:5], s[0:1], s[4:5]
	s_ashr_i32 s1, s11, 31
	v_add_nc_u64_e32 v[6:7], s[4:5], v[2:3]
	s_mov_b32 s0, s11
	v_add_nc_u32_e32 v12, s11, v10
	s_bitcmp0_b32 s14, 0
	s_delay_alu instid0(VALU_DEP_2) | instskip(NEXT) | instid1(VALU_DEP_2)
	v_lshl_add_u64 v[4:5], s[0:1], 3, v[6:7]
	v_add_nc_u32_e32 v14, s11, v12
	s_mov_b32 s1, -1
	s_delay_alu instid0(VALU_DEP_1)
	v_add_nc_u32_e32 v16, s11, v14
	s_clause 0x3
	global_load_b64 v[44:45], v0, s[4:5] scale_offset
	global_load_b64 v[46:47], v[4:5], off
	global_load_b64 v[48:49], v8, s[4:5] scale_offset
	global_load_b64 v[50:51], v10, s[4:5] scale_offset
	v_add_nc_u32_e32 v18, s11, v16
	s_delay_alu instid0(VALU_DEP_1) | instskip(SKIP_4) | instid1(VALU_DEP_1)
	v_add_nc_u32_e32 v20, s11, v18
	s_clause 0x1
	global_load_b64 v[52:53], v12, s[4:5] scale_offset
	global_load_b64 v[54:55], v14, s[4:5] scale_offset
	v_add_nc_u32_e32 v22, s11, v20
	v_add_nc_u32_e32 v24, s11, v22
	s_delay_alu instid0(VALU_DEP_1) | instskip(NEXT) | instid1(VALU_DEP_1)
	v_add_nc_u32_e32 v26, s11, v24
	v_add_nc_u32_e32 v28, s11, v26
	s_clause 0x3
	global_load_b64 v[56:57], v16, s[4:5] scale_offset
	global_load_b64 v[58:59], v18, s[4:5] scale_offset
	;; [unrolled: 1-line block ×4, first 2 shown]
	v_add_nc_u32_e32 v30, s11, v28
	s_delay_alu instid0(VALU_DEP_1)
	v_add_nc_u32_e32 v32, s11, v30
	s_clause 0x3
	global_load_b64 v[64:65], v24, s[4:5] scale_offset
	global_load_b64 v[66:67], v26, s[4:5] scale_offset
	;; [unrolled: 1-line block ×4, first 2 shown]
	v_add_nc_u32_e32 v34, s11, v32
	s_delay_alu instid0(VALU_DEP_1) | instskip(NEXT) | instid1(VALU_DEP_1)
	v_add_nc_u32_e32 v36, s11, v34
	v_add_nc_u32_e32 v38, s11, v36
	s_delay_alu instid0(VALU_DEP_1) | instskip(NEXT) | instid1(VALU_DEP_1)
	v_add_nc_u32_e32 v40, s11, v38
	v_add_nc_u32_e32 v42, s11, v40
	s_wait_loadcnt 0xc
	scratch_store_b128 off, v[44:47], off
	s_clause 0x3
	global_load_b64 v[44:45], v32, s[4:5] scale_offset
	global_load_b64 v[46:47], v34, s[4:5] scale_offset
	;; [unrolled: 1-line block ×4, first 2 shown]
	s_wait_loadcnt 0xe
	scratch_store_b128 off, v[48:51], off offset:16
	s_clause 0x1
	global_load_b64 v[48:49], v40, s[4:5] scale_offset
	global_load_b64 v[50:51], v42, s[4:5] scale_offset
	s_wait_loadcnt 0xe
	scratch_store_b128 off, v[52:55], off offset:32
	s_wait_loadcnt 0xc
	scratch_store_b128 off, v[56:59], off offset:48
	;; [unrolled: 2-line block ×8, first 2 shown]
	s_cbranch_scc1 .LBB19_88
; %bb.4:
	v_cmp_eq_u32_e64 s0, 0, v0
	s_wait_xcnt 0x0
	s_and_saveexec_b32 s1, s0
; %bb.5:
	v_mov_b32_e32 v1, 0
	ds_store_b32 v1, v1 offset:320
; %bb.6:
	s_or_b32 exec_lo, exec_lo, s1
	s_wait_storecnt_dscnt 0x0
	s_barrier_signal -1
	s_barrier_wait -1
	scratch_load_b64 v[44:45], v0, off scale_offset
	s_mov_b32 s8, exec_lo
	s_wait_loadcnt 0x0
	v_cmpx_eq_f64_e32 0, v[44:45]
	s_cbranch_execz .LBB19_10
; %bb.7:
	v_mov_b32_e32 v1, 0
	s_mov_b32 s9, 0
	ds_load_b32 v3, v1 offset:320
	s_wait_dscnt 0x0
	v_readfirstlane_b32 s1, v3
	v_add_nc_u32_e32 v3, 1, v0
	s_cmp_eq_u32 s1, 0
	s_delay_alu instid0(VALU_DEP_1) | instskip(SKIP_1) | instid1(SALU_CYCLE_1)
	v_cmp_gt_i32_e32 vcc_lo, s1, v3
	s_cselect_b32 s10, -1, 0
	s_or_b32 s10, s10, vcc_lo
	s_delay_alu instid0(SALU_CYCLE_1)
	s_and_b32 exec_lo, exec_lo, s10
	s_cbranch_execz .LBB19_10
; %bb.8:
	v_mov_b32_e32 v9, s1
.LBB19_9:                               ; =>This Inner Loop Header: Depth=1
	ds_cmpstore_rtn_b32 v9, v1, v3, v9 offset:320
	s_wait_dscnt 0x0
	v_cmp_ne_u32_e32 vcc_lo, 0, v9
	v_cmp_le_i32_e64 s1, v9, v3
	s_and_b32 s1, vcc_lo, s1
	s_delay_alu instid0(SALU_CYCLE_1) | instskip(NEXT) | instid1(SALU_CYCLE_1)
	s_and_b32 s1, exec_lo, s1
	s_or_b32 s9, s1, s9
	s_delay_alu instid0(SALU_CYCLE_1)
	s_and_not1_b32 exec_lo, exec_lo, s9
	s_cbranch_execnz .LBB19_9
.LBB19_10:
	s_or_b32 exec_lo, exec_lo, s8
	v_mov_b32_e32 v1, 0
	s_barrier_signal -1
	s_barrier_wait -1
	ds_load_b32 v3, v1 offset:320
	s_and_saveexec_b32 s1, s0
	s_cbranch_execz .LBB19_12
; %bb.11:
	s_lshl_b64 s[8:9], s[16:17], 2
	s_delay_alu instid0(SALU_CYCLE_1)
	s_add_nc_u64 s[8:9], s[6:7], s[8:9]
	s_wait_dscnt 0x0
	global_store_b32 v1, v3, s[8:9]
.LBB19_12:
	s_wait_xcnt 0x0
	s_or_b32 exec_lo, exec_lo, s1
	s_wait_dscnt 0x0
	v_cmp_ne_u32_e32 vcc_lo, 0, v3
	s_mov_b32 s1, 0
	s_cbranch_vccnz .LBB19_88
; %bb.13:
	v_lshl_add_u32 v3, v0, 3, 0
	v_add_nc_u32_e32 v1, 0xa0, v2
	scratch_load_b64 v[44:45], v3, off
	s_wait_loadcnt 0x0
	v_div_scale_f64 v[46:47], null, v[44:45], v[44:45], 1.0
	v_div_scale_f64 v[52:53], vcc_lo, 1.0, v[44:45], 1.0
	s_delay_alu instid0(VALU_DEP_2) | instskip(SKIP_1) | instid1(TRANS32_DEP_1)
	v_rcp_f64_e32 v[48:49], v[46:47]
	v_nop
	v_fma_f64 v[50:51], -v[46:47], v[48:49], 1.0
	s_delay_alu instid0(VALU_DEP_1) | instskip(NEXT) | instid1(VALU_DEP_1)
	v_fmac_f64_e32 v[48:49], v[48:49], v[50:51]
	v_fma_f64 v[50:51], -v[46:47], v[48:49], 1.0
	s_delay_alu instid0(VALU_DEP_1) | instskip(NEXT) | instid1(VALU_DEP_1)
	v_fmac_f64_e32 v[48:49], v[48:49], v[50:51]
	v_mul_f64_e32 v[50:51], v[52:53], v[48:49]
	s_delay_alu instid0(VALU_DEP_1) | instskip(NEXT) | instid1(VALU_DEP_1)
	v_fma_f64 v[46:47], -v[46:47], v[50:51], v[52:53]
	v_div_fmas_f64 v[46:47], v[46:47], v[48:49], v[50:51]
	s_delay_alu instid0(VALU_DEP_1)
	v_div_fixup_f64 v[44:45], v[46:47], v[44:45], 1.0
	scratch_store_b64 v3, v[44:45], off
	scratch_load_b64 v[46:47], off, off offset:8
	s_wait_xcnt 0x1
	v_xor_b32_e32 v45, 0x80000000, v45
	s_wait_loadcnt 0x0
	ds_store_2addr_b64 v2, v[44:45], v[46:47] offset1:20
	s_wait_storecnt_dscnt 0x0
	s_barrier_signal -1
	s_barrier_wait -1
	s_wait_xcnt 0x0
	s_and_saveexec_b32 s1, s0
	s_cbranch_execz .LBB19_15
; %bb.14:
	scratch_load_b64 v[44:45], v3, off
	ds_load_b64 v[46:47], v1
	s_wait_loadcnt_dscnt 0x0
	v_fma_f64 v[44:45], v[44:45], v[46:47], 0
	v_mov_b32_e32 v9, 0
	ds_load_b64 v[48:49], v9 offset:8
	s_wait_dscnt 0x0
	v_mul_f64_e32 v[44:45], v[44:45], v[48:49]
	scratch_store_b64 off, v[44:45], off offset:8
.LBB19_15:
	s_wait_xcnt 0x0
	s_or_b32 exec_lo, exec_lo, s1
	s_wait_storecnt 0x0
	s_barrier_signal -1
	s_barrier_wait -1
	scratch_load_b64 v[44:45], off, off offset:16
	s_mov_b32 s1, exec_lo
	s_wait_loadcnt 0x0
	ds_store_b64 v1, v[44:45]
	s_wait_dscnt 0x0
	s_barrier_signal -1
	s_barrier_wait -1
	v_cmpx_gt_u32_e32 2, v0
	s_cbranch_execz .LBB19_19
; %bb.16:
	scratch_load_b64 v[44:45], v3, off
	ds_load_b64 v[46:47], v1
	s_wait_loadcnt_dscnt 0x0
	v_fma_f64 v[44:45], v[44:45], v[46:47], 0
	s_and_saveexec_b32 s8, s0
	s_cbranch_execz .LBB19_18
; %bb.17:
	scratch_load_b64 v[46:47], off, off offset:8
	v_mov_b32_e32 v3, 0
	ds_load_b64 v[48:49], v3 offset:168
	s_wait_loadcnt_dscnt 0x0
	v_fmac_f64_e32 v[44:45], v[46:47], v[48:49]
.LBB19_18:
	s_or_b32 exec_lo, exec_lo, s8
	v_mov_b32_e32 v3, 0
	ds_load_b64 v[46:47], v3 offset:16
	s_wait_dscnt 0x0
	v_mul_f64_e32 v[44:45], v[44:45], v[46:47]
	scratch_store_b64 off, v[44:45], off offset:16
.LBB19_19:
	s_wait_xcnt 0x0
	s_or_b32 exec_lo, exec_lo, s1
	s_wait_storecnt 0x0
	s_barrier_signal -1
	s_barrier_wait -1
	scratch_load_b64 v[44:45], off, off offset:24
	v_add_nc_u32_e32 v3, -1, v0
	s_mov_b32 s0, exec_lo
	s_wait_loadcnt 0x0
	ds_store_b64 v1, v[44:45]
	s_wait_dscnt 0x0
	s_barrier_signal -1
	s_barrier_wait -1
	v_cmpx_gt_u32_e32 3, v0
	s_cbranch_execz .LBB19_23
; %bb.20:
	v_mov_b64_e32 v[44:45], 0
	v_dual_add_nc_u32 v9, -1, v0 :: v_dual_mov_b32 v13, v2
	v_add_nc_u32_e32 v11, 0xa0, v2
	s_mov_b32 s1, 0
.LBB19_21:                              ; =>This Inner Loop Header: Depth=1
	scratch_load_b64 v[46:47], v13, off
	ds_load_b64 v[48:49], v11
	v_dual_add_nc_u32 v9, 1, v9 :: v_dual_add_nc_u32 v11, 8, v11
	s_wait_xcnt 0x0
	v_add_nc_u32_e32 v13, 8, v13
	s_delay_alu instid0(VALU_DEP_2)
	v_cmp_lt_u32_e32 vcc_lo, 1, v9
	s_or_b32 s1, vcc_lo, s1
	s_wait_loadcnt_dscnt 0x0
	v_fmac_f64_e32 v[44:45], v[46:47], v[48:49]
	s_and_not1_b32 exec_lo, exec_lo, s1
	s_cbranch_execnz .LBB19_21
; %bb.22:
	s_or_b32 exec_lo, exec_lo, s1
	v_mov_b32_e32 v9, 0
	ds_load_b64 v[46:47], v9 offset:24
	s_wait_dscnt 0x0
	v_mul_f64_e32 v[44:45], v[44:45], v[46:47]
	scratch_store_b64 off, v[44:45], off offset:24
.LBB19_23:
	s_wait_xcnt 0x0
	s_or_b32 exec_lo, exec_lo, s0
	s_wait_storecnt 0x0
	s_barrier_signal -1
	s_barrier_wait -1
	scratch_load_b64 v[44:45], off, off offset:32
	s_mov_b32 s0, exec_lo
	s_wait_loadcnt 0x0
	ds_store_b64 v1, v[44:45]
	s_wait_dscnt 0x0
	s_barrier_signal -1
	s_barrier_wait -1
	v_cmpx_gt_u32_e32 4, v0
	s_cbranch_execz .LBB19_27
; %bb.24:
	v_mov_b64_e32 v[44:45], 0
	v_dual_add_nc_u32 v9, -1, v0 :: v_dual_mov_b32 v13, v2
	v_add_nc_u32_e32 v11, 0xa0, v2
	s_mov_b32 s1, 0
.LBB19_25:                              ; =>This Inner Loop Header: Depth=1
	scratch_load_b64 v[46:47], v13, off
	ds_load_b64 v[48:49], v11
	v_dual_add_nc_u32 v9, 1, v9 :: v_dual_add_nc_u32 v11, 8, v11
	s_wait_xcnt 0x0
	v_add_nc_u32_e32 v13, 8, v13
	s_delay_alu instid0(VALU_DEP_2)
	v_cmp_lt_u32_e32 vcc_lo, 2, v9
	s_or_b32 s1, vcc_lo, s1
	s_wait_loadcnt_dscnt 0x0
	v_fmac_f64_e32 v[44:45], v[46:47], v[48:49]
	s_and_not1_b32 exec_lo, exec_lo, s1
	s_cbranch_execnz .LBB19_25
; %bb.26:
	s_or_b32 exec_lo, exec_lo, s1
	v_mov_b32_e32 v9, 0
	ds_load_b64 v[46:47], v9 offset:32
	s_wait_dscnt 0x0
	v_mul_f64_e32 v[44:45], v[44:45], v[46:47]
	scratch_store_b64 off, v[44:45], off offset:32
.LBB19_27:
	s_wait_xcnt 0x0
	s_or_b32 exec_lo, exec_lo, s0
	s_wait_storecnt 0x0
	s_barrier_signal -1
	s_barrier_wait -1
	scratch_load_b64 v[44:45], off, off offset:40
	;; [unrolled: 40-line block ×16, first 2 shown]
	s_mov_b32 s0, exec_lo
	s_wait_loadcnt 0x0
	ds_store_b64 v1, v[44:45]
	s_wait_dscnt 0x0
	s_barrier_signal -1
	s_barrier_wait -1
	v_cmpx_ne_u32_e32 19, v0
	s_cbranch_execz .LBB19_87
; %bb.84:
	v_mov_b64_e32 v[44:45], 0
	s_mov_b32 s1, 0
.LBB19_85:                              ; =>This Inner Loop Header: Depth=1
	scratch_load_b64 v[46:47], v2, off
	ds_load_b64 v[48:49], v1
	v_dual_add_nc_u32 v3, 1, v3 :: v_dual_add_nc_u32 v1, 8, v1
	s_wait_xcnt 0x0
	v_add_nc_u32_e32 v2, 8, v2
	s_delay_alu instid0(VALU_DEP_2)
	v_cmp_lt_u32_e32 vcc_lo, 17, v3
	s_or_b32 s1, vcc_lo, s1
	s_wait_loadcnt_dscnt 0x0
	v_fmac_f64_e32 v[44:45], v[46:47], v[48:49]
	s_and_not1_b32 exec_lo, exec_lo, s1
	s_cbranch_execnz .LBB19_85
; %bb.86:
	s_or_b32 exec_lo, exec_lo, s1
	v_mov_b32_e32 v1, 0
	ds_load_b64 v[2:3], v1 offset:152
	s_wait_dscnt 0x0
	v_mul_f64_e32 v[2:3], v[44:45], v[2:3]
	scratch_store_b64 off, v[2:3], off offset:152
.LBB19_87:
	s_wait_xcnt 0x0
	s_or_b32 exec_lo, exec_lo, s0
	s_mov_b32 s1, -1
	s_wait_storecnt 0x0
	s_barrier_signal -1
	s_barrier_wait -1
.LBB19_88:
	s_and_b32 vcc_lo, exec_lo, s1
	s_cbranch_vccz .LBB19_90
; %bb.89:
	v_mov_b32_e32 v1, 0
	s_lshl_b64 s[0:1], s[16:17], 2
	s_delay_alu instid0(SALU_CYCLE_1)
	s_add_nc_u64 s[0:1], s[6:7], s[0:1]
	global_load_b32 v1, v1, s[0:1]
	s_wait_loadcnt 0x0
	v_cmp_ne_u32_e32 vcc_lo, 0, v1
	s_cbranch_vccz .LBB19_91
.LBB19_90:
	s_sendmsg sendmsg(MSG_DEALLOC_VGPRS)
	s_endpgm
.LBB19_91:
	s_wait_xcnt 0x0
	v_lshl_add_u32 v1, v0, 3, 0xa0
	s_mov_b32 s0, exec_lo
	v_cmpx_eq_u32_e32 19, v0
	s_cbranch_execz .LBB19_93
; %bb.92:
	scratch_load_b64 v[2:3], off, off offset:144
	v_mov_b64_e32 v[44:45], 0
	scratch_store_b64 off, v[44:45], off offset:144
	s_wait_loadcnt 0x0
	ds_store_b64 v1, v[2:3]
.LBB19_93:
	s_wait_xcnt 0x0
	s_or_b32 exec_lo, exec_lo, s0
	s_wait_storecnt_dscnt 0x0
	s_barrier_signal -1
	s_barrier_wait -1
	scratch_load_b128 v[44:47], off, off offset:144
	v_mov_b32_e32 v2, 0
	s_mov_b32 s0, exec_lo
	ds_load_b64 v[48:49], v2 offset:312
	s_wait_loadcnt_dscnt 0x0
	v_fma_f64 v[46:47], v[46:47], v[48:49], 0
	s_delay_alu instid0(VALU_DEP_1)
	v_add_f64_e64 v[44:45], v[44:45], -v[46:47]
	scratch_store_b64 off, v[44:45], off offset:144
	s_wait_xcnt 0x0
	v_cmpx_lt_u32_e32 17, v0
	s_cbranch_execz .LBB19_95
; %bb.94:
	scratch_load_b64 v[44:45], off, off offset:136
	v_mov_b64_e32 v[46:47], 0
	scratch_store_b64 off, v[46:47], off offset:136
	s_wait_loadcnt 0x0
	ds_store_b64 v1, v[44:45]
.LBB19_95:
	s_wait_xcnt 0x0
	s_or_b32 exec_lo, exec_lo, s0
	s_wait_storecnt_dscnt 0x0
	s_barrier_signal -1
	s_barrier_wait -1
	s_clause 0x1
	scratch_load_b128 v[44:47], off, off offset:136
	scratch_load_b64 v[52:53], off, off offset:152
	ds_load_b128 v[48:51], v2 offset:304
	s_mov_b32 s0, exec_lo
	s_wait_loadcnt_dscnt 0x100
	v_fma_f64 v[2:3], v[46:47], v[48:49], 0
	s_wait_loadcnt 0x0
	s_delay_alu instid0(VALU_DEP_1) | instskip(NEXT) | instid1(VALU_DEP_1)
	v_fmac_f64_e32 v[2:3], v[52:53], v[50:51]
	v_add_f64_e64 v[2:3], v[44:45], -v[2:3]
	scratch_store_b64 off, v[2:3], off offset:136
	s_wait_xcnt 0x0
	v_cmpx_lt_u32_e32 16, v0
	s_cbranch_execz .LBB19_97
; %bb.96:
	scratch_load_b64 v[2:3], off, off offset:128
	v_mov_b64_e32 v[44:45], 0
	scratch_store_b64 off, v[44:45], off offset:128
	s_wait_loadcnt 0x0
	ds_store_b64 v1, v[2:3]
.LBB19_97:
	s_wait_xcnt 0x0
	s_or_b32 exec_lo, exec_lo, s0
	s_wait_storecnt_dscnt 0x0
	s_barrier_signal -1
	s_barrier_wait -1
	s_clause 0x1
	scratch_load_b128 v[44:47], off, off offset:128
	scratch_load_b128 v[48:51], off, off offset:144
	v_mov_b32_e32 v2, 0
	ds_load_2addr_b64 v[52:55], v2 offset0:37 offset1:38
	ds_load_b64 v[56:57], v2 offset:312
	s_mov_b32 s0, exec_lo
	s_wait_loadcnt_dscnt 0x101
	v_fma_f64 v[46:47], v[46:47], v[52:53], 0
	s_wait_loadcnt 0x0
	s_delay_alu instid0(VALU_DEP_1) | instskip(SKIP_1) | instid1(VALU_DEP_1)
	v_fmac_f64_e32 v[46:47], v[48:49], v[54:55]
	s_wait_dscnt 0x0
	v_fmac_f64_e32 v[46:47], v[50:51], v[56:57]
	s_delay_alu instid0(VALU_DEP_1)
	v_add_f64_e64 v[44:45], v[44:45], -v[46:47]
	scratch_store_b64 off, v[44:45], off offset:128
	s_wait_xcnt 0x0
	v_cmpx_lt_u32_e32 15, v0
	s_cbranch_execz .LBB19_99
; %bb.98:
	scratch_load_b64 v[44:45], off, off offset:120
	v_mov_b64_e32 v[46:47], 0
	scratch_store_b64 off, v[46:47], off offset:120
	s_wait_loadcnt 0x0
	ds_store_b64 v1, v[44:45]
.LBB19_99:
	s_wait_xcnt 0x0
	s_or_b32 exec_lo, exec_lo, s0
	s_wait_storecnt_dscnt 0x0
	s_barrier_signal -1
	s_barrier_wait -1
	s_clause 0x2
	scratch_load_b128 v[44:47], off, off offset:120
	scratch_load_b128 v[48:51], off, off offset:136
	scratch_load_b64 v[60:61], off, off offset:152
	ds_load_b128 v[52:55], v2 offset:288
	ds_load_b128 v[56:59], v2 offset:304
	s_mov_b32 s0, exec_lo
	s_wait_loadcnt_dscnt 0x201
	v_fma_f64 v[2:3], v[46:47], v[52:53], 0
	s_wait_loadcnt 0x1
	s_delay_alu instid0(VALU_DEP_1) | instskip(SKIP_1) | instid1(VALU_DEP_1)
	v_fmac_f64_e32 v[2:3], v[48:49], v[54:55]
	s_wait_dscnt 0x0
	v_fmac_f64_e32 v[2:3], v[50:51], v[56:57]
	s_wait_loadcnt 0x0
	s_delay_alu instid0(VALU_DEP_1) | instskip(NEXT) | instid1(VALU_DEP_1)
	v_fmac_f64_e32 v[2:3], v[60:61], v[58:59]
	v_add_f64_e64 v[2:3], v[44:45], -v[2:3]
	scratch_store_b64 off, v[2:3], off offset:120
	s_wait_xcnt 0x0
	v_cmpx_lt_u32_e32 14, v0
	s_cbranch_execz .LBB19_101
; %bb.100:
	scratch_load_b64 v[2:3], off, off offset:112
	v_mov_b64_e32 v[44:45], 0
	scratch_store_b64 off, v[44:45], off offset:112
	s_wait_loadcnt 0x0
	ds_store_b64 v1, v[2:3]
.LBB19_101:
	s_wait_xcnt 0x0
	s_or_b32 exec_lo, exec_lo, s0
	s_wait_storecnt_dscnt 0x0
	s_barrier_signal -1
	s_barrier_wait -1
	s_clause 0x2
	scratch_load_b128 v[44:47], off, off offset:112
	scratch_load_b128 v[48:51], off, off offset:128
	;; [unrolled: 1-line block ×3, first 2 shown]
	v_mov_b32_e32 v2, 0
	ds_load_2addr_b64 v[56:59], v2 offset0:35 offset1:36
	ds_load_2addr_b64 v[60:63], v2 offset0:37 offset1:38
	s_mov_b32 s0, exec_lo
	s_wait_loadcnt_dscnt 0x201
	v_fma_f64 v[46:47], v[46:47], v[56:57], 0
	s_wait_loadcnt 0x1
	s_delay_alu instid0(VALU_DEP_1) | instskip(SKIP_4) | instid1(VALU_DEP_1)
	v_fmac_f64_e32 v[46:47], v[48:49], v[58:59]
	ds_load_b64 v[48:49], v2 offset:312
	s_wait_dscnt 0x1
	v_fmac_f64_e32 v[46:47], v[50:51], v[60:61]
	s_wait_loadcnt 0x0
	v_fmac_f64_e32 v[46:47], v[52:53], v[62:63]
	s_wait_dscnt 0x0
	s_delay_alu instid0(VALU_DEP_1) | instskip(NEXT) | instid1(VALU_DEP_1)
	v_fmac_f64_e32 v[46:47], v[54:55], v[48:49]
	v_add_f64_e64 v[44:45], v[44:45], -v[46:47]
	scratch_store_b64 off, v[44:45], off offset:112
	s_wait_xcnt 0x0
	v_cmpx_lt_u32_e32 13, v0
	s_cbranch_execz .LBB19_103
; %bb.102:
	scratch_load_b64 v[44:45], off, off offset:104
	v_mov_b64_e32 v[46:47], 0
	scratch_store_b64 off, v[46:47], off offset:104
	s_wait_loadcnt 0x0
	ds_store_b64 v1, v[44:45]
.LBB19_103:
	s_wait_xcnt 0x0
	s_or_b32 exec_lo, exec_lo, s0
	s_wait_storecnt_dscnt 0x0
	s_barrier_signal -1
	s_barrier_wait -1
	s_clause 0x3
	scratch_load_b128 v[44:47], off, off offset:104
	scratch_load_b128 v[48:51], off, off offset:120
	;; [unrolled: 1-line block ×3, first 2 shown]
	scratch_load_b64 v[64:65], off, off offset:152
	ds_load_b128 v[56:59], v2 offset:272
	ds_load_b128 v[60:63], v2 offset:288
	s_mov_b32 s0, exec_lo
	s_wait_loadcnt_dscnt 0x301
	v_fma_f64 v[56:57], v[46:47], v[56:57], 0
	s_wait_loadcnt 0x2
	s_delay_alu instid0(VALU_DEP_1) | instskip(SKIP_4) | instid1(VALU_DEP_1)
	v_fmac_f64_e32 v[56:57], v[48:49], v[58:59]
	ds_load_b128 v[46:49], v2 offset:304
	s_wait_dscnt 0x1
	v_fmac_f64_e32 v[56:57], v[50:51], v[60:61]
	s_wait_loadcnt 0x1
	v_fmac_f64_e32 v[56:57], v[52:53], v[62:63]
	s_wait_dscnt 0x0
	s_delay_alu instid0(VALU_DEP_1) | instskip(SKIP_1) | instid1(VALU_DEP_1)
	v_fmac_f64_e32 v[56:57], v[54:55], v[46:47]
	s_wait_loadcnt 0x0
	v_fmac_f64_e32 v[56:57], v[64:65], v[48:49]
	s_delay_alu instid0(VALU_DEP_1)
	v_add_f64_e64 v[2:3], v[44:45], -v[56:57]
	scratch_store_b64 off, v[2:3], off offset:104
	s_wait_xcnt 0x0
	v_cmpx_lt_u32_e32 12, v0
	s_cbranch_execz .LBB19_105
; %bb.104:
	scratch_load_b64 v[2:3], off, off offset:96
	v_mov_b64_e32 v[44:45], 0
	scratch_store_b64 off, v[44:45], off offset:96
	s_wait_loadcnt 0x0
	ds_store_b64 v1, v[2:3]
.LBB19_105:
	s_wait_xcnt 0x0
	s_or_b32 exec_lo, exec_lo, s0
	s_wait_storecnt_dscnt 0x0
	s_barrier_signal -1
	s_barrier_wait -1
	s_clause 0x3
	scratch_load_b128 v[44:47], off, off offset:96
	scratch_load_b128 v[48:51], off, off offset:112
	;; [unrolled: 1-line block ×4, first 2 shown]
	v_mov_b32_e32 v2, 0
	ds_load_2addr_b64 v[60:63], v2 offset0:33 offset1:34
	ds_load_2addr_b64 v[64:67], v2 offset0:35 offset1:36
	s_mov_b32 s0, exec_lo
	s_wait_loadcnt_dscnt 0x301
	v_fma_f64 v[60:61], v[46:47], v[60:61], 0
	s_wait_loadcnt 0x2
	s_delay_alu instid0(VALU_DEP_1) | instskip(SKIP_1) | instid1(VALU_DEP_1)
	v_fmac_f64_e32 v[60:61], v[48:49], v[62:63]
	s_wait_dscnt 0x0
	v_fmac_f64_e32 v[60:61], v[50:51], v[64:65]
	ds_load_2addr_b64 v[46:49], v2 offset0:37 offset1:38
	ds_load_b64 v[50:51], v2 offset:312
	s_wait_loadcnt 0x1
	v_fmac_f64_e32 v[60:61], v[52:53], v[66:67]
	s_wait_dscnt 0x1
	s_delay_alu instid0(VALU_DEP_1) | instskip(SKIP_1) | instid1(VALU_DEP_1)
	v_fmac_f64_e32 v[60:61], v[54:55], v[46:47]
	s_wait_loadcnt 0x0
	v_fmac_f64_e32 v[60:61], v[56:57], v[48:49]
	s_wait_dscnt 0x0
	s_delay_alu instid0(VALU_DEP_1) | instskip(NEXT) | instid1(VALU_DEP_1)
	v_fmac_f64_e32 v[60:61], v[58:59], v[50:51]
	v_add_f64_e64 v[44:45], v[44:45], -v[60:61]
	scratch_store_b64 off, v[44:45], off offset:96
	s_wait_xcnt 0x0
	v_cmpx_lt_u32_e32 11, v0
	s_cbranch_execz .LBB19_107
; %bb.106:
	scratch_load_b64 v[44:45], off, off offset:88
	v_mov_b64_e32 v[46:47], 0
	scratch_store_b64 off, v[46:47], off offset:88
	s_wait_loadcnt 0x0
	ds_store_b64 v1, v[44:45]
.LBB19_107:
	s_wait_xcnt 0x0
	s_or_b32 exec_lo, exec_lo, s0
	s_wait_storecnt_dscnt 0x0
	s_barrier_signal -1
	s_barrier_wait -1
	s_clause 0x4
	scratch_load_b128 v[44:47], off, off offset:88
	scratch_load_b128 v[48:51], off, off offset:104
	;; [unrolled: 1-line block ×4, first 2 shown]
	scratch_load_b64 v[68:69], off, off offset:152
	ds_load_b128 v[60:63], v2 offset:256
	ds_load_b128 v[64:67], v2 offset:272
	s_mov_b32 s0, exec_lo
	s_wait_loadcnt_dscnt 0x401
	v_fma_f64 v[60:61], v[46:47], v[60:61], 0
	s_wait_loadcnt 0x3
	s_delay_alu instid0(VALU_DEP_1) | instskip(SKIP_1) | instid1(VALU_DEP_1)
	v_fmac_f64_e32 v[60:61], v[48:49], v[62:63]
	s_wait_dscnt 0x0
	v_fmac_f64_e32 v[60:61], v[50:51], v[64:65]
	s_wait_loadcnt 0x2
	s_delay_alu instid0(VALU_DEP_1)
	v_fmac_f64_e32 v[60:61], v[52:53], v[66:67]
	ds_load_b128 v[46:49], v2 offset:288
	ds_load_b128 v[50:53], v2 offset:304
	s_wait_dscnt 0x1
	v_fmac_f64_e32 v[60:61], v[54:55], v[46:47]
	s_wait_loadcnt 0x1
	s_delay_alu instid0(VALU_DEP_1) | instskip(SKIP_1) | instid1(VALU_DEP_1)
	v_fmac_f64_e32 v[60:61], v[56:57], v[48:49]
	s_wait_dscnt 0x0
	v_fmac_f64_e32 v[60:61], v[58:59], v[50:51]
	s_wait_loadcnt 0x0
	s_delay_alu instid0(VALU_DEP_1) | instskip(NEXT) | instid1(VALU_DEP_1)
	v_fmac_f64_e32 v[60:61], v[68:69], v[52:53]
	v_add_f64_e64 v[2:3], v[44:45], -v[60:61]
	scratch_store_b64 off, v[2:3], off offset:88
	s_wait_xcnt 0x0
	v_cmpx_lt_u32_e32 10, v0
	s_cbranch_execz .LBB19_109
; %bb.108:
	scratch_load_b64 v[2:3], off, off offset:80
	v_mov_b64_e32 v[44:45], 0
	scratch_store_b64 off, v[44:45], off offset:80
	s_wait_loadcnt 0x0
	ds_store_b64 v1, v[2:3]
.LBB19_109:
	s_wait_xcnt 0x0
	s_or_b32 exec_lo, exec_lo, s0
	s_wait_storecnt_dscnt 0x0
	s_barrier_signal -1
	s_barrier_wait -1
	s_clause 0x4
	scratch_load_b128 v[44:47], off, off offset:80
	scratch_load_b128 v[48:51], off, off offset:96
	;; [unrolled: 1-line block ×5, first 2 shown]
	v_mov_b32_e32 v2, 0
	ds_load_2addr_b64 v[64:67], v2 offset0:31 offset1:32
	ds_load_2addr_b64 v[68:71], v2 offset0:33 offset1:34
	s_mov_b32 s0, exec_lo
	s_wait_loadcnt_dscnt 0x401
	v_fma_f64 v[64:65], v[46:47], v[64:65], 0
	s_wait_loadcnt 0x3
	s_delay_alu instid0(VALU_DEP_1) | instskip(SKIP_1) | instid1(VALU_DEP_1)
	v_fmac_f64_e32 v[64:65], v[48:49], v[66:67]
	s_wait_dscnt 0x0
	v_fmac_f64_e32 v[64:65], v[50:51], v[68:69]
	s_wait_loadcnt 0x2
	s_delay_alu instid0(VALU_DEP_1)
	v_fmac_f64_e32 v[64:65], v[52:53], v[70:71]
	ds_load_2addr_b64 v[46:49], v2 offset0:35 offset1:36
	ds_load_2addr_b64 v[50:53], v2 offset0:37 offset1:38
	s_wait_dscnt 0x1
	v_fmac_f64_e32 v[64:65], v[54:55], v[46:47]
	ds_load_b64 v[46:47], v2 offset:312
	s_wait_loadcnt 0x1
	v_fmac_f64_e32 v[64:65], v[56:57], v[48:49]
	s_wait_dscnt 0x1
	s_delay_alu instid0(VALU_DEP_1) | instskip(SKIP_1) | instid1(VALU_DEP_1)
	v_fmac_f64_e32 v[64:65], v[58:59], v[50:51]
	s_wait_loadcnt 0x0
	v_fmac_f64_e32 v[64:65], v[60:61], v[52:53]
	s_wait_dscnt 0x0
	s_delay_alu instid0(VALU_DEP_1) | instskip(NEXT) | instid1(VALU_DEP_1)
	v_fmac_f64_e32 v[64:65], v[62:63], v[46:47]
	v_add_f64_e64 v[44:45], v[44:45], -v[64:65]
	scratch_store_b64 off, v[44:45], off offset:80
	s_wait_xcnt 0x0
	v_cmpx_lt_u32_e32 9, v0
	s_cbranch_execz .LBB19_111
; %bb.110:
	scratch_load_b64 v[44:45], off, off offset:72
	v_mov_b64_e32 v[46:47], 0
	scratch_store_b64 off, v[46:47], off offset:72
	s_wait_loadcnt 0x0
	ds_store_b64 v1, v[44:45]
.LBB19_111:
	s_wait_xcnt 0x0
	s_or_b32 exec_lo, exec_lo, s0
	s_wait_storecnt_dscnt 0x0
	s_barrier_signal -1
	s_barrier_wait -1
	s_clause 0x5
	scratch_load_b128 v[44:47], off, off offset:72
	scratch_load_b128 v[48:51], off, off offset:88
	;; [unrolled: 1-line block ×5, first 2 shown]
	scratch_load_b64 v[72:73], off, off offset:152
	ds_load_b128 v[64:67], v2 offset:240
	ds_load_b128 v[68:71], v2 offset:256
	s_mov_b32 s0, exec_lo
	s_wait_loadcnt_dscnt 0x501
	v_fma_f64 v[64:65], v[46:47], v[64:65], 0
	s_wait_loadcnt 0x4
	s_delay_alu instid0(VALU_DEP_1) | instskip(SKIP_1) | instid1(VALU_DEP_1)
	v_fmac_f64_e32 v[64:65], v[48:49], v[66:67]
	s_wait_dscnt 0x0
	v_fmac_f64_e32 v[64:65], v[50:51], v[68:69]
	s_wait_loadcnt 0x3
	s_delay_alu instid0(VALU_DEP_1)
	v_fmac_f64_e32 v[64:65], v[52:53], v[70:71]
	ds_load_b128 v[46:49], v2 offset:272
	ds_load_b128 v[50:53], v2 offset:288
	s_wait_dscnt 0x1
	v_fmac_f64_e32 v[64:65], v[54:55], v[46:47]
	s_wait_loadcnt 0x2
	s_delay_alu instid0(VALU_DEP_1) | instskip(SKIP_4) | instid1(VALU_DEP_1)
	v_fmac_f64_e32 v[64:65], v[56:57], v[48:49]
	ds_load_b128 v[46:49], v2 offset:304
	s_wait_dscnt 0x1
	v_fmac_f64_e32 v[64:65], v[58:59], v[50:51]
	s_wait_loadcnt 0x1
	v_fmac_f64_e32 v[64:65], v[60:61], v[52:53]
	s_wait_dscnt 0x0
	s_delay_alu instid0(VALU_DEP_1) | instskip(SKIP_1) | instid1(VALU_DEP_1)
	v_fmac_f64_e32 v[64:65], v[62:63], v[46:47]
	s_wait_loadcnt 0x0
	v_fmac_f64_e32 v[64:65], v[72:73], v[48:49]
	s_delay_alu instid0(VALU_DEP_1)
	v_add_f64_e64 v[2:3], v[44:45], -v[64:65]
	scratch_store_b64 off, v[2:3], off offset:72
	s_wait_xcnt 0x0
	v_cmpx_lt_u32_e32 8, v0
	s_cbranch_execz .LBB19_113
; %bb.112:
	scratch_load_b64 v[2:3], off, off offset:64
	v_mov_b64_e32 v[44:45], 0
	scratch_store_b64 off, v[44:45], off offset:64
	s_wait_loadcnt 0x0
	ds_store_b64 v1, v[2:3]
.LBB19_113:
	s_wait_xcnt 0x0
	s_or_b32 exec_lo, exec_lo, s0
	s_wait_storecnt_dscnt 0x0
	s_barrier_signal -1
	s_barrier_wait -1
	s_clause 0x5
	scratch_load_b128 v[44:47], off, off offset:64
	scratch_load_b128 v[48:51], off, off offset:80
	;; [unrolled: 1-line block ×6, first 2 shown]
	v_mov_b32_e32 v2, 0
	ds_load_2addr_b64 v[68:71], v2 offset0:29 offset1:30
	ds_load_2addr_b64 v[72:75], v2 offset0:31 offset1:32
	s_mov_b32 s0, exec_lo
	s_wait_loadcnt_dscnt 0x501
	v_fma_f64 v[68:69], v[46:47], v[68:69], 0
	s_wait_loadcnt 0x4
	s_delay_alu instid0(VALU_DEP_1) | instskip(SKIP_1) | instid1(VALU_DEP_1)
	v_fmac_f64_e32 v[68:69], v[48:49], v[70:71]
	s_wait_dscnt 0x0
	v_fmac_f64_e32 v[68:69], v[50:51], v[72:73]
	s_wait_loadcnt 0x3
	s_delay_alu instid0(VALU_DEP_1)
	v_fmac_f64_e32 v[68:69], v[52:53], v[74:75]
	ds_load_2addr_b64 v[46:49], v2 offset0:33 offset1:34
	ds_load_2addr_b64 v[50:53], v2 offset0:35 offset1:36
	s_wait_dscnt 0x1
	v_fmac_f64_e32 v[68:69], v[54:55], v[46:47]
	s_wait_loadcnt 0x2
	s_delay_alu instid0(VALU_DEP_1) | instskip(SKIP_1) | instid1(VALU_DEP_1)
	v_fmac_f64_e32 v[68:69], v[56:57], v[48:49]
	s_wait_dscnt 0x0
	v_fmac_f64_e32 v[68:69], v[58:59], v[50:51]
	ds_load_2addr_b64 v[46:49], v2 offset0:37 offset1:38
	ds_load_b64 v[50:51], v2 offset:312
	s_wait_loadcnt 0x1
	v_fmac_f64_e32 v[68:69], v[60:61], v[52:53]
	s_wait_dscnt 0x1
	s_delay_alu instid0(VALU_DEP_1) | instskip(SKIP_1) | instid1(VALU_DEP_1)
	v_fmac_f64_e32 v[68:69], v[62:63], v[46:47]
	s_wait_loadcnt 0x0
	v_fmac_f64_e32 v[68:69], v[64:65], v[48:49]
	s_wait_dscnt 0x0
	s_delay_alu instid0(VALU_DEP_1) | instskip(NEXT) | instid1(VALU_DEP_1)
	v_fmac_f64_e32 v[68:69], v[66:67], v[50:51]
	v_add_f64_e64 v[44:45], v[44:45], -v[68:69]
	scratch_store_b64 off, v[44:45], off offset:64
	s_wait_xcnt 0x0
	v_cmpx_lt_u32_e32 7, v0
	s_cbranch_execz .LBB19_115
; %bb.114:
	scratch_load_b64 v[44:45], off, off offset:56
	v_mov_b64_e32 v[46:47], 0
	scratch_store_b64 off, v[46:47], off offset:56
	s_wait_loadcnt 0x0
	ds_store_b64 v1, v[44:45]
.LBB19_115:
	s_wait_xcnt 0x0
	s_or_b32 exec_lo, exec_lo, s0
	s_wait_storecnt_dscnt 0x0
	s_barrier_signal -1
	s_barrier_wait -1
	s_clause 0x5
	scratch_load_b128 v[44:47], off, off offset:56
	scratch_load_b128 v[48:51], off, off offset:72
	;; [unrolled: 1-line block ×6, first 2 shown]
	ds_load_b128 v[68:71], v2 offset:224
	ds_load_b128 v[72:75], v2 offset:240
	s_mov_b32 s0, exec_lo
	s_wait_loadcnt_dscnt 0x501
	v_fma_f64 v[68:69], v[46:47], v[68:69], 0
	s_wait_loadcnt 0x4
	s_delay_alu instid0(VALU_DEP_1) | instskip(SKIP_4) | instid1(VALU_DEP_1)
	v_fmac_f64_e32 v[68:69], v[48:49], v[70:71]
	scratch_load_b64 v[70:71], off, off offset:152
	s_wait_dscnt 0x0
	v_fmac_f64_e32 v[68:69], v[50:51], v[72:73]
	s_wait_loadcnt 0x4
	v_fmac_f64_e32 v[68:69], v[52:53], v[74:75]
	ds_load_b128 v[46:49], v2 offset:256
	ds_load_b128 v[50:53], v2 offset:272
	s_wait_dscnt 0x1
	v_fmac_f64_e32 v[68:69], v[54:55], v[46:47]
	s_wait_loadcnt 0x3
	s_delay_alu instid0(VALU_DEP_1) | instskip(SKIP_1) | instid1(VALU_DEP_1)
	v_fmac_f64_e32 v[68:69], v[56:57], v[48:49]
	s_wait_dscnt 0x0
	v_fmac_f64_e32 v[68:69], v[58:59], v[50:51]
	s_wait_loadcnt 0x2
	s_delay_alu instid0(VALU_DEP_1)
	v_fmac_f64_e32 v[68:69], v[60:61], v[52:53]
	ds_load_b128 v[46:49], v2 offset:288
	ds_load_b128 v[50:53], v2 offset:304
	s_wait_dscnt 0x1
	v_fmac_f64_e32 v[68:69], v[62:63], v[46:47]
	s_wait_loadcnt 0x1
	s_delay_alu instid0(VALU_DEP_1) | instskip(SKIP_1) | instid1(VALU_DEP_1)
	v_fmac_f64_e32 v[68:69], v[64:65], v[48:49]
	s_wait_dscnt 0x0
	v_fmac_f64_e32 v[68:69], v[66:67], v[50:51]
	s_wait_loadcnt 0x0
	s_delay_alu instid0(VALU_DEP_1) | instskip(NEXT) | instid1(VALU_DEP_1)
	v_fmac_f64_e32 v[68:69], v[70:71], v[52:53]
	v_add_f64_e64 v[2:3], v[44:45], -v[68:69]
	scratch_store_b64 off, v[2:3], off offset:56
	s_wait_xcnt 0x0
	v_cmpx_lt_u32_e32 6, v0
	s_cbranch_execz .LBB19_117
; %bb.116:
	scratch_load_b64 v[2:3], off, off offset:48
	v_mov_b64_e32 v[44:45], 0
	scratch_store_b64 off, v[44:45], off offset:48
	s_wait_loadcnt 0x0
	ds_store_b64 v1, v[2:3]
.LBB19_117:
	s_wait_xcnt 0x0
	s_or_b32 exec_lo, exec_lo, s0
	s_wait_storecnt_dscnt 0x0
	s_barrier_signal -1
	s_barrier_wait -1
	s_clause 0x5
	scratch_load_b128 v[44:47], off, off offset:48
	scratch_load_b128 v[48:51], off, off offset:64
	;; [unrolled: 1-line block ×6, first 2 shown]
	v_mov_b32_e32 v2, 0
	ds_load_2addr_b64 v[68:71], v2 offset0:27 offset1:28
	ds_load_2addr_b64 v[72:75], v2 offset0:29 offset1:30
	s_mov_b32 s0, exec_lo
	s_wait_loadcnt_dscnt 0x501
	v_fma_f64 v[76:77], v[46:47], v[68:69], 0
	s_wait_loadcnt 0x4
	s_delay_alu instid0(VALU_DEP_1) | instskip(SKIP_4) | instid1(VALU_DEP_1)
	v_fmac_f64_e32 v[76:77], v[48:49], v[70:71]
	scratch_load_b128 v[46:49], off, off offset:144
	s_wait_dscnt 0x0
	v_fmac_f64_e32 v[76:77], v[50:51], v[72:73]
	s_wait_loadcnt 0x4
	v_fmac_f64_e32 v[76:77], v[52:53], v[74:75]
	ds_load_2addr_b64 v[50:53], v2 offset0:31 offset1:32
	ds_load_2addr_b64 v[68:71], v2 offset0:33 offset1:34
	s_wait_dscnt 0x1
	v_fmac_f64_e32 v[76:77], v[54:55], v[50:51]
	s_wait_loadcnt 0x3
	s_delay_alu instid0(VALU_DEP_1)
	v_fmac_f64_e32 v[76:77], v[56:57], v[52:53]
	ds_load_2addr_b64 v[50:53], v2 offset0:35 offset1:36
	ds_load_2addr_b64 v[54:57], v2 offset0:37 offset1:38
	s_wait_dscnt 0x2
	v_fmac_f64_e32 v[76:77], v[58:59], v[68:69]
	s_wait_loadcnt 0x2
	s_delay_alu instid0(VALU_DEP_1) | instskip(SKIP_1) | instid1(VALU_DEP_1)
	v_fmac_f64_e32 v[76:77], v[60:61], v[70:71]
	s_wait_dscnt 0x1
	v_fmac_f64_e32 v[76:77], v[62:63], v[50:51]
	s_wait_loadcnt 0x1
	s_delay_alu instid0(VALU_DEP_1) | instskip(SKIP_1) | instid1(VALU_DEP_1)
	v_fmac_f64_e32 v[76:77], v[64:65], v[52:53]
	s_wait_dscnt 0x0
	v_fmac_f64_e32 v[76:77], v[66:67], v[54:55]
	s_wait_loadcnt 0x0
	s_delay_alu instid0(VALU_DEP_1) | instskip(SKIP_3) | instid1(VALU_DEP_1)
	v_fmac_f64_e32 v[76:77], v[46:47], v[56:57]
	ds_load_b64 v[46:47], v2 offset:312
	s_wait_dscnt 0x0
	v_fmac_f64_e32 v[76:77], v[48:49], v[46:47]
	v_add_f64_e64 v[44:45], v[44:45], -v[76:77]
	scratch_store_b64 off, v[44:45], off offset:48
	s_wait_xcnt 0x0
	v_cmpx_lt_u32_e32 5, v0
	s_cbranch_execz .LBB19_119
; %bb.118:
	scratch_load_b64 v[44:45], off, off offset:40
	v_mov_b64_e32 v[46:47], 0
	scratch_store_b64 off, v[46:47], off offset:40
	s_wait_loadcnt 0x0
	ds_store_b64 v1, v[44:45]
.LBB19_119:
	s_wait_xcnt 0x0
	s_or_b32 exec_lo, exec_lo, s0
	s_wait_storecnt_dscnt 0x0
	s_barrier_signal -1
	s_barrier_wait -1
	s_clause 0x5
	scratch_load_b128 v[44:47], off, off offset:40
	scratch_load_b128 v[48:51], off, off offset:56
	;; [unrolled: 1-line block ×6, first 2 shown]
	ds_load_b128 v[68:71], v2 offset:208
	ds_load_b128 v[72:75], v2 offset:224
	s_mov_b32 s0, exec_lo
	s_wait_loadcnt_dscnt 0x501
	v_fma_f64 v[76:77], v[46:47], v[68:69], 0
	s_wait_loadcnt 0x4
	s_delay_alu instid0(VALU_DEP_1)
	v_fmac_f64_e32 v[76:77], v[48:49], v[70:71]
	scratch_load_b128 v[46:49], off, off offset:136
	s_wait_dscnt 0x0
	v_fmac_f64_e32 v[76:77], v[50:51], v[72:73]
	scratch_load_b64 v[72:73], off, off offset:152
	s_wait_loadcnt 0x5
	v_fmac_f64_e32 v[76:77], v[52:53], v[74:75]
	ds_load_b128 v[50:53], v2 offset:240
	ds_load_b128 v[68:71], v2 offset:256
	s_wait_dscnt 0x1
	v_fmac_f64_e32 v[76:77], v[54:55], v[50:51]
	s_wait_loadcnt 0x4
	s_delay_alu instid0(VALU_DEP_1)
	v_fmac_f64_e32 v[76:77], v[56:57], v[52:53]
	ds_load_b128 v[50:53], v2 offset:272
	ds_load_b128 v[54:57], v2 offset:288
	s_wait_dscnt 0x2
	v_fmac_f64_e32 v[76:77], v[58:59], v[68:69]
	s_wait_loadcnt 0x3
	s_delay_alu instid0(VALU_DEP_1) | instskip(SKIP_1) | instid1(VALU_DEP_1)
	v_fmac_f64_e32 v[76:77], v[60:61], v[70:71]
	s_wait_dscnt 0x1
	v_fmac_f64_e32 v[76:77], v[62:63], v[50:51]
	s_wait_loadcnt 0x2
	s_delay_alu instid0(VALU_DEP_1) | instskip(SKIP_4) | instid1(VALU_DEP_1)
	v_fmac_f64_e32 v[76:77], v[64:65], v[52:53]
	ds_load_b128 v[50:53], v2 offset:304
	s_wait_dscnt 0x1
	v_fmac_f64_e32 v[76:77], v[66:67], v[54:55]
	s_wait_loadcnt 0x1
	v_fmac_f64_e32 v[76:77], v[46:47], v[56:57]
	s_wait_dscnt 0x0
	s_delay_alu instid0(VALU_DEP_1) | instskip(SKIP_1) | instid1(VALU_DEP_1)
	v_fmac_f64_e32 v[76:77], v[48:49], v[50:51]
	s_wait_loadcnt 0x0
	v_fmac_f64_e32 v[76:77], v[72:73], v[52:53]
	s_delay_alu instid0(VALU_DEP_1)
	v_add_f64_e64 v[2:3], v[44:45], -v[76:77]
	scratch_store_b64 off, v[2:3], off offset:40
	s_wait_xcnt 0x0
	v_cmpx_lt_u32_e32 4, v0
	s_cbranch_execz .LBB19_121
; %bb.120:
	scratch_load_b64 v[2:3], off, off offset:32
	v_mov_b64_e32 v[44:45], 0
	scratch_store_b64 off, v[44:45], off offset:32
	s_wait_loadcnt 0x0
	ds_store_b64 v1, v[2:3]
.LBB19_121:
	s_wait_xcnt 0x0
	s_or_b32 exec_lo, exec_lo, s0
	s_wait_storecnt_dscnt 0x0
	s_barrier_signal -1
	s_barrier_wait -1
	s_clause 0x5
	scratch_load_b128 v[44:47], off, off offset:32
	scratch_load_b128 v[48:51], off, off offset:48
	;; [unrolled: 1-line block ×6, first 2 shown]
	v_mov_b32_e32 v2, 0
	ds_load_2addr_b64 v[68:71], v2 offset0:25 offset1:26
	ds_load_2addr_b64 v[72:75], v2 offset0:27 offset1:28
	s_mov_b32 s0, exec_lo
	s_wait_loadcnt_dscnt 0x501
	v_fma_f64 v[76:77], v[46:47], v[68:69], 0
	s_wait_loadcnt 0x4
	s_delay_alu instid0(VALU_DEP_1) | instskip(SKIP_4) | instid1(VALU_DEP_1)
	v_fmac_f64_e32 v[76:77], v[48:49], v[70:71]
	scratch_load_b128 v[46:49], off, off offset:128
	s_wait_dscnt 0x0
	v_fmac_f64_e32 v[76:77], v[50:51], v[72:73]
	s_wait_loadcnt 0x4
	v_fmac_f64_e32 v[76:77], v[52:53], v[74:75]
	scratch_load_b128 v[50:53], off, off offset:144
	ds_load_2addr_b64 v[68:71], v2 offset0:29 offset1:30
	ds_load_2addr_b64 v[72:75], v2 offset0:31 offset1:32
	s_wait_dscnt 0x1
	v_fmac_f64_e32 v[76:77], v[54:55], v[68:69]
	s_wait_loadcnt 0x4
	s_delay_alu instid0(VALU_DEP_1) | instskip(SKIP_1) | instid1(VALU_DEP_1)
	v_fmac_f64_e32 v[76:77], v[56:57], v[70:71]
	s_wait_dscnt 0x0
	v_fmac_f64_e32 v[76:77], v[58:59], v[72:73]
	s_wait_loadcnt 0x3
	s_delay_alu instid0(VALU_DEP_1)
	v_fmac_f64_e32 v[76:77], v[60:61], v[74:75]
	ds_load_2addr_b64 v[54:57], v2 offset0:33 offset1:34
	ds_load_2addr_b64 v[58:61], v2 offset0:35 offset1:36
	s_wait_dscnt 0x1
	v_fmac_f64_e32 v[76:77], v[62:63], v[54:55]
	s_wait_loadcnt 0x2
	s_delay_alu instid0(VALU_DEP_1) | instskip(SKIP_1) | instid1(VALU_DEP_1)
	v_fmac_f64_e32 v[76:77], v[64:65], v[56:57]
	s_wait_dscnt 0x0
	v_fmac_f64_e32 v[76:77], v[66:67], v[58:59]
	s_wait_loadcnt 0x1
	s_delay_alu instid0(VALU_DEP_1)
	v_fmac_f64_e32 v[76:77], v[46:47], v[60:61]
	ds_load_2addr_b64 v[54:57], v2 offset0:37 offset1:38
	ds_load_b64 v[46:47], v2 offset:312
	s_wait_dscnt 0x1
	v_fmac_f64_e32 v[76:77], v[48:49], v[54:55]
	s_wait_loadcnt 0x0
	s_delay_alu instid0(VALU_DEP_1) | instskip(SKIP_1) | instid1(VALU_DEP_1)
	v_fmac_f64_e32 v[76:77], v[50:51], v[56:57]
	s_wait_dscnt 0x0
	v_fmac_f64_e32 v[76:77], v[52:53], v[46:47]
	s_delay_alu instid0(VALU_DEP_1)
	v_add_f64_e64 v[44:45], v[44:45], -v[76:77]
	scratch_store_b64 off, v[44:45], off offset:32
	s_wait_xcnt 0x0
	v_cmpx_lt_u32_e32 3, v0
	s_cbranch_execz .LBB19_123
; %bb.122:
	scratch_load_b64 v[44:45], off, off offset:24
	v_mov_b64_e32 v[46:47], 0
	scratch_store_b64 off, v[46:47], off offset:24
	s_wait_loadcnt 0x0
	ds_store_b64 v1, v[44:45]
.LBB19_123:
	s_wait_xcnt 0x0
	s_or_b32 exec_lo, exec_lo, s0
	s_wait_storecnt_dscnt 0x0
	s_barrier_signal -1
	s_barrier_wait -1
	s_clause 0x5
	scratch_load_b128 v[44:47], off, off offset:24
	scratch_load_b128 v[48:51], off, off offset:40
	;; [unrolled: 1-line block ×6, first 2 shown]
	ds_load_b128 v[68:71], v2 offset:192
	ds_load_b128 v[72:75], v2 offset:208
	s_mov_b32 s0, exec_lo
	s_wait_loadcnt_dscnt 0x501
	v_fma_f64 v[76:77], v[46:47], v[68:69], 0
	s_wait_loadcnt 0x4
	s_delay_alu instid0(VALU_DEP_1) | instskip(SKIP_4) | instid1(VALU_DEP_1)
	v_fmac_f64_e32 v[76:77], v[48:49], v[70:71]
	scratch_load_b128 v[46:49], off, off offset:120
	s_wait_dscnt 0x0
	v_fmac_f64_e32 v[76:77], v[50:51], v[72:73]
	s_wait_loadcnt 0x4
	v_fmac_f64_e32 v[76:77], v[52:53], v[74:75]
	scratch_load_b128 v[50:53], off, off offset:136
	ds_load_b128 v[68:71], v2 offset:224
	ds_load_b128 v[72:75], v2 offset:240
	s_wait_dscnt 0x1
	v_fmac_f64_e32 v[76:77], v[54:55], v[68:69]
	scratch_load_b64 v[68:69], off, off offset:152
	s_wait_loadcnt 0x5
	v_fmac_f64_e32 v[76:77], v[56:57], v[70:71]
	s_wait_dscnt 0x0
	s_delay_alu instid0(VALU_DEP_1) | instskip(SKIP_1) | instid1(VALU_DEP_1)
	v_fmac_f64_e32 v[76:77], v[58:59], v[72:73]
	s_wait_loadcnt 0x4
	v_fmac_f64_e32 v[76:77], v[60:61], v[74:75]
	ds_load_b128 v[54:57], v2 offset:256
	ds_load_b128 v[58:61], v2 offset:272
	s_wait_dscnt 0x1
	v_fmac_f64_e32 v[76:77], v[62:63], v[54:55]
	s_wait_loadcnt 0x3
	s_delay_alu instid0(VALU_DEP_1) | instskip(SKIP_1) | instid1(VALU_DEP_1)
	v_fmac_f64_e32 v[76:77], v[64:65], v[56:57]
	s_wait_dscnt 0x0
	v_fmac_f64_e32 v[76:77], v[66:67], v[58:59]
	s_wait_loadcnt 0x2
	s_delay_alu instid0(VALU_DEP_1)
	v_fmac_f64_e32 v[76:77], v[46:47], v[60:61]
	ds_load_b128 v[54:57], v2 offset:288
	ds_load_b128 v[58:61], v2 offset:304
	s_wait_dscnt 0x1
	v_fmac_f64_e32 v[76:77], v[48:49], v[54:55]
	s_wait_loadcnt 0x1
	s_delay_alu instid0(VALU_DEP_1) | instskip(SKIP_1) | instid1(VALU_DEP_1)
	v_fmac_f64_e32 v[76:77], v[50:51], v[56:57]
	s_wait_dscnt 0x0
	v_fmac_f64_e32 v[76:77], v[52:53], v[58:59]
	s_wait_loadcnt 0x0
	s_delay_alu instid0(VALU_DEP_1) | instskip(NEXT) | instid1(VALU_DEP_1)
	v_fmac_f64_e32 v[76:77], v[68:69], v[60:61]
	v_add_f64_e64 v[2:3], v[44:45], -v[76:77]
	scratch_store_b64 off, v[2:3], off offset:24
	s_wait_xcnt 0x0
	v_cmpx_lt_u32_e32 2, v0
	s_cbranch_execz .LBB19_125
; %bb.124:
	scratch_load_b64 v[2:3], off, off offset:16
	v_mov_b64_e32 v[44:45], 0
	scratch_store_b64 off, v[44:45], off offset:16
	s_wait_loadcnt 0x0
	ds_store_b64 v1, v[2:3]
.LBB19_125:
	s_wait_xcnt 0x0
	s_or_b32 exec_lo, exec_lo, s0
	s_wait_storecnt_dscnt 0x0
	s_barrier_signal -1
	s_barrier_wait -1
	s_clause 0x5
	scratch_load_b128 v[44:47], off, off offset:16
	scratch_load_b128 v[48:51], off, off offset:32
	;; [unrolled: 1-line block ×6, first 2 shown]
	v_mov_b32_e32 v2, 0
	ds_load_2addr_b64 v[68:71], v2 offset0:23 offset1:24
	ds_load_2addr_b64 v[72:75], v2 offset0:25 offset1:26
	s_mov_b32 s0, exec_lo
	s_wait_loadcnt_dscnt 0x501
	v_fma_f64 v[76:77], v[46:47], v[68:69], 0
	s_wait_loadcnt 0x4
	s_delay_alu instid0(VALU_DEP_1) | instskip(SKIP_4) | instid1(VALU_DEP_1)
	v_fmac_f64_e32 v[76:77], v[48:49], v[70:71]
	scratch_load_b128 v[46:49], off, off offset:112
	s_wait_dscnt 0x0
	v_fmac_f64_e32 v[76:77], v[50:51], v[72:73]
	s_wait_loadcnt 0x4
	v_fmac_f64_e32 v[76:77], v[52:53], v[74:75]
	scratch_load_b128 v[50:53], off, off offset:128
	ds_load_2addr_b64 v[68:71], v2 offset0:27 offset1:28
	ds_load_2addr_b64 v[72:75], v2 offset0:29 offset1:30
	s_wait_dscnt 0x1
	v_fmac_f64_e32 v[76:77], v[54:55], v[68:69]
	s_wait_loadcnt 0x4
	s_delay_alu instid0(VALU_DEP_1) | instskip(SKIP_4) | instid1(VALU_DEP_1)
	v_fmac_f64_e32 v[76:77], v[56:57], v[70:71]
	scratch_load_b128 v[54:57], off, off offset:144
	s_wait_dscnt 0x0
	v_fmac_f64_e32 v[76:77], v[58:59], v[72:73]
	s_wait_loadcnt 0x4
	v_fmac_f64_e32 v[76:77], v[60:61], v[74:75]
	ds_load_2addr_b64 v[58:61], v2 offset0:31 offset1:32
	ds_load_2addr_b64 v[68:71], v2 offset0:33 offset1:34
	s_wait_dscnt 0x1
	v_fmac_f64_e32 v[76:77], v[62:63], v[58:59]
	s_wait_loadcnt 0x3
	s_delay_alu instid0(VALU_DEP_1)
	v_fmac_f64_e32 v[76:77], v[64:65], v[60:61]
	ds_load_2addr_b64 v[58:61], v2 offset0:35 offset1:36
	ds_load_2addr_b64 v[62:65], v2 offset0:37 offset1:38
	s_wait_dscnt 0x2
	v_fmac_f64_e32 v[76:77], v[66:67], v[68:69]
	s_wait_loadcnt 0x2
	s_delay_alu instid0(VALU_DEP_1) | instskip(SKIP_4) | instid1(VALU_DEP_1)
	v_fmac_f64_e32 v[76:77], v[46:47], v[70:71]
	ds_load_b64 v[46:47], v2 offset:312
	s_wait_dscnt 0x2
	v_fmac_f64_e32 v[76:77], v[48:49], v[58:59]
	s_wait_loadcnt 0x1
	v_fmac_f64_e32 v[76:77], v[50:51], v[60:61]
	s_wait_dscnt 0x1
	s_delay_alu instid0(VALU_DEP_1) | instskip(SKIP_1) | instid1(VALU_DEP_1)
	v_fmac_f64_e32 v[76:77], v[52:53], v[62:63]
	s_wait_loadcnt 0x0
	v_fmac_f64_e32 v[76:77], v[54:55], v[64:65]
	s_wait_dscnt 0x0
	s_delay_alu instid0(VALU_DEP_1) | instskip(NEXT) | instid1(VALU_DEP_1)
	v_fmac_f64_e32 v[76:77], v[56:57], v[46:47]
	v_add_f64_e64 v[44:45], v[44:45], -v[76:77]
	scratch_store_b64 off, v[44:45], off offset:16
	s_wait_xcnt 0x0
	v_cmpx_lt_u32_e32 1, v0
	s_cbranch_execz .LBB19_127
; %bb.126:
	scratch_load_b64 v[44:45], off, off offset:8
	v_mov_b64_e32 v[46:47], 0
	scratch_store_b64 off, v[46:47], off offset:8
	s_wait_loadcnt 0x0
	ds_store_b64 v1, v[44:45]
.LBB19_127:
	s_wait_xcnt 0x0
	s_or_b32 exec_lo, exec_lo, s0
	s_wait_storecnt_dscnt 0x0
	s_barrier_signal -1
	s_barrier_wait -1
	s_clause 0x5
	scratch_load_b128 v[44:47], off, off offset:8
	scratch_load_b128 v[48:51], off, off offset:24
	;; [unrolled: 1-line block ×6, first 2 shown]
	ds_load_b128 v[68:71], v2 offset:176
	ds_load_b128 v[72:75], v2 offset:192
	v_dual_ashrrev_i32 v9, 31, v8 :: v_dual_ashrrev_i32 v15, 31, v14
	v_dual_ashrrev_i32 v13, 31, v12 :: v_dual_ashrrev_i32 v19, 31, v18
	;; [unrolled: 1-line block ×8, first 2 shown]
	v_ashrrev_i32_e32 v41, 31, v40
	s_mov_b32 s0, exec_lo
	v_ashrrev_i32_e32 v11, 31, v10
	s_wait_loadcnt_dscnt 0x501
	v_fma_f64 v[76:77], v[46:47], v[68:69], 0
	s_wait_loadcnt 0x4
	s_delay_alu instid0(VALU_DEP_1) | instskip(SKIP_4) | instid1(VALU_DEP_1)
	v_fmac_f64_e32 v[76:77], v[48:49], v[70:71]
	scratch_load_b128 v[46:49], off, off offset:104
	s_wait_dscnt 0x0
	v_fmac_f64_e32 v[76:77], v[50:51], v[72:73]
	s_wait_loadcnt 0x4
	v_fmac_f64_e32 v[76:77], v[52:53], v[74:75]
	scratch_load_b128 v[50:53], off, off offset:120
	ds_load_b128 v[68:71], v2 offset:208
	ds_load_b128 v[72:75], v2 offset:224
	s_wait_dscnt 0x1
	v_fmac_f64_e32 v[76:77], v[54:55], v[68:69]
	s_wait_loadcnt 0x4
	s_delay_alu instid0(VALU_DEP_1)
	v_fmac_f64_e32 v[76:77], v[56:57], v[70:71]
	scratch_load_b128 v[54:57], off, off offset:136
	s_wait_dscnt 0x0
	v_fmac_f64_e32 v[76:77], v[58:59], v[72:73]
	scratch_load_b64 v[72:73], off, off offset:152
	s_wait_loadcnt 0x5
	v_fmac_f64_e32 v[76:77], v[60:61], v[74:75]
	ds_load_b128 v[58:61], v2 offset:240
	ds_load_b128 v[68:71], v2 offset:256
	s_wait_dscnt 0x1
	v_fmac_f64_e32 v[76:77], v[62:63], v[58:59]
	s_wait_loadcnt 0x4
	s_delay_alu instid0(VALU_DEP_1)
	v_fmac_f64_e32 v[76:77], v[64:65], v[60:61]
	ds_load_b128 v[58:61], v2 offset:272
	ds_load_b128 v[62:65], v2 offset:288
	s_wait_dscnt 0x2
	v_fmac_f64_e32 v[76:77], v[66:67], v[68:69]
	s_wait_loadcnt 0x3
	s_delay_alu instid0(VALU_DEP_1) | instskip(SKIP_1) | instid1(VALU_DEP_1)
	v_fmac_f64_e32 v[76:77], v[46:47], v[70:71]
	s_wait_dscnt 0x1
	v_fmac_f64_e32 v[76:77], v[48:49], v[58:59]
	ds_load_b128 v[46:49], v2 offset:304
	s_wait_loadcnt 0x2
	v_fmac_f64_e32 v[76:77], v[50:51], v[60:61]
	s_wait_dscnt 0x1
	s_delay_alu instid0(VALU_DEP_1) | instskip(SKIP_1) | instid1(VALU_DEP_1)
	v_fmac_f64_e32 v[76:77], v[52:53], v[62:63]
	s_wait_loadcnt 0x1
	v_fmac_f64_e32 v[76:77], v[54:55], v[64:65]
	s_wait_dscnt 0x0
	s_delay_alu instid0(VALU_DEP_1) | instskip(SKIP_1) | instid1(VALU_DEP_1)
	v_fmac_f64_e32 v[76:77], v[56:57], v[46:47]
	s_wait_loadcnt 0x0
	v_fmac_f64_e32 v[76:77], v[72:73], v[48:49]
	s_delay_alu instid0(VALU_DEP_1)
	v_add_f64_e64 v[2:3], v[44:45], -v[76:77]
	scratch_store_b64 off, v[2:3], off offset:8
	s_wait_xcnt 0x0
	v_cmpx_ne_u32_e32 0, v0
	s_cbranch_execz .LBB19_129
; %bb.128:
	scratch_load_b64 v[2:3], off, off
	v_mov_b64_e32 v[44:45], 0
	scratch_store_b64 off, v[44:45], off
	s_wait_loadcnt 0x0
	ds_store_b64 v1, v[2:3]
.LBB19_129:
	s_wait_xcnt 0x0
	s_or_b32 exec_lo, exec_lo, s0
	s_wait_storecnt_dscnt 0x0
	s_barrier_signal -1
	s_barrier_wait -1
	s_clause 0x5
	scratch_load_b128 v[46:49], off, off
	scratch_load_b128 v[0:3], off, off offset:16
	scratch_load_b128 v[50:53], off, off offset:32
	;; [unrolled: 1-line block ×5, first 2 shown]
	v_mov_b32_e32 v44, 0
	s_clause 0x1
	scratch_load_b128 v[70:73], off, off offset:96
	scratch_load_b128 v[74:77], off, off offset:112
	s_and_b32 vcc_lo, exec_lo, s18
	ds_load_2addr_b64 v[66:69], v44 offset0:21 offset1:22
	s_wait_loadcnt_dscnt 0x700
	v_fma_f64 v[78:79], v[48:49], v[66:67], 0
	s_wait_loadcnt 0x6
	s_delay_alu instid0(VALU_DEP_1)
	v_fmac_f64_e32 v[78:79], v[0:1], v[68:69]
	ds_load_2addr_b64 v[66:69], v44 offset0:23 offset1:24
	s_wait_dscnt 0x0
	v_fmac_f64_e32 v[78:79], v[2:3], v[66:67]
	ds_load_2addr_b64 v[0:3], v44 offset0:25 offset1:26
	s_wait_loadcnt 0x5
	v_fmac_f64_e32 v[78:79], v[50:51], v[68:69]
	scratch_load_b128 v[48:51], off, off offset:128
	s_wait_dscnt 0x0
	v_fmac_f64_e32 v[78:79], v[52:53], v[0:1]
	s_wait_loadcnt 0x5
	s_delay_alu instid0(VALU_DEP_1)
	v_fmac_f64_e32 v[78:79], v[54:55], v[2:3]
	ds_load_2addr_b64 v[52:55], v44 offset0:27 offset1:28
	scratch_load_b128 v[0:3], off, off offset:144
	s_wait_dscnt 0x0
	v_fmac_f64_e32 v[78:79], v[56:57], v[52:53]
	s_wait_loadcnt 0x5
	s_delay_alu instid0(VALU_DEP_1) | instskip(SKIP_4) | instid1(VALU_DEP_1)
	v_fmac_f64_e32 v[78:79], v[58:59], v[54:55]
	ds_load_2addr_b64 v[52:55], v44 offset0:29 offset1:30
	s_wait_dscnt 0x0
	v_fmac_f64_e32 v[78:79], v[60:61], v[52:53]
	s_wait_loadcnt 0x4
	v_fmac_f64_e32 v[78:79], v[62:63], v[54:55]
	ds_load_2addr_b64 v[52:55], v44 offset0:31 offset1:32
	s_wait_dscnt 0x0
	v_fmac_f64_e32 v[78:79], v[64:65], v[52:53]
	s_wait_loadcnt 0x3
	s_delay_alu instid0(VALU_DEP_1) | instskip(SKIP_4) | instid1(VALU_DEP_1)
	v_fmac_f64_e32 v[78:79], v[70:71], v[54:55]
	ds_load_2addr_b64 v[52:55], v44 offset0:33 offset1:34
	s_wait_dscnt 0x0
	v_fmac_f64_e32 v[78:79], v[72:73], v[52:53]
	s_wait_loadcnt 0x2
	v_fmac_f64_e32 v[78:79], v[74:75], v[54:55]
	ds_load_2addr_b64 v[52:55], v44 offset0:35 offset1:36
	s_wait_dscnt 0x0
	v_fmac_f64_e32 v[78:79], v[76:77], v[52:53]
	s_wait_loadcnt 0x1
	s_delay_alu instid0(VALU_DEP_1)
	v_fmac_f64_e32 v[78:79], v[48:49], v[54:55]
	ds_load_2addr_b64 v[52:55], v44 offset0:37 offset1:38
	ds_load_b64 v[48:49], v44 offset:312
	s_wait_dscnt 0x1
	v_fmac_f64_e32 v[78:79], v[50:51], v[52:53]
	s_wait_loadcnt 0x0
	s_delay_alu instid0(VALU_DEP_1) | instskip(SKIP_1) | instid1(VALU_DEP_1)
	v_fmac_f64_e32 v[78:79], v[0:1], v[54:55]
	s_wait_dscnt 0x0
	v_fmac_f64_e32 v[78:79], v[2:3], v[48:49]
	s_delay_alu instid0(VALU_DEP_1)
	v_add_f64_e64 v[2:3], v[46:47], -v[78:79]
	scratch_store_b64 off, v[2:3], off
	s_cbranch_vccz .LBB19_168
; %bb.130:
	global_load_b32 v2, v44, s[2:3] offset:72
	s_wait_loadcnt 0x0
	v_cmp_ne_u32_e32 vcc_lo, 19, v2
	s_cbranch_vccz .LBB19_132
; %bb.131:
	v_lshlrev_b32_e32 v2, 3, v2
	s_wait_xcnt 0x0
	s_delay_alu instid0(VALU_DEP_1)
	v_mov_b32_e32 v44, v2
	scratch_load_b64 v[2:3], v44, off offset:-8
	s_wait_loadcnt 0x0
	scratch_store_b64 off, v[2:3], off offset:144
	scratch_store_b64 v44, v[0:1], off offset:-8
.LBB19_132:
	s_wait_xcnt 0x0
	v_mov_b32_e32 v0, 0
	global_load_b32 v1, v0, s[2:3] offset:68
	s_wait_loadcnt 0x0
	v_cmp_eq_u32_e32 vcc_lo, 18, v1
	s_cbranch_vccnz .LBB19_134
; %bb.133:
	v_lshlrev_b32_e32 v1, 3, v1
	scratch_load_b64 v[2:3], v1, off offset:-8
	scratch_load_b64 v[44:45], off, off offset:136
	s_wait_loadcnt 0x1
	scratch_store_b64 off, v[2:3], off offset:136
	s_wait_loadcnt 0x0
	scratch_store_b64 v1, v[44:45], off offset:-8
.LBB19_134:
	global_load_b32 v0, v0, s[2:3] offset:64
	s_wait_loadcnt 0x0
	v_cmp_eq_u32_e32 vcc_lo, 17, v0
	s_cbranch_vccnz .LBB19_136
; %bb.135:
	s_wait_xcnt 0x0
	v_lshlrev_b32_e32 v0, 3, v0
	s_delay_alu instid0(VALU_DEP_1)
	v_mov_b32_e32 v44, v0
	scratch_load_b64 v[0:1], v44, off offset:-8
	scratch_load_b64 v[2:3], off, off offset:128
	s_wait_loadcnt 0x1
	scratch_store_b64 off, v[0:1], off offset:128
	s_wait_loadcnt 0x0
	scratch_store_b64 v44, v[2:3], off offset:-8
.LBB19_136:
	s_wait_xcnt 0x0
	v_mov_b32_e32 v0, 0
	global_load_b32 v1, v0, s[2:3] offset:60
	s_wait_loadcnt 0x0
	v_cmp_eq_u32_e32 vcc_lo, 16, v1
	s_cbranch_vccnz .LBB19_138
; %bb.137:
	v_lshlrev_b32_e32 v1, 3, v1
	scratch_load_b64 v[2:3], v1, off offset:-8
	scratch_load_b64 v[44:45], off, off offset:120
	s_wait_loadcnt 0x1
	scratch_store_b64 off, v[2:3], off offset:120
	s_wait_loadcnt 0x0
	scratch_store_b64 v1, v[44:45], off offset:-8
.LBB19_138:
	global_load_b32 v0, v0, s[2:3] offset:56
	s_wait_loadcnt 0x0
	v_cmp_eq_u32_e32 vcc_lo, 15, v0
	s_cbranch_vccnz .LBB19_140
; %bb.139:
	s_wait_xcnt 0x0
	v_lshlrev_b32_e32 v0, 3, v0
	s_delay_alu instid0(VALU_DEP_1)
	v_mov_b32_e32 v44, v0
	scratch_load_b64 v[0:1], v44, off offset:-8
	scratch_load_b64 v[2:3], off, off offset:112
	s_wait_loadcnt 0x1
	scratch_store_b64 off, v[0:1], off offset:112
	s_wait_loadcnt 0x0
	scratch_store_b64 v44, v[2:3], off offset:-8
.LBB19_140:
	;; [unrolled: 31-line block ×8, first 2 shown]
	s_wait_xcnt 0x0
	v_mov_b32_e32 v0, 0
	global_load_b32 v1, v0, s[2:3] offset:4
	s_wait_loadcnt 0x0
	v_cmp_eq_u32_e32 vcc_lo, 2, v1
	s_cbranch_vccnz .LBB19_166
; %bb.165:
	v_lshlrev_b32_e32 v1, 3, v1
	scratch_load_b64 v[2:3], v1, off offset:-8
	scratch_load_b64 v[44:45], off, off offset:8
	s_wait_loadcnt 0x1
	scratch_store_b64 off, v[2:3], off offset:8
	s_wait_loadcnt 0x0
	scratch_store_b64 v1, v[44:45], off offset:-8
.LBB19_166:
	global_load_b32 v0, v0, s[2:3]
	scratch_load_b64 v[2:3], off, off
	s_wait_loadcnt 0x1
	v_cmp_eq_u32_e32 vcc_lo, 1, v0
	s_cbranch_vccnz .LBB19_168
; %bb.167:
	s_wait_xcnt 0x1
	v_lshlrev_b32_e32 v0, 3, v0
	s_delay_alu instid0(VALU_DEP_1)
	v_mov_b32_e32 v44, v0
	scratch_load_b64 v[0:1], v44, off offset:-8
	s_wait_loadcnt 0x0
	scratch_store_b64 off, v[0:1], off
	scratch_store_b64 v44, v[2:3], off offset:-8
	scratch_load_b64 v[2:3], off, off
.LBB19_168:
	s_wait_xcnt 0x1
	v_lshl_add_u64 v[0:1], v[8:9], 3, s[4:5]
	v_lshl_add_u64 v[8:9], v[10:11], 3, s[4:5]
	;; [unrolled: 1-line block ×18, first 2 shown]
	s_clause 0x7
	scratch_load_b128 v[42:45], off, off offset:8
	scratch_load_b128 v[46:49], off, off offset:24
	;; [unrolled: 1-line block ×8, first 2 shown]
	s_wait_loadcnt 0x8
	global_store_b64 v[6:7], v[2:3], off
	s_clause 0x1
	scratch_load_b128 v[74:77], off, off offset:136
	scratch_load_b64 v[2:3], off, off offset:152
	s_wait_loadcnt 0x9
	s_clause 0x1
	global_store_b64 v[4:5], v[42:43], off
	global_store_b64 v[0:1], v[44:45], off
	s_wait_loadcnt 0x8
	s_clause 0x1
	global_store_b64 v[8:9], v[46:47], off
	global_store_b64 v[10:11], v[48:49], off
	;; [unrolled: 4-line block ×9, first 2 shown]
	s_wait_loadcnt 0x0
	global_store_b64 v[40:41], v[2:3], off
	s_sendmsg sendmsg(MSG_DEALLOC_VGPRS)
	s_endpgm
	.section	.rodata,"a",@progbits
	.p2align	6, 0x0
	.amdhsa_kernel _ZN9rocsolver6v33100L18getri_kernel_smallILi20EdPdEEvT1_iilPiilS4_bb
		.amdhsa_group_segment_fixed_size 328
		.amdhsa_private_segment_fixed_size 176
		.amdhsa_kernarg_size 60
		.amdhsa_user_sgpr_count 2
		.amdhsa_user_sgpr_dispatch_ptr 0
		.amdhsa_user_sgpr_queue_ptr 0
		.amdhsa_user_sgpr_kernarg_segment_ptr 1
		.amdhsa_user_sgpr_dispatch_id 0
		.amdhsa_user_sgpr_kernarg_preload_length 0
		.amdhsa_user_sgpr_kernarg_preload_offset 0
		.amdhsa_user_sgpr_private_segment_size 0
		.amdhsa_wavefront_size32 1
		.amdhsa_uses_dynamic_stack 0
		.amdhsa_enable_private_segment 1
		.amdhsa_system_sgpr_workgroup_id_x 1
		.amdhsa_system_sgpr_workgroup_id_y 0
		.amdhsa_system_sgpr_workgroup_id_z 0
		.amdhsa_system_sgpr_workgroup_info 0
		.amdhsa_system_vgpr_workitem_id 0
		.amdhsa_next_free_vgpr 80
		.amdhsa_next_free_sgpr 19
		.amdhsa_named_barrier_count 0
		.amdhsa_reserve_vcc 1
		.amdhsa_float_round_mode_32 0
		.amdhsa_float_round_mode_16_64 0
		.amdhsa_float_denorm_mode_32 3
		.amdhsa_float_denorm_mode_16_64 3
		.amdhsa_fp16_overflow 0
		.amdhsa_memory_ordered 1
		.amdhsa_forward_progress 1
		.amdhsa_inst_pref_size 105
		.amdhsa_round_robin_scheduling 0
		.amdhsa_exception_fp_ieee_invalid_op 0
		.amdhsa_exception_fp_denorm_src 0
		.amdhsa_exception_fp_ieee_div_zero 0
		.amdhsa_exception_fp_ieee_overflow 0
		.amdhsa_exception_fp_ieee_underflow 0
		.amdhsa_exception_fp_ieee_inexact 0
		.amdhsa_exception_int_div_zero 0
	.end_amdhsa_kernel
	.section	.text._ZN9rocsolver6v33100L18getri_kernel_smallILi20EdPdEEvT1_iilPiilS4_bb,"axG",@progbits,_ZN9rocsolver6v33100L18getri_kernel_smallILi20EdPdEEvT1_iilPiilS4_bb,comdat
.Lfunc_end19:
	.size	_ZN9rocsolver6v33100L18getri_kernel_smallILi20EdPdEEvT1_iilPiilS4_bb, .Lfunc_end19-_ZN9rocsolver6v33100L18getri_kernel_smallILi20EdPdEEvT1_iilPiilS4_bb
                                        ; -- End function
	.set _ZN9rocsolver6v33100L18getri_kernel_smallILi20EdPdEEvT1_iilPiilS4_bb.num_vgpr, 80
	.set _ZN9rocsolver6v33100L18getri_kernel_smallILi20EdPdEEvT1_iilPiilS4_bb.num_agpr, 0
	.set _ZN9rocsolver6v33100L18getri_kernel_smallILi20EdPdEEvT1_iilPiilS4_bb.numbered_sgpr, 19
	.set _ZN9rocsolver6v33100L18getri_kernel_smallILi20EdPdEEvT1_iilPiilS4_bb.num_named_barrier, 0
	.set _ZN9rocsolver6v33100L18getri_kernel_smallILi20EdPdEEvT1_iilPiilS4_bb.private_seg_size, 176
	.set _ZN9rocsolver6v33100L18getri_kernel_smallILi20EdPdEEvT1_iilPiilS4_bb.uses_vcc, 1
	.set _ZN9rocsolver6v33100L18getri_kernel_smallILi20EdPdEEvT1_iilPiilS4_bb.uses_flat_scratch, 1
	.set _ZN9rocsolver6v33100L18getri_kernel_smallILi20EdPdEEvT1_iilPiilS4_bb.has_dyn_sized_stack, 0
	.set _ZN9rocsolver6v33100L18getri_kernel_smallILi20EdPdEEvT1_iilPiilS4_bb.has_recursion, 0
	.set _ZN9rocsolver6v33100L18getri_kernel_smallILi20EdPdEEvT1_iilPiilS4_bb.has_indirect_call, 0
	.section	.AMDGPU.csdata,"",@progbits
; Kernel info:
; codeLenInByte = 13432
; TotalNumSgprs: 21
; NumVgprs: 80
; ScratchSize: 176
; MemoryBound: 0
; FloatMode: 240
; IeeeMode: 1
; LDSByteSize: 328 bytes/workgroup (compile time only)
; SGPRBlocks: 0
; VGPRBlocks: 4
; NumSGPRsForWavesPerEU: 21
; NumVGPRsForWavesPerEU: 80
; NamedBarCnt: 0
; Occupancy: 12
; WaveLimiterHint : 1
; COMPUTE_PGM_RSRC2:SCRATCH_EN: 1
; COMPUTE_PGM_RSRC2:USER_SGPR: 2
; COMPUTE_PGM_RSRC2:TRAP_HANDLER: 0
; COMPUTE_PGM_RSRC2:TGID_X_EN: 1
; COMPUTE_PGM_RSRC2:TGID_Y_EN: 0
; COMPUTE_PGM_RSRC2:TGID_Z_EN: 0
; COMPUTE_PGM_RSRC2:TIDIG_COMP_CNT: 0
	.section	.text._ZN9rocsolver6v33100L18getri_kernel_smallILi21EdPdEEvT1_iilPiilS4_bb,"axG",@progbits,_ZN9rocsolver6v33100L18getri_kernel_smallILi21EdPdEEvT1_iilPiilS4_bb,comdat
	.globl	_ZN9rocsolver6v33100L18getri_kernel_smallILi21EdPdEEvT1_iilPiilS4_bb ; -- Begin function _ZN9rocsolver6v33100L18getri_kernel_smallILi21EdPdEEvT1_iilPiilS4_bb
	.p2align	8
	.type	_ZN9rocsolver6v33100L18getri_kernel_smallILi21EdPdEEvT1_iilPiilS4_bb,@function
_ZN9rocsolver6v33100L18getri_kernel_smallILi21EdPdEEvT1_iilPiilS4_bb: ; @_ZN9rocsolver6v33100L18getri_kernel_smallILi21EdPdEEvT1_iilPiilS4_bb
; %bb.0:
	s_mov_b32 s2, exec_lo
	v_cmpx_gt_u32_e32 21, v0
	s_cbranch_execz .LBB20_94
; %bb.1:
	s_clause 0x2
	s_load_b32 s2, s[0:1], 0x38
	s_load_b128 s[12:15], s[0:1], 0x10
	s_load_b128 s[4:7], s[0:1], 0x28
	s_getreg_b32 s9, hwreg(HW_REG_IB_STS2, 6, 4)
	s_wait_kmcnt 0x0
	s_bitcmp1_b32 s2, 8
	s_cselect_b32 s18, -1, 0
	s_bfe_u32 s3, ttmp6, 0x4000c
	s_and_b32 s8, ttmp6, 15
	s_add_co_i32 s3, s3, 1
	s_delay_alu instid0(SALU_CYCLE_1) | instskip(NEXT) | instid1(SALU_CYCLE_1)
	s_mul_i32 s3, ttmp9, s3
	s_add_co_i32 s8, s8, s3
	s_cmp_eq_u32 s9, 0
	s_cselect_b32 s16, ttmp9, s8
	s_bfe_u32 s2, s2, 0x10008
	s_ashr_i32 s17, s16, 31
	s_cmp_eq_u32 s2, 0
                                        ; implicit-def: $sgpr2_sgpr3
	s_cbranch_scc1 .LBB20_3
; %bb.2:
	s_load_b32 s2, s[0:1], 0x20
	s_mul_u64 s[4:5], s[4:5], s[16:17]
	s_delay_alu instid0(SALU_CYCLE_1) | instskip(NEXT) | instid1(SALU_CYCLE_1)
	s_lshl_b64 s[4:5], s[4:5], 2
	s_add_nc_u64 s[4:5], s[14:15], s[4:5]
	s_wait_kmcnt 0x0
	s_ashr_i32 s3, s2, 31
	s_delay_alu instid0(SALU_CYCLE_1) | instskip(NEXT) | instid1(SALU_CYCLE_1)
	s_lshl_b64 s[2:3], s[2:3], 2
	s_add_nc_u64 s[2:3], s[4:5], s[2:3]
.LBB20_3:
	s_clause 0x1
	s_load_b128 s[8:11], s[0:1], 0x0
	s_load_b32 s14, s[0:1], 0x38
	s_wait_xcnt 0x0
	s_mul_u64 s[0:1], s[12:13], s[16:17]
	v_dual_mov_b32 v3, 0 :: v_dual_lshlrev_b32 v2, 3, v0
	s_lshl_b64 s[0:1], s[0:1], 3
	s_wait_kmcnt 0x0
	v_add3_u32 v8, s11, s11, v0
	s_ashr_i32 s5, s10, 31
	s_mov_b32 s4, s10
	s_add_nc_u64 s[0:1], s[8:9], s[0:1]
	s_lshl_b64 s[4:5], s[4:5], 3
	v_add_nc_u32_e32 v10, s11, v8
	s_add_nc_u64 s[4:5], s[0:1], s[4:5]
	s_ashr_i32 s1, s11, 31
	v_add_nc_u64_e32 v[6:7], s[4:5], v[2:3]
	s_mov_b32 s0, s11
	v_add_nc_u32_e32 v12, s11, v10
	s_bitcmp0_b32 s14, 0
	s_delay_alu instid0(VALU_DEP_2) | instskip(NEXT) | instid1(VALU_DEP_2)
	v_lshl_add_u64 v[4:5], s[0:1], 3, v[6:7]
	v_add_nc_u32_e32 v14, s11, v12
	s_clause 0x1
	global_load_b64 v[44:45], v0, s[4:5] scale_offset
	global_load_b64 v[46:47], v[4:5], off
	s_mov_b32 s1, -1
	v_add_nc_u32_e32 v16, s11, v14
	s_delay_alu instid0(VALU_DEP_1) | instskip(NEXT) | instid1(VALU_DEP_1)
	v_add_nc_u32_e32 v18, s11, v16
	v_add_nc_u32_e32 v20, s11, v18
	s_clause 0x3
	global_load_b64 v[48:49], v8, s[4:5] scale_offset
	global_load_b64 v[50:51], v10, s[4:5] scale_offset
	;; [unrolled: 1-line block ×4, first 2 shown]
	v_add_nc_u32_e32 v22, s11, v20
	s_delay_alu instid0(VALU_DEP_1) | instskip(NEXT) | instid1(VALU_DEP_1)
	v_add_nc_u32_e32 v24, s11, v22
	v_add_nc_u32_e32 v26, s11, v24
	s_delay_alu instid0(VALU_DEP_1)
	v_add_nc_u32_e32 v28, s11, v26
	s_clause 0x3
	global_load_b64 v[56:57], v16, s[4:5] scale_offset
	global_load_b64 v[58:59], v18, s[4:5] scale_offset
	global_load_b64 v[60:61], v20, s[4:5] scale_offset
	global_load_b64 v[62:63], v22, s[4:5] scale_offset
	v_add_nc_u32_e32 v30, s11, v28
	s_delay_alu instid0(VALU_DEP_1)
	v_add_nc_u32_e32 v32, s11, v30
	s_clause 0x3
	global_load_b64 v[64:65], v24, s[4:5] scale_offset
	global_load_b64 v[66:67], v26, s[4:5] scale_offset
	;; [unrolled: 1-line block ×4, first 2 shown]
	v_add_nc_u32_e32 v34, s11, v32
	s_delay_alu instid0(VALU_DEP_1) | instskip(NEXT) | instid1(VALU_DEP_1)
	v_add_nc_u32_e32 v36, s11, v34
	v_add_nc_u32_e32 v38, s11, v36
	s_delay_alu instid0(VALU_DEP_1) | instskip(NEXT) | instid1(VALU_DEP_1)
	v_add_nc_u32_e32 v40, s11, v38
	v_add_nc_u32_e32 v42, s11, v40
	s_wait_loadcnt 0xc
	scratch_store_b128 off, v[44:47], off
	s_wait_xcnt 0x0
	v_add_nc_u32_e32 v44, s11, v42
	s_clause 0x3
	global_load_b64 v[72:73], v32, s[4:5] scale_offset
	global_load_b64 v[74:75], v34, s[4:5] scale_offset
	;; [unrolled: 1-line block ×4, first 2 shown]
	s_wait_loadcnt 0xe
	scratch_store_b128 off, v[48:51], off offset:16
	s_wait_loadcnt 0xc
	scratch_store_b128 off, v[52:55], off offset:32
	s_clause 0x2
	global_load_b64 v[46:47], v40, s[4:5] scale_offset
	global_load_b64 v[48:49], v42, s[4:5] scale_offset
	;; [unrolled: 1-line block ×3, first 2 shown]
	s_wait_loadcnt 0xd
	scratch_store_b128 off, v[56:59], off offset:48
	s_wait_loadcnt 0xb
	scratch_store_b128 off, v[60:63], off offset:64
	;; [unrolled: 2-line block ×7, first 2 shown]
	s_wait_loadcnt 0x0
	scratch_store_b64 off, v[50:51], off offset:160
	s_cbranch_scc1 .LBB20_92
; %bb.4:
	v_cmp_eq_u32_e64 s0, 0, v0
	s_wait_xcnt 0x0
	s_and_saveexec_b32 s1, s0
; %bb.5:
	v_mov_b32_e32 v1, 0
	ds_store_b32 v1, v1 offset:168
; %bb.6:
	s_or_b32 exec_lo, exec_lo, s1
	s_wait_storecnt_dscnt 0x0
	s_barrier_signal -1
	s_barrier_wait -1
	scratch_load_b64 v[46:47], v0, off scale_offset
	s_mov_b32 s8, exec_lo
	s_wait_loadcnt 0x0
	v_cmpx_eq_f64_e32 0, v[46:47]
	s_cbranch_execz .LBB20_10
; %bb.7:
	v_mov_b32_e32 v1, 0
	s_mov_b32 s9, 0
	ds_load_b32 v3, v1 offset:168
	s_wait_dscnt 0x0
	v_readfirstlane_b32 s1, v3
	v_add_nc_u32_e32 v3, 1, v0
	s_cmp_eq_u32 s1, 0
	s_delay_alu instid0(VALU_DEP_1) | instskip(SKIP_1) | instid1(SALU_CYCLE_1)
	v_cmp_gt_i32_e32 vcc_lo, s1, v3
	s_cselect_b32 s10, -1, 0
	s_or_b32 s10, s10, vcc_lo
	s_delay_alu instid0(SALU_CYCLE_1)
	s_and_b32 exec_lo, exec_lo, s10
	s_cbranch_execz .LBB20_10
; %bb.8:
	v_mov_b32_e32 v9, s1
.LBB20_9:                               ; =>This Inner Loop Header: Depth=1
	ds_cmpstore_rtn_b32 v9, v1, v3, v9 offset:168
	s_wait_dscnt 0x0
	v_cmp_ne_u32_e32 vcc_lo, 0, v9
	v_cmp_le_i32_e64 s1, v9, v3
	s_and_b32 s1, vcc_lo, s1
	s_delay_alu instid0(SALU_CYCLE_1) | instskip(NEXT) | instid1(SALU_CYCLE_1)
	s_and_b32 s1, exec_lo, s1
	s_or_b32 s9, s1, s9
	s_delay_alu instid0(SALU_CYCLE_1)
	s_and_not1_b32 exec_lo, exec_lo, s9
	s_cbranch_execnz .LBB20_9
.LBB20_10:
	s_or_b32 exec_lo, exec_lo, s8
	v_mov_b32_e32 v1, 0
	s_barrier_signal -1
	s_barrier_wait -1
	ds_load_b32 v3, v1 offset:168
	s_and_saveexec_b32 s1, s0
	s_cbranch_execz .LBB20_12
; %bb.11:
	s_lshl_b64 s[8:9], s[16:17], 2
	s_delay_alu instid0(SALU_CYCLE_1)
	s_add_nc_u64 s[8:9], s[6:7], s[8:9]
	s_wait_dscnt 0x0
	global_store_b32 v1, v3, s[8:9]
.LBB20_12:
	s_wait_xcnt 0x0
	s_or_b32 exec_lo, exec_lo, s1
	s_wait_dscnt 0x0
	v_cmp_ne_u32_e32 vcc_lo, 0, v3
	s_mov_b32 s1, 0
	s_cbranch_vccnz .LBB20_92
; %bb.13:
	v_lshl_add_u32 v3, v0, 3, 0
	v_add_nc_u32_e32 v1, 0xb0, v2
	scratch_load_b64 v[46:47], v3, off
	s_wait_loadcnt 0x0
	v_div_scale_f64 v[48:49], null, v[46:47], v[46:47], 1.0
	v_div_scale_f64 v[54:55], vcc_lo, 1.0, v[46:47], 1.0
	s_delay_alu instid0(VALU_DEP_2) | instskip(SKIP_1) | instid1(TRANS32_DEP_1)
	v_rcp_f64_e32 v[50:51], v[48:49]
	v_nop
	v_fma_f64 v[52:53], -v[48:49], v[50:51], 1.0
	s_delay_alu instid0(VALU_DEP_1) | instskip(NEXT) | instid1(VALU_DEP_1)
	v_fmac_f64_e32 v[50:51], v[50:51], v[52:53]
	v_fma_f64 v[52:53], -v[48:49], v[50:51], 1.0
	s_delay_alu instid0(VALU_DEP_1) | instskip(NEXT) | instid1(VALU_DEP_1)
	v_fmac_f64_e32 v[50:51], v[50:51], v[52:53]
	v_mul_f64_e32 v[52:53], v[54:55], v[50:51]
	s_delay_alu instid0(VALU_DEP_1) | instskip(NEXT) | instid1(VALU_DEP_1)
	v_fma_f64 v[48:49], -v[48:49], v[52:53], v[54:55]
	v_div_fmas_f64 v[48:49], v[48:49], v[50:51], v[52:53]
	s_delay_alu instid0(VALU_DEP_1)
	v_div_fixup_f64 v[46:47], v[48:49], v[46:47], 1.0
	scratch_store_b64 v3, v[46:47], off
	scratch_load_b64 v[48:49], off, off offset:8
	s_wait_xcnt 0x1
	v_xor_b32_e32 v47, 0x80000000, v47
	s_wait_loadcnt 0x0
	ds_store_2addr_b64 v2, v[46:47], v[48:49] offset1:22
	s_wait_storecnt_dscnt 0x0
	s_barrier_signal -1
	s_barrier_wait -1
	s_wait_xcnt 0x0
	s_and_saveexec_b32 s1, s0
	s_cbranch_execz .LBB20_15
; %bb.14:
	scratch_load_b64 v[46:47], v3, off
	ds_load_b64 v[48:49], v1
	s_wait_loadcnt_dscnt 0x0
	v_fma_f64 v[46:47], v[46:47], v[48:49], 0
	v_mov_b32_e32 v9, 0
	ds_load_b64 v[50:51], v9 offset:8
	s_wait_dscnt 0x0
	v_mul_f64_e32 v[46:47], v[46:47], v[50:51]
	scratch_store_b64 off, v[46:47], off offset:8
.LBB20_15:
	s_wait_xcnt 0x0
	s_or_b32 exec_lo, exec_lo, s1
	s_wait_storecnt 0x0
	s_barrier_signal -1
	s_barrier_wait -1
	scratch_load_b64 v[46:47], off, off offset:16
	s_mov_b32 s1, exec_lo
	s_wait_loadcnt 0x0
	ds_store_b64 v1, v[46:47]
	s_wait_dscnt 0x0
	s_barrier_signal -1
	s_barrier_wait -1
	v_cmpx_gt_u32_e32 2, v0
	s_cbranch_execz .LBB20_19
; %bb.16:
	scratch_load_b64 v[46:47], v3, off
	ds_load_b64 v[48:49], v1
	s_wait_loadcnt_dscnt 0x0
	v_fma_f64 v[46:47], v[46:47], v[48:49], 0
	s_and_saveexec_b32 s8, s0
	s_cbranch_execz .LBB20_18
; %bb.17:
	scratch_load_b64 v[48:49], off, off offset:8
	v_mov_b32_e32 v3, 0
	ds_load_b64 v[50:51], v3 offset:184
	s_wait_loadcnt_dscnt 0x0
	v_fmac_f64_e32 v[46:47], v[48:49], v[50:51]
.LBB20_18:
	s_or_b32 exec_lo, exec_lo, s8
	v_mov_b32_e32 v3, 0
	ds_load_b64 v[48:49], v3 offset:16
	s_wait_dscnt 0x0
	v_mul_f64_e32 v[46:47], v[46:47], v[48:49]
	scratch_store_b64 off, v[46:47], off offset:16
.LBB20_19:
	s_wait_xcnt 0x0
	s_or_b32 exec_lo, exec_lo, s1
	s_wait_storecnt 0x0
	s_barrier_signal -1
	s_barrier_wait -1
	scratch_load_b64 v[46:47], off, off offset:24
	v_add_nc_u32_e32 v3, -1, v0
	s_mov_b32 s0, exec_lo
	s_wait_loadcnt 0x0
	ds_store_b64 v1, v[46:47]
	s_wait_dscnt 0x0
	s_barrier_signal -1
	s_barrier_wait -1
	v_cmpx_gt_u32_e32 3, v0
	s_cbranch_execz .LBB20_23
; %bb.20:
	v_mov_b64_e32 v[46:47], 0
	v_dual_add_nc_u32 v9, -1, v0 :: v_dual_mov_b32 v13, v2
	v_add_nc_u32_e32 v11, 0xb0, v2
	s_mov_b32 s1, 0
.LBB20_21:                              ; =>This Inner Loop Header: Depth=1
	scratch_load_b64 v[48:49], v13, off
	ds_load_b64 v[50:51], v11
	v_dual_add_nc_u32 v9, 1, v9 :: v_dual_add_nc_u32 v11, 8, v11
	s_wait_xcnt 0x0
	v_add_nc_u32_e32 v13, 8, v13
	s_delay_alu instid0(VALU_DEP_2)
	v_cmp_lt_u32_e32 vcc_lo, 1, v9
	s_or_b32 s1, vcc_lo, s1
	s_wait_loadcnt_dscnt 0x0
	v_fmac_f64_e32 v[46:47], v[48:49], v[50:51]
	s_and_not1_b32 exec_lo, exec_lo, s1
	s_cbranch_execnz .LBB20_21
; %bb.22:
	s_or_b32 exec_lo, exec_lo, s1
	v_mov_b32_e32 v9, 0
	ds_load_b64 v[48:49], v9 offset:24
	s_wait_dscnt 0x0
	v_mul_f64_e32 v[46:47], v[46:47], v[48:49]
	scratch_store_b64 off, v[46:47], off offset:24
.LBB20_23:
	s_wait_xcnt 0x0
	s_or_b32 exec_lo, exec_lo, s0
	s_wait_storecnt 0x0
	s_barrier_signal -1
	s_barrier_wait -1
	scratch_load_b64 v[46:47], off, off offset:32
	s_mov_b32 s0, exec_lo
	s_wait_loadcnt 0x0
	ds_store_b64 v1, v[46:47]
	s_wait_dscnt 0x0
	s_barrier_signal -1
	s_barrier_wait -1
	v_cmpx_gt_u32_e32 4, v0
	s_cbranch_execz .LBB20_27
; %bb.24:
	v_mov_b64_e32 v[46:47], 0
	v_dual_add_nc_u32 v9, -1, v0 :: v_dual_mov_b32 v13, v2
	v_add_nc_u32_e32 v11, 0xb0, v2
	s_mov_b32 s1, 0
.LBB20_25:                              ; =>This Inner Loop Header: Depth=1
	scratch_load_b64 v[48:49], v13, off
	ds_load_b64 v[50:51], v11
	v_dual_add_nc_u32 v9, 1, v9 :: v_dual_add_nc_u32 v11, 8, v11
	s_wait_xcnt 0x0
	v_add_nc_u32_e32 v13, 8, v13
	s_delay_alu instid0(VALU_DEP_2)
	v_cmp_lt_u32_e32 vcc_lo, 2, v9
	s_or_b32 s1, vcc_lo, s1
	s_wait_loadcnt_dscnt 0x0
	v_fmac_f64_e32 v[46:47], v[48:49], v[50:51]
	s_and_not1_b32 exec_lo, exec_lo, s1
	s_cbranch_execnz .LBB20_25
; %bb.26:
	s_or_b32 exec_lo, exec_lo, s1
	v_mov_b32_e32 v9, 0
	ds_load_b64 v[48:49], v9 offset:32
	s_wait_dscnt 0x0
	v_mul_f64_e32 v[46:47], v[46:47], v[48:49]
	scratch_store_b64 off, v[46:47], off offset:32
.LBB20_27:
	s_wait_xcnt 0x0
	s_or_b32 exec_lo, exec_lo, s0
	s_wait_storecnt 0x0
	s_barrier_signal -1
	s_barrier_wait -1
	scratch_load_b64 v[46:47], off, off offset:40
	;; [unrolled: 40-line block ×17, first 2 shown]
	s_mov_b32 s0, exec_lo
	s_wait_loadcnt 0x0
	ds_store_b64 v1, v[46:47]
	s_wait_dscnt 0x0
	s_barrier_signal -1
	s_barrier_wait -1
	v_cmpx_ne_u32_e32 20, v0
	s_cbranch_execz .LBB20_91
; %bb.88:
	v_mov_b64_e32 v[46:47], 0
	s_mov_b32 s1, 0
.LBB20_89:                              ; =>This Inner Loop Header: Depth=1
	scratch_load_b64 v[48:49], v2, off
	ds_load_b64 v[50:51], v1
	v_dual_add_nc_u32 v3, 1, v3 :: v_dual_add_nc_u32 v1, 8, v1
	s_wait_xcnt 0x0
	v_add_nc_u32_e32 v2, 8, v2
	s_delay_alu instid0(VALU_DEP_2)
	v_cmp_lt_u32_e32 vcc_lo, 18, v3
	s_or_b32 s1, vcc_lo, s1
	s_wait_loadcnt_dscnt 0x0
	v_fmac_f64_e32 v[46:47], v[48:49], v[50:51]
	s_and_not1_b32 exec_lo, exec_lo, s1
	s_cbranch_execnz .LBB20_89
; %bb.90:
	s_or_b32 exec_lo, exec_lo, s1
	v_mov_b32_e32 v1, 0
	ds_load_b64 v[2:3], v1 offset:160
	s_wait_dscnt 0x0
	v_mul_f64_e32 v[2:3], v[46:47], v[2:3]
	scratch_store_b64 off, v[2:3], off offset:160
.LBB20_91:
	s_wait_xcnt 0x0
	s_or_b32 exec_lo, exec_lo, s0
	s_mov_b32 s1, -1
	s_wait_storecnt 0x0
	s_barrier_signal -1
	s_barrier_wait -1
.LBB20_92:
	s_and_b32 vcc_lo, exec_lo, s1
	s_cbranch_vccz .LBB20_94
; %bb.93:
	v_mov_b32_e32 v1, 0
	s_lshl_b64 s[0:1], s[16:17], 2
	s_delay_alu instid0(SALU_CYCLE_1)
	s_add_nc_u64 s[0:1], s[6:7], s[0:1]
	global_load_b32 v1, v1, s[0:1]
	s_wait_loadcnt 0x0
	v_cmp_ne_u32_e32 vcc_lo, 0, v1
	s_cbranch_vccz .LBB20_95
.LBB20_94:
	s_sendmsg sendmsg(MSG_DEALLOC_VGPRS)
	s_endpgm
.LBB20_95:
	s_wait_xcnt 0x0
	v_lshl_add_u32 v1, v0, 3, 0xb0
	s_mov_b32 s0, exec_lo
	v_cmpx_eq_u32_e32 20, v0
	s_cbranch_execz .LBB20_97
; %bb.96:
	scratch_load_b64 v[2:3], off, off offset:152
	v_mov_b64_e32 v[46:47], 0
	scratch_store_b64 off, v[46:47], off offset:152
	s_wait_loadcnt 0x0
	ds_store_b64 v1, v[2:3]
.LBB20_97:
	s_wait_xcnt 0x0
	s_or_b32 exec_lo, exec_lo, s0
	s_wait_storecnt_dscnt 0x0
	s_barrier_signal -1
	s_barrier_wait -1
	scratch_load_b128 v[46:49], off, off offset:152
	v_mov_b32_e32 v2, 0
	s_mov_b32 s0, exec_lo
	ds_load_b64 v[50:51], v2 offset:336
	s_wait_loadcnt_dscnt 0x0
	v_fma_f64 v[48:49], v[48:49], v[50:51], 0
	s_delay_alu instid0(VALU_DEP_1)
	v_add_f64_e64 v[46:47], v[46:47], -v[48:49]
	scratch_store_b64 off, v[46:47], off offset:152
	s_wait_xcnt 0x0
	v_cmpx_lt_u32_e32 18, v0
	s_cbranch_execz .LBB20_99
; %bb.98:
	scratch_load_b64 v[46:47], off, off offset:144
	v_mov_b64_e32 v[48:49], 0
	scratch_store_b64 off, v[48:49], off offset:144
	s_wait_loadcnt 0x0
	ds_store_b64 v1, v[46:47]
.LBB20_99:
	s_wait_xcnt 0x0
	s_or_b32 exec_lo, exec_lo, s0
	s_wait_storecnt_dscnt 0x0
	s_barrier_signal -1
	s_barrier_wait -1
	s_clause 0x1
	scratch_load_b128 v[46:49], off, off offset:144
	scratch_load_b64 v[54:55], off, off offset:160
	ds_load_2addr_b64 v[50:53], v2 offset0:41 offset1:42
	s_mov_b32 s0, exec_lo
	s_wait_loadcnt_dscnt 0x100
	v_fma_f64 v[2:3], v[48:49], v[50:51], 0
	s_wait_loadcnt 0x0
	s_delay_alu instid0(VALU_DEP_1) | instskip(NEXT) | instid1(VALU_DEP_1)
	v_fmac_f64_e32 v[2:3], v[54:55], v[52:53]
	v_add_f64_e64 v[2:3], v[46:47], -v[2:3]
	scratch_store_b64 off, v[2:3], off offset:144
	s_wait_xcnt 0x0
	v_cmpx_lt_u32_e32 17, v0
	s_cbranch_execz .LBB20_101
; %bb.100:
	scratch_load_b64 v[2:3], off, off offset:136
	v_mov_b64_e32 v[46:47], 0
	scratch_store_b64 off, v[46:47], off offset:136
	s_wait_loadcnt 0x0
	ds_store_b64 v1, v[2:3]
.LBB20_101:
	s_wait_xcnt 0x0
	s_or_b32 exec_lo, exec_lo, s0
	s_wait_storecnt_dscnt 0x0
	s_barrier_signal -1
	s_barrier_wait -1
	s_clause 0x1
	scratch_load_b128 v[46:49], off, off offset:136
	scratch_load_b128 v[50:53], off, off offset:152
	v_mov_b32_e32 v2, 0
	ds_load_b128 v[54:57], v2 offset:320
	ds_load_b64 v[58:59], v2 offset:336
	s_mov_b32 s0, exec_lo
	s_wait_loadcnt_dscnt 0x101
	v_fma_f64 v[48:49], v[48:49], v[54:55], 0
	s_wait_loadcnt 0x0
	s_delay_alu instid0(VALU_DEP_1) | instskip(SKIP_1) | instid1(VALU_DEP_1)
	v_fmac_f64_e32 v[48:49], v[50:51], v[56:57]
	s_wait_dscnt 0x0
	v_fmac_f64_e32 v[48:49], v[52:53], v[58:59]
	s_delay_alu instid0(VALU_DEP_1)
	v_add_f64_e64 v[46:47], v[46:47], -v[48:49]
	scratch_store_b64 off, v[46:47], off offset:136
	s_wait_xcnt 0x0
	v_cmpx_lt_u32_e32 16, v0
	s_cbranch_execz .LBB20_103
; %bb.102:
	scratch_load_b64 v[46:47], off, off offset:128
	v_mov_b64_e32 v[48:49], 0
	scratch_store_b64 off, v[48:49], off offset:128
	s_wait_loadcnt 0x0
	ds_store_b64 v1, v[46:47]
.LBB20_103:
	s_wait_xcnt 0x0
	s_or_b32 exec_lo, exec_lo, s0
	s_wait_storecnt_dscnt 0x0
	s_barrier_signal -1
	s_barrier_wait -1
	s_clause 0x2
	scratch_load_b128 v[46:49], off, off offset:128
	scratch_load_b128 v[50:53], off, off offset:144
	scratch_load_b64 v[62:63], off, off offset:160
	ds_load_2addr_b64 v[54:57], v2 offset0:39 offset1:40
	ds_load_2addr_b64 v[58:61], v2 offset0:41 offset1:42
	s_mov_b32 s0, exec_lo
	s_wait_loadcnt_dscnt 0x201
	v_fma_f64 v[2:3], v[48:49], v[54:55], 0
	s_wait_loadcnt 0x1
	s_delay_alu instid0(VALU_DEP_1) | instskip(SKIP_1) | instid1(VALU_DEP_1)
	v_fmac_f64_e32 v[2:3], v[50:51], v[56:57]
	s_wait_dscnt 0x0
	v_fmac_f64_e32 v[2:3], v[52:53], v[58:59]
	s_wait_loadcnt 0x0
	s_delay_alu instid0(VALU_DEP_1) | instskip(NEXT) | instid1(VALU_DEP_1)
	v_fmac_f64_e32 v[2:3], v[62:63], v[60:61]
	v_add_f64_e64 v[2:3], v[46:47], -v[2:3]
	scratch_store_b64 off, v[2:3], off offset:128
	s_wait_xcnt 0x0
	v_cmpx_lt_u32_e32 15, v0
	s_cbranch_execz .LBB20_105
; %bb.104:
	scratch_load_b64 v[2:3], off, off offset:120
	v_mov_b64_e32 v[46:47], 0
	scratch_store_b64 off, v[46:47], off offset:120
	s_wait_loadcnt 0x0
	ds_store_b64 v1, v[2:3]
.LBB20_105:
	s_wait_xcnt 0x0
	s_or_b32 exec_lo, exec_lo, s0
	s_wait_storecnt_dscnt 0x0
	s_barrier_signal -1
	s_barrier_wait -1
	s_clause 0x2
	scratch_load_b128 v[46:49], off, off offset:120
	scratch_load_b128 v[50:53], off, off offset:136
	;; [unrolled: 1-line block ×3, first 2 shown]
	v_mov_b32_e32 v2, 0
	ds_load_b128 v[58:61], v2 offset:304
	ds_load_b128 v[62:65], v2 offset:320
	s_mov_b32 s0, exec_lo
	s_wait_loadcnt_dscnt 0x201
	v_fma_f64 v[48:49], v[48:49], v[58:59], 0
	s_wait_loadcnt 0x1
	s_delay_alu instid0(VALU_DEP_1) | instskip(SKIP_4) | instid1(VALU_DEP_1)
	v_fmac_f64_e32 v[48:49], v[50:51], v[60:61]
	ds_load_b64 v[50:51], v2 offset:336
	s_wait_dscnt 0x1
	v_fmac_f64_e32 v[48:49], v[52:53], v[62:63]
	s_wait_loadcnt 0x0
	v_fmac_f64_e32 v[48:49], v[54:55], v[64:65]
	s_wait_dscnt 0x0
	s_delay_alu instid0(VALU_DEP_1) | instskip(NEXT) | instid1(VALU_DEP_1)
	v_fmac_f64_e32 v[48:49], v[56:57], v[50:51]
	v_add_f64_e64 v[46:47], v[46:47], -v[48:49]
	scratch_store_b64 off, v[46:47], off offset:120
	s_wait_xcnt 0x0
	v_cmpx_lt_u32_e32 14, v0
	s_cbranch_execz .LBB20_107
; %bb.106:
	scratch_load_b64 v[46:47], off, off offset:112
	v_mov_b64_e32 v[48:49], 0
	scratch_store_b64 off, v[48:49], off offset:112
	s_wait_loadcnt 0x0
	ds_store_b64 v1, v[46:47]
.LBB20_107:
	s_wait_xcnt 0x0
	s_or_b32 exec_lo, exec_lo, s0
	s_wait_storecnt_dscnt 0x0
	s_barrier_signal -1
	s_barrier_wait -1
	s_clause 0x3
	scratch_load_b128 v[46:49], off, off offset:112
	scratch_load_b128 v[50:53], off, off offset:128
	;; [unrolled: 1-line block ×3, first 2 shown]
	scratch_load_b64 v[66:67], off, off offset:160
	ds_load_2addr_b64 v[58:61], v2 offset0:37 offset1:38
	ds_load_2addr_b64 v[62:65], v2 offset0:39 offset1:40
	s_mov_b32 s0, exec_lo
	s_wait_loadcnt_dscnt 0x301
	v_fma_f64 v[58:59], v[48:49], v[58:59], 0
	s_wait_loadcnt 0x2
	s_delay_alu instid0(VALU_DEP_1) | instskip(SKIP_4) | instid1(VALU_DEP_1)
	v_fmac_f64_e32 v[58:59], v[50:51], v[60:61]
	ds_load_2addr_b64 v[48:51], v2 offset0:41 offset1:42
	s_wait_dscnt 0x1
	v_fmac_f64_e32 v[58:59], v[52:53], v[62:63]
	s_wait_loadcnt 0x1
	v_fmac_f64_e32 v[58:59], v[54:55], v[64:65]
	s_wait_dscnt 0x0
	s_delay_alu instid0(VALU_DEP_1) | instskip(SKIP_1) | instid1(VALU_DEP_1)
	v_fmac_f64_e32 v[58:59], v[56:57], v[48:49]
	s_wait_loadcnt 0x0
	v_fmac_f64_e32 v[58:59], v[66:67], v[50:51]
	s_delay_alu instid0(VALU_DEP_1)
	v_add_f64_e64 v[2:3], v[46:47], -v[58:59]
	scratch_store_b64 off, v[2:3], off offset:112
	s_wait_xcnt 0x0
	v_cmpx_lt_u32_e32 13, v0
	s_cbranch_execz .LBB20_109
; %bb.108:
	scratch_load_b64 v[2:3], off, off offset:104
	v_mov_b64_e32 v[46:47], 0
	scratch_store_b64 off, v[46:47], off offset:104
	s_wait_loadcnt 0x0
	ds_store_b64 v1, v[2:3]
.LBB20_109:
	s_wait_xcnt 0x0
	s_or_b32 exec_lo, exec_lo, s0
	s_wait_storecnt_dscnt 0x0
	s_barrier_signal -1
	s_barrier_wait -1
	s_clause 0x3
	scratch_load_b128 v[46:49], off, off offset:104
	scratch_load_b128 v[50:53], off, off offset:120
	;; [unrolled: 1-line block ×4, first 2 shown]
	v_mov_b32_e32 v2, 0
	ds_load_b128 v[62:65], v2 offset:288
	ds_load_b128 v[66:69], v2 offset:304
	s_mov_b32 s0, exec_lo
	s_wait_loadcnt_dscnt 0x301
	v_fma_f64 v[62:63], v[48:49], v[62:63], 0
	s_wait_loadcnt 0x2
	s_delay_alu instid0(VALU_DEP_1) | instskip(SKIP_1) | instid1(VALU_DEP_1)
	v_fmac_f64_e32 v[62:63], v[50:51], v[64:65]
	s_wait_dscnt 0x0
	v_fmac_f64_e32 v[62:63], v[52:53], v[66:67]
	ds_load_b128 v[48:51], v2 offset:320
	ds_load_b64 v[52:53], v2 offset:336
	s_wait_loadcnt 0x1
	v_fmac_f64_e32 v[62:63], v[54:55], v[68:69]
	s_wait_dscnt 0x1
	s_delay_alu instid0(VALU_DEP_1) | instskip(SKIP_1) | instid1(VALU_DEP_1)
	v_fmac_f64_e32 v[62:63], v[56:57], v[48:49]
	s_wait_loadcnt 0x0
	v_fmac_f64_e32 v[62:63], v[58:59], v[50:51]
	s_wait_dscnt 0x0
	s_delay_alu instid0(VALU_DEP_1) | instskip(NEXT) | instid1(VALU_DEP_1)
	v_fmac_f64_e32 v[62:63], v[60:61], v[52:53]
	v_add_f64_e64 v[46:47], v[46:47], -v[62:63]
	scratch_store_b64 off, v[46:47], off offset:104
	s_wait_xcnt 0x0
	v_cmpx_lt_u32_e32 12, v0
	s_cbranch_execz .LBB20_111
; %bb.110:
	scratch_load_b64 v[46:47], off, off offset:96
	v_mov_b64_e32 v[48:49], 0
	scratch_store_b64 off, v[48:49], off offset:96
	s_wait_loadcnt 0x0
	ds_store_b64 v1, v[46:47]
.LBB20_111:
	s_wait_xcnt 0x0
	s_or_b32 exec_lo, exec_lo, s0
	s_wait_storecnt_dscnt 0x0
	s_barrier_signal -1
	s_barrier_wait -1
	s_clause 0x4
	scratch_load_b128 v[46:49], off, off offset:96
	scratch_load_b128 v[50:53], off, off offset:112
	;; [unrolled: 1-line block ×4, first 2 shown]
	scratch_load_b64 v[70:71], off, off offset:160
	ds_load_2addr_b64 v[62:65], v2 offset0:35 offset1:36
	ds_load_2addr_b64 v[66:69], v2 offset0:37 offset1:38
	s_mov_b32 s0, exec_lo
	s_wait_loadcnt_dscnt 0x401
	v_fma_f64 v[62:63], v[48:49], v[62:63], 0
	s_wait_loadcnt 0x3
	s_delay_alu instid0(VALU_DEP_1) | instskip(SKIP_1) | instid1(VALU_DEP_1)
	v_fmac_f64_e32 v[62:63], v[50:51], v[64:65]
	s_wait_dscnt 0x0
	v_fmac_f64_e32 v[62:63], v[52:53], v[66:67]
	s_wait_loadcnt 0x2
	s_delay_alu instid0(VALU_DEP_1)
	v_fmac_f64_e32 v[62:63], v[54:55], v[68:69]
	ds_load_2addr_b64 v[48:51], v2 offset0:39 offset1:40
	ds_load_2addr_b64 v[52:55], v2 offset0:41 offset1:42
	s_wait_dscnt 0x1
	v_fmac_f64_e32 v[62:63], v[56:57], v[48:49]
	s_wait_loadcnt 0x1
	s_delay_alu instid0(VALU_DEP_1) | instskip(SKIP_1) | instid1(VALU_DEP_1)
	v_fmac_f64_e32 v[62:63], v[58:59], v[50:51]
	s_wait_dscnt 0x0
	v_fmac_f64_e32 v[62:63], v[60:61], v[52:53]
	s_wait_loadcnt 0x0
	s_delay_alu instid0(VALU_DEP_1) | instskip(NEXT) | instid1(VALU_DEP_1)
	v_fmac_f64_e32 v[62:63], v[70:71], v[54:55]
	v_add_f64_e64 v[2:3], v[46:47], -v[62:63]
	scratch_store_b64 off, v[2:3], off offset:96
	s_wait_xcnt 0x0
	v_cmpx_lt_u32_e32 11, v0
	s_cbranch_execz .LBB20_113
; %bb.112:
	scratch_load_b64 v[2:3], off, off offset:88
	v_mov_b64_e32 v[46:47], 0
	scratch_store_b64 off, v[46:47], off offset:88
	s_wait_loadcnt 0x0
	ds_store_b64 v1, v[2:3]
.LBB20_113:
	s_wait_xcnt 0x0
	s_or_b32 exec_lo, exec_lo, s0
	s_wait_storecnt_dscnt 0x0
	s_barrier_signal -1
	s_barrier_wait -1
	s_clause 0x4
	scratch_load_b128 v[46:49], off, off offset:88
	scratch_load_b128 v[50:53], off, off offset:104
	;; [unrolled: 1-line block ×5, first 2 shown]
	v_mov_b32_e32 v2, 0
	ds_load_b128 v[66:69], v2 offset:272
	ds_load_b128 v[70:73], v2 offset:288
	s_mov_b32 s0, exec_lo
	s_wait_loadcnt_dscnt 0x401
	v_fma_f64 v[66:67], v[48:49], v[66:67], 0
	s_wait_loadcnt 0x3
	s_delay_alu instid0(VALU_DEP_1) | instskip(SKIP_1) | instid1(VALU_DEP_1)
	v_fmac_f64_e32 v[66:67], v[50:51], v[68:69]
	s_wait_dscnt 0x0
	v_fmac_f64_e32 v[66:67], v[52:53], v[70:71]
	s_wait_loadcnt 0x2
	s_delay_alu instid0(VALU_DEP_1)
	v_fmac_f64_e32 v[66:67], v[54:55], v[72:73]
	ds_load_b128 v[48:51], v2 offset:304
	ds_load_b128 v[52:55], v2 offset:320
	s_wait_dscnt 0x1
	v_fmac_f64_e32 v[66:67], v[56:57], v[48:49]
	ds_load_b64 v[48:49], v2 offset:336
	s_wait_loadcnt 0x1
	v_fmac_f64_e32 v[66:67], v[58:59], v[50:51]
	s_wait_dscnt 0x1
	s_delay_alu instid0(VALU_DEP_1) | instskip(SKIP_1) | instid1(VALU_DEP_1)
	v_fmac_f64_e32 v[66:67], v[60:61], v[52:53]
	s_wait_loadcnt 0x0
	v_fmac_f64_e32 v[66:67], v[62:63], v[54:55]
	s_wait_dscnt 0x0
	s_delay_alu instid0(VALU_DEP_1) | instskip(NEXT) | instid1(VALU_DEP_1)
	v_fmac_f64_e32 v[66:67], v[64:65], v[48:49]
	v_add_f64_e64 v[46:47], v[46:47], -v[66:67]
	scratch_store_b64 off, v[46:47], off offset:88
	s_wait_xcnt 0x0
	v_cmpx_lt_u32_e32 10, v0
	s_cbranch_execz .LBB20_115
; %bb.114:
	scratch_load_b64 v[46:47], off, off offset:80
	v_mov_b64_e32 v[48:49], 0
	scratch_store_b64 off, v[48:49], off offset:80
	s_wait_loadcnt 0x0
	ds_store_b64 v1, v[46:47]
.LBB20_115:
	s_wait_xcnt 0x0
	s_or_b32 exec_lo, exec_lo, s0
	s_wait_storecnt_dscnt 0x0
	s_barrier_signal -1
	s_barrier_wait -1
	s_clause 0x5
	scratch_load_b128 v[46:49], off, off offset:80
	scratch_load_b128 v[50:53], off, off offset:96
	;; [unrolled: 1-line block ×5, first 2 shown]
	scratch_load_b64 v[74:75], off, off offset:160
	ds_load_2addr_b64 v[66:69], v2 offset0:33 offset1:34
	ds_load_2addr_b64 v[70:73], v2 offset0:35 offset1:36
	s_mov_b32 s0, exec_lo
	s_wait_loadcnt_dscnt 0x501
	v_fma_f64 v[66:67], v[48:49], v[66:67], 0
	s_wait_loadcnt 0x4
	s_delay_alu instid0(VALU_DEP_1) | instskip(SKIP_1) | instid1(VALU_DEP_1)
	v_fmac_f64_e32 v[66:67], v[50:51], v[68:69]
	s_wait_dscnt 0x0
	v_fmac_f64_e32 v[66:67], v[52:53], v[70:71]
	s_wait_loadcnt 0x3
	s_delay_alu instid0(VALU_DEP_1)
	v_fmac_f64_e32 v[66:67], v[54:55], v[72:73]
	ds_load_2addr_b64 v[48:51], v2 offset0:37 offset1:38
	ds_load_2addr_b64 v[52:55], v2 offset0:39 offset1:40
	s_wait_dscnt 0x1
	v_fmac_f64_e32 v[66:67], v[56:57], v[48:49]
	s_wait_loadcnt 0x2
	s_delay_alu instid0(VALU_DEP_1) | instskip(SKIP_4) | instid1(VALU_DEP_1)
	v_fmac_f64_e32 v[66:67], v[58:59], v[50:51]
	ds_load_2addr_b64 v[48:51], v2 offset0:41 offset1:42
	s_wait_dscnt 0x1
	v_fmac_f64_e32 v[66:67], v[60:61], v[52:53]
	s_wait_loadcnt 0x1
	v_fmac_f64_e32 v[66:67], v[62:63], v[54:55]
	s_wait_dscnt 0x0
	s_delay_alu instid0(VALU_DEP_1) | instskip(SKIP_1) | instid1(VALU_DEP_1)
	v_fmac_f64_e32 v[66:67], v[64:65], v[48:49]
	s_wait_loadcnt 0x0
	v_fmac_f64_e32 v[66:67], v[74:75], v[50:51]
	s_delay_alu instid0(VALU_DEP_1)
	v_add_f64_e64 v[2:3], v[46:47], -v[66:67]
	scratch_store_b64 off, v[2:3], off offset:80
	s_wait_xcnt 0x0
	v_cmpx_lt_u32_e32 9, v0
	s_cbranch_execz .LBB20_117
; %bb.116:
	scratch_load_b64 v[2:3], off, off offset:72
	v_mov_b64_e32 v[46:47], 0
	scratch_store_b64 off, v[46:47], off offset:72
	s_wait_loadcnt 0x0
	ds_store_b64 v1, v[2:3]
.LBB20_117:
	s_wait_xcnt 0x0
	s_or_b32 exec_lo, exec_lo, s0
	s_wait_storecnt_dscnt 0x0
	s_barrier_signal -1
	s_barrier_wait -1
	s_clause 0x5
	scratch_load_b128 v[46:49], off, off offset:72
	scratch_load_b128 v[50:53], off, off offset:88
	;; [unrolled: 1-line block ×6, first 2 shown]
	v_mov_b32_e32 v2, 0
	ds_load_b128 v[70:73], v2 offset:256
	ds_load_b128 v[74:77], v2 offset:272
	s_mov_b32 s0, exec_lo
	s_wait_loadcnt_dscnt 0x501
	v_fma_f64 v[70:71], v[48:49], v[70:71], 0
	s_wait_loadcnt 0x4
	s_delay_alu instid0(VALU_DEP_1) | instskip(SKIP_1) | instid1(VALU_DEP_1)
	v_fmac_f64_e32 v[70:71], v[50:51], v[72:73]
	s_wait_dscnt 0x0
	v_fmac_f64_e32 v[70:71], v[52:53], v[74:75]
	s_wait_loadcnt 0x3
	s_delay_alu instid0(VALU_DEP_1)
	v_fmac_f64_e32 v[70:71], v[54:55], v[76:77]
	ds_load_b128 v[48:51], v2 offset:288
	ds_load_b128 v[52:55], v2 offset:304
	s_wait_dscnt 0x1
	v_fmac_f64_e32 v[70:71], v[56:57], v[48:49]
	s_wait_loadcnt 0x2
	s_delay_alu instid0(VALU_DEP_1) | instskip(SKIP_1) | instid1(VALU_DEP_1)
	v_fmac_f64_e32 v[70:71], v[58:59], v[50:51]
	s_wait_dscnt 0x0
	v_fmac_f64_e32 v[70:71], v[60:61], v[52:53]
	ds_load_b128 v[48:51], v2 offset:320
	ds_load_b64 v[52:53], v2 offset:336
	s_wait_loadcnt 0x1
	v_fmac_f64_e32 v[70:71], v[62:63], v[54:55]
	s_wait_dscnt 0x1
	s_delay_alu instid0(VALU_DEP_1) | instskip(SKIP_1) | instid1(VALU_DEP_1)
	v_fmac_f64_e32 v[70:71], v[64:65], v[48:49]
	s_wait_loadcnt 0x0
	v_fmac_f64_e32 v[70:71], v[66:67], v[50:51]
	s_wait_dscnt 0x0
	s_delay_alu instid0(VALU_DEP_1) | instskip(NEXT) | instid1(VALU_DEP_1)
	v_fmac_f64_e32 v[70:71], v[68:69], v[52:53]
	v_add_f64_e64 v[46:47], v[46:47], -v[70:71]
	scratch_store_b64 off, v[46:47], off offset:72
	s_wait_xcnt 0x0
	v_cmpx_lt_u32_e32 8, v0
	s_cbranch_execz .LBB20_119
; %bb.118:
	scratch_load_b64 v[46:47], off, off offset:64
	v_mov_b64_e32 v[48:49], 0
	scratch_store_b64 off, v[48:49], off offset:64
	s_wait_loadcnt 0x0
	ds_store_b64 v1, v[46:47]
.LBB20_119:
	s_wait_xcnt 0x0
	s_or_b32 exec_lo, exec_lo, s0
	s_wait_storecnt_dscnt 0x0
	s_barrier_signal -1
	s_barrier_wait -1
	s_clause 0x5
	scratch_load_b128 v[46:49], off, off offset:64
	scratch_load_b128 v[50:53], off, off offset:80
	;; [unrolled: 1-line block ×6, first 2 shown]
	ds_load_2addr_b64 v[70:73], v2 offset0:31 offset1:32
	ds_load_2addr_b64 v[74:77], v2 offset0:33 offset1:34
	s_mov_b32 s0, exec_lo
	s_wait_loadcnt_dscnt 0x501
	v_fma_f64 v[70:71], v[48:49], v[70:71], 0
	s_wait_loadcnt 0x4
	s_delay_alu instid0(VALU_DEP_1) | instskip(SKIP_4) | instid1(VALU_DEP_1)
	v_fmac_f64_e32 v[70:71], v[50:51], v[72:73]
	scratch_load_b64 v[72:73], off, off offset:160
	s_wait_dscnt 0x0
	v_fmac_f64_e32 v[70:71], v[52:53], v[74:75]
	s_wait_loadcnt 0x4
	v_fmac_f64_e32 v[70:71], v[54:55], v[76:77]
	ds_load_2addr_b64 v[48:51], v2 offset0:35 offset1:36
	ds_load_2addr_b64 v[52:55], v2 offset0:37 offset1:38
	s_wait_dscnt 0x1
	v_fmac_f64_e32 v[70:71], v[56:57], v[48:49]
	s_wait_loadcnt 0x3
	s_delay_alu instid0(VALU_DEP_1) | instskip(SKIP_1) | instid1(VALU_DEP_1)
	v_fmac_f64_e32 v[70:71], v[58:59], v[50:51]
	s_wait_dscnt 0x0
	v_fmac_f64_e32 v[70:71], v[60:61], v[52:53]
	s_wait_loadcnt 0x2
	s_delay_alu instid0(VALU_DEP_1)
	v_fmac_f64_e32 v[70:71], v[62:63], v[54:55]
	ds_load_2addr_b64 v[48:51], v2 offset0:39 offset1:40
	ds_load_2addr_b64 v[52:55], v2 offset0:41 offset1:42
	s_wait_dscnt 0x1
	v_fmac_f64_e32 v[70:71], v[64:65], v[48:49]
	s_wait_loadcnt 0x1
	s_delay_alu instid0(VALU_DEP_1) | instskip(SKIP_1) | instid1(VALU_DEP_1)
	v_fmac_f64_e32 v[70:71], v[66:67], v[50:51]
	s_wait_dscnt 0x0
	v_fmac_f64_e32 v[70:71], v[68:69], v[52:53]
	s_wait_loadcnt 0x0
	s_delay_alu instid0(VALU_DEP_1) | instskip(NEXT) | instid1(VALU_DEP_1)
	v_fmac_f64_e32 v[70:71], v[72:73], v[54:55]
	v_add_f64_e64 v[2:3], v[46:47], -v[70:71]
	scratch_store_b64 off, v[2:3], off offset:64
	s_wait_xcnt 0x0
	v_cmpx_lt_u32_e32 7, v0
	s_cbranch_execz .LBB20_121
; %bb.120:
	scratch_load_b64 v[2:3], off, off offset:56
	v_mov_b64_e32 v[46:47], 0
	scratch_store_b64 off, v[46:47], off offset:56
	s_wait_loadcnt 0x0
	ds_store_b64 v1, v[2:3]
.LBB20_121:
	s_wait_xcnt 0x0
	s_or_b32 exec_lo, exec_lo, s0
	s_wait_storecnt_dscnt 0x0
	s_barrier_signal -1
	s_barrier_wait -1
	s_clause 0x5
	scratch_load_b128 v[46:49], off, off offset:56
	scratch_load_b128 v[50:53], off, off offset:72
	;; [unrolled: 1-line block ×6, first 2 shown]
	v_mov_b32_e32 v2, 0
	ds_load_b128 v[70:73], v2 offset:240
	ds_load_b128 v[74:77], v2 offset:256
	s_mov_b32 s0, exec_lo
	s_wait_loadcnt_dscnt 0x501
	v_fma_f64 v[78:79], v[48:49], v[70:71], 0
	s_wait_loadcnt 0x4
	s_delay_alu instid0(VALU_DEP_1) | instskip(SKIP_4) | instid1(VALU_DEP_1)
	v_fmac_f64_e32 v[78:79], v[50:51], v[72:73]
	scratch_load_b128 v[48:51], off, off offset:152
	s_wait_dscnt 0x0
	v_fmac_f64_e32 v[78:79], v[52:53], v[74:75]
	s_wait_loadcnt 0x4
	v_fmac_f64_e32 v[78:79], v[54:55], v[76:77]
	ds_load_b128 v[52:55], v2 offset:272
	ds_load_b128 v[70:73], v2 offset:288
	s_wait_dscnt 0x1
	v_fmac_f64_e32 v[78:79], v[56:57], v[52:53]
	s_wait_loadcnt 0x3
	s_delay_alu instid0(VALU_DEP_1)
	v_fmac_f64_e32 v[78:79], v[58:59], v[54:55]
	ds_load_b128 v[52:55], v2 offset:304
	ds_load_b128 v[56:59], v2 offset:320
	s_wait_dscnt 0x2
	v_fmac_f64_e32 v[78:79], v[60:61], v[70:71]
	s_wait_loadcnt 0x2
	s_delay_alu instid0(VALU_DEP_1) | instskip(SKIP_1) | instid1(VALU_DEP_1)
	v_fmac_f64_e32 v[78:79], v[62:63], v[72:73]
	s_wait_dscnt 0x1
	v_fmac_f64_e32 v[78:79], v[64:65], v[52:53]
	s_wait_loadcnt 0x1
	s_delay_alu instid0(VALU_DEP_1) | instskip(SKIP_1) | instid1(VALU_DEP_1)
	v_fmac_f64_e32 v[78:79], v[66:67], v[54:55]
	s_wait_dscnt 0x0
	v_fmac_f64_e32 v[78:79], v[68:69], v[56:57]
	s_wait_loadcnt 0x0
	s_delay_alu instid0(VALU_DEP_1) | instskip(SKIP_3) | instid1(VALU_DEP_1)
	v_fmac_f64_e32 v[78:79], v[48:49], v[58:59]
	ds_load_b64 v[48:49], v2 offset:336
	s_wait_dscnt 0x0
	v_fmac_f64_e32 v[78:79], v[50:51], v[48:49]
	v_add_f64_e64 v[46:47], v[46:47], -v[78:79]
	scratch_store_b64 off, v[46:47], off offset:56
	s_wait_xcnt 0x0
	v_cmpx_lt_u32_e32 6, v0
	s_cbranch_execz .LBB20_123
; %bb.122:
	scratch_load_b64 v[46:47], off, off offset:48
	v_mov_b64_e32 v[48:49], 0
	scratch_store_b64 off, v[48:49], off offset:48
	s_wait_loadcnt 0x0
	ds_store_b64 v1, v[46:47]
.LBB20_123:
	s_wait_xcnt 0x0
	s_or_b32 exec_lo, exec_lo, s0
	s_wait_storecnt_dscnt 0x0
	s_barrier_signal -1
	s_barrier_wait -1
	s_clause 0x5
	scratch_load_b128 v[46:49], off, off offset:48
	scratch_load_b128 v[50:53], off, off offset:64
	;; [unrolled: 1-line block ×6, first 2 shown]
	ds_load_2addr_b64 v[70:73], v2 offset0:29 offset1:30
	ds_load_2addr_b64 v[74:77], v2 offset0:31 offset1:32
	s_mov_b32 s0, exec_lo
	s_wait_loadcnt_dscnt 0x501
	v_fma_f64 v[78:79], v[48:49], v[70:71], 0
	s_wait_loadcnt 0x4
	s_delay_alu instid0(VALU_DEP_1)
	v_fmac_f64_e32 v[78:79], v[50:51], v[72:73]
	scratch_load_b128 v[48:51], off, off offset:144
	s_wait_dscnt 0x0
	v_fmac_f64_e32 v[78:79], v[52:53], v[74:75]
	scratch_load_b64 v[74:75], off, off offset:160
	s_wait_loadcnt 0x5
	v_fmac_f64_e32 v[78:79], v[54:55], v[76:77]
	ds_load_2addr_b64 v[52:55], v2 offset0:33 offset1:34
	ds_load_2addr_b64 v[70:73], v2 offset0:35 offset1:36
	s_wait_dscnt 0x1
	v_fmac_f64_e32 v[78:79], v[56:57], v[52:53]
	s_wait_loadcnt 0x4
	s_delay_alu instid0(VALU_DEP_1)
	v_fmac_f64_e32 v[78:79], v[58:59], v[54:55]
	ds_load_2addr_b64 v[52:55], v2 offset0:37 offset1:38
	ds_load_2addr_b64 v[56:59], v2 offset0:39 offset1:40
	s_wait_dscnt 0x2
	v_fmac_f64_e32 v[78:79], v[60:61], v[70:71]
	s_wait_loadcnt 0x3
	s_delay_alu instid0(VALU_DEP_1) | instskip(SKIP_1) | instid1(VALU_DEP_1)
	v_fmac_f64_e32 v[78:79], v[62:63], v[72:73]
	s_wait_dscnt 0x1
	v_fmac_f64_e32 v[78:79], v[64:65], v[52:53]
	s_wait_loadcnt 0x2
	s_delay_alu instid0(VALU_DEP_1) | instskip(SKIP_4) | instid1(VALU_DEP_1)
	v_fmac_f64_e32 v[78:79], v[66:67], v[54:55]
	ds_load_2addr_b64 v[52:55], v2 offset0:41 offset1:42
	s_wait_dscnt 0x1
	v_fmac_f64_e32 v[78:79], v[68:69], v[56:57]
	s_wait_loadcnt 0x1
	v_fmac_f64_e32 v[78:79], v[48:49], v[58:59]
	s_wait_dscnt 0x0
	s_delay_alu instid0(VALU_DEP_1) | instskip(SKIP_1) | instid1(VALU_DEP_1)
	v_fmac_f64_e32 v[78:79], v[50:51], v[52:53]
	s_wait_loadcnt 0x0
	v_fmac_f64_e32 v[78:79], v[74:75], v[54:55]
	s_delay_alu instid0(VALU_DEP_1)
	v_add_f64_e64 v[2:3], v[46:47], -v[78:79]
	scratch_store_b64 off, v[2:3], off offset:48
	s_wait_xcnt 0x0
	v_cmpx_lt_u32_e32 5, v0
	s_cbranch_execz .LBB20_125
; %bb.124:
	scratch_load_b64 v[2:3], off, off offset:40
	v_mov_b64_e32 v[46:47], 0
	scratch_store_b64 off, v[46:47], off offset:40
	s_wait_loadcnt 0x0
	ds_store_b64 v1, v[2:3]
.LBB20_125:
	s_wait_xcnt 0x0
	s_or_b32 exec_lo, exec_lo, s0
	s_wait_storecnt_dscnt 0x0
	s_barrier_signal -1
	s_barrier_wait -1
	s_clause 0x5
	scratch_load_b128 v[46:49], off, off offset:40
	scratch_load_b128 v[50:53], off, off offset:56
	;; [unrolled: 1-line block ×6, first 2 shown]
	v_mov_b32_e32 v2, 0
	ds_load_b128 v[70:73], v2 offset:224
	ds_load_b128 v[74:77], v2 offset:240
	s_mov_b32 s0, exec_lo
	s_wait_loadcnt_dscnt 0x501
	v_fma_f64 v[78:79], v[48:49], v[70:71], 0
	s_wait_loadcnt 0x4
	s_delay_alu instid0(VALU_DEP_1) | instskip(SKIP_4) | instid1(VALU_DEP_1)
	v_fmac_f64_e32 v[78:79], v[50:51], v[72:73]
	scratch_load_b128 v[48:51], off, off offset:136
	s_wait_dscnt 0x0
	v_fmac_f64_e32 v[78:79], v[52:53], v[74:75]
	s_wait_loadcnt 0x4
	v_fmac_f64_e32 v[78:79], v[54:55], v[76:77]
	scratch_load_b128 v[52:55], off, off offset:152
	ds_load_b128 v[70:73], v2 offset:256
	ds_load_b128 v[74:77], v2 offset:272
	s_wait_dscnt 0x1
	v_fmac_f64_e32 v[78:79], v[56:57], v[70:71]
	s_wait_loadcnt 0x4
	s_delay_alu instid0(VALU_DEP_1) | instskip(SKIP_1) | instid1(VALU_DEP_1)
	v_fmac_f64_e32 v[78:79], v[58:59], v[72:73]
	s_wait_dscnt 0x0
	v_fmac_f64_e32 v[78:79], v[60:61], v[74:75]
	s_wait_loadcnt 0x3
	s_delay_alu instid0(VALU_DEP_1)
	v_fmac_f64_e32 v[78:79], v[62:63], v[76:77]
	ds_load_b128 v[56:59], v2 offset:288
	ds_load_b128 v[60:63], v2 offset:304
	s_wait_dscnt 0x1
	v_fmac_f64_e32 v[78:79], v[64:65], v[56:57]
	s_wait_loadcnt 0x2
	s_delay_alu instid0(VALU_DEP_1) | instskip(SKIP_1) | instid1(VALU_DEP_1)
	v_fmac_f64_e32 v[78:79], v[66:67], v[58:59]
	s_wait_dscnt 0x0
	v_fmac_f64_e32 v[78:79], v[68:69], v[60:61]
	s_wait_loadcnt 0x1
	s_delay_alu instid0(VALU_DEP_1)
	v_fmac_f64_e32 v[78:79], v[48:49], v[62:63]
	ds_load_b128 v[56:59], v2 offset:320
	ds_load_b64 v[48:49], v2 offset:336
	s_wait_dscnt 0x1
	v_fmac_f64_e32 v[78:79], v[50:51], v[56:57]
	s_wait_loadcnt 0x0
	s_delay_alu instid0(VALU_DEP_1) | instskip(SKIP_1) | instid1(VALU_DEP_1)
	v_fmac_f64_e32 v[78:79], v[52:53], v[58:59]
	s_wait_dscnt 0x0
	v_fmac_f64_e32 v[78:79], v[54:55], v[48:49]
	s_delay_alu instid0(VALU_DEP_1)
	v_add_f64_e64 v[46:47], v[46:47], -v[78:79]
	scratch_store_b64 off, v[46:47], off offset:40
	s_wait_xcnt 0x0
	v_cmpx_lt_u32_e32 4, v0
	s_cbranch_execz .LBB20_127
; %bb.126:
	scratch_load_b64 v[46:47], off, off offset:32
	v_mov_b64_e32 v[48:49], 0
	scratch_store_b64 off, v[48:49], off offset:32
	s_wait_loadcnt 0x0
	ds_store_b64 v1, v[46:47]
.LBB20_127:
	s_wait_xcnt 0x0
	s_or_b32 exec_lo, exec_lo, s0
	s_wait_storecnt_dscnt 0x0
	s_barrier_signal -1
	s_barrier_wait -1
	s_clause 0x5
	scratch_load_b128 v[46:49], off, off offset:32
	scratch_load_b128 v[50:53], off, off offset:48
	scratch_load_b128 v[54:57], off, off offset:64
	scratch_load_b128 v[58:61], off, off offset:80
	scratch_load_b128 v[62:65], off, off offset:96
	scratch_load_b128 v[66:69], off, off offset:112
	ds_load_2addr_b64 v[70:73], v2 offset0:27 offset1:28
	ds_load_2addr_b64 v[74:77], v2 offset0:29 offset1:30
	s_mov_b32 s0, exec_lo
	s_wait_loadcnt_dscnt 0x501
	v_fma_f64 v[78:79], v[48:49], v[70:71], 0
	s_wait_loadcnt 0x4
	s_delay_alu instid0(VALU_DEP_1) | instskip(SKIP_4) | instid1(VALU_DEP_1)
	v_fmac_f64_e32 v[78:79], v[50:51], v[72:73]
	scratch_load_b128 v[48:51], off, off offset:128
	s_wait_dscnt 0x0
	v_fmac_f64_e32 v[78:79], v[52:53], v[74:75]
	s_wait_loadcnt 0x4
	v_fmac_f64_e32 v[78:79], v[54:55], v[76:77]
	scratch_load_b128 v[52:55], off, off offset:144
	ds_load_2addr_b64 v[70:73], v2 offset0:31 offset1:32
	ds_load_2addr_b64 v[74:77], v2 offset0:33 offset1:34
	s_wait_dscnt 0x1
	v_fmac_f64_e32 v[78:79], v[56:57], v[70:71]
	scratch_load_b64 v[70:71], off, off offset:160
	s_wait_loadcnt 0x5
	v_fmac_f64_e32 v[78:79], v[58:59], v[72:73]
	s_wait_dscnt 0x0
	s_delay_alu instid0(VALU_DEP_1) | instskip(SKIP_1) | instid1(VALU_DEP_1)
	v_fmac_f64_e32 v[78:79], v[60:61], v[74:75]
	s_wait_loadcnt 0x4
	v_fmac_f64_e32 v[78:79], v[62:63], v[76:77]
	ds_load_2addr_b64 v[56:59], v2 offset0:35 offset1:36
	ds_load_2addr_b64 v[60:63], v2 offset0:37 offset1:38
	s_wait_dscnt 0x1
	v_fmac_f64_e32 v[78:79], v[64:65], v[56:57]
	s_wait_loadcnt 0x3
	s_delay_alu instid0(VALU_DEP_1) | instskip(SKIP_1) | instid1(VALU_DEP_1)
	v_fmac_f64_e32 v[78:79], v[66:67], v[58:59]
	s_wait_dscnt 0x0
	v_fmac_f64_e32 v[78:79], v[68:69], v[60:61]
	s_wait_loadcnt 0x2
	s_delay_alu instid0(VALU_DEP_1)
	v_fmac_f64_e32 v[78:79], v[48:49], v[62:63]
	ds_load_2addr_b64 v[56:59], v2 offset0:39 offset1:40
	ds_load_2addr_b64 v[60:63], v2 offset0:41 offset1:42
	s_wait_dscnt 0x1
	v_fmac_f64_e32 v[78:79], v[50:51], v[56:57]
	s_wait_loadcnt 0x1
	s_delay_alu instid0(VALU_DEP_1) | instskip(SKIP_1) | instid1(VALU_DEP_1)
	v_fmac_f64_e32 v[78:79], v[52:53], v[58:59]
	s_wait_dscnt 0x0
	v_fmac_f64_e32 v[78:79], v[54:55], v[60:61]
	s_wait_loadcnt 0x0
	s_delay_alu instid0(VALU_DEP_1) | instskip(NEXT) | instid1(VALU_DEP_1)
	v_fmac_f64_e32 v[78:79], v[70:71], v[62:63]
	v_add_f64_e64 v[2:3], v[46:47], -v[78:79]
	scratch_store_b64 off, v[2:3], off offset:32
	s_wait_xcnt 0x0
	v_cmpx_lt_u32_e32 3, v0
	s_cbranch_execz .LBB20_129
; %bb.128:
	scratch_load_b64 v[2:3], off, off offset:24
	v_mov_b64_e32 v[46:47], 0
	scratch_store_b64 off, v[46:47], off offset:24
	s_wait_loadcnt 0x0
	ds_store_b64 v1, v[2:3]
.LBB20_129:
	s_wait_xcnt 0x0
	s_or_b32 exec_lo, exec_lo, s0
	s_wait_storecnt_dscnt 0x0
	s_barrier_signal -1
	s_barrier_wait -1
	s_clause 0x5
	scratch_load_b128 v[46:49], off, off offset:24
	scratch_load_b128 v[50:53], off, off offset:40
	;; [unrolled: 1-line block ×6, first 2 shown]
	v_mov_b32_e32 v2, 0
	ds_load_b128 v[70:73], v2 offset:208
	ds_load_b128 v[74:77], v2 offset:224
	s_mov_b32 s0, exec_lo
	s_wait_loadcnt_dscnt 0x501
	v_fma_f64 v[78:79], v[48:49], v[70:71], 0
	s_wait_loadcnt 0x4
	s_delay_alu instid0(VALU_DEP_1) | instskip(SKIP_4) | instid1(VALU_DEP_1)
	v_fmac_f64_e32 v[78:79], v[50:51], v[72:73]
	scratch_load_b128 v[48:51], off, off offset:120
	s_wait_dscnt 0x0
	v_fmac_f64_e32 v[78:79], v[52:53], v[74:75]
	s_wait_loadcnt 0x4
	v_fmac_f64_e32 v[78:79], v[54:55], v[76:77]
	scratch_load_b128 v[52:55], off, off offset:136
	ds_load_b128 v[70:73], v2 offset:240
	ds_load_b128 v[74:77], v2 offset:256
	s_wait_dscnt 0x1
	v_fmac_f64_e32 v[78:79], v[56:57], v[70:71]
	s_wait_loadcnt 0x4
	s_delay_alu instid0(VALU_DEP_1) | instskip(SKIP_4) | instid1(VALU_DEP_1)
	v_fmac_f64_e32 v[78:79], v[58:59], v[72:73]
	scratch_load_b128 v[56:59], off, off offset:152
	s_wait_dscnt 0x0
	v_fmac_f64_e32 v[78:79], v[60:61], v[74:75]
	s_wait_loadcnt 0x4
	v_fmac_f64_e32 v[78:79], v[62:63], v[76:77]
	ds_load_b128 v[60:63], v2 offset:272
	ds_load_b128 v[70:73], v2 offset:288
	s_wait_dscnt 0x1
	v_fmac_f64_e32 v[78:79], v[64:65], v[60:61]
	s_wait_loadcnt 0x3
	s_delay_alu instid0(VALU_DEP_1)
	v_fmac_f64_e32 v[78:79], v[66:67], v[62:63]
	ds_load_b128 v[60:63], v2 offset:304
	ds_load_b128 v[64:67], v2 offset:320
	s_wait_dscnt 0x2
	v_fmac_f64_e32 v[78:79], v[68:69], v[70:71]
	s_wait_loadcnt 0x2
	s_delay_alu instid0(VALU_DEP_1) | instskip(SKIP_4) | instid1(VALU_DEP_1)
	v_fmac_f64_e32 v[78:79], v[48:49], v[72:73]
	ds_load_b64 v[48:49], v2 offset:336
	s_wait_dscnt 0x2
	v_fmac_f64_e32 v[78:79], v[50:51], v[60:61]
	s_wait_loadcnt 0x1
	v_fmac_f64_e32 v[78:79], v[52:53], v[62:63]
	s_wait_dscnt 0x1
	s_delay_alu instid0(VALU_DEP_1) | instskip(SKIP_1) | instid1(VALU_DEP_1)
	v_fmac_f64_e32 v[78:79], v[54:55], v[64:65]
	s_wait_loadcnt 0x0
	v_fmac_f64_e32 v[78:79], v[56:57], v[66:67]
	s_wait_dscnt 0x0
	s_delay_alu instid0(VALU_DEP_1) | instskip(NEXT) | instid1(VALU_DEP_1)
	v_fmac_f64_e32 v[78:79], v[58:59], v[48:49]
	v_add_f64_e64 v[46:47], v[46:47], -v[78:79]
	scratch_store_b64 off, v[46:47], off offset:24
	s_wait_xcnt 0x0
	v_cmpx_lt_u32_e32 2, v0
	s_cbranch_execz .LBB20_131
; %bb.130:
	scratch_load_b64 v[46:47], off, off offset:16
	v_mov_b64_e32 v[48:49], 0
	scratch_store_b64 off, v[48:49], off offset:16
	s_wait_loadcnt 0x0
	ds_store_b64 v1, v[46:47]
.LBB20_131:
	s_wait_xcnt 0x0
	s_or_b32 exec_lo, exec_lo, s0
	s_wait_storecnt_dscnt 0x0
	s_barrier_signal -1
	s_barrier_wait -1
	s_clause 0x5
	scratch_load_b128 v[46:49], off, off offset:16
	scratch_load_b128 v[50:53], off, off offset:32
	;; [unrolled: 1-line block ×6, first 2 shown]
	ds_load_2addr_b64 v[70:73], v2 offset0:25 offset1:26
	ds_load_2addr_b64 v[74:77], v2 offset0:27 offset1:28
	s_mov_b32 s0, exec_lo
	s_wait_loadcnt_dscnt 0x501
	v_fma_f64 v[78:79], v[48:49], v[70:71], 0
	s_wait_loadcnt 0x4
	s_delay_alu instid0(VALU_DEP_1) | instskip(SKIP_4) | instid1(VALU_DEP_1)
	v_fmac_f64_e32 v[78:79], v[50:51], v[72:73]
	scratch_load_b128 v[48:51], off, off offset:112
	s_wait_dscnt 0x0
	v_fmac_f64_e32 v[78:79], v[52:53], v[74:75]
	s_wait_loadcnt 0x4
	v_fmac_f64_e32 v[78:79], v[54:55], v[76:77]
	scratch_load_b128 v[52:55], off, off offset:128
	ds_load_2addr_b64 v[70:73], v2 offset0:29 offset1:30
	ds_load_2addr_b64 v[74:77], v2 offset0:31 offset1:32
	s_wait_dscnt 0x1
	v_fmac_f64_e32 v[78:79], v[56:57], v[70:71]
	s_wait_loadcnt 0x4
	s_delay_alu instid0(VALU_DEP_1)
	v_fmac_f64_e32 v[78:79], v[58:59], v[72:73]
	scratch_load_b128 v[56:59], off, off offset:144
	s_wait_dscnt 0x0
	v_fmac_f64_e32 v[78:79], v[60:61], v[74:75]
	scratch_load_b64 v[74:75], off, off offset:160
	s_wait_loadcnt 0x5
	v_fmac_f64_e32 v[78:79], v[62:63], v[76:77]
	ds_load_2addr_b64 v[60:63], v2 offset0:33 offset1:34
	ds_load_2addr_b64 v[70:73], v2 offset0:35 offset1:36
	s_wait_dscnt 0x1
	v_fmac_f64_e32 v[78:79], v[64:65], v[60:61]
	s_wait_loadcnt 0x4
	s_delay_alu instid0(VALU_DEP_1)
	v_fmac_f64_e32 v[78:79], v[66:67], v[62:63]
	ds_load_2addr_b64 v[60:63], v2 offset0:37 offset1:38
	ds_load_2addr_b64 v[64:67], v2 offset0:39 offset1:40
	s_wait_dscnt 0x2
	v_fmac_f64_e32 v[78:79], v[68:69], v[70:71]
	s_wait_loadcnt 0x3
	s_delay_alu instid0(VALU_DEP_1) | instskip(SKIP_1) | instid1(VALU_DEP_1)
	v_fmac_f64_e32 v[78:79], v[48:49], v[72:73]
	s_wait_dscnt 0x1
	v_fmac_f64_e32 v[78:79], v[50:51], v[60:61]
	ds_load_2addr_b64 v[48:51], v2 offset0:41 offset1:42
	s_wait_loadcnt 0x2
	v_fmac_f64_e32 v[78:79], v[52:53], v[62:63]
	s_wait_dscnt 0x1
	s_delay_alu instid0(VALU_DEP_1) | instskip(SKIP_1) | instid1(VALU_DEP_1)
	v_fmac_f64_e32 v[78:79], v[54:55], v[64:65]
	s_wait_loadcnt 0x1
	v_fmac_f64_e32 v[78:79], v[56:57], v[66:67]
	s_wait_dscnt 0x0
	s_delay_alu instid0(VALU_DEP_1) | instskip(SKIP_1) | instid1(VALU_DEP_1)
	v_fmac_f64_e32 v[78:79], v[58:59], v[48:49]
	s_wait_loadcnt 0x0
	v_fmac_f64_e32 v[78:79], v[74:75], v[50:51]
	s_delay_alu instid0(VALU_DEP_1)
	v_add_f64_e64 v[2:3], v[46:47], -v[78:79]
	scratch_store_b64 off, v[2:3], off offset:16
	s_wait_xcnt 0x0
	v_cmpx_lt_u32_e32 1, v0
	s_cbranch_execz .LBB20_133
; %bb.132:
	scratch_load_b64 v[2:3], off, off offset:8
	v_mov_b64_e32 v[46:47], 0
	scratch_store_b64 off, v[46:47], off offset:8
	s_wait_loadcnt 0x0
	ds_store_b64 v1, v[2:3]
.LBB20_133:
	s_wait_xcnt 0x0
	s_or_b32 exec_lo, exec_lo, s0
	s_wait_storecnt_dscnt 0x0
	s_barrier_signal -1
	s_barrier_wait -1
	s_clause 0x4
	scratch_load_b128 v[48:51], off, off offset:8
	scratch_load_b128 v[52:55], off, off offset:24
	scratch_load_b128 v[56:59], off, off offset:40
	scratch_load_b128 v[60:63], off, off offset:56
	scratch_load_b128 v[64:67], off, off offset:72
	v_mov_b32_e32 v46, 0
	ds_load_b128 v[68:71], v46 offset:192
	ds_load_b128 v[72:75], v46 offset:208
	scratch_load_b128 v[76:79], off, off offset:88
	v_dual_ashrrev_i32 v9, 31, v8 :: v_dual_ashrrev_i32 v11, 31, v10
	v_dual_ashrrev_i32 v13, 31, v12 :: v_dual_ashrrev_i32 v15, 31, v14
	;; [unrolled: 1-line block ×9, first 2 shown]
	v_ashrrev_i32_e32 v45, 31, v44
	s_mov_b32 s0, exec_lo
	s_wait_loadcnt_dscnt 0x501
	v_fma_f64 v[2:3], v[50:51], v[68:69], 0
	s_wait_loadcnt 0x4
	s_delay_alu instid0(VALU_DEP_1) | instskip(SKIP_4) | instid1(VALU_DEP_1)
	v_fmac_f64_e32 v[2:3], v[52:53], v[70:71]
	scratch_load_b128 v[50:53], off, off offset:104
	s_wait_dscnt 0x0
	v_fmac_f64_e32 v[2:3], v[54:55], v[72:73]
	s_wait_loadcnt 0x4
	v_fmac_f64_e32 v[2:3], v[56:57], v[74:75]
	ds_load_b128 v[54:57], v46 offset:224
	ds_load_b128 v[68:71], v46 offset:240
	scratch_load_b128 v[72:75], off, off offset:120
	s_wait_dscnt 0x1
	v_fmac_f64_e32 v[2:3], v[58:59], v[54:55]
	s_wait_loadcnt 0x4
	s_delay_alu instid0(VALU_DEP_1) | instskip(SKIP_4) | instid1(VALU_DEP_1)
	v_fmac_f64_e32 v[2:3], v[60:61], v[56:57]
	scratch_load_b128 v[54:57], off, off offset:136
	s_wait_dscnt 0x0
	v_fmac_f64_e32 v[2:3], v[62:63], v[68:69]
	s_wait_loadcnt 0x4
	v_fmac_f64_e32 v[2:3], v[64:65], v[70:71]
	ds_load_b128 v[58:61], v46 offset:256
	ds_load_b128 v[62:65], v46 offset:272
	s_wait_dscnt 0x1
	v_fmac_f64_e32 v[2:3], v[66:67], v[58:59]
	scratch_load_b128 v[66:69], off, off offset:152
	s_wait_loadcnt 0x4
	v_fmac_f64_e32 v[2:3], v[76:77], v[60:61]
	s_wait_dscnt 0x0
	s_delay_alu instid0(VALU_DEP_1) | instskip(SKIP_1) | instid1(VALU_DEP_1)
	v_fmac_f64_e32 v[2:3], v[78:79], v[62:63]
	s_wait_loadcnt 0x3
	v_fmac_f64_e32 v[2:3], v[50:51], v[64:65]
	ds_load_b128 v[58:61], v46 offset:288
	ds_load_b128 v[62:65], v46 offset:304
	s_wait_dscnt 0x1
	v_fmac_f64_e32 v[2:3], v[52:53], v[58:59]
	s_wait_loadcnt 0x2
	s_delay_alu instid0(VALU_DEP_1) | instskip(SKIP_1) | instid1(VALU_DEP_1)
	v_fmac_f64_e32 v[2:3], v[72:73], v[60:61]
	s_wait_dscnt 0x0
	v_fmac_f64_e32 v[2:3], v[74:75], v[62:63]
	s_wait_loadcnt 0x1
	s_delay_alu instid0(VALU_DEP_1)
	v_fmac_f64_e32 v[2:3], v[54:55], v[64:65]
	ds_load_b128 v[50:53], v46 offset:320
	ds_load_b64 v[54:55], v46 offset:336
	s_wait_dscnt 0x1
	v_fmac_f64_e32 v[2:3], v[56:57], v[50:51]
	s_wait_loadcnt 0x0
	s_delay_alu instid0(VALU_DEP_1) | instskip(SKIP_1) | instid1(VALU_DEP_1)
	v_fmac_f64_e32 v[2:3], v[66:67], v[52:53]
	s_wait_dscnt 0x0
	v_fmac_f64_e32 v[2:3], v[68:69], v[54:55]
	s_delay_alu instid0(VALU_DEP_1)
	v_add_f64_e64 v[2:3], v[48:49], -v[2:3]
	scratch_store_b64 off, v[2:3], off offset:8
	s_wait_xcnt 0x0
	v_cmpx_ne_u32_e32 0, v0
	s_cbranch_execz .LBB20_135
; %bb.134:
	scratch_load_b64 v[2:3], off, off
	v_mov_b64_e32 v[48:49], 0
	scratch_store_b64 off, v[48:49], off
	s_wait_loadcnt 0x0
	ds_store_b64 v1, v[2:3]
.LBB20_135:
	s_wait_xcnt 0x0
	s_or_b32 exec_lo, exec_lo, s0
	s_wait_storecnt_dscnt 0x0
	s_barrier_signal -1
	s_barrier_wait -1
	s_clause 0x5
	scratch_load_b128 v[48:51], off, off
	scratch_load_b128 v[0:3], off, off offset:16
	scratch_load_b128 v[52:55], off, off offset:32
	;; [unrolled: 1-line block ×5, first 2 shown]
	ds_load_2addr_b64 v[68:71], v46 offset0:23 offset1:24
	s_clause 0x1
	scratch_load_b128 v[72:75], off, off offset:96
	scratch_load_b128 v[76:79], off, off offset:112
	s_and_b32 vcc_lo, exec_lo, s18
	s_wait_loadcnt_dscnt 0x700
	v_fma_f64 v[80:81], v[50:51], v[68:69], 0
	s_wait_loadcnt 0x6
	s_delay_alu instid0(VALU_DEP_1)
	v_fmac_f64_e32 v[80:81], v[0:1], v[70:71]
	ds_load_2addr_b64 v[68:71], v46 offset0:25 offset1:26
	s_wait_dscnt 0x0
	v_fmac_f64_e32 v[80:81], v[2:3], v[68:69]
	ds_load_2addr_b64 v[0:3], v46 offset0:27 offset1:28
	s_wait_loadcnt 0x5
	v_fmac_f64_e32 v[80:81], v[52:53], v[70:71]
	scratch_load_b128 v[50:53], off, off offset:128
	s_wait_dscnt 0x0
	v_fmac_f64_e32 v[80:81], v[54:55], v[0:1]
	s_wait_loadcnt 0x5
	s_delay_alu instid0(VALU_DEP_1)
	v_fmac_f64_e32 v[80:81], v[56:57], v[2:3]
	ds_load_2addr_b64 v[54:57], v46 offset0:29 offset1:30
	scratch_load_b128 v[0:3], off, off offset:144
	s_wait_dscnt 0x0
	v_fmac_f64_e32 v[80:81], v[58:59], v[54:55]
	scratch_load_b64 v[58:59], off, off offset:160
	s_wait_loadcnt 0x6
	v_fmac_f64_e32 v[80:81], v[60:61], v[56:57]
	ds_load_2addr_b64 v[54:57], v46 offset0:31 offset1:32
	s_wait_dscnt 0x0
	v_fmac_f64_e32 v[80:81], v[62:63], v[54:55]
	s_wait_loadcnt 0x5
	s_delay_alu instid0(VALU_DEP_1) | instskip(SKIP_4) | instid1(VALU_DEP_1)
	v_fmac_f64_e32 v[80:81], v[64:65], v[56:57]
	ds_load_2addr_b64 v[54:57], v46 offset0:33 offset1:34
	s_wait_dscnt 0x0
	v_fmac_f64_e32 v[80:81], v[66:67], v[54:55]
	s_wait_loadcnt 0x4
	v_fmac_f64_e32 v[80:81], v[72:73], v[56:57]
	ds_load_2addr_b64 v[54:57], v46 offset0:35 offset1:36
	s_wait_dscnt 0x0
	v_fmac_f64_e32 v[80:81], v[74:75], v[54:55]
	s_wait_loadcnt 0x3
	s_delay_alu instid0(VALU_DEP_1) | instskip(SKIP_4) | instid1(VALU_DEP_1)
	v_fmac_f64_e32 v[80:81], v[76:77], v[56:57]
	ds_load_2addr_b64 v[54:57], v46 offset0:37 offset1:38
	s_wait_dscnt 0x0
	v_fmac_f64_e32 v[80:81], v[78:79], v[54:55]
	s_wait_loadcnt 0x2
	v_fmac_f64_e32 v[80:81], v[50:51], v[56:57]
	ds_load_2addr_b64 v[54:57], v46 offset0:39 offset1:40
	s_wait_dscnt 0x0
	v_fmac_f64_e32 v[80:81], v[52:53], v[54:55]
	ds_load_2addr_b64 v[50:53], v46 offset0:41 offset1:42
	s_wait_loadcnt 0x1
	v_fmac_f64_e32 v[80:81], v[0:1], v[56:57]
	s_wait_dscnt 0x0
	s_delay_alu instid0(VALU_DEP_1) | instskip(SKIP_1) | instid1(VALU_DEP_1)
	v_fmac_f64_e32 v[80:81], v[2:3], v[50:51]
	s_wait_loadcnt 0x0
	v_fmac_f64_e32 v[80:81], v[58:59], v[52:53]
	s_delay_alu instid0(VALU_DEP_1)
	v_add_f64_e64 v[0:1], v[48:49], -v[80:81]
	scratch_store_b64 off, v[0:1], off
	s_cbranch_vccz .LBB20_176
; %bb.136:
	s_wait_xcnt 0x0
	v_mov_b32_e32 v0, 0
	global_load_b32 v1, v0, s[2:3] offset:76
	s_wait_loadcnt 0x0
	v_cmp_ne_u32_e32 vcc_lo, 20, v1
	s_cbranch_vccz .LBB20_138
; %bb.137:
	v_lshlrev_b32_e32 v1, 3, v1
	scratch_load_b64 v[46:47], v1, off offset:-8
	s_wait_loadcnt 0x0
	scratch_store_b64 off, v[46:47], off offset:152
	scratch_store_b64 v1, v[2:3], off offset:-8
.LBB20_138:
	global_load_b32 v0, v0, s[2:3] offset:72
	s_wait_loadcnt 0x0
	v_cmp_eq_u32_e32 vcc_lo, 19, v0
	s_cbranch_vccnz .LBB20_140
; %bb.139:
	s_wait_xcnt 0x0
	v_lshlrev_b32_e32 v0, 3, v0
	s_delay_alu instid0(VALU_DEP_1)
	v_mov_b32_e32 v46, v0
	scratch_load_b64 v[0:1], v46, off offset:-8
	scratch_load_b64 v[2:3], off, off offset:144
	s_wait_loadcnt 0x1
	scratch_store_b64 off, v[0:1], off offset:144
	s_wait_loadcnt 0x0
	scratch_store_b64 v46, v[2:3], off offset:-8
.LBB20_140:
	s_wait_xcnt 0x0
	v_mov_b32_e32 v0, 0
	global_load_b32 v1, v0, s[2:3] offset:68
	s_wait_loadcnt 0x0
	v_cmp_eq_u32_e32 vcc_lo, 18, v1
	s_cbranch_vccnz .LBB20_142
; %bb.141:
	v_lshlrev_b32_e32 v1, 3, v1
	scratch_load_b64 v[2:3], v1, off offset:-8
	scratch_load_b64 v[46:47], off, off offset:136
	s_wait_loadcnt 0x1
	scratch_store_b64 off, v[2:3], off offset:136
	s_wait_loadcnt 0x0
	scratch_store_b64 v1, v[46:47], off offset:-8
.LBB20_142:
	global_load_b32 v0, v0, s[2:3] offset:64
	s_wait_loadcnt 0x0
	v_cmp_eq_u32_e32 vcc_lo, 17, v0
	s_cbranch_vccnz .LBB20_144
; %bb.143:
	s_wait_xcnt 0x0
	v_lshlrev_b32_e32 v0, 3, v0
	s_delay_alu instid0(VALU_DEP_1)
	v_mov_b32_e32 v46, v0
	scratch_load_b64 v[0:1], v46, off offset:-8
	scratch_load_b64 v[2:3], off, off offset:128
	s_wait_loadcnt 0x1
	scratch_store_b64 off, v[0:1], off offset:128
	s_wait_loadcnt 0x0
	scratch_store_b64 v46, v[2:3], off offset:-8
.LBB20_144:
	s_wait_xcnt 0x0
	v_mov_b32_e32 v0, 0
	global_load_b32 v1, v0, s[2:3] offset:60
	s_wait_loadcnt 0x0
	v_cmp_eq_u32_e32 vcc_lo, 16, v1
	s_cbranch_vccnz .LBB20_146
; %bb.145:
	v_lshlrev_b32_e32 v1, 3, v1
	scratch_load_b64 v[2:3], v1, off offset:-8
	scratch_load_b64 v[46:47], off, off offset:120
	s_wait_loadcnt 0x1
	scratch_store_b64 off, v[2:3], off offset:120
	s_wait_loadcnt 0x0
	scratch_store_b64 v1, v[46:47], off offset:-8
.LBB20_146:
	;; [unrolled: 31-line block ×9, first 2 shown]
	global_load_b32 v2, v0, s[2:3]
	scratch_load_b64 v[0:1], off, off
	s_wait_loadcnt 0x1
	v_cmp_eq_u32_e32 vcc_lo, 1, v2
	s_cbranch_vccnz .LBB20_176
; %bb.175:
	v_lshlrev_b32_e32 v2, 3, v2
	s_delay_alu instid0(VALU_DEP_1)
	v_mov_b32_e32 v46, v2
	scratch_load_b64 v[2:3], v46, off offset:-8
	s_wait_loadcnt 0x0
	scratch_store_b64 off, v[2:3], off
	scratch_store_b64 v46, v[0:1], off offset:-8
	scratch_load_b64 v[0:1], off, off
.LBB20_176:
	v_lshl_add_u64 v[46:47], v[8:9], 3, s[4:5]
	v_lshl_add_u64 v[2:3], v[42:43], 3, s[4:5]
	;; [unrolled: 1-line block ×3, first 2 shown]
	s_clause 0x6
	scratch_load_b128 v[42:45], off, off offset:8
	scratch_load_b128 v[48:51], off, off offset:24
	;; [unrolled: 1-line block ×7, first 2 shown]
	s_wait_loadcnt 0x7
	global_store_b64 v[6:7], v[0:1], off
	s_clause 0x1
	scratch_load_b128 v[72:75], off, off offset:120
	scratch_load_b128 v[76:79], off, off offset:136
	v_lshl_add_u64 v[10:11], v[10:11], 3, s[4:5]
	v_lshl_add_u64 v[12:13], v[12:13], 3, s[4:5]
	;; [unrolled: 1-line block ×16, first 2 shown]
	s_wait_loadcnt 0x8
	s_clause 0x1
	global_store_b64 v[4:5], v[42:43], off
	global_store_b64 v[46:47], v[44:45], off
	scratch_load_b128 v[4:7], off, off offset:152
	s_wait_loadcnt 0x8
	s_clause 0x1
	global_store_b64 v[10:11], v[48:49], off
	global_store_b64 v[12:13], v[50:51], off
	s_wait_loadcnt 0x7
	s_clause 0x1
	global_store_b64 v[14:15], v[52:53], off
	global_store_b64 v[16:17], v[54:55], off
	s_wait_loadcnt 0x6
	s_clause 0x1
	global_store_b64 v[18:19], v[56:57], off
	global_store_b64 v[20:21], v[58:59], off
	s_wait_loadcnt 0x5
	s_clause 0x1
	global_store_b64 v[22:23], v[60:61], off
	global_store_b64 v[24:25], v[62:63], off
	s_wait_loadcnt 0x4
	s_clause 0x1
	global_store_b64 v[26:27], v[64:65], off
	global_store_b64 v[28:29], v[66:67], off
	s_wait_loadcnt 0x3
	s_clause 0x1
	global_store_b64 v[30:31], v[68:69], off
	global_store_b64 v[32:33], v[70:71], off
	s_wait_loadcnt 0x2
	s_clause 0x1
	global_store_b64 v[34:35], v[72:73], off
	global_store_b64 v[36:37], v[74:75], off
	s_wait_loadcnt 0x1
	s_clause 0x1
	global_store_b64 v[38:39], v[76:77], off
	global_store_b64 v[40:41], v[78:79], off
	s_wait_loadcnt 0x0
	s_clause 0x1
	global_store_b64 v[2:3], v[4:5], off
	global_store_b64 v[8:9], v[6:7], off
	s_sendmsg sendmsg(MSG_DEALLOC_VGPRS)
	s_endpgm
	.section	.rodata,"a",@progbits
	.p2align	6, 0x0
	.amdhsa_kernel _ZN9rocsolver6v33100L18getri_kernel_smallILi21EdPdEEvT1_iilPiilS4_bb
		.amdhsa_group_segment_fixed_size 344
		.amdhsa_private_segment_fixed_size 176
		.amdhsa_kernarg_size 60
		.amdhsa_user_sgpr_count 2
		.amdhsa_user_sgpr_dispatch_ptr 0
		.amdhsa_user_sgpr_queue_ptr 0
		.amdhsa_user_sgpr_kernarg_segment_ptr 1
		.amdhsa_user_sgpr_dispatch_id 0
		.amdhsa_user_sgpr_kernarg_preload_length 0
		.amdhsa_user_sgpr_kernarg_preload_offset 0
		.amdhsa_user_sgpr_private_segment_size 0
		.amdhsa_wavefront_size32 1
		.amdhsa_uses_dynamic_stack 0
		.amdhsa_enable_private_segment 1
		.amdhsa_system_sgpr_workgroup_id_x 1
		.amdhsa_system_sgpr_workgroup_id_y 0
		.amdhsa_system_sgpr_workgroup_id_z 0
		.amdhsa_system_sgpr_workgroup_info 0
		.amdhsa_system_vgpr_workitem_id 0
		.amdhsa_next_free_vgpr 82
		.amdhsa_next_free_sgpr 19
		.amdhsa_named_barrier_count 0
		.amdhsa_reserve_vcc 1
		.amdhsa_float_round_mode_32 0
		.amdhsa_float_round_mode_16_64 0
		.amdhsa_float_denorm_mode_32 3
		.amdhsa_float_denorm_mode_16_64 3
		.amdhsa_fp16_overflow 0
		.amdhsa_memory_ordered 1
		.amdhsa_forward_progress 1
		.amdhsa_inst_pref_size 112
		.amdhsa_round_robin_scheduling 0
		.amdhsa_exception_fp_ieee_invalid_op 0
		.amdhsa_exception_fp_denorm_src 0
		.amdhsa_exception_fp_ieee_div_zero 0
		.amdhsa_exception_fp_ieee_overflow 0
		.amdhsa_exception_fp_ieee_underflow 0
		.amdhsa_exception_fp_ieee_inexact 0
		.amdhsa_exception_int_div_zero 0
	.end_amdhsa_kernel
	.section	.text._ZN9rocsolver6v33100L18getri_kernel_smallILi21EdPdEEvT1_iilPiilS4_bb,"axG",@progbits,_ZN9rocsolver6v33100L18getri_kernel_smallILi21EdPdEEvT1_iilPiilS4_bb,comdat
.Lfunc_end20:
	.size	_ZN9rocsolver6v33100L18getri_kernel_smallILi21EdPdEEvT1_iilPiilS4_bb, .Lfunc_end20-_ZN9rocsolver6v33100L18getri_kernel_smallILi21EdPdEEvT1_iilPiilS4_bb
                                        ; -- End function
	.set _ZN9rocsolver6v33100L18getri_kernel_smallILi21EdPdEEvT1_iilPiilS4_bb.num_vgpr, 82
	.set _ZN9rocsolver6v33100L18getri_kernel_smallILi21EdPdEEvT1_iilPiilS4_bb.num_agpr, 0
	.set _ZN9rocsolver6v33100L18getri_kernel_smallILi21EdPdEEvT1_iilPiilS4_bb.numbered_sgpr, 19
	.set _ZN9rocsolver6v33100L18getri_kernel_smallILi21EdPdEEvT1_iilPiilS4_bb.num_named_barrier, 0
	.set _ZN9rocsolver6v33100L18getri_kernel_smallILi21EdPdEEvT1_iilPiilS4_bb.private_seg_size, 176
	.set _ZN9rocsolver6v33100L18getri_kernel_smallILi21EdPdEEvT1_iilPiilS4_bb.uses_vcc, 1
	.set _ZN9rocsolver6v33100L18getri_kernel_smallILi21EdPdEEvT1_iilPiilS4_bb.uses_flat_scratch, 1
	.set _ZN9rocsolver6v33100L18getri_kernel_smallILi21EdPdEEvT1_iilPiilS4_bb.has_dyn_sized_stack, 0
	.set _ZN9rocsolver6v33100L18getri_kernel_smallILi21EdPdEEvT1_iilPiilS4_bb.has_recursion, 0
	.set _ZN9rocsolver6v33100L18getri_kernel_smallILi21EdPdEEvT1_iilPiilS4_bb.has_indirect_call, 0
	.section	.AMDGPU.csdata,"",@progbits
; Kernel info:
; codeLenInByte = 14284
; TotalNumSgprs: 21
; NumVgprs: 82
; ScratchSize: 176
; MemoryBound: 0
; FloatMode: 240
; IeeeMode: 1
; LDSByteSize: 344 bytes/workgroup (compile time only)
; SGPRBlocks: 0
; VGPRBlocks: 5
; NumSGPRsForWavesPerEU: 21
; NumVGPRsForWavesPerEU: 82
; NamedBarCnt: 0
; Occupancy: 10
; WaveLimiterHint : 1
; COMPUTE_PGM_RSRC2:SCRATCH_EN: 1
; COMPUTE_PGM_RSRC2:USER_SGPR: 2
; COMPUTE_PGM_RSRC2:TRAP_HANDLER: 0
; COMPUTE_PGM_RSRC2:TGID_X_EN: 1
; COMPUTE_PGM_RSRC2:TGID_Y_EN: 0
; COMPUTE_PGM_RSRC2:TGID_Z_EN: 0
; COMPUTE_PGM_RSRC2:TIDIG_COMP_CNT: 0
	.section	.text._ZN9rocsolver6v33100L18getri_kernel_smallILi22EdPdEEvT1_iilPiilS4_bb,"axG",@progbits,_ZN9rocsolver6v33100L18getri_kernel_smallILi22EdPdEEvT1_iilPiilS4_bb,comdat
	.globl	_ZN9rocsolver6v33100L18getri_kernel_smallILi22EdPdEEvT1_iilPiilS4_bb ; -- Begin function _ZN9rocsolver6v33100L18getri_kernel_smallILi22EdPdEEvT1_iilPiilS4_bb
	.p2align	8
	.type	_ZN9rocsolver6v33100L18getri_kernel_smallILi22EdPdEEvT1_iilPiilS4_bb,@function
_ZN9rocsolver6v33100L18getri_kernel_smallILi22EdPdEEvT1_iilPiilS4_bb: ; @_ZN9rocsolver6v33100L18getri_kernel_smallILi22EdPdEEvT1_iilPiilS4_bb
; %bb.0:
	s_mov_b32 s2, exec_lo
	v_cmpx_gt_u32_e32 22, v0
	s_cbranch_execz .LBB21_98
; %bb.1:
	s_clause 0x2
	s_load_b32 s2, s[0:1], 0x38
	s_load_b128 s[12:15], s[0:1], 0x10
	s_load_b128 s[4:7], s[0:1], 0x28
	s_getreg_b32 s9, hwreg(HW_REG_IB_STS2, 6, 4)
	s_wait_kmcnt 0x0
	s_bitcmp1_b32 s2, 8
	s_cselect_b32 s18, -1, 0
	s_bfe_u32 s3, ttmp6, 0x4000c
	s_and_b32 s8, ttmp6, 15
	s_add_co_i32 s3, s3, 1
	s_delay_alu instid0(SALU_CYCLE_1) | instskip(NEXT) | instid1(SALU_CYCLE_1)
	s_mul_i32 s3, ttmp9, s3
	s_add_co_i32 s8, s8, s3
	s_cmp_eq_u32 s9, 0
	s_cselect_b32 s16, ttmp9, s8
	s_bfe_u32 s2, s2, 0x10008
	s_ashr_i32 s17, s16, 31
	s_cmp_eq_u32 s2, 0
                                        ; implicit-def: $sgpr2_sgpr3
	s_cbranch_scc1 .LBB21_3
; %bb.2:
	s_load_b32 s2, s[0:1], 0x20
	s_mul_u64 s[4:5], s[4:5], s[16:17]
	s_delay_alu instid0(SALU_CYCLE_1) | instskip(NEXT) | instid1(SALU_CYCLE_1)
	s_lshl_b64 s[4:5], s[4:5], 2
	s_add_nc_u64 s[4:5], s[14:15], s[4:5]
	s_wait_kmcnt 0x0
	s_ashr_i32 s3, s2, 31
	s_delay_alu instid0(SALU_CYCLE_1) | instskip(NEXT) | instid1(SALU_CYCLE_1)
	s_lshl_b64 s[2:3], s[2:3], 2
	s_add_nc_u64 s[2:3], s[4:5], s[2:3]
.LBB21_3:
	s_clause 0x1
	s_load_b128 s[8:11], s[0:1], 0x0
	s_load_b32 s14, s[0:1], 0x38
	s_wait_xcnt 0x0
	s_mul_u64 s[0:1], s[12:13], s[16:17]
	v_dual_mov_b32 v3, 0 :: v_dual_lshlrev_b32 v2, 3, v0
	s_lshl_b64 s[0:1], s[0:1], 3
	s_wait_kmcnt 0x0
	v_add3_u32 v8, s11, s11, v0
	s_ashr_i32 s5, s10, 31
	s_mov_b32 s4, s10
	s_add_nc_u64 s[0:1], s[8:9], s[0:1]
	s_lshl_b64 s[4:5], s[4:5], 3
	v_add_nc_u32_e32 v10, s11, v8
	s_add_nc_u64 s[4:5], s[0:1], s[4:5]
	s_ashr_i32 s1, s11, 31
	v_add_nc_u64_e32 v[4:5], s[4:5], v[2:3]
	s_mov_b32 s0, s11
	v_add_nc_u32_e32 v12, s11, v10
	s_bitcmp0_b32 s14, 0
	s_delay_alu instid0(VALU_DEP_2) | instskip(NEXT) | instid1(VALU_DEP_2)
	v_lshl_add_u64 v[6:7], s[0:1], 3, v[4:5]
	v_add_nc_u32_e32 v14, s11, v12
	s_clause 0x1
	global_load_b64 v[46:47], v0, s[4:5] scale_offset
	global_load_b64 v[48:49], v[6:7], off
	s_mov_b32 s1, -1
	v_add_nc_u32_e32 v16, s11, v14
	s_clause 0x1
	global_load_b64 v[50:51], v8, s[4:5] scale_offset
	global_load_b64 v[52:53], v10, s[4:5] scale_offset
	v_add_nc_u32_e32 v18, s11, v16
	s_delay_alu instid0(VALU_DEP_1)
	v_add_nc_u32_e32 v20, s11, v18
	s_clause 0x3
	global_load_b64 v[54:55], v12, s[4:5] scale_offset
	global_load_b64 v[56:57], v14, s[4:5] scale_offset
	;; [unrolled: 1-line block ×4, first 2 shown]
	v_add_nc_u32_e32 v22, s11, v20
	s_delay_alu instid0(VALU_DEP_1) | instskip(NEXT) | instid1(VALU_DEP_1)
	v_add_nc_u32_e32 v24, s11, v22
	v_add_nc_u32_e32 v26, s11, v24
	s_delay_alu instid0(VALU_DEP_1) | instskip(SKIP_4) | instid1(VALU_DEP_1)
	v_add_nc_u32_e32 v28, s11, v26
	s_clause 0x1
	global_load_b64 v[62:63], v20, s[4:5] scale_offset
	global_load_b64 v[64:65], v22, s[4:5] scale_offset
	v_add_nc_u32_e32 v30, s11, v28
	v_add_nc_u32_e32 v32, s11, v30
	s_clause 0x3
	global_load_b64 v[66:67], v24, s[4:5] scale_offset
	global_load_b64 v[68:69], v26, s[4:5] scale_offset
	;; [unrolled: 1-line block ×4, first 2 shown]
	s_wait_loadcnt 0xc
	scratch_store_b128 off, v[46:49], off
	s_wait_loadcnt 0xa
	scratch_store_b128 off, v[50:53], off offset:16
	v_add_nc_u32_e32 v34, s11, v32
	s_delay_alu instid0(VALU_DEP_1) | instskip(NEXT) | instid1(VALU_DEP_1)
	v_add_nc_u32_e32 v36, s11, v34
	v_add_nc_u32_e32 v38, s11, v36
	s_delay_alu instid0(VALU_DEP_1) | instskip(NEXT) | instid1(VALU_DEP_1)
	v_add_nc_u32_e32 v40, s11, v38
	v_add_nc_u32_e32 v42, s11, v40
	s_delay_alu instid0(VALU_DEP_1)
	v_add_nc_u32_e32 v44, s11, v42
	s_clause 0x3
	global_load_b64 v[48:49], v32, s[4:5] scale_offset
	global_load_b64 v[50:51], v34, s[4:5] scale_offset
	;; [unrolled: 1-line block ×4, first 2 shown]
	s_wait_loadcnt 0xc
	scratch_store_b128 off, v[54:57], off offset:32
	s_clause 0x1
	global_load_b64 v[52:53], v40, s[4:5] scale_offset
	global_load_b64 v[54:55], v42, s[4:5] scale_offset
	s_wait_loadcnt 0xc
	scratch_store_b128 off, v[58:61], off offset:48
	v_add_nc_u32_e32 v46, s11, v44
	s_clause 0x1
	global_load_b64 v[56:57], v44, s[4:5] scale_offset
	global_load_b64 v[58:59], v46, s[4:5] scale_offset
	s_wait_loadcnt 0xc
	scratch_store_b128 off, v[62:65], off offset:64
	s_wait_loadcnt 0xa
	scratch_store_b128 off, v[66:69], off offset:80
	;; [unrolled: 2-line block ×7, first 2 shown]
	s_cbranch_scc1 .LBB21_96
; %bb.4:
	v_cmp_eq_u32_e64 s0, 0, v0
	s_wait_xcnt 0x0
	s_and_saveexec_b32 s1, s0
; %bb.5:
	v_mov_b32_e32 v1, 0
	ds_store_b32 v1, v1 offset:352
; %bb.6:
	s_or_b32 exec_lo, exec_lo, s1
	s_wait_storecnt_dscnt 0x0
	s_barrier_signal -1
	s_barrier_wait -1
	scratch_load_b64 v[48:49], v0, off scale_offset
	s_mov_b32 s8, exec_lo
	s_wait_loadcnt 0x0
	v_cmpx_eq_f64_e32 0, v[48:49]
	s_cbranch_execz .LBB21_10
; %bb.7:
	v_mov_b32_e32 v1, 0
	s_mov_b32 s9, 0
	ds_load_b32 v3, v1 offset:352
	s_wait_dscnt 0x0
	v_readfirstlane_b32 s1, v3
	v_add_nc_u32_e32 v3, 1, v0
	s_cmp_eq_u32 s1, 0
	s_delay_alu instid0(VALU_DEP_1) | instskip(SKIP_1) | instid1(SALU_CYCLE_1)
	v_cmp_gt_i32_e32 vcc_lo, s1, v3
	s_cselect_b32 s10, -1, 0
	s_or_b32 s10, s10, vcc_lo
	s_delay_alu instid0(SALU_CYCLE_1)
	s_and_b32 exec_lo, exec_lo, s10
	s_cbranch_execz .LBB21_10
; %bb.8:
	v_mov_b32_e32 v9, s1
.LBB21_9:                               ; =>This Inner Loop Header: Depth=1
	ds_cmpstore_rtn_b32 v9, v1, v3, v9 offset:352
	s_wait_dscnt 0x0
	v_cmp_ne_u32_e32 vcc_lo, 0, v9
	v_cmp_le_i32_e64 s1, v9, v3
	s_and_b32 s1, vcc_lo, s1
	s_delay_alu instid0(SALU_CYCLE_1) | instskip(NEXT) | instid1(SALU_CYCLE_1)
	s_and_b32 s1, exec_lo, s1
	s_or_b32 s9, s1, s9
	s_delay_alu instid0(SALU_CYCLE_1)
	s_and_not1_b32 exec_lo, exec_lo, s9
	s_cbranch_execnz .LBB21_9
.LBB21_10:
	s_or_b32 exec_lo, exec_lo, s8
	v_mov_b32_e32 v1, 0
	s_barrier_signal -1
	s_barrier_wait -1
	ds_load_b32 v3, v1 offset:352
	s_and_saveexec_b32 s1, s0
	s_cbranch_execz .LBB21_12
; %bb.11:
	s_lshl_b64 s[8:9], s[16:17], 2
	s_delay_alu instid0(SALU_CYCLE_1)
	s_add_nc_u64 s[8:9], s[6:7], s[8:9]
	s_wait_dscnt 0x0
	global_store_b32 v1, v3, s[8:9]
.LBB21_12:
	s_wait_xcnt 0x0
	s_or_b32 exec_lo, exec_lo, s1
	s_wait_dscnt 0x0
	v_cmp_ne_u32_e32 vcc_lo, 0, v3
	s_mov_b32 s1, 0
	s_cbranch_vccnz .LBB21_96
; %bb.13:
	v_lshl_add_u32 v3, v0, 3, 0
	v_add_nc_u32_e32 v1, 0xb0, v2
	scratch_load_b64 v[48:49], v3, off
	s_wait_loadcnt 0x0
	v_div_scale_f64 v[50:51], null, v[48:49], v[48:49], 1.0
	v_div_scale_f64 v[56:57], vcc_lo, 1.0, v[48:49], 1.0
	s_delay_alu instid0(VALU_DEP_2) | instskip(SKIP_1) | instid1(TRANS32_DEP_1)
	v_rcp_f64_e32 v[52:53], v[50:51]
	v_nop
	v_fma_f64 v[54:55], -v[50:51], v[52:53], 1.0
	s_delay_alu instid0(VALU_DEP_1) | instskip(NEXT) | instid1(VALU_DEP_1)
	v_fmac_f64_e32 v[52:53], v[52:53], v[54:55]
	v_fma_f64 v[54:55], -v[50:51], v[52:53], 1.0
	s_delay_alu instid0(VALU_DEP_1) | instskip(NEXT) | instid1(VALU_DEP_1)
	v_fmac_f64_e32 v[52:53], v[52:53], v[54:55]
	v_mul_f64_e32 v[54:55], v[56:57], v[52:53]
	s_delay_alu instid0(VALU_DEP_1) | instskip(NEXT) | instid1(VALU_DEP_1)
	v_fma_f64 v[50:51], -v[50:51], v[54:55], v[56:57]
	v_div_fmas_f64 v[50:51], v[50:51], v[52:53], v[54:55]
	s_delay_alu instid0(VALU_DEP_1)
	v_div_fixup_f64 v[48:49], v[50:51], v[48:49], 1.0
	scratch_store_b64 v3, v[48:49], off
	scratch_load_b64 v[50:51], off, off offset:8
	s_wait_xcnt 0x1
	v_xor_b32_e32 v49, 0x80000000, v49
	s_wait_loadcnt 0x0
	ds_store_2addr_b64 v2, v[48:49], v[50:51] offset1:22
	s_wait_storecnt_dscnt 0x0
	s_barrier_signal -1
	s_barrier_wait -1
	s_wait_xcnt 0x0
	s_and_saveexec_b32 s1, s0
	s_cbranch_execz .LBB21_15
; %bb.14:
	scratch_load_b64 v[48:49], v3, off
	ds_load_b64 v[50:51], v1
	s_wait_loadcnt_dscnt 0x0
	v_fma_f64 v[48:49], v[48:49], v[50:51], 0
	v_mov_b32_e32 v9, 0
	ds_load_b64 v[52:53], v9 offset:8
	s_wait_dscnt 0x0
	v_mul_f64_e32 v[48:49], v[48:49], v[52:53]
	scratch_store_b64 off, v[48:49], off offset:8
.LBB21_15:
	s_wait_xcnt 0x0
	s_or_b32 exec_lo, exec_lo, s1
	s_wait_storecnt 0x0
	s_barrier_signal -1
	s_barrier_wait -1
	scratch_load_b64 v[48:49], off, off offset:16
	s_mov_b32 s1, exec_lo
	s_wait_loadcnt 0x0
	ds_store_b64 v1, v[48:49]
	s_wait_dscnt 0x0
	s_barrier_signal -1
	s_barrier_wait -1
	v_cmpx_gt_u32_e32 2, v0
	s_cbranch_execz .LBB21_19
; %bb.16:
	scratch_load_b64 v[48:49], v3, off
	ds_load_b64 v[50:51], v1
	s_wait_loadcnt_dscnt 0x0
	v_fma_f64 v[48:49], v[48:49], v[50:51], 0
	s_and_saveexec_b32 s8, s0
	s_cbranch_execz .LBB21_18
; %bb.17:
	scratch_load_b64 v[50:51], off, off offset:8
	v_mov_b32_e32 v3, 0
	ds_load_b64 v[52:53], v3 offset:184
	s_wait_loadcnt_dscnt 0x0
	v_fmac_f64_e32 v[48:49], v[50:51], v[52:53]
.LBB21_18:
	s_or_b32 exec_lo, exec_lo, s8
	v_mov_b32_e32 v3, 0
	ds_load_b64 v[50:51], v3 offset:16
	s_wait_dscnt 0x0
	v_mul_f64_e32 v[48:49], v[48:49], v[50:51]
	scratch_store_b64 off, v[48:49], off offset:16
.LBB21_19:
	s_wait_xcnt 0x0
	s_or_b32 exec_lo, exec_lo, s1
	s_wait_storecnt 0x0
	s_barrier_signal -1
	s_barrier_wait -1
	scratch_load_b64 v[48:49], off, off offset:24
	v_add_nc_u32_e32 v3, -1, v0
	s_mov_b32 s0, exec_lo
	s_wait_loadcnt 0x0
	ds_store_b64 v1, v[48:49]
	s_wait_dscnt 0x0
	s_barrier_signal -1
	s_barrier_wait -1
	v_cmpx_gt_u32_e32 3, v0
	s_cbranch_execz .LBB21_23
; %bb.20:
	v_mov_b64_e32 v[48:49], 0
	v_dual_add_nc_u32 v9, -1, v0 :: v_dual_mov_b32 v13, v2
	v_add_nc_u32_e32 v11, 0xb0, v2
	s_mov_b32 s1, 0
.LBB21_21:                              ; =>This Inner Loop Header: Depth=1
	scratch_load_b64 v[50:51], v13, off
	ds_load_b64 v[52:53], v11
	v_dual_add_nc_u32 v9, 1, v9 :: v_dual_add_nc_u32 v11, 8, v11
	s_wait_xcnt 0x0
	v_add_nc_u32_e32 v13, 8, v13
	s_delay_alu instid0(VALU_DEP_2)
	v_cmp_lt_u32_e32 vcc_lo, 1, v9
	s_or_b32 s1, vcc_lo, s1
	s_wait_loadcnt_dscnt 0x0
	v_fmac_f64_e32 v[48:49], v[50:51], v[52:53]
	s_and_not1_b32 exec_lo, exec_lo, s1
	s_cbranch_execnz .LBB21_21
; %bb.22:
	s_or_b32 exec_lo, exec_lo, s1
	v_mov_b32_e32 v9, 0
	ds_load_b64 v[50:51], v9 offset:24
	s_wait_dscnt 0x0
	v_mul_f64_e32 v[48:49], v[48:49], v[50:51]
	scratch_store_b64 off, v[48:49], off offset:24
.LBB21_23:
	s_wait_xcnt 0x0
	s_or_b32 exec_lo, exec_lo, s0
	s_wait_storecnt 0x0
	s_barrier_signal -1
	s_barrier_wait -1
	scratch_load_b64 v[48:49], off, off offset:32
	s_mov_b32 s0, exec_lo
	s_wait_loadcnt 0x0
	ds_store_b64 v1, v[48:49]
	s_wait_dscnt 0x0
	s_barrier_signal -1
	s_barrier_wait -1
	v_cmpx_gt_u32_e32 4, v0
	s_cbranch_execz .LBB21_27
; %bb.24:
	v_mov_b64_e32 v[48:49], 0
	v_dual_add_nc_u32 v9, -1, v0 :: v_dual_mov_b32 v13, v2
	v_add_nc_u32_e32 v11, 0xb0, v2
	s_mov_b32 s1, 0
.LBB21_25:                              ; =>This Inner Loop Header: Depth=1
	scratch_load_b64 v[50:51], v13, off
	ds_load_b64 v[52:53], v11
	v_dual_add_nc_u32 v9, 1, v9 :: v_dual_add_nc_u32 v11, 8, v11
	s_wait_xcnt 0x0
	v_add_nc_u32_e32 v13, 8, v13
	s_delay_alu instid0(VALU_DEP_2)
	v_cmp_lt_u32_e32 vcc_lo, 2, v9
	s_or_b32 s1, vcc_lo, s1
	s_wait_loadcnt_dscnt 0x0
	v_fmac_f64_e32 v[48:49], v[50:51], v[52:53]
	s_and_not1_b32 exec_lo, exec_lo, s1
	s_cbranch_execnz .LBB21_25
; %bb.26:
	s_or_b32 exec_lo, exec_lo, s1
	v_mov_b32_e32 v9, 0
	ds_load_b64 v[50:51], v9 offset:32
	s_wait_dscnt 0x0
	v_mul_f64_e32 v[48:49], v[48:49], v[50:51]
	scratch_store_b64 off, v[48:49], off offset:32
.LBB21_27:
	s_wait_xcnt 0x0
	s_or_b32 exec_lo, exec_lo, s0
	s_wait_storecnt 0x0
	s_barrier_signal -1
	s_barrier_wait -1
	scratch_load_b64 v[48:49], off, off offset:40
	;; [unrolled: 40-line block ×18, first 2 shown]
	s_mov_b32 s0, exec_lo
	s_wait_loadcnt 0x0
	ds_store_b64 v1, v[48:49]
	s_wait_dscnt 0x0
	s_barrier_signal -1
	s_barrier_wait -1
	v_cmpx_ne_u32_e32 21, v0
	s_cbranch_execz .LBB21_95
; %bb.92:
	v_mov_b64_e32 v[48:49], 0
	s_mov_b32 s1, 0
.LBB21_93:                              ; =>This Inner Loop Header: Depth=1
	scratch_load_b64 v[50:51], v2, off
	ds_load_b64 v[52:53], v1
	v_dual_add_nc_u32 v3, 1, v3 :: v_dual_add_nc_u32 v1, 8, v1
	s_wait_xcnt 0x0
	v_add_nc_u32_e32 v2, 8, v2
	s_delay_alu instid0(VALU_DEP_2)
	v_cmp_lt_u32_e32 vcc_lo, 19, v3
	s_or_b32 s1, vcc_lo, s1
	s_wait_loadcnt_dscnt 0x0
	v_fmac_f64_e32 v[48:49], v[50:51], v[52:53]
	s_and_not1_b32 exec_lo, exec_lo, s1
	s_cbranch_execnz .LBB21_93
; %bb.94:
	s_or_b32 exec_lo, exec_lo, s1
	v_mov_b32_e32 v1, 0
	ds_load_b64 v[2:3], v1 offset:168
	s_wait_dscnt 0x0
	v_mul_f64_e32 v[2:3], v[48:49], v[2:3]
	scratch_store_b64 off, v[2:3], off offset:168
.LBB21_95:
	s_wait_xcnt 0x0
	s_or_b32 exec_lo, exec_lo, s0
	s_mov_b32 s1, -1
	s_wait_storecnt 0x0
	s_barrier_signal -1
	s_barrier_wait -1
.LBB21_96:
	s_and_b32 vcc_lo, exec_lo, s1
	s_cbranch_vccz .LBB21_98
; %bb.97:
	v_mov_b32_e32 v1, 0
	s_lshl_b64 s[0:1], s[16:17], 2
	s_delay_alu instid0(SALU_CYCLE_1)
	s_add_nc_u64 s[0:1], s[6:7], s[0:1]
	global_load_b32 v1, v1, s[0:1]
	s_wait_loadcnt 0x0
	v_cmp_ne_u32_e32 vcc_lo, 0, v1
	s_cbranch_vccz .LBB21_99
.LBB21_98:
	s_sendmsg sendmsg(MSG_DEALLOC_VGPRS)
	s_endpgm
.LBB21_99:
	s_wait_xcnt 0x0
	v_lshl_add_u32 v1, v0, 3, 0xb0
	s_mov_b32 s0, exec_lo
	v_cmpx_eq_u32_e32 21, v0
	s_cbranch_execz .LBB21_101
; %bb.100:
	scratch_load_b64 v[2:3], off, off offset:160
	v_mov_b64_e32 v[48:49], 0
	scratch_store_b64 off, v[48:49], off offset:160
	s_wait_loadcnt 0x0
	ds_store_b64 v1, v[2:3]
.LBB21_101:
	s_wait_xcnt 0x0
	s_or_b32 exec_lo, exec_lo, s0
	s_wait_storecnt_dscnt 0x0
	s_barrier_signal -1
	s_barrier_wait -1
	scratch_load_b128 v[48:51], off, off offset:160
	v_mov_b32_e32 v2, 0
	s_mov_b32 s0, exec_lo
	ds_load_b64 v[52:53], v2 offset:344
	s_wait_loadcnt_dscnt 0x0
	v_fma_f64 v[50:51], v[50:51], v[52:53], 0
	s_delay_alu instid0(VALU_DEP_1)
	v_add_f64_e64 v[48:49], v[48:49], -v[50:51]
	scratch_store_b64 off, v[48:49], off offset:160
	s_wait_xcnt 0x0
	v_cmpx_lt_u32_e32 19, v0
	s_cbranch_execz .LBB21_103
; %bb.102:
	scratch_load_b64 v[48:49], off, off offset:152
	v_mov_b64_e32 v[50:51], 0
	scratch_store_b64 off, v[50:51], off offset:152
	s_wait_loadcnt 0x0
	ds_store_b64 v1, v[48:49]
.LBB21_103:
	s_wait_xcnt 0x0
	s_or_b32 exec_lo, exec_lo, s0
	s_wait_storecnt_dscnt 0x0
	s_barrier_signal -1
	s_barrier_wait -1
	s_clause 0x1
	scratch_load_b128 v[48:51], off, off offset:152
	scratch_load_b64 v[56:57], off, off offset:168
	ds_load_b128 v[52:55], v2 offset:336
	s_mov_b32 s0, exec_lo
	s_wait_loadcnt_dscnt 0x100
	v_fma_f64 v[2:3], v[50:51], v[52:53], 0
	s_wait_loadcnt 0x0
	s_delay_alu instid0(VALU_DEP_1) | instskip(NEXT) | instid1(VALU_DEP_1)
	v_fmac_f64_e32 v[2:3], v[56:57], v[54:55]
	v_add_f64_e64 v[2:3], v[48:49], -v[2:3]
	scratch_store_b64 off, v[2:3], off offset:152
	s_wait_xcnt 0x0
	v_cmpx_lt_u32_e32 18, v0
	s_cbranch_execz .LBB21_105
; %bb.104:
	scratch_load_b64 v[2:3], off, off offset:144
	v_mov_b64_e32 v[48:49], 0
	scratch_store_b64 off, v[48:49], off offset:144
	s_wait_loadcnt 0x0
	ds_store_b64 v1, v[2:3]
.LBB21_105:
	s_wait_xcnt 0x0
	s_or_b32 exec_lo, exec_lo, s0
	s_wait_storecnt_dscnt 0x0
	s_barrier_signal -1
	s_barrier_wait -1
	s_clause 0x1
	scratch_load_b128 v[48:51], off, off offset:144
	scratch_load_b128 v[52:55], off, off offset:160
	v_mov_b32_e32 v2, 0
	ds_load_2addr_b64 v[56:59], v2 offset0:41 offset1:42
	ds_load_b64 v[60:61], v2 offset:344
	s_mov_b32 s0, exec_lo
	s_wait_loadcnt_dscnt 0x101
	v_fma_f64 v[50:51], v[50:51], v[56:57], 0
	s_wait_loadcnt 0x0
	s_delay_alu instid0(VALU_DEP_1) | instskip(SKIP_1) | instid1(VALU_DEP_1)
	v_fmac_f64_e32 v[50:51], v[52:53], v[58:59]
	s_wait_dscnt 0x0
	v_fmac_f64_e32 v[50:51], v[54:55], v[60:61]
	s_delay_alu instid0(VALU_DEP_1)
	v_add_f64_e64 v[48:49], v[48:49], -v[50:51]
	scratch_store_b64 off, v[48:49], off offset:144
	s_wait_xcnt 0x0
	v_cmpx_lt_u32_e32 17, v0
	s_cbranch_execz .LBB21_107
; %bb.106:
	scratch_load_b64 v[48:49], off, off offset:136
	v_mov_b64_e32 v[50:51], 0
	scratch_store_b64 off, v[50:51], off offset:136
	s_wait_loadcnt 0x0
	ds_store_b64 v1, v[48:49]
.LBB21_107:
	s_wait_xcnt 0x0
	s_or_b32 exec_lo, exec_lo, s0
	s_wait_storecnt_dscnt 0x0
	s_barrier_signal -1
	s_barrier_wait -1
	s_clause 0x2
	scratch_load_b128 v[48:51], off, off offset:136
	scratch_load_b128 v[52:55], off, off offset:152
	scratch_load_b64 v[64:65], off, off offset:168
	ds_load_b128 v[56:59], v2 offset:320
	ds_load_b128 v[60:63], v2 offset:336
	s_mov_b32 s0, exec_lo
	s_wait_loadcnt_dscnt 0x201
	v_fma_f64 v[2:3], v[50:51], v[56:57], 0
	s_wait_loadcnt 0x1
	s_delay_alu instid0(VALU_DEP_1) | instskip(SKIP_1) | instid1(VALU_DEP_1)
	v_fmac_f64_e32 v[2:3], v[52:53], v[58:59]
	s_wait_dscnt 0x0
	v_fmac_f64_e32 v[2:3], v[54:55], v[60:61]
	s_wait_loadcnt 0x0
	s_delay_alu instid0(VALU_DEP_1) | instskip(NEXT) | instid1(VALU_DEP_1)
	v_fmac_f64_e32 v[2:3], v[64:65], v[62:63]
	v_add_f64_e64 v[2:3], v[48:49], -v[2:3]
	scratch_store_b64 off, v[2:3], off offset:136
	s_wait_xcnt 0x0
	v_cmpx_lt_u32_e32 16, v0
	s_cbranch_execz .LBB21_109
; %bb.108:
	scratch_load_b64 v[2:3], off, off offset:128
	v_mov_b64_e32 v[48:49], 0
	scratch_store_b64 off, v[48:49], off offset:128
	s_wait_loadcnt 0x0
	ds_store_b64 v1, v[2:3]
.LBB21_109:
	s_wait_xcnt 0x0
	s_or_b32 exec_lo, exec_lo, s0
	s_wait_storecnt_dscnt 0x0
	s_barrier_signal -1
	s_barrier_wait -1
	s_clause 0x2
	scratch_load_b128 v[48:51], off, off offset:128
	scratch_load_b128 v[52:55], off, off offset:144
	;; [unrolled: 1-line block ×3, first 2 shown]
	v_mov_b32_e32 v2, 0
	ds_load_2addr_b64 v[60:63], v2 offset0:39 offset1:40
	ds_load_2addr_b64 v[64:67], v2 offset0:41 offset1:42
	s_mov_b32 s0, exec_lo
	s_wait_loadcnt_dscnt 0x201
	v_fma_f64 v[50:51], v[50:51], v[60:61], 0
	s_wait_loadcnt 0x1
	s_delay_alu instid0(VALU_DEP_1) | instskip(SKIP_4) | instid1(VALU_DEP_1)
	v_fmac_f64_e32 v[50:51], v[52:53], v[62:63]
	ds_load_b64 v[52:53], v2 offset:344
	s_wait_dscnt 0x1
	v_fmac_f64_e32 v[50:51], v[54:55], v[64:65]
	s_wait_loadcnt 0x0
	v_fmac_f64_e32 v[50:51], v[56:57], v[66:67]
	s_wait_dscnt 0x0
	s_delay_alu instid0(VALU_DEP_1) | instskip(NEXT) | instid1(VALU_DEP_1)
	v_fmac_f64_e32 v[50:51], v[58:59], v[52:53]
	v_add_f64_e64 v[48:49], v[48:49], -v[50:51]
	scratch_store_b64 off, v[48:49], off offset:128
	s_wait_xcnt 0x0
	v_cmpx_lt_u32_e32 15, v0
	s_cbranch_execz .LBB21_111
; %bb.110:
	scratch_load_b64 v[48:49], off, off offset:120
	v_mov_b64_e32 v[50:51], 0
	scratch_store_b64 off, v[50:51], off offset:120
	s_wait_loadcnt 0x0
	ds_store_b64 v1, v[48:49]
.LBB21_111:
	s_wait_xcnt 0x0
	s_or_b32 exec_lo, exec_lo, s0
	s_wait_storecnt_dscnt 0x0
	s_barrier_signal -1
	s_barrier_wait -1
	s_clause 0x3
	scratch_load_b128 v[48:51], off, off offset:120
	scratch_load_b128 v[52:55], off, off offset:136
	;; [unrolled: 1-line block ×3, first 2 shown]
	scratch_load_b64 v[68:69], off, off offset:168
	ds_load_b128 v[60:63], v2 offset:304
	ds_load_b128 v[64:67], v2 offset:320
	s_mov_b32 s0, exec_lo
	s_wait_loadcnt_dscnt 0x301
	v_fma_f64 v[60:61], v[50:51], v[60:61], 0
	s_wait_loadcnt 0x2
	s_delay_alu instid0(VALU_DEP_1) | instskip(SKIP_4) | instid1(VALU_DEP_1)
	v_fmac_f64_e32 v[60:61], v[52:53], v[62:63]
	ds_load_b128 v[50:53], v2 offset:336
	s_wait_dscnt 0x1
	v_fmac_f64_e32 v[60:61], v[54:55], v[64:65]
	s_wait_loadcnt 0x1
	v_fmac_f64_e32 v[60:61], v[56:57], v[66:67]
	s_wait_dscnt 0x0
	s_delay_alu instid0(VALU_DEP_1) | instskip(SKIP_1) | instid1(VALU_DEP_1)
	v_fmac_f64_e32 v[60:61], v[58:59], v[50:51]
	s_wait_loadcnt 0x0
	v_fmac_f64_e32 v[60:61], v[68:69], v[52:53]
	s_delay_alu instid0(VALU_DEP_1)
	v_add_f64_e64 v[2:3], v[48:49], -v[60:61]
	scratch_store_b64 off, v[2:3], off offset:120
	s_wait_xcnt 0x0
	v_cmpx_lt_u32_e32 14, v0
	s_cbranch_execz .LBB21_113
; %bb.112:
	scratch_load_b64 v[2:3], off, off offset:112
	v_mov_b64_e32 v[48:49], 0
	scratch_store_b64 off, v[48:49], off offset:112
	s_wait_loadcnt 0x0
	ds_store_b64 v1, v[2:3]
.LBB21_113:
	s_wait_xcnt 0x0
	s_or_b32 exec_lo, exec_lo, s0
	s_wait_storecnt_dscnt 0x0
	s_barrier_signal -1
	s_barrier_wait -1
	s_clause 0x3
	scratch_load_b128 v[48:51], off, off offset:112
	scratch_load_b128 v[52:55], off, off offset:128
	;; [unrolled: 1-line block ×4, first 2 shown]
	v_mov_b32_e32 v2, 0
	ds_load_2addr_b64 v[64:67], v2 offset0:37 offset1:38
	ds_load_2addr_b64 v[68:71], v2 offset0:39 offset1:40
	s_mov_b32 s0, exec_lo
	s_wait_loadcnt_dscnt 0x301
	v_fma_f64 v[64:65], v[50:51], v[64:65], 0
	s_wait_loadcnt 0x2
	s_delay_alu instid0(VALU_DEP_1) | instskip(SKIP_1) | instid1(VALU_DEP_1)
	v_fmac_f64_e32 v[64:65], v[52:53], v[66:67]
	s_wait_dscnt 0x0
	v_fmac_f64_e32 v[64:65], v[54:55], v[68:69]
	ds_load_2addr_b64 v[50:53], v2 offset0:41 offset1:42
	ds_load_b64 v[54:55], v2 offset:344
	s_wait_loadcnt 0x1
	v_fmac_f64_e32 v[64:65], v[56:57], v[70:71]
	s_wait_dscnt 0x1
	s_delay_alu instid0(VALU_DEP_1) | instskip(SKIP_1) | instid1(VALU_DEP_1)
	v_fmac_f64_e32 v[64:65], v[58:59], v[50:51]
	s_wait_loadcnt 0x0
	v_fmac_f64_e32 v[64:65], v[60:61], v[52:53]
	s_wait_dscnt 0x0
	s_delay_alu instid0(VALU_DEP_1) | instskip(NEXT) | instid1(VALU_DEP_1)
	v_fmac_f64_e32 v[64:65], v[62:63], v[54:55]
	v_add_f64_e64 v[48:49], v[48:49], -v[64:65]
	scratch_store_b64 off, v[48:49], off offset:112
	s_wait_xcnt 0x0
	v_cmpx_lt_u32_e32 13, v0
	s_cbranch_execz .LBB21_115
; %bb.114:
	scratch_load_b64 v[48:49], off, off offset:104
	v_mov_b64_e32 v[50:51], 0
	scratch_store_b64 off, v[50:51], off offset:104
	s_wait_loadcnt 0x0
	ds_store_b64 v1, v[48:49]
.LBB21_115:
	s_wait_xcnt 0x0
	s_or_b32 exec_lo, exec_lo, s0
	s_wait_storecnt_dscnt 0x0
	s_barrier_signal -1
	s_barrier_wait -1
	s_clause 0x4
	scratch_load_b128 v[48:51], off, off offset:104
	scratch_load_b128 v[52:55], off, off offset:120
	scratch_load_b128 v[56:59], off, off offset:136
	scratch_load_b128 v[60:63], off, off offset:152
	scratch_load_b64 v[72:73], off, off offset:168
	ds_load_b128 v[64:67], v2 offset:288
	ds_load_b128 v[68:71], v2 offset:304
	s_mov_b32 s0, exec_lo
	s_wait_loadcnt_dscnt 0x401
	v_fma_f64 v[64:65], v[50:51], v[64:65], 0
	s_wait_loadcnt 0x3
	s_delay_alu instid0(VALU_DEP_1) | instskip(SKIP_1) | instid1(VALU_DEP_1)
	v_fmac_f64_e32 v[64:65], v[52:53], v[66:67]
	s_wait_dscnt 0x0
	v_fmac_f64_e32 v[64:65], v[54:55], v[68:69]
	s_wait_loadcnt 0x2
	s_delay_alu instid0(VALU_DEP_1)
	v_fmac_f64_e32 v[64:65], v[56:57], v[70:71]
	ds_load_b128 v[50:53], v2 offset:320
	ds_load_b128 v[54:57], v2 offset:336
	s_wait_dscnt 0x1
	v_fmac_f64_e32 v[64:65], v[58:59], v[50:51]
	s_wait_loadcnt 0x1
	s_delay_alu instid0(VALU_DEP_1) | instskip(SKIP_1) | instid1(VALU_DEP_1)
	v_fmac_f64_e32 v[64:65], v[60:61], v[52:53]
	s_wait_dscnt 0x0
	v_fmac_f64_e32 v[64:65], v[62:63], v[54:55]
	s_wait_loadcnt 0x0
	s_delay_alu instid0(VALU_DEP_1) | instskip(NEXT) | instid1(VALU_DEP_1)
	v_fmac_f64_e32 v[64:65], v[72:73], v[56:57]
	v_add_f64_e64 v[2:3], v[48:49], -v[64:65]
	scratch_store_b64 off, v[2:3], off offset:104
	s_wait_xcnt 0x0
	v_cmpx_lt_u32_e32 12, v0
	s_cbranch_execz .LBB21_117
; %bb.116:
	scratch_load_b64 v[2:3], off, off offset:96
	v_mov_b64_e32 v[48:49], 0
	scratch_store_b64 off, v[48:49], off offset:96
	s_wait_loadcnt 0x0
	ds_store_b64 v1, v[2:3]
.LBB21_117:
	s_wait_xcnt 0x0
	s_or_b32 exec_lo, exec_lo, s0
	s_wait_storecnt_dscnt 0x0
	s_barrier_signal -1
	s_barrier_wait -1
	s_clause 0x4
	scratch_load_b128 v[48:51], off, off offset:96
	scratch_load_b128 v[52:55], off, off offset:112
	scratch_load_b128 v[56:59], off, off offset:128
	scratch_load_b128 v[60:63], off, off offset:144
	scratch_load_b128 v[64:67], off, off offset:160
	v_mov_b32_e32 v2, 0
	ds_load_2addr_b64 v[68:71], v2 offset0:35 offset1:36
	ds_load_2addr_b64 v[72:75], v2 offset0:37 offset1:38
	s_mov_b32 s0, exec_lo
	s_wait_loadcnt_dscnt 0x401
	v_fma_f64 v[68:69], v[50:51], v[68:69], 0
	s_wait_loadcnt 0x3
	s_delay_alu instid0(VALU_DEP_1) | instskip(SKIP_1) | instid1(VALU_DEP_1)
	v_fmac_f64_e32 v[68:69], v[52:53], v[70:71]
	s_wait_dscnt 0x0
	v_fmac_f64_e32 v[68:69], v[54:55], v[72:73]
	s_wait_loadcnt 0x2
	s_delay_alu instid0(VALU_DEP_1)
	v_fmac_f64_e32 v[68:69], v[56:57], v[74:75]
	ds_load_2addr_b64 v[50:53], v2 offset0:39 offset1:40
	ds_load_2addr_b64 v[54:57], v2 offset0:41 offset1:42
	s_wait_dscnt 0x1
	v_fmac_f64_e32 v[68:69], v[58:59], v[50:51]
	ds_load_b64 v[50:51], v2 offset:344
	s_wait_loadcnt 0x1
	v_fmac_f64_e32 v[68:69], v[60:61], v[52:53]
	s_wait_dscnt 0x1
	s_delay_alu instid0(VALU_DEP_1) | instskip(SKIP_1) | instid1(VALU_DEP_1)
	v_fmac_f64_e32 v[68:69], v[62:63], v[54:55]
	s_wait_loadcnt 0x0
	v_fmac_f64_e32 v[68:69], v[64:65], v[56:57]
	s_wait_dscnt 0x0
	s_delay_alu instid0(VALU_DEP_1) | instskip(NEXT) | instid1(VALU_DEP_1)
	v_fmac_f64_e32 v[68:69], v[66:67], v[50:51]
	v_add_f64_e64 v[48:49], v[48:49], -v[68:69]
	scratch_store_b64 off, v[48:49], off offset:96
	s_wait_xcnt 0x0
	v_cmpx_lt_u32_e32 11, v0
	s_cbranch_execz .LBB21_119
; %bb.118:
	scratch_load_b64 v[48:49], off, off offset:88
	v_mov_b64_e32 v[50:51], 0
	scratch_store_b64 off, v[50:51], off offset:88
	s_wait_loadcnt 0x0
	ds_store_b64 v1, v[48:49]
.LBB21_119:
	s_wait_xcnt 0x0
	s_or_b32 exec_lo, exec_lo, s0
	s_wait_storecnt_dscnt 0x0
	s_barrier_signal -1
	s_barrier_wait -1
	s_clause 0x5
	scratch_load_b128 v[48:51], off, off offset:88
	scratch_load_b128 v[52:55], off, off offset:104
	scratch_load_b128 v[56:59], off, off offset:120
	scratch_load_b128 v[60:63], off, off offset:136
	scratch_load_b128 v[64:67], off, off offset:152
	scratch_load_b64 v[76:77], off, off offset:168
	ds_load_b128 v[68:71], v2 offset:272
	ds_load_b128 v[72:75], v2 offset:288
	s_mov_b32 s0, exec_lo
	s_wait_loadcnt_dscnt 0x501
	v_fma_f64 v[68:69], v[50:51], v[68:69], 0
	s_wait_loadcnt 0x4
	s_delay_alu instid0(VALU_DEP_1) | instskip(SKIP_1) | instid1(VALU_DEP_1)
	v_fmac_f64_e32 v[68:69], v[52:53], v[70:71]
	s_wait_dscnt 0x0
	v_fmac_f64_e32 v[68:69], v[54:55], v[72:73]
	s_wait_loadcnt 0x3
	s_delay_alu instid0(VALU_DEP_1)
	v_fmac_f64_e32 v[68:69], v[56:57], v[74:75]
	ds_load_b128 v[50:53], v2 offset:304
	ds_load_b128 v[54:57], v2 offset:320
	s_wait_dscnt 0x1
	v_fmac_f64_e32 v[68:69], v[58:59], v[50:51]
	s_wait_loadcnt 0x2
	s_delay_alu instid0(VALU_DEP_1) | instskip(SKIP_4) | instid1(VALU_DEP_1)
	v_fmac_f64_e32 v[68:69], v[60:61], v[52:53]
	ds_load_b128 v[50:53], v2 offset:336
	s_wait_dscnt 0x1
	v_fmac_f64_e32 v[68:69], v[62:63], v[54:55]
	s_wait_loadcnt 0x1
	v_fmac_f64_e32 v[68:69], v[64:65], v[56:57]
	s_wait_dscnt 0x0
	s_delay_alu instid0(VALU_DEP_1) | instskip(SKIP_1) | instid1(VALU_DEP_1)
	v_fmac_f64_e32 v[68:69], v[66:67], v[50:51]
	s_wait_loadcnt 0x0
	v_fmac_f64_e32 v[68:69], v[76:77], v[52:53]
	s_delay_alu instid0(VALU_DEP_1)
	v_add_f64_e64 v[2:3], v[48:49], -v[68:69]
	scratch_store_b64 off, v[2:3], off offset:88
	s_wait_xcnt 0x0
	v_cmpx_lt_u32_e32 10, v0
	s_cbranch_execz .LBB21_121
; %bb.120:
	scratch_load_b64 v[2:3], off, off offset:80
	v_mov_b64_e32 v[48:49], 0
	scratch_store_b64 off, v[48:49], off offset:80
	s_wait_loadcnt 0x0
	ds_store_b64 v1, v[2:3]
.LBB21_121:
	s_wait_xcnt 0x0
	s_or_b32 exec_lo, exec_lo, s0
	s_wait_storecnt_dscnt 0x0
	s_barrier_signal -1
	s_barrier_wait -1
	s_clause 0x5
	scratch_load_b128 v[48:51], off, off offset:80
	scratch_load_b128 v[52:55], off, off offset:96
	;; [unrolled: 1-line block ×6, first 2 shown]
	v_mov_b32_e32 v2, 0
	ds_load_2addr_b64 v[72:75], v2 offset0:33 offset1:34
	ds_load_2addr_b64 v[76:79], v2 offset0:35 offset1:36
	s_mov_b32 s0, exec_lo
	s_wait_loadcnt_dscnt 0x501
	v_fma_f64 v[72:73], v[50:51], v[72:73], 0
	s_wait_loadcnt 0x4
	s_delay_alu instid0(VALU_DEP_1) | instskip(SKIP_1) | instid1(VALU_DEP_1)
	v_fmac_f64_e32 v[72:73], v[52:53], v[74:75]
	s_wait_dscnt 0x0
	v_fmac_f64_e32 v[72:73], v[54:55], v[76:77]
	s_wait_loadcnt 0x3
	s_delay_alu instid0(VALU_DEP_1)
	v_fmac_f64_e32 v[72:73], v[56:57], v[78:79]
	ds_load_2addr_b64 v[50:53], v2 offset0:37 offset1:38
	ds_load_2addr_b64 v[54:57], v2 offset0:39 offset1:40
	s_wait_dscnt 0x1
	v_fmac_f64_e32 v[72:73], v[58:59], v[50:51]
	s_wait_loadcnt 0x2
	s_delay_alu instid0(VALU_DEP_1) | instskip(SKIP_1) | instid1(VALU_DEP_1)
	v_fmac_f64_e32 v[72:73], v[60:61], v[52:53]
	s_wait_dscnt 0x0
	v_fmac_f64_e32 v[72:73], v[62:63], v[54:55]
	ds_load_2addr_b64 v[50:53], v2 offset0:41 offset1:42
	ds_load_b64 v[54:55], v2 offset:344
	s_wait_loadcnt 0x1
	v_fmac_f64_e32 v[72:73], v[64:65], v[56:57]
	s_wait_dscnt 0x1
	s_delay_alu instid0(VALU_DEP_1) | instskip(SKIP_1) | instid1(VALU_DEP_1)
	v_fmac_f64_e32 v[72:73], v[66:67], v[50:51]
	s_wait_loadcnt 0x0
	v_fmac_f64_e32 v[72:73], v[68:69], v[52:53]
	s_wait_dscnt 0x0
	s_delay_alu instid0(VALU_DEP_1) | instskip(NEXT) | instid1(VALU_DEP_1)
	v_fmac_f64_e32 v[72:73], v[70:71], v[54:55]
	v_add_f64_e64 v[48:49], v[48:49], -v[72:73]
	scratch_store_b64 off, v[48:49], off offset:80
	s_wait_xcnt 0x0
	v_cmpx_lt_u32_e32 9, v0
	s_cbranch_execz .LBB21_123
; %bb.122:
	scratch_load_b64 v[48:49], off, off offset:72
	v_mov_b64_e32 v[50:51], 0
	scratch_store_b64 off, v[50:51], off offset:72
	s_wait_loadcnt 0x0
	ds_store_b64 v1, v[48:49]
.LBB21_123:
	s_wait_xcnt 0x0
	s_or_b32 exec_lo, exec_lo, s0
	s_wait_storecnt_dscnt 0x0
	s_barrier_signal -1
	s_barrier_wait -1
	s_clause 0x5
	scratch_load_b128 v[48:51], off, off offset:72
	scratch_load_b128 v[52:55], off, off offset:88
	;; [unrolled: 1-line block ×6, first 2 shown]
	ds_load_b128 v[72:75], v2 offset:256
	ds_load_b128 v[76:79], v2 offset:272
	s_mov_b32 s0, exec_lo
	s_wait_loadcnt_dscnt 0x501
	v_fma_f64 v[72:73], v[50:51], v[72:73], 0
	s_wait_loadcnt 0x4
	s_delay_alu instid0(VALU_DEP_1) | instskip(SKIP_4) | instid1(VALU_DEP_1)
	v_fmac_f64_e32 v[72:73], v[52:53], v[74:75]
	scratch_load_b64 v[74:75], off, off offset:168
	s_wait_dscnt 0x0
	v_fmac_f64_e32 v[72:73], v[54:55], v[76:77]
	s_wait_loadcnt 0x4
	v_fmac_f64_e32 v[72:73], v[56:57], v[78:79]
	ds_load_b128 v[50:53], v2 offset:288
	ds_load_b128 v[54:57], v2 offset:304
	s_wait_dscnt 0x1
	v_fmac_f64_e32 v[72:73], v[58:59], v[50:51]
	s_wait_loadcnt 0x3
	s_delay_alu instid0(VALU_DEP_1) | instskip(SKIP_1) | instid1(VALU_DEP_1)
	v_fmac_f64_e32 v[72:73], v[60:61], v[52:53]
	s_wait_dscnt 0x0
	v_fmac_f64_e32 v[72:73], v[62:63], v[54:55]
	s_wait_loadcnt 0x2
	s_delay_alu instid0(VALU_DEP_1)
	v_fmac_f64_e32 v[72:73], v[64:65], v[56:57]
	ds_load_b128 v[50:53], v2 offset:320
	ds_load_b128 v[54:57], v2 offset:336
	s_wait_dscnt 0x1
	v_fmac_f64_e32 v[72:73], v[66:67], v[50:51]
	s_wait_loadcnt 0x1
	s_delay_alu instid0(VALU_DEP_1) | instskip(SKIP_1) | instid1(VALU_DEP_1)
	v_fmac_f64_e32 v[72:73], v[68:69], v[52:53]
	s_wait_dscnt 0x0
	v_fmac_f64_e32 v[72:73], v[70:71], v[54:55]
	s_wait_loadcnt 0x0
	s_delay_alu instid0(VALU_DEP_1) | instskip(NEXT) | instid1(VALU_DEP_1)
	v_fmac_f64_e32 v[72:73], v[74:75], v[56:57]
	v_add_f64_e64 v[2:3], v[48:49], -v[72:73]
	scratch_store_b64 off, v[2:3], off offset:72
	s_wait_xcnt 0x0
	v_cmpx_lt_u32_e32 8, v0
	s_cbranch_execz .LBB21_125
; %bb.124:
	scratch_load_b64 v[2:3], off, off offset:64
	v_mov_b64_e32 v[48:49], 0
	scratch_store_b64 off, v[48:49], off offset:64
	s_wait_loadcnt 0x0
	ds_store_b64 v1, v[2:3]
.LBB21_125:
	s_wait_xcnt 0x0
	s_or_b32 exec_lo, exec_lo, s0
	s_wait_storecnt_dscnt 0x0
	s_barrier_signal -1
	s_barrier_wait -1
	s_clause 0x5
	scratch_load_b128 v[48:51], off, off offset:64
	scratch_load_b128 v[52:55], off, off offset:80
	;; [unrolled: 1-line block ×6, first 2 shown]
	v_mov_b32_e32 v2, 0
	ds_load_2addr_b64 v[72:75], v2 offset0:31 offset1:32
	ds_load_2addr_b64 v[76:79], v2 offset0:33 offset1:34
	s_mov_b32 s0, exec_lo
	s_wait_loadcnt_dscnt 0x501
	v_fma_f64 v[80:81], v[50:51], v[72:73], 0
	s_wait_loadcnt 0x4
	s_delay_alu instid0(VALU_DEP_1) | instskip(SKIP_4) | instid1(VALU_DEP_1)
	v_fmac_f64_e32 v[80:81], v[52:53], v[74:75]
	scratch_load_b128 v[50:53], off, off offset:160
	s_wait_dscnt 0x0
	v_fmac_f64_e32 v[80:81], v[54:55], v[76:77]
	s_wait_loadcnt 0x4
	v_fmac_f64_e32 v[80:81], v[56:57], v[78:79]
	ds_load_2addr_b64 v[54:57], v2 offset0:35 offset1:36
	ds_load_2addr_b64 v[72:75], v2 offset0:37 offset1:38
	s_wait_dscnt 0x1
	v_fmac_f64_e32 v[80:81], v[58:59], v[54:55]
	s_wait_loadcnt 0x3
	s_delay_alu instid0(VALU_DEP_1)
	v_fmac_f64_e32 v[80:81], v[60:61], v[56:57]
	ds_load_2addr_b64 v[54:57], v2 offset0:39 offset1:40
	ds_load_2addr_b64 v[58:61], v2 offset0:41 offset1:42
	s_wait_dscnt 0x2
	v_fmac_f64_e32 v[80:81], v[62:63], v[72:73]
	s_wait_loadcnt 0x2
	s_delay_alu instid0(VALU_DEP_1) | instskip(SKIP_1) | instid1(VALU_DEP_1)
	v_fmac_f64_e32 v[80:81], v[64:65], v[74:75]
	s_wait_dscnt 0x1
	v_fmac_f64_e32 v[80:81], v[66:67], v[54:55]
	s_wait_loadcnt 0x1
	s_delay_alu instid0(VALU_DEP_1) | instskip(SKIP_1) | instid1(VALU_DEP_1)
	v_fmac_f64_e32 v[80:81], v[68:69], v[56:57]
	s_wait_dscnt 0x0
	v_fmac_f64_e32 v[80:81], v[70:71], v[58:59]
	s_wait_loadcnt 0x0
	s_delay_alu instid0(VALU_DEP_1) | instskip(SKIP_3) | instid1(VALU_DEP_1)
	v_fmac_f64_e32 v[80:81], v[50:51], v[60:61]
	ds_load_b64 v[50:51], v2 offset:344
	s_wait_dscnt 0x0
	v_fmac_f64_e32 v[80:81], v[52:53], v[50:51]
	v_add_f64_e64 v[48:49], v[48:49], -v[80:81]
	scratch_store_b64 off, v[48:49], off offset:64
	s_wait_xcnt 0x0
	v_cmpx_lt_u32_e32 7, v0
	s_cbranch_execz .LBB21_127
; %bb.126:
	scratch_load_b64 v[48:49], off, off offset:56
	v_mov_b64_e32 v[50:51], 0
	scratch_store_b64 off, v[50:51], off offset:56
	s_wait_loadcnt 0x0
	ds_store_b64 v1, v[48:49]
.LBB21_127:
	s_wait_xcnt 0x0
	s_or_b32 exec_lo, exec_lo, s0
	s_wait_storecnt_dscnt 0x0
	s_barrier_signal -1
	s_barrier_wait -1
	s_clause 0x5
	scratch_load_b128 v[48:51], off, off offset:56
	scratch_load_b128 v[52:55], off, off offset:72
	scratch_load_b128 v[56:59], off, off offset:88
	scratch_load_b128 v[60:63], off, off offset:104
	scratch_load_b128 v[64:67], off, off offset:120
	scratch_load_b128 v[68:71], off, off offset:136
	ds_load_b128 v[72:75], v2 offset:240
	ds_load_b128 v[76:79], v2 offset:256
	s_mov_b32 s0, exec_lo
	s_wait_loadcnt_dscnt 0x501
	v_fma_f64 v[80:81], v[50:51], v[72:73], 0
	s_wait_loadcnt 0x4
	s_delay_alu instid0(VALU_DEP_1)
	v_fmac_f64_e32 v[80:81], v[52:53], v[74:75]
	scratch_load_b128 v[50:53], off, off offset:152
	s_wait_dscnt 0x0
	v_fmac_f64_e32 v[80:81], v[54:55], v[76:77]
	scratch_load_b64 v[76:77], off, off offset:168
	s_wait_loadcnt 0x5
	v_fmac_f64_e32 v[80:81], v[56:57], v[78:79]
	ds_load_b128 v[54:57], v2 offset:272
	ds_load_b128 v[72:75], v2 offset:288
	s_wait_dscnt 0x1
	v_fmac_f64_e32 v[80:81], v[58:59], v[54:55]
	s_wait_loadcnt 0x4
	s_delay_alu instid0(VALU_DEP_1)
	v_fmac_f64_e32 v[80:81], v[60:61], v[56:57]
	ds_load_b128 v[54:57], v2 offset:304
	ds_load_b128 v[58:61], v2 offset:320
	s_wait_dscnt 0x2
	v_fmac_f64_e32 v[80:81], v[62:63], v[72:73]
	s_wait_loadcnt 0x3
	s_delay_alu instid0(VALU_DEP_1) | instskip(SKIP_1) | instid1(VALU_DEP_1)
	v_fmac_f64_e32 v[80:81], v[64:65], v[74:75]
	s_wait_dscnt 0x1
	v_fmac_f64_e32 v[80:81], v[66:67], v[54:55]
	s_wait_loadcnt 0x2
	s_delay_alu instid0(VALU_DEP_1) | instskip(SKIP_4) | instid1(VALU_DEP_1)
	v_fmac_f64_e32 v[80:81], v[68:69], v[56:57]
	ds_load_b128 v[54:57], v2 offset:336
	s_wait_dscnt 0x1
	v_fmac_f64_e32 v[80:81], v[70:71], v[58:59]
	s_wait_loadcnt 0x1
	v_fmac_f64_e32 v[80:81], v[50:51], v[60:61]
	s_wait_dscnt 0x0
	s_delay_alu instid0(VALU_DEP_1) | instskip(SKIP_1) | instid1(VALU_DEP_1)
	v_fmac_f64_e32 v[80:81], v[52:53], v[54:55]
	s_wait_loadcnt 0x0
	v_fmac_f64_e32 v[80:81], v[76:77], v[56:57]
	s_delay_alu instid0(VALU_DEP_1)
	v_add_f64_e64 v[2:3], v[48:49], -v[80:81]
	scratch_store_b64 off, v[2:3], off offset:56
	s_wait_xcnt 0x0
	v_cmpx_lt_u32_e32 6, v0
	s_cbranch_execz .LBB21_129
; %bb.128:
	scratch_load_b64 v[2:3], off, off offset:48
	v_mov_b64_e32 v[48:49], 0
	scratch_store_b64 off, v[48:49], off offset:48
	s_wait_loadcnt 0x0
	ds_store_b64 v1, v[2:3]
.LBB21_129:
	s_wait_xcnt 0x0
	s_or_b32 exec_lo, exec_lo, s0
	s_wait_storecnt_dscnt 0x0
	s_barrier_signal -1
	s_barrier_wait -1
	s_clause 0x5
	scratch_load_b128 v[48:51], off, off offset:48
	scratch_load_b128 v[52:55], off, off offset:64
	;; [unrolled: 1-line block ×6, first 2 shown]
	v_mov_b32_e32 v2, 0
	ds_load_2addr_b64 v[72:75], v2 offset0:29 offset1:30
	ds_load_2addr_b64 v[76:79], v2 offset0:31 offset1:32
	s_mov_b32 s0, exec_lo
	s_wait_loadcnt_dscnt 0x501
	v_fma_f64 v[80:81], v[50:51], v[72:73], 0
	s_wait_loadcnt 0x4
	s_delay_alu instid0(VALU_DEP_1) | instskip(SKIP_4) | instid1(VALU_DEP_1)
	v_fmac_f64_e32 v[80:81], v[52:53], v[74:75]
	scratch_load_b128 v[50:53], off, off offset:144
	s_wait_dscnt 0x0
	v_fmac_f64_e32 v[80:81], v[54:55], v[76:77]
	s_wait_loadcnt 0x4
	v_fmac_f64_e32 v[80:81], v[56:57], v[78:79]
	scratch_load_b128 v[54:57], off, off offset:160
	ds_load_2addr_b64 v[72:75], v2 offset0:33 offset1:34
	ds_load_2addr_b64 v[76:79], v2 offset0:35 offset1:36
	s_wait_dscnt 0x1
	v_fmac_f64_e32 v[80:81], v[58:59], v[72:73]
	s_wait_loadcnt 0x4
	s_delay_alu instid0(VALU_DEP_1) | instskip(SKIP_1) | instid1(VALU_DEP_1)
	v_fmac_f64_e32 v[80:81], v[60:61], v[74:75]
	s_wait_dscnt 0x0
	v_fmac_f64_e32 v[80:81], v[62:63], v[76:77]
	s_wait_loadcnt 0x3
	s_delay_alu instid0(VALU_DEP_1)
	v_fmac_f64_e32 v[80:81], v[64:65], v[78:79]
	ds_load_2addr_b64 v[58:61], v2 offset0:37 offset1:38
	ds_load_2addr_b64 v[62:65], v2 offset0:39 offset1:40
	s_wait_dscnt 0x1
	v_fmac_f64_e32 v[80:81], v[66:67], v[58:59]
	s_wait_loadcnt 0x2
	s_delay_alu instid0(VALU_DEP_1) | instskip(SKIP_1) | instid1(VALU_DEP_1)
	v_fmac_f64_e32 v[80:81], v[68:69], v[60:61]
	s_wait_dscnt 0x0
	v_fmac_f64_e32 v[80:81], v[70:71], v[62:63]
	s_wait_loadcnt 0x1
	s_delay_alu instid0(VALU_DEP_1)
	v_fmac_f64_e32 v[80:81], v[50:51], v[64:65]
	ds_load_2addr_b64 v[58:61], v2 offset0:41 offset1:42
	ds_load_b64 v[50:51], v2 offset:344
	s_wait_dscnt 0x1
	v_fmac_f64_e32 v[80:81], v[52:53], v[58:59]
	s_wait_loadcnt 0x0
	s_delay_alu instid0(VALU_DEP_1) | instskip(SKIP_1) | instid1(VALU_DEP_1)
	v_fmac_f64_e32 v[80:81], v[54:55], v[60:61]
	s_wait_dscnt 0x0
	v_fmac_f64_e32 v[80:81], v[56:57], v[50:51]
	s_delay_alu instid0(VALU_DEP_1)
	v_add_f64_e64 v[48:49], v[48:49], -v[80:81]
	scratch_store_b64 off, v[48:49], off offset:48
	s_wait_xcnt 0x0
	v_cmpx_lt_u32_e32 5, v0
	s_cbranch_execz .LBB21_131
; %bb.130:
	scratch_load_b64 v[48:49], off, off offset:40
	v_mov_b64_e32 v[50:51], 0
	scratch_store_b64 off, v[50:51], off offset:40
	s_wait_loadcnt 0x0
	ds_store_b64 v1, v[48:49]
.LBB21_131:
	s_wait_xcnt 0x0
	s_or_b32 exec_lo, exec_lo, s0
	s_wait_storecnt_dscnt 0x0
	s_barrier_signal -1
	s_barrier_wait -1
	s_clause 0x5
	scratch_load_b128 v[48:51], off, off offset:40
	scratch_load_b128 v[52:55], off, off offset:56
	;; [unrolled: 1-line block ×6, first 2 shown]
	ds_load_b128 v[72:75], v2 offset:224
	ds_load_b128 v[76:79], v2 offset:240
	s_mov_b32 s0, exec_lo
	s_wait_loadcnt_dscnt 0x501
	v_fma_f64 v[80:81], v[50:51], v[72:73], 0
	s_wait_loadcnt 0x4
	s_delay_alu instid0(VALU_DEP_1) | instskip(SKIP_4) | instid1(VALU_DEP_1)
	v_fmac_f64_e32 v[80:81], v[52:53], v[74:75]
	scratch_load_b128 v[50:53], off, off offset:136
	s_wait_dscnt 0x0
	v_fmac_f64_e32 v[80:81], v[54:55], v[76:77]
	s_wait_loadcnt 0x4
	v_fmac_f64_e32 v[80:81], v[56:57], v[78:79]
	scratch_load_b128 v[54:57], off, off offset:152
	ds_load_b128 v[72:75], v2 offset:256
	ds_load_b128 v[76:79], v2 offset:272
	s_wait_dscnt 0x1
	v_fmac_f64_e32 v[80:81], v[58:59], v[72:73]
	scratch_load_b64 v[72:73], off, off offset:168
	s_wait_loadcnt 0x5
	v_fmac_f64_e32 v[80:81], v[60:61], v[74:75]
	s_wait_dscnt 0x0
	s_delay_alu instid0(VALU_DEP_1) | instskip(SKIP_1) | instid1(VALU_DEP_1)
	v_fmac_f64_e32 v[80:81], v[62:63], v[76:77]
	s_wait_loadcnt 0x4
	v_fmac_f64_e32 v[80:81], v[64:65], v[78:79]
	ds_load_b128 v[58:61], v2 offset:288
	ds_load_b128 v[62:65], v2 offset:304
	s_wait_dscnt 0x1
	v_fmac_f64_e32 v[80:81], v[66:67], v[58:59]
	s_wait_loadcnt 0x3
	s_delay_alu instid0(VALU_DEP_1) | instskip(SKIP_1) | instid1(VALU_DEP_1)
	v_fmac_f64_e32 v[80:81], v[68:69], v[60:61]
	s_wait_dscnt 0x0
	v_fmac_f64_e32 v[80:81], v[70:71], v[62:63]
	s_wait_loadcnt 0x2
	s_delay_alu instid0(VALU_DEP_1)
	v_fmac_f64_e32 v[80:81], v[50:51], v[64:65]
	ds_load_b128 v[58:61], v2 offset:320
	ds_load_b128 v[62:65], v2 offset:336
	s_wait_dscnt 0x1
	v_fmac_f64_e32 v[80:81], v[52:53], v[58:59]
	s_wait_loadcnt 0x1
	s_delay_alu instid0(VALU_DEP_1) | instskip(SKIP_1) | instid1(VALU_DEP_1)
	v_fmac_f64_e32 v[80:81], v[54:55], v[60:61]
	s_wait_dscnt 0x0
	v_fmac_f64_e32 v[80:81], v[56:57], v[62:63]
	s_wait_loadcnt 0x0
	s_delay_alu instid0(VALU_DEP_1) | instskip(NEXT) | instid1(VALU_DEP_1)
	v_fmac_f64_e32 v[80:81], v[72:73], v[64:65]
	v_add_f64_e64 v[2:3], v[48:49], -v[80:81]
	scratch_store_b64 off, v[2:3], off offset:40
	s_wait_xcnt 0x0
	v_cmpx_lt_u32_e32 4, v0
	s_cbranch_execz .LBB21_133
; %bb.132:
	scratch_load_b64 v[2:3], off, off offset:32
	v_mov_b64_e32 v[48:49], 0
	scratch_store_b64 off, v[48:49], off offset:32
	s_wait_loadcnt 0x0
	ds_store_b64 v1, v[2:3]
.LBB21_133:
	s_wait_xcnt 0x0
	s_or_b32 exec_lo, exec_lo, s0
	s_wait_storecnt_dscnt 0x0
	s_barrier_signal -1
	s_barrier_wait -1
	s_clause 0x5
	scratch_load_b128 v[48:51], off, off offset:32
	scratch_load_b128 v[52:55], off, off offset:48
	;; [unrolled: 1-line block ×6, first 2 shown]
	v_mov_b32_e32 v2, 0
	ds_load_2addr_b64 v[72:75], v2 offset0:27 offset1:28
	ds_load_2addr_b64 v[76:79], v2 offset0:29 offset1:30
	s_mov_b32 s0, exec_lo
	s_wait_loadcnt_dscnt 0x501
	v_fma_f64 v[80:81], v[50:51], v[72:73], 0
	s_wait_loadcnt 0x4
	s_delay_alu instid0(VALU_DEP_1) | instskip(SKIP_4) | instid1(VALU_DEP_1)
	v_fmac_f64_e32 v[80:81], v[52:53], v[74:75]
	scratch_load_b128 v[50:53], off, off offset:128
	s_wait_dscnt 0x0
	v_fmac_f64_e32 v[80:81], v[54:55], v[76:77]
	s_wait_loadcnt 0x4
	v_fmac_f64_e32 v[80:81], v[56:57], v[78:79]
	scratch_load_b128 v[54:57], off, off offset:144
	ds_load_2addr_b64 v[72:75], v2 offset0:31 offset1:32
	ds_load_2addr_b64 v[76:79], v2 offset0:33 offset1:34
	s_wait_dscnt 0x1
	v_fmac_f64_e32 v[80:81], v[58:59], v[72:73]
	s_wait_loadcnt 0x4
	s_delay_alu instid0(VALU_DEP_1) | instskip(SKIP_4) | instid1(VALU_DEP_1)
	v_fmac_f64_e32 v[80:81], v[60:61], v[74:75]
	scratch_load_b128 v[58:61], off, off offset:160
	s_wait_dscnt 0x0
	v_fmac_f64_e32 v[80:81], v[62:63], v[76:77]
	s_wait_loadcnt 0x4
	v_fmac_f64_e32 v[80:81], v[64:65], v[78:79]
	ds_load_2addr_b64 v[62:65], v2 offset0:35 offset1:36
	ds_load_2addr_b64 v[72:75], v2 offset0:37 offset1:38
	s_wait_dscnt 0x1
	v_fmac_f64_e32 v[80:81], v[66:67], v[62:63]
	s_wait_loadcnt 0x3
	s_delay_alu instid0(VALU_DEP_1)
	v_fmac_f64_e32 v[80:81], v[68:69], v[64:65]
	ds_load_2addr_b64 v[62:65], v2 offset0:39 offset1:40
	ds_load_2addr_b64 v[66:69], v2 offset0:41 offset1:42
	s_wait_dscnt 0x2
	v_fmac_f64_e32 v[80:81], v[70:71], v[72:73]
	s_wait_loadcnt 0x2
	s_delay_alu instid0(VALU_DEP_1) | instskip(SKIP_4) | instid1(VALU_DEP_1)
	v_fmac_f64_e32 v[80:81], v[50:51], v[74:75]
	ds_load_b64 v[50:51], v2 offset:344
	s_wait_dscnt 0x2
	v_fmac_f64_e32 v[80:81], v[52:53], v[62:63]
	s_wait_loadcnt 0x1
	v_fmac_f64_e32 v[80:81], v[54:55], v[64:65]
	s_wait_dscnt 0x1
	s_delay_alu instid0(VALU_DEP_1) | instskip(SKIP_1) | instid1(VALU_DEP_1)
	v_fmac_f64_e32 v[80:81], v[56:57], v[66:67]
	s_wait_loadcnt 0x0
	v_fmac_f64_e32 v[80:81], v[58:59], v[68:69]
	s_wait_dscnt 0x0
	s_delay_alu instid0(VALU_DEP_1) | instskip(NEXT) | instid1(VALU_DEP_1)
	v_fmac_f64_e32 v[80:81], v[60:61], v[50:51]
	v_add_f64_e64 v[48:49], v[48:49], -v[80:81]
	scratch_store_b64 off, v[48:49], off offset:32
	s_wait_xcnt 0x0
	v_cmpx_lt_u32_e32 3, v0
	s_cbranch_execz .LBB21_135
; %bb.134:
	scratch_load_b64 v[48:49], off, off offset:24
	v_mov_b64_e32 v[50:51], 0
	scratch_store_b64 off, v[50:51], off offset:24
	s_wait_loadcnt 0x0
	ds_store_b64 v1, v[48:49]
.LBB21_135:
	s_wait_xcnt 0x0
	s_or_b32 exec_lo, exec_lo, s0
	s_wait_storecnt_dscnt 0x0
	s_barrier_signal -1
	s_barrier_wait -1
	s_clause 0x5
	scratch_load_b128 v[48:51], off, off offset:24
	scratch_load_b128 v[52:55], off, off offset:40
	;; [unrolled: 1-line block ×6, first 2 shown]
	ds_load_b128 v[72:75], v2 offset:208
	ds_load_b128 v[76:79], v2 offset:224
	s_mov_b32 s0, exec_lo
	s_wait_loadcnt_dscnt 0x501
	v_fma_f64 v[80:81], v[50:51], v[72:73], 0
	s_wait_loadcnt 0x4
	s_delay_alu instid0(VALU_DEP_1) | instskip(SKIP_4) | instid1(VALU_DEP_1)
	v_fmac_f64_e32 v[80:81], v[52:53], v[74:75]
	scratch_load_b128 v[50:53], off, off offset:120
	s_wait_dscnt 0x0
	v_fmac_f64_e32 v[80:81], v[54:55], v[76:77]
	s_wait_loadcnt 0x4
	v_fmac_f64_e32 v[80:81], v[56:57], v[78:79]
	scratch_load_b128 v[54:57], off, off offset:136
	ds_load_b128 v[72:75], v2 offset:240
	ds_load_b128 v[76:79], v2 offset:256
	s_wait_dscnt 0x1
	v_fmac_f64_e32 v[80:81], v[58:59], v[72:73]
	s_wait_loadcnt 0x4
	s_delay_alu instid0(VALU_DEP_1)
	v_fmac_f64_e32 v[80:81], v[60:61], v[74:75]
	scratch_load_b128 v[58:61], off, off offset:152
	s_wait_dscnt 0x0
	v_fmac_f64_e32 v[80:81], v[62:63], v[76:77]
	scratch_load_b64 v[76:77], off, off offset:168
	s_wait_loadcnt 0x5
	v_fmac_f64_e32 v[80:81], v[64:65], v[78:79]
	ds_load_b128 v[62:65], v2 offset:272
	ds_load_b128 v[72:75], v2 offset:288
	s_wait_dscnt 0x1
	v_fmac_f64_e32 v[80:81], v[66:67], v[62:63]
	s_wait_loadcnt 0x4
	s_delay_alu instid0(VALU_DEP_1)
	v_fmac_f64_e32 v[80:81], v[68:69], v[64:65]
	ds_load_b128 v[62:65], v2 offset:304
	ds_load_b128 v[66:69], v2 offset:320
	s_wait_dscnt 0x2
	v_fmac_f64_e32 v[80:81], v[70:71], v[72:73]
	s_wait_loadcnt 0x3
	s_delay_alu instid0(VALU_DEP_1) | instskip(SKIP_1) | instid1(VALU_DEP_1)
	v_fmac_f64_e32 v[80:81], v[50:51], v[74:75]
	s_wait_dscnt 0x1
	v_fmac_f64_e32 v[80:81], v[52:53], v[62:63]
	ds_load_b128 v[50:53], v2 offset:336
	s_wait_loadcnt 0x2
	v_fmac_f64_e32 v[80:81], v[54:55], v[64:65]
	s_wait_dscnt 0x1
	s_delay_alu instid0(VALU_DEP_1) | instskip(SKIP_1) | instid1(VALU_DEP_1)
	v_fmac_f64_e32 v[80:81], v[56:57], v[66:67]
	s_wait_loadcnt 0x1
	v_fmac_f64_e32 v[80:81], v[58:59], v[68:69]
	s_wait_dscnt 0x0
	s_delay_alu instid0(VALU_DEP_1) | instskip(SKIP_1) | instid1(VALU_DEP_1)
	v_fmac_f64_e32 v[80:81], v[60:61], v[50:51]
	s_wait_loadcnt 0x0
	v_fmac_f64_e32 v[80:81], v[76:77], v[52:53]
	s_delay_alu instid0(VALU_DEP_1)
	v_add_f64_e64 v[2:3], v[48:49], -v[80:81]
	scratch_store_b64 off, v[2:3], off offset:24
	s_wait_xcnt 0x0
	v_cmpx_lt_u32_e32 2, v0
	s_cbranch_execz .LBB21_137
; %bb.136:
	scratch_load_b64 v[2:3], off, off offset:16
	v_mov_b64_e32 v[48:49], 0
	scratch_store_b64 off, v[48:49], off offset:16
	s_wait_loadcnt 0x0
	ds_store_b64 v1, v[2:3]
.LBB21_137:
	s_wait_xcnt 0x0
	s_or_b32 exec_lo, exec_lo, s0
	s_wait_storecnt_dscnt 0x0
	s_barrier_signal -1
	s_barrier_wait -1
	s_clause 0x5
	scratch_load_b128 v[48:51], off, off offset:16
	scratch_load_b128 v[52:55], off, off offset:32
	scratch_load_b128 v[56:59], off, off offset:48
	scratch_load_b128 v[60:63], off, off offset:64
	scratch_load_b128 v[64:67], off, off offset:80
	scratch_load_b128 v[68:71], off, off offset:96
	v_mov_b32_e32 v2, 0
	ds_load_2addr_b64 v[72:75], v2 offset0:25 offset1:26
	ds_load_2addr_b64 v[76:79], v2 offset0:27 offset1:28
	s_mov_b32 s0, exec_lo
	s_wait_loadcnt_dscnt 0x501
	v_fma_f64 v[80:81], v[50:51], v[72:73], 0
	s_wait_loadcnt 0x4
	s_delay_alu instid0(VALU_DEP_1) | instskip(SKIP_4) | instid1(VALU_DEP_1)
	v_fmac_f64_e32 v[80:81], v[52:53], v[74:75]
	scratch_load_b128 v[50:53], off, off offset:112
	s_wait_dscnt 0x0
	v_fmac_f64_e32 v[80:81], v[54:55], v[76:77]
	s_wait_loadcnt 0x4
	v_fmac_f64_e32 v[80:81], v[56:57], v[78:79]
	scratch_load_b128 v[54:57], off, off offset:128
	ds_load_2addr_b64 v[72:75], v2 offset0:29 offset1:30
	ds_load_2addr_b64 v[76:79], v2 offset0:31 offset1:32
	s_wait_dscnt 0x1
	v_fmac_f64_e32 v[80:81], v[58:59], v[72:73]
	s_wait_loadcnt 0x4
	s_delay_alu instid0(VALU_DEP_1) | instskip(SKIP_4) | instid1(VALU_DEP_1)
	v_fmac_f64_e32 v[80:81], v[60:61], v[74:75]
	scratch_load_b128 v[58:61], off, off offset:144
	s_wait_dscnt 0x0
	v_fmac_f64_e32 v[80:81], v[62:63], v[76:77]
	s_wait_loadcnt 0x4
	v_fmac_f64_e32 v[80:81], v[64:65], v[78:79]
	scratch_load_b128 v[62:65], off, off offset:160
	ds_load_2addr_b64 v[72:75], v2 offset0:33 offset1:34
	ds_load_2addr_b64 v[76:79], v2 offset0:35 offset1:36
	s_wait_dscnt 0x1
	v_fmac_f64_e32 v[80:81], v[66:67], v[72:73]
	s_wait_loadcnt 0x4
	s_delay_alu instid0(VALU_DEP_1) | instskip(SKIP_1) | instid1(VALU_DEP_1)
	v_fmac_f64_e32 v[80:81], v[68:69], v[74:75]
	s_wait_dscnt 0x0
	v_fmac_f64_e32 v[80:81], v[70:71], v[76:77]
	ds_load_2addr_b64 v[66:69], v2 offset0:37 offset1:38
	ds_load_2addr_b64 v[70:73], v2 offset0:39 offset1:40
	s_wait_loadcnt 0x3
	v_fmac_f64_e32 v[80:81], v[50:51], v[78:79]
	s_wait_dscnt 0x1
	s_delay_alu instid0(VALU_DEP_1) | instskip(SKIP_1) | instid1(VALU_DEP_1)
	v_fmac_f64_e32 v[80:81], v[52:53], v[66:67]
	s_wait_loadcnt 0x2
	v_fmac_f64_e32 v[80:81], v[54:55], v[68:69]
	ds_load_2addr_b64 v[50:53], v2 offset0:41 offset1:42
	ds_load_b64 v[54:55], v2 offset:344
	s_wait_dscnt 0x2
	v_fmac_f64_e32 v[80:81], v[56:57], v[70:71]
	s_wait_loadcnt 0x1
	s_delay_alu instid0(VALU_DEP_1) | instskip(SKIP_1) | instid1(VALU_DEP_1)
	v_fmac_f64_e32 v[80:81], v[58:59], v[72:73]
	s_wait_dscnt 0x1
	v_fmac_f64_e32 v[80:81], v[60:61], v[50:51]
	s_wait_loadcnt 0x0
	s_delay_alu instid0(VALU_DEP_1) | instskip(SKIP_1) | instid1(VALU_DEP_1)
	v_fmac_f64_e32 v[80:81], v[62:63], v[52:53]
	s_wait_dscnt 0x0
	v_fmac_f64_e32 v[80:81], v[64:65], v[54:55]
	s_delay_alu instid0(VALU_DEP_1)
	v_add_f64_e64 v[48:49], v[48:49], -v[80:81]
	scratch_store_b64 off, v[48:49], off offset:16
	s_wait_xcnt 0x0
	v_cmpx_lt_u32_e32 1, v0
	s_cbranch_execz .LBB21_139
; %bb.138:
	scratch_load_b64 v[48:49], off, off offset:8
	v_mov_b64_e32 v[50:51], 0
	scratch_store_b64 off, v[50:51], off offset:8
	s_wait_loadcnt 0x0
	ds_store_b64 v1, v[48:49]
.LBB21_139:
	s_wait_xcnt 0x0
	s_or_b32 exec_lo, exec_lo, s0
	s_wait_storecnt_dscnt 0x0
	s_barrier_signal -1
	s_barrier_wait -1
	s_clause 0x4
	scratch_load_b128 v[48:51], off, off offset:8
	scratch_load_b128 v[52:55], off, off offset:24
	;; [unrolled: 1-line block ×5, first 2 shown]
	ds_load_b128 v[68:71], v2 offset:192
	ds_load_b128 v[72:75], v2 offset:208
	scratch_load_b128 v[76:79], off, off offset:88
	v_dual_ashrrev_i32 v9, 31, v8 :: v_dual_ashrrev_i32 v15, 31, v14
	v_dual_ashrrev_i32 v13, 31, v12 :: v_dual_ashrrev_i32 v19, 31, v18
	;; [unrolled: 1-line block ×9, first 2 shown]
	v_ashrrev_i32_e32 v45, 31, v44
	s_mov_b32 s0, exec_lo
	v_ashrrev_i32_e32 v11, 31, v10
	s_wait_loadcnt_dscnt 0x501
	v_fma_f64 v[80:81], v[50:51], v[68:69], 0
	s_wait_loadcnt 0x4
	s_delay_alu instid0(VALU_DEP_1) | instskip(SKIP_4) | instid1(VALU_DEP_1)
	v_fmac_f64_e32 v[80:81], v[52:53], v[70:71]
	scratch_load_b128 v[50:53], off, off offset:104
	s_wait_dscnt 0x0
	v_fmac_f64_e32 v[80:81], v[54:55], v[72:73]
	s_wait_loadcnt 0x4
	v_fmac_f64_e32 v[80:81], v[56:57], v[74:75]
	ds_load_b128 v[54:57], v2 offset:224
	ds_load_b128 v[68:71], v2 offset:240
	scratch_load_b128 v[72:75], off, off offset:120
	s_wait_dscnt 0x1
	v_fmac_f64_e32 v[80:81], v[58:59], v[54:55]
	s_wait_loadcnt 0x4
	s_delay_alu instid0(VALU_DEP_1) | instskip(SKIP_4) | instid1(VALU_DEP_1)
	v_fmac_f64_e32 v[80:81], v[60:61], v[56:57]
	scratch_load_b128 v[54:57], off, off offset:136
	s_wait_dscnt 0x0
	v_fmac_f64_e32 v[80:81], v[62:63], v[68:69]
	s_wait_loadcnt 0x4
	v_fmac_f64_e32 v[80:81], v[64:65], v[70:71]
	ds_load_b128 v[58:61], v2 offset:256
	ds_load_b128 v[62:65], v2 offset:272
	scratch_load_b64 v[70:71], off, off offset:168
	s_wait_dscnt 0x1
	v_fmac_f64_e32 v[80:81], v[66:67], v[58:59]
	scratch_load_b128 v[66:69], off, off offset:152
	s_wait_loadcnt 0x5
	v_fmac_f64_e32 v[80:81], v[76:77], v[60:61]
	s_wait_dscnt 0x0
	s_delay_alu instid0(VALU_DEP_1) | instskip(SKIP_1) | instid1(VALU_DEP_1)
	v_fmac_f64_e32 v[80:81], v[78:79], v[62:63]
	s_wait_loadcnt 0x4
	v_fmac_f64_e32 v[80:81], v[50:51], v[64:65]
	ds_load_b128 v[58:61], v2 offset:288
	ds_load_b128 v[62:65], v2 offset:304
	s_wait_dscnt 0x1
	v_fmac_f64_e32 v[80:81], v[52:53], v[58:59]
	s_wait_loadcnt 0x3
	s_delay_alu instid0(VALU_DEP_1)
	v_fmac_f64_e32 v[80:81], v[72:73], v[60:61]
	ds_load_b128 v[50:53], v2 offset:320
	ds_load_b128 v[58:61], v2 offset:336
	s_wait_dscnt 0x2
	v_fmac_f64_e32 v[80:81], v[74:75], v[62:63]
	s_wait_loadcnt 0x2
	s_delay_alu instid0(VALU_DEP_1) | instskip(SKIP_1) | instid1(VALU_DEP_1)
	v_fmac_f64_e32 v[80:81], v[54:55], v[64:65]
	s_wait_dscnt 0x1
	v_fmac_f64_e32 v[80:81], v[56:57], v[50:51]
	s_wait_loadcnt 0x0
	s_delay_alu instid0(VALU_DEP_1) | instskip(SKIP_1) | instid1(VALU_DEP_1)
	v_fmac_f64_e32 v[80:81], v[66:67], v[52:53]
	s_wait_dscnt 0x0
	v_fmac_f64_e32 v[80:81], v[68:69], v[58:59]
	s_delay_alu instid0(VALU_DEP_1) | instskip(NEXT) | instid1(VALU_DEP_1)
	v_fmac_f64_e32 v[80:81], v[70:71], v[60:61]
	v_add_f64_e64 v[2:3], v[48:49], -v[80:81]
	scratch_store_b64 off, v[2:3], off offset:8
	s_wait_xcnt 0x0
	v_cmpx_ne_u32_e32 0, v0
	s_cbranch_execz .LBB21_141
; %bb.140:
	scratch_load_b64 v[2:3], off, off
	v_mov_b64_e32 v[48:49], 0
	scratch_store_b64 off, v[48:49], off
	s_wait_loadcnt 0x0
	ds_store_b64 v1, v[2:3]
.LBB21_141:
	s_wait_xcnt 0x0
	s_or_b32 exec_lo, exec_lo, s0
	s_wait_storecnt_dscnt 0x0
	s_barrier_signal -1
	s_barrier_wait -1
	s_clause 0x5
	scratch_load_b128 v[52:55], off, off
	scratch_load_b128 v[0:3], off, off offset:16
	scratch_load_b128 v[56:59], off, off offset:32
	;; [unrolled: 1-line block ×5, first 2 shown]
	v_mov_b32_e32 v50, 0
	s_clause 0x1
	scratch_load_b128 v[76:79], off, off offset:96
	scratch_load_b128 v[80:83], off, off offset:112
	s_and_b32 vcc_lo, exec_lo, s18
	ds_load_2addr_b64 v[72:75], v50 offset0:23 offset1:24
	s_wait_loadcnt_dscnt 0x700
	v_fma_f64 v[48:49], v[54:55], v[72:73], 0
	s_wait_loadcnt 0x6
	s_delay_alu instid0(VALU_DEP_1)
	v_fmac_f64_e32 v[48:49], v[0:1], v[74:75]
	ds_load_2addr_b64 v[72:75], v50 offset0:25 offset1:26
	s_wait_dscnt 0x0
	v_fmac_f64_e32 v[48:49], v[2:3], v[72:73]
	ds_load_2addr_b64 v[0:3], v50 offset0:27 offset1:28
	s_wait_loadcnt 0x5
	v_fmac_f64_e32 v[48:49], v[56:57], v[74:75]
	scratch_load_b128 v[54:57], off, off offset:128
	s_wait_dscnt 0x0
	v_fmac_f64_e32 v[48:49], v[58:59], v[0:1]
	s_wait_loadcnt 0x5
	s_delay_alu instid0(VALU_DEP_1)
	v_fmac_f64_e32 v[48:49], v[60:61], v[2:3]
	ds_load_2addr_b64 v[0:3], v50 offset0:29 offset1:30
	scratch_load_b128 v[58:61], off, off offset:144
	s_wait_dscnt 0x0
	v_fmac_f64_e32 v[48:49], v[62:63], v[0:1]
	s_wait_loadcnt 0x5
	s_delay_alu instid0(VALU_DEP_1)
	v_fmac_f64_e32 v[48:49], v[64:65], v[2:3]
	ds_load_2addr_b64 v[62:65], v50 offset0:31 offset1:32
	scratch_load_b128 v[0:3], off, off offset:160
	s_wait_dscnt 0x0
	v_fmac_f64_e32 v[48:49], v[66:67], v[62:63]
	s_wait_loadcnt 0x5
	s_delay_alu instid0(VALU_DEP_1) | instskip(SKIP_4) | instid1(VALU_DEP_1)
	v_fmac_f64_e32 v[48:49], v[68:69], v[64:65]
	ds_load_2addr_b64 v[62:65], v50 offset0:33 offset1:34
	s_wait_dscnt 0x0
	v_fmac_f64_e32 v[48:49], v[70:71], v[62:63]
	s_wait_loadcnt 0x4
	v_fmac_f64_e32 v[48:49], v[76:77], v[64:65]
	ds_load_2addr_b64 v[62:65], v50 offset0:35 offset1:36
	s_wait_dscnt 0x0
	v_fmac_f64_e32 v[48:49], v[78:79], v[62:63]
	s_wait_loadcnt 0x3
	s_delay_alu instid0(VALU_DEP_1) | instskip(SKIP_4) | instid1(VALU_DEP_1)
	v_fmac_f64_e32 v[48:49], v[80:81], v[64:65]
	ds_load_2addr_b64 v[62:65], v50 offset0:37 offset1:38
	s_wait_dscnt 0x0
	v_fmac_f64_e32 v[48:49], v[82:83], v[62:63]
	s_wait_loadcnt 0x2
	v_fmac_f64_e32 v[48:49], v[54:55], v[64:65]
	ds_load_2addr_b64 v[62:65], v50 offset0:39 offset1:40
	s_wait_dscnt 0x0
	v_fmac_f64_e32 v[48:49], v[56:57], v[62:63]
	ds_load_2addr_b64 v[54:57], v50 offset0:41 offset1:42
	s_wait_loadcnt 0x1
	v_fmac_f64_e32 v[48:49], v[58:59], v[64:65]
	s_wait_dscnt 0x0
	s_delay_alu instid0(VALU_DEP_1) | instskip(SKIP_4) | instid1(VALU_DEP_1)
	v_fmac_f64_e32 v[48:49], v[60:61], v[54:55]
	ds_load_b64 v[54:55], v50 offset:344
	s_wait_loadcnt 0x0
	v_fmac_f64_e32 v[48:49], v[0:1], v[56:57]
	s_wait_dscnt 0x0
	v_fmac_f64_e32 v[48:49], v[2:3], v[54:55]
	s_delay_alu instid0(VALU_DEP_1)
	v_add_f64_e64 v[48:49], v[52:53], -v[48:49]
	scratch_store_b64 off, v[48:49], off
	s_cbranch_vccz .LBB21_184
; %bb.142:
	global_load_b32 v2, v50, s[2:3] offset:80
	s_wait_loadcnt 0x0
	v_cmp_ne_u32_e32 vcc_lo, 21, v2
	s_cbranch_vccz .LBB21_144
; %bb.143:
	v_lshlrev_b32_e32 v2, 3, v2
	s_wait_xcnt 0x1
	s_delay_alu instid0(VALU_DEP_1)
	v_mov_b32_e32 v48, v2
	scratch_load_b64 v[2:3], v48, off offset:-8
	s_wait_loadcnt 0x0
	scratch_store_b64 off, v[2:3], off offset:160
	scratch_store_b64 v48, v[0:1], off offset:-8
.LBB21_144:
	s_wait_xcnt 0x0
	v_mov_b32_e32 v0, 0
	global_load_b32 v1, v0, s[2:3] offset:76
	s_wait_loadcnt 0x0
	v_cmp_eq_u32_e32 vcc_lo, 20, v1
	s_cbranch_vccnz .LBB21_146
; %bb.145:
	v_lshlrev_b32_e32 v1, 3, v1
	scratch_load_b64 v[2:3], v1, off offset:-8
	scratch_load_b64 v[48:49], off, off offset:152
	s_wait_loadcnt 0x1
	scratch_store_b64 off, v[2:3], off offset:152
	s_wait_loadcnt 0x0
	scratch_store_b64 v1, v[48:49], off offset:-8
.LBB21_146:
	global_load_b32 v0, v0, s[2:3] offset:72
	s_wait_loadcnt 0x0
	v_cmp_eq_u32_e32 vcc_lo, 19, v0
	s_cbranch_vccnz .LBB21_148
; %bb.147:
	s_wait_xcnt 0x0
	v_lshlrev_b32_e32 v0, 3, v0
	s_delay_alu instid0(VALU_DEP_1)
	v_mov_b32_e32 v48, v0
	scratch_load_b64 v[0:1], v48, off offset:-8
	scratch_load_b64 v[2:3], off, off offset:144
	s_wait_loadcnt 0x1
	scratch_store_b64 off, v[0:1], off offset:144
	s_wait_loadcnt 0x0
	scratch_store_b64 v48, v[2:3], off offset:-8
.LBB21_148:
	s_wait_xcnt 0x0
	v_mov_b32_e32 v0, 0
	global_load_b32 v1, v0, s[2:3] offset:68
	s_wait_loadcnt 0x0
	v_cmp_eq_u32_e32 vcc_lo, 18, v1
	s_cbranch_vccnz .LBB21_150
; %bb.149:
	v_lshlrev_b32_e32 v1, 3, v1
	scratch_load_b64 v[2:3], v1, off offset:-8
	scratch_load_b64 v[48:49], off, off offset:136
	s_wait_loadcnt 0x1
	scratch_store_b64 off, v[2:3], off offset:136
	s_wait_loadcnt 0x0
	scratch_store_b64 v1, v[48:49], off offset:-8
.LBB21_150:
	global_load_b32 v0, v0, s[2:3] offset:64
	s_wait_loadcnt 0x0
	v_cmp_eq_u32_e32 vcc_lo, 17, v0
	s_cbranch_vccnz .LBB21_152
; %bb.151:
	s_wait_xcnt 0x0
	v_lshlrev_b32_e32 v0, 3, v0
	s_delay_alu instid0(VALU_DEP_1)
	v_mov_b32_e32 v48, v0
	scratch_load_b64 v[0:1], v48, off offset:-8
	scratch_load_b64 v[2:3], off, off offset:128
	s_wait_loadcnt 0x1
	scratch_store_b64 off, v[0:1], off offset:128
	s_wait_loadcnt 0x0
	scratch_store_b64 v48, v[2:3], off offset:-8
.LBB21_152:
	;; [unrolled: 31-line block ×9, first 2 shown]
	s_wait_xcnt 0x0
	v_mov_b32_e32 v0, 0
	global_load_b32 v1, v0, s[2:3] offset:4
	s_wait_loadcnt 0x0
	v_cmp_eq_u32_e32 vcc_lo, 2, v1
	s_cbranch_vccnz .LBB21_182
; %bb.181:
	v_lshlrev_b32_e32 v1, 3, v1
	scratch_load_b64 v[2:3], v1, off offset:-8
	scratch_load_b64 v[48:49], off, off offset:8
	s_wait_loadcnt 0x1
	scratch_store_b64 off, v[2:3], off offset:8
	s_wait_loadcnt 0x0
	scratch_store_b64 v1, v[48:49], off offset:-8
.LBB21_182:
	global_load_b32 v0, v0, s[2:3]
	scratch_load_b64 v[48:49], off, off
	s_wait_loadcnt 0x1
	v_cmp_eq_u32_e32 vcc_lo, 1, v0
	s_cbranch_vccnz .LBB21_184
; %bb.183:
	s_wait_xcnt 0x1
	v_lshlrev_b32_e32 v0, 3, v0
	s_delay_alu instid0(VALU_DEP_1)
	v_mov_b32_e32 v2, v0
	scratch_load_b64 v[0:1], v2, off offset:-8
	s_wait_loadcnt 0x0
	scratch_store_b64 off, v[0:1], off
	scratch_store_b64 v2, v[48:49], off offset:-8
	scratch_load_b64 v[48:49], off, off
.LBB21_184:
	v_lshl_add_u64 v[50:51], v[8:9], 3, s[4:5]
	v_lshl_add_u64 v[2:3], v[12:13], 3, s[4:5]
	;; [unrolled: 1-line block ×13, first 2 shown]
	s_clause 0x6
	scratch_load_b128 v[42:45], off, off offset:8
	scratch_load_b128 v[52:55], off, off offset:24
	;; [unrolled: 1-line block ×7, first 2 shown]
	s_wait_loadcnt 0x7
	global_store_b64 v[4:5], v[48:49], off
	s_wait_xcnt 0x9
	v_lshl_add_u64 v[0:1], v[10:11], 3, s[4:5]
	v_lshl_add_u64 v[10:11], v[16:17], 3, s[4:5]
	;; [unrolled: 1-line block ×7, first 2 shown]
	scratch_load_b128 v[46:49], off, off offset:120
	s_wait_loadcnt 0x7
	s_clause 0x1
	global_store_b64 v[6:7], v[42:43], off
	global_store_b64 v[50:51], v[44:45], off
	s_clause 0x2
	scratch_load_b128 v[4:7], off, off offset:136
	scratch_load_b128 v[42:45], off, off offset:152
	scratch_load_b64 v[50:51], off, off offset:168
	s_wait_loadcnt 0x9
	s_clause 0x1
	global_store_b64 v[0:1], v[52:53], off
	global_store_b64 v[2:3], v[54:55], off
	s_wait_loadcnt 0x8
	s_clause 0x1
	global_store_b64 v[8:9], v[56:57], off
	global_store_b64 v[10:11], v[58:59], off
	;; [unrolled: 4-line block ×9, first 2 shown]
	s_wait_loadcnt 0x0
	global_store_b64 v[40:41], v[50:51], off
	s_sendmsg sendmsg(MSG_DEALLOC_VGPRS)
	s_endpgm
	.section	.rodata,"a",@progbits
	.p2align	6, 0x0
	.amdhsa_kernel _ZN9rocsolver6v33100L18getri_kernel_smallILi22EdPdEEvT1_iilPiilS4_bb
		.amdhsa_group_segment_fixed_size 360
		.amdhsa_private_segment_fixed_size 192
		.amdhsa_kernarg_size 60
		.amdhsa_user_sgpr_count 2
		.amdhsa_user_sgpr_dispatch_ptr 0
		.amdhsa_user_sgpr_queue_ptr 0
		.amdhsa_user_sgpr_kernarg_segment_ptr 1
		.amdhsa_user_sgpr_dispatch_id 0
		.amdhsa_user_sgpr_kernarg_preload_length 0
		.amdhsa_user_sgpr_kernarg_preload_offset 0
		.amdhsa_user_sgpr_private_segment_size 0
		.amdhsa_wavefront_size32 1
		.amdhsa_uses_dynamic_stack 0
		.amdhsa_enable_private_segment 1
		.amdhsa_system_sgpr_workgroup_id_x 1
		.amdhsa_system_sgpr_workgroup_id_y 0
		.amdhsa_system_sgpr_workgroup_id_z 0
		.amdhsa_system_sgpr_workgroup_info 0
		.amdhsa_system_vgpr_workitem_id 0
		.amdhsa_next_free_vgpr 84
		.amdhsa_next_free_sgpr 19
		.amdhsa_named_barrier_count 0
		.amdhsa_reserve_vcc 1
		.amdhsa_float_round_mode_32 0
		.amdhsa_float_round_mode_16_64 0
		.amdhsa_float_denorm_mode_32 3
		.amdhsa_float_denorm_mode_16_64 3
		.amdhsa_fp16_overflow 0
		.amdhsa_memory_ordered 1
		.amdhsa_forward_progress 1
		.amdhsa_inst_pref_size 119
		.amdhsa_round_robin_scheduling 0
		.amdhsa_exception_fp_ieee_invalid_op 0
		.amdhsa_exception_fp_denorm_src 0
		.amdhsa_exception_fp_ieee_div_zero 0
		.amdhsa_exception_fp_ieee_overflow 0
		.amdhsa_exception_fp_ieee_underflow 0
		.amdhsa_exception_fp_ieee_inexact 0
		.amdhsa_exception_int_div_zero 0
	.end_amdhsa_kernel
	.section	.text._ZN9rocsolver6v33100L18getri_kernel_smallILi22EdPdEEvT1_iilPiilS4_bb,"axG",@progbits,_ZN9rocsolver6v33100L18getri_kernel_smallILi22EdPdEEvT1_iilPiilS4_bb,comdat
.Lfunc_end21:
	.size	_ZN9rocsolver6v33100L18getri_kernel_smallILi22EdPdEEvT1_iilPiilS4_bb, .Lfunc_end21-_ZN9rocsolver6v33100L18getri_kernel_smallILi22EdPdEEvT1_iilPiilS4_bb
                                        ; -- End function
	.set _ZN9rocsolver6v33100L18getri_kernel_smallILi22EdPdEEvT1_iilPiilS4_bb.num_vgpr, 84
	.set _ZN9rocsolver6v33100L18getri_kernel_smallILi22EdPdEEvT1_iilPiilS4_bb.num_agpr, 0
	.set _ZN9rocsolver6v33100L18getri_kernel_smallILi22EdPdEEvT1_iilPiilS4_bb.numbered_sgpr, 19
	.set _ZN9rocsolver6v33100L18getri_kernel_smallILi22EdPdEEvT1_iilPiilS4_bb.num_named_barrier, 0
	.set _ZN9rocsolver6v33100L18getri_kernel_smallILi22EdPdEEvT1_iilPiilS4_bb.private_seg_size, 192
	.set _ZN9rocsolver6v33100L18getri_kernel_smallILi22EdPdEEvT1_iilPiilS4_bb.uses_vcc, 1
	.set _ZN9rocsolver6v33100L18getri_kernel_smallILi22EdPdEEvT1_iilPiilS4_bb.uses_flat_scratch, 1
	.set _ZN9rocsolver6v33100L18getri_kernel_smallILi22EdPdEEvT1_iilPiilS4_bb.has_dyn_sized_stack, 0
	.set _ZN9rocsolver6v33100L18getri_kernel_smallILi22EdPdEEvT1_iilPiilS4_bb.has_recursion, 0
	.set _ZN9rocsolver6v33100L18getri_kernel_smallILi22EdPdEEvT1_iilPiilS4_bb.has_indirect_call, 0
	.section	.AMDGPU.csdata,"",@progbits
; Kernel info:
; codeLenInByte = 15172
; TotalNumSgprs: 21
; NumVgprs: 84
; ScratchSize: 192
; MemoryBound: 0
; FloatMode: 240
; IeeeMode: 1
; LDSByteSize: 360 bytes/workgroup (compile time only)
; SGPRBlocks: 0
; VGPRBlocks: 5
; NumSGPRsForWavesPerEU: 21
; NumVGPRsForWavesPerEU: 84
; NamedBarCnt: 0
; Occupancy: 10
; WaveLimiterHint : 1
; COMPUTE_PGM_RSRC2:SCRATCH_EN: 1
; COMPUTE_PGM_RSRC2:USER_SGPR: 2
; COMPUTE_PGM_RSRC2:TRAP_HANDLER: 0
; COMPUTE_PGM_RSRC2:TGID_X_EN: 1
; COMPUTE_PGM_RSRC2:TGID_Y_EN: 0
; COMPUTE_PGM_RSRC2:TGID_Z_EN: 0
; COMPUTE_PGM_RSRC2:TIDIG_COMP_CNT: 0
	.section	.text._ZN9rocsolver6v33100L18getri_kernel_smallILi23EdPdEEvT1_iilPiilS4_bb,"axG",@progbits,_ZN9rocsolver6v33100L18getri_kernel_smallILi23EdPdEEvT1_iilPiilS4_bb,comdat
	.globl	_ZN9rocsolver6v33100L18getri_kernel_smallILi23EdPdEEvT1_iilPiilS4_bb ; -- Begin function _ZN9rocsolver6v33100L18getri_kernel_smallILi23EdPdEEvT1_iilPiilS4_bb
	.p2align	8
	.type	_ZN9rocsolver6v33100L18getri_kernel_smallILi23EdPdEEvT1_iilPiilS4_bb,@function
_ZN9rocsolver6v33100L18getri_kernel_smallILi23EdPdEEvT1_iilPiilS4_bb: ; @_ZN9rocsolver6v33100L18getri_kernel_smallILi23EdPdEEvT1_iilPiilS4_bb
; %bb.0:
	s_mov_b32 s2, exec_lo
	v_cmpx_gt_u32_e32 23, v0
	s_cbranch_execz .LBB22_102
; %bb.1:
	s_clause 0x2
	s_load_b32 s2, s[0:1], 0x38
	s_load_b128 s[12:15], s[0:1], 0x10
	s_load_b128 s[4:7], s[0:1], 0x28
	s_getreg_b32 s9, hwreg(HW_REG_IB_STS2, 6, 4)
	s_wait_kmcnt 0x0
	s_bitcmp1_b32 s2, 8
	s_cselect_b32 s18, -1, 0
	s_bfe_u32 s3, ttmp6, 0x4000c
	s_and_b32 s8, ttmp6, 15
	s_add_co_i32 s3, s3, 1
	s_delay_alu instid0(SALU_CYCLE_1) | instskip(NEXT) | instid1(SALU_CYCLE_1)
	s_mul_i32 s3, ttmp9, s3
	s_add_co_i32 s8, s8, s3
	s_cmp_eq_u32 s9, 0
	s_cselect_b32 s16, ttmp9, s8
	s_bfe_u32 s2, s2, 0x10008
	s_ashr_i32 s17, s16, 31
	s_cmp_eq_u32 s2, 0
                                        ; implicit-def: $sgpr2_sgpr3
	s_cbranch_scc1 .LBB22_3
; %bb.2:
	s_load_b32 s2, s[0:1], 0x20
	s_mul_u64 s[4:5], s[4:5], s[16:17]
	s_delay_alu instid0(SALU_CYCLE_1) | instskip(NEXT) | instid1(SALU_CYCLE_1)
	s_lshl_b64 s[4:5], s[4:5], 2
	s_add_nc_u64 s[4:5], s[14:15], s[4:5]
	s_wait_kmcnt 0x0
	s_ashr_i32 s3, s2, 31
	s_delay_alu instid0(SALU_CYCLE_1) | instskip(NEXT) | instid1(SALU_CYCLE_1)
	s_lshl_b64 s[2:3], s[2:3], 2
	s_add_nc_u64 s[2:3], s[4:5], s[2:3]
.LBB22_3:
	s_clause 0x1
	s_load_b128 s[8:11], s[0:1], 0x0
	s_load_b32 s14, s[0:1], 0x38
	s_wait_xcnt 0x0
	s_mul_u64 s[0:1], s[12:13], s[16:17]
	v_dual_mov_b32 v3, 0 :: v_dual_lshlrev_b32 v2, 3, v0
	s_lshl_b64 s[0:1], s[0:1], 3
	s_wait_kmcnt 0x0
	v_add3_u32 v8, s11, s11, v0
	s_ashr_i32 s5, s10, 31
	s_mov_b32 s4, s10
	s_add_nc_u64 s[0:1], s[8:9], s[0:1]
	s_lshl_b64 s[4:5], s[4:5], 3
	v_add_nc_u32_e32 v10, s11, v8
	s_add_nc_u64 s[4:5], s[0:1], s[4:5]
	s_ashr_i32 s1, s11, 31
	v_add_nc_u64_e32 v[4:5], s[4:5], v[2:3]
	s_mov_b32 s0, s11
	v_add_nc_u32_e32 v12, s11, v10
	s_bitcmp0_b32 s14, 0
	s_delay_alu instid0(VALU_DEP_2) | instskip(NEXT) | instid1(VALU_DEP_2)
	v_lshl_add_u64 v[6:7], s[0:1], 3, v[4:5]
	v_add_nc_u32_e32 v14, s11, v12
	s_clause 0x1
	global_load_b64 v[48:49], v0, s[4:5] scale_offset
	global_load_b64 v[50:51], v[6:7], off
	s_mov_b32 s1, -1
	v_add_nc_u32_e32 v16, s11, v14
	s_delay_alu instid0(VALU_DEP_1) | instskip(NEXT) | instid1(VALU_DEP_1)
	v_add_nc_u32_e32 v18, s11, v16
	v_add_nc_u32_e32 v20, s11, v18
	s_clause 0x3
	global_load_b64 v[52:53], v8, s[4:5] scale_offset
	global_load_b64 v[54:55], v10, s[4:5] scale_offset
	;; [unrolled: 1-line block ×4, first 2 shown]
	v_add_nc_u32_e32 v22, s11, v20
	s_delay_alu instid0(VALU_DEP_1) | instskip(NEXT) | instid1(VALU_DEP_1)
	v_add_nc_u32_e32 v24, s11, v22
	v_add_nc_u32_e32 v26, s11, v24
	s_delay_alu instid0(VALU_DEP_1)
	v_add_nc_u32_e32 v28, s11, v26
	s_clause 0x3
	global_load_b64 v[60:61], v16, s[4:5] scale_offset
	global_load_b64 v[62:63], v18, s[4:5] scale_offset
	;; [unrolled: 1-line block ×4, first 2 shown]
	v_add_nc_u32_e32 v30, s11, v28
	s_delay_alu instid0(VALU_DEP_1)
	v_add_nc_u32_e32 v32, s11, v30
	s_clause 0x3
	global_load_b64 v[68:69], v24, s[4:5] scale_offset
	global_load_b64 v[70:71], v26, s[4:5] scale_offset
	;; [unrolled: 1-line block ×4, first 2 shown]
	s_wait_loadcnt 0xc
	scratch_store_b128 off, v[48:51], off
	s_wait_loadcnt 0xa
	scratch_store_b128 off, v[52:55], off offset:16
	v_add_nc_u32_e32 v34, s11, v32
	s_delay_alu instid0(VALU_DEP_1) | instskip(NEXT) | instid1(VALU_DEP_1)
	v_add_nc_u32_e32 v36, s11, v34
	v_add_nc_u32_e32 v38, s11, v36
	s_delay_alu instid0(VALU_DEP_1) | instskip(NEXT) | instid1(VALU_DEP_1)
	v_add_nc_u32_e32 v40, s11, v38
	v_add_nc_u32_e32 v42, s11, v40
	s_delay_alu instid0(VALU_DEP_1)
	v_add_nc_u32_e32 v44, s11, v42
	s_clause 0x3
	global_load_b64 v[50:51], v32, s[4:5] scale_offset
	global_load_b64 v[52:53], v34, s[4:5] scale_offset
	;; [unrolled: 1-line block ×4, first 2 shown]
	s_wait_loadcnt 0xc
	scratch_store_b128 off, v[56:59], off offset:32
	s_wait_loadcnt 0xa
	scratch_store_b128 off, v[60:63], off offset:48
	s_clause 0x1
	global_load_b64 v[54:55], v40, s[4:5] scale_offset
	global_load_b64 v[56:57], v42, s[4:5] scale_offset
	v_add_nc_u32_e32 v46, s11, v44
	s_wait_loadcnt 0xa
	scratch_store_b128 off, v[64:67], off offset:64
	v_add_nc_u32_e32 v48, s11, v46
	s_clause 0x2
	global_load_b64 v[58:59], v44, s[4:5] scale_offset
	global_load_b64 v[60:61], v46, s[4:5] scale_offset
	;; [unrolled: 1-line block ×3, first 2 shown]
	s_wait_loadcnt 0xb
	scratch_store_b128 off, v[68:71], off offset:80
	s_wait_loadcnt 0x9
	scratch_store_b128 off, v[72:75], off offset:96
	;; [unrolled: 2-line block ×6, first 2 shown]
	s_wait_loadcnt 0x0
	scratch_store_b64 off, v[62:63], off offset:176
	s_cbranch_scc1 .LBB22_100
; %bb.4:
	v_cmp_eq_u32_e64 s0, 0, v0
	s_wait_xcnt 0x0
	s_and_saveexec_b32 s1, s0
; %bb.5:
	v_mov_b32_e32 v1, 0
	ds_store_b32 v1, v1 offset:184
; %bb.6:
	s_or_b32 exec_lo, exec_lo, s1
	s_wait_storecnt_dscnt 0x0
	s_barrier_signal -1
	s_barrier_wait -1
	scratch_load_b64 v[50:51], v0, off scale_offset
	s_mov_b32 s8, exec_lo
	s_wait_loadcnt 0x0
	v_cmpx_eq_f64_e32 0, v[50:51]
	s_cbranch_execz .LBB22_10
; %bb.7:
	v_mov_b32_e32 v1, 0
	s_mov_b32 s9, 0
	ds_load_b32 v3, v1 offset:184
	s_wait_dscnt 0x0
	v_readfirstlane_b32 s1, v3
	v_add_nc_u32_e32 v3, 1, v0
	s_cmp_eq_u32 s1, 0
	s_delay_alu instid0(VALU_DEP_1) | instskip(SKIP_1) | instid1(SALU_CYCLE_1)
	v_cmp_gt_i32_e32 vcc_lo, s1, v3
	s_cselect_b32 s10, -1, 0
	s_or_b32 s10, s10, vcc_lo
	s_delay_alu instid0(SALU_CYCLE_1)
	s_and_b32 exec_lo, exec_lo, s10
	s_cbranch_execz .LBB22_10
; %bb.8:
	v_mov_b32_e32 v9, s1
.LBB22_9:                               ; =>This Inner Loop Header: Depth=1
	ds_cmpstore_rtn_b32 v9, v1, v3, v9 offset:184
	s_wait_dscnt 0x0
	v_cmp_ne_u32_e32 vcc_lo, 0, v9
	v_cmp_le_i32_e64 s1, v9, v3
	s_and_b32 s1, vcc_lo, s1
	s_delay_alu instid0(SALU_CYCLE_1) | instskip(NEXT) | instid1(SALU_CYCLE_1)
	s_and_b32 s1, exec_lo, s1
	s_or_b32 s9, s1, s9
	s_delay_alu instid0(SALU_CYCLE_1)
	s_and_not1_b32 exec_lo, exec_lo, s9
	s_cbranch_execnz .LBB22_9
.LBB22_10:
	s_or_b32 exec_lo, exec_lo, s8
	v_mov_b32_e32 v1, 0
	s_barrier_signal -1
	s_barrier_wait -1
	ds_load_b32 v3, v1 offset:184
	s_and_saveexec_b32 s1, s0
	s_cbranch_execz .LBB22_12
; %bb.11:
	s_lshl_b64 s[8:9], s[16:17], 2
	s_delay_alu instid0(SALU_CYCLE_1)
	s_add_nc_u64 s[8:9], s[6:7], s[8:9]
	s_wait_dscnt 0x0
	global_store_b32 v1, v3, s[8:9]
.LBB22_12:
	s_wait_xcnt 0x0
	s_or_b32 exec_lo, exec_lo, s1
	s_wait_dscnt 0x0
	v_cmp_ne_u32_e32 vcc_lo, 0, v3
	s_mov_b32 s1, 0
	s_cbranch_vccnz .LBB22_100
; %bb.13:
	v_lshl_add_u32 v3, v0, 3, 0
	v_add_nc_u32_e32 v1, 0xc0, v2
	scratch_load_b64 v[50:51], v3, off
	s_wait_loadcnt 0x0
	v_div_scale_f64 v[52:53], null, v[50:51], v[50:51], 1.0
	v_div_scale_f64 v[58:59], vcc_lo, 1.0, v[50:51], 1.0
	s_delay_alu instid0(VALU_DEP_2) | instskip(SKIP_1) | instid1(TRANS32_DEP_1)
	v_rcp_f64_e32 v[54:55], v[52:53]
	v_nop
	v_fma_f64 v[56:57], -v[52:53], v[54:55], 1.0
	s_delay_alu instid0(VALU_DEP_1) | instskip(NEXT) | instid1(VALU_DEP_1)
	v_fmac_f64_e32 v[54:55], v[54:55], v[56:57]
	v_fma_f64 v[56:57], -v[52:53], v[54:55], 1.0
	s_delay_alu instid0(VALU_DEP_1) | instskip(NEXT) | instid1(VALU_DEP_1)
	v_fmac_f64_e32 v[54:55], v[54:55], v[56:57]
	v_mul_f64_e32 v[56:57], v[58:59], v[54:55]
	s_delay_alu instid0(VALU_DEP_1) | instskip(NEXT) | instid1(VALU_DEP_1)
	v_fma_f64 v[52:53], -v[52:53], v[56:57], v[58:59]
	v_div_fmas_f64 v[52:53], v[52:53], v[54:55], v[56:57]
	s_delay_alu instid0(VALU_DEP_1)
	v_div_fixup_f64 v[50:51], v[52:53], v[50:51], 1.0
	scratch_store_b64 v3, v[50:51], off
	scratch_load_b64 v[52:53], off, off offset:8
	s_wait_xcnt 0x1
	v_xor_b32_e32 v51, 0x80000000, v51
	s_wait_loadcnt 0x0
	ds_store_2addr_b64 v2, v[50:51], v[52:53] offset1:24
	s_wait_storecnt_dscnt 0x0
	s_barrier_signal -1
	s_barrier_wait -1
	s_wait_xcnt 0x0
	s_and_saveexec_b32 s1, s0
	s_cbranch_execz .LBB22_15
; %bb.14:
	scratch_load_b64 v[50:51], v3, off
	ds_load_b64 v[52:53], v1
	s_wait_loadcnt_dscnt 0x0
	v_fma_f64 v[50:51], v[50:51], v[52:53], 0
	v_mov_b32_e32 v9, 0
	ds_load_b64 v[54:55], v9 offset:8
	s_wait_dscnt 0x0
	v_mul_f64_e32 v[50:51], v[50:51], v[54:55]
	scratch_store_b64 off, v[50:51], off offset:8
.LBB22_15:
	s_wait_xcnt 0x0
	s_or_b32 exec_lo, exec_lo, s1
	s_wait_storecnt 0x0
	s_barrier_signal -1
	s_barrier_wait -1
	scratch_load_b64 v[50:51], off, off offset:16
	s_mov_b32 s1, exec_lo
	s_wait_loadcnt 0x0
	ds_store_b64 v1, v[50:51]
	s_wait_dscnt 0x0
	s_barrier_signal -1
	s_barrier_wait -1
	v_cmpx_gt_u32_e32 2, v0
	s_cbranch_execz .LBB22_19
; %bb.16:
	scratch_load_b64 v[50:51], v3, off
	ds_load_b64 v[52:53], v1
	s_wait_loadcnt_dscnt 0x0
	v_fma_f64 v[50:51], v[50:51], v[52:53], 0
	s_and_saveexec_b32 s8, s0
	s_cbranch_execz .LBB22_18
; %bb.17:
	scratch_load_b64 v[52:53], off, off offset:8
	v_mov_b32_e32 v3, 0
	ds_load_b64 v[54:55], v3 offset:200
	s_wait_loadcnt_dscnt 0x0
	v_fmac_f64_e32 v[50:51], v[52:53], v[54:55]
.LBB22_18:
	s_or_b32 exec_lo, exec_lo, s8
	v_mov_b32_e32 v3, 0
	ds_load_b64 v[52:53], v3 offset:16
	s_wait_dscnt 0x0
	v_mul_f64_e32 v[50:51], v[50:51], v[52:53]
	scratch_store_b64 off, v[50:51], off offset:16
.LBB22_19:
	s_wait_xcnt 0x0
	s_or_b32 exec_lo, exec_lo, s1
	s_wait_storecnt 0x0
	s_barrier_signal -1
	s_barrier_wait -1
	scratch_load_b64 v[50:51], off, off offset:24
	v_add_nc_u32_e32 v3, -1, v0
	s_mov_b32 s0, exec_lo
	s_wait_loadcnt 0x0
	ds_store_b64 v1, v[50:51]
	s_wait_dscnt 0x0
	s_barrier_signal -1
	s_barrier_wait -1
	v_cmpx_gt_u32_e32 3, v0
	s_cbranch_execz .LBB22_23
; %bb.20:
	v_mov_b64_e32 v[50:51], 0
	v_dual_add_nc_u32 v9, -1, v0 :: v_dual_mov_b32 v13, v2
	v_add_nc_u32_e32 v11, 0xc0, v2
	s_mov_b32 s1, 0
.LBB22_21:                              ; =>This Inner Loop Header: Depth=1
	scratch_load_b64 v[52:53], v13, off
	ds_load_b64 v[54:55], v11
	v_dual_add_nc_u32 v9, 1, v9 :: v_dual_add_nc_u32 v11, 8, v11
	s_wait_xcnt 0x0
	v_add_nc_u32_e32 v13, 8, v13
	s_delay_alu instid0(VALU_DEP_2)
	v_cmp_lt_u32_e32 vcc_lo, 1, v9
	s_or_b32 s1, vcc_lo, s1
	s_wait_loadcnt_dscnt 0x0
	v_fmac_f64_e32 v[50:51], v[52:53], v[54:55]
	s_and_not1_b32 exec_lo, exec_lo, s1
	s_cbranch_execnz .LBB22_21
; %bb.22:
	s_or_b32 exec_lo, exec_lo, s1
	v_mov_b32_e32 v9, 0
	ds_load_b64 v[52:53], v9 offset:24
	s_wait_dscnt 0x0
	v_mul_f64_e32 v[50:51], v[50:51], v[52:53]
	scratch_store_b64 off, v[50:51], off offset:24
.LBB22_23:
	s_wait_xcnt 0x0
	s_or_b32 exec_lo, exec_lo, s0
	s_wait_storecnt 0x0
	s_barrier_signal -1
	s_barrier_wait -1
	scratch_load_b64 v[50:51], off, off offset:32
	s_mov_b32 s0, exec_lo
	s_wait_loadcnt 0x0
	ds_store_b64 v1, v[50:51]
	s_wait_dscnt 0x0
	s_barrier_signal -1
	s_barrier_wait -1
	v_cmpx_gt_u32_e32 4, v0
	s_cbranch_execz .LBB22_27
; %bb.24:
	v_mov_b64_e32 v[50:51], 0
	v_dual_add_nc_u32 v9, -1, v0 :: v_dual_mov_b32 v13, v2
	v_add_nc_u32_e32 v11, 0xc0, v2
	s_mov_b32 s1, 0
.LBB22_25:                              ; =>This Inner Loop Header: Depth=1
	scratch_load_b64 v[52:53], v13, off
	ds_load_b64 v[54:55], v11
	v_dual_add_nc_u32 v9, 1, v9 :: v_dual_add_nc_u32 v11, 8, v11
	s_wait_xcnt 0x0
	v_add_nc_u32_e32 v13, 8, v13
	s_delay_alu instid0(VALU_DEP_2)
	v_cmp_lt_u32_e32 vcc_lo, 2, v9
	s_or_b32 s1, vcc_lo, s1
	s_wait_loadcnt_dscnt 0x0
	v_fmac_f64_e32 v[50:51], v[52:53], v[54:55]
	s_and_not1_b32 exec_lo, exec_lo, s1
	s_cbranch_execnz .LBB22_25
; %bb.26:
	s_or_b32 exec_lo, exec_lo, s1
	v_mov_b32_e32 v9, 0
	ds_load_b64 v[52:53], v9 offset:32
	s_wait_dscnt 0x0
	v_mul_f64_e32 v[50:51], v[50:51], v[52:53]
	scratch_store_b64 off, v[50:51], off offset:32
.LBB22_27:
	s_wait_xcnt 0x0
	s_or_b32 exec_lo, exec_lo, s0
	s_wait_storecnt 0x0
	s_barrier_signal -1
	s_barrier_wait -1
	scratch_load_b64 v[50:51], off, off offset:40
	;; [unrolled: 40-line block ×19, first 2 shown]
	s_mov_b32 s0, exec_lo
	s_wait_loadcnt 0x0
	ds_store_b64 v1, v[50:51]
	s_wait_dscnt 0x0
	s_barrier_signal -1
	s_barrier_wait -1
	v_cmpx_ne_u32_e32 22, v0
	s_cbranch_execz .LBB22_99
; %bb.96:
	v_mov_b64_e32 v[50:51], 0
	s_mov_b32 s1, 0
.LBB22_97:                              ; =>This Inner Loop Header: Depth=1
	scratch_load_b64 v[52:53], v2, off
	ds_load_b64 v[54:55], v1
	v_dual_add_nc_u32 v3, 1, v3 :: v_dual_add_nc_u32 v1, 8, v1
	s_wait_xcnt 0x0
	v_add_nc_u32_e32 v2, 8, v2
	s_delay_alu instid0(VALU_DEP_2)
	v_cmp_lt_u32_e32 vcc_lo, 20, v3
	s_or_b32 s1, vcc_lo, s1
	s_wait_loadcnt_dscnt 0x0
	v_fmac_f64_e32 v[50:51], v[52:53], v[54:55]
	s_and_not1_b32 exec_lo, exec_lo, s1
	s_cbranch_execnz .LBB22_97
; %bb.98:
	s_or_b32 exec_lo, exec_lo, s1
	v_mov_b32_e32 v1, 0
	ds_load_b64 v[2:3], v1 offset:176
	s_wait_dscnt 0x0
	v_mul_f64_e32 v[2:3], v[50:51], v[2:3]
	scratch_store_b64 off, v[2:3], off offset:176
.LBB22_99:
	s_wait_xcnt 0x0
	s_or_b32 exec_lo, exec_lo, s0
	s_mov_b32 s1, -1
	s_wait_storecnt 0x0
	s_barrier_signal -1
	s_barrier_wait -1
.LBB22_100:
	s_and_b32 vcc_lo, exec_lo, s1
	s_cbranch_vccz .LBB22_102
; %bb.101:
	v_mov_b32_e32 v1, 0
	s_lshl_b64 s[0:1], s[16:17], 2
	s_delay_alu instid0(SALU_CYCLE_1)
	s_add_nc_u64 s[0:1], s[6:7], s[0:1]
	global_load_b32 v1, v1, s[0:1]
	s_wait_loadcnt 0x0
	v_cmp_ne_u32_e32 vcc_lo, 0, v1
	s_cbranch_vccz .LBB22_103
.LBB22_102:
	s_sendmsg sendmsg(MSG_DEALLOC_VGPRS)
	s_endpgm
.LBB22_103:
	s_wait_xcnt 0x0
	v_lshl_add_u32 v1, v0, 3, 0xc0
	s_mov_b32 s0, exec_lo
	v_cmpx_eq_u32_e32 22, v0
	s_cbranch_execz .LBB22_105
; %bb.104:
	scratch_load_b64 v[2:3], off, off offset:168
	v_mov_b64_e32 v[50:51], 0
	scratch_store_b64 off, v[50:51], off offset:168
	s_wait_loadcnt 0x0
	ds_store_b64 v1, v[2:3]
.LBB22_105:
	s_wait_xcnt 0x0
	s_or_b32 exec_lo, exec_lo, s0
	s_wait_storecnt_dscnt 0x0
	s_barrier_signal -1
	s_barrier_wait -1
	scratch_load_b128 v[50:53], off, off offset:168
	v_mov_b32_e32 v2, 0
	s_mov_b32 s0, exec_lo
	ds_load_b64 v[54:55], v2 offset:368
	s_wait_loadcnt_dscnt 0x0
	v_fma_f64 v[52:53], v[52:53], v[54:55], 0
	s_delay_alu instid0(VALU_DEP_1)
	v_add_f64_e64 v[50:51], v[50:51], -v[52:53]
	scratch_store_b64 off, v[50:51], off offset:168
	s_wait_xcnt 0x0
	v_cmpx_lt_u32_e32 20, v0
	s_cbranch_execz .LBB22_107
; %bb.106:
	scratch_load_b64 v[50:51], off, off offset:160
	v_mov_b64_e32 v[52:53], 0
	scratch_store_b64 off, v[52:53], off offset:160
	s_wait_loadcnt 0x0
	ds_store_b64 v1, v[50:51]
.LBB22_107:
	s_wait_xcnt 0x0
	s_or_b32 exec_lo, exec_lo, s0
	s_wait_storecnt_dscnt 0x0
	s_barrier_signal -1
	s_barrier_wait -1
	s_clause 0x1
	scratch_load_b128 v[50:53], off, off offset:160
	scratch_load_b64 v[58:59], off, off offset:176
	ds_load_2addr_b64 v[54:57], v2 offset0:45 offset1:46
	s_mov_b32 s0, exec_lo
	s_wait_loadcnt_dscnt 0x100
	v_fma_f64 v[2:3], v[52:53], v[54:55], 0
	s_wait_loadcnt 0x0
	s_delay_alu instid0(VALU_DEP_1) | instskip(NEXT) | instid1(VALU_DEP_1)
	v_fmac_f64_e32 v[2:3], v[58:59], v[56:57]
	v_add_f64_e64 v[2:3], v[50:51], -v[2:3]
	scratch_store_b64 off, v[2:3], off offset:160
	s_wait_xcnt 0x0
	v_cmpx_lt_u32_e32 19, v0
	s_cbranch_execz .LBB22_109
; %bb.108:
	scratch_load_b64 v[2:3], off, off offset:152
	v_mov_b64_e32 v[50:51], 0
	scratch_store_b64 off, v[50:51], off offset:152
	s_wait_loadcnt 0x0
	ds_store_b64 v1, v[2:3]
.LBB22_109:
	s_wait_xcnt 0x0
	s_or_b32 exec_lo, exec_lo, s0
	s_wait_storecnt_dscnt 0x0
	s_barrier_signal -1
	s_barrier_wait -1
	s_clause 0x1
	scratch_load_b128 v[50:53], off, off offset:152
	scratch_load_b128 v[54:57], off, off offset:168
	v_mov_b32_e32 v2, 0
	ds_load_b128 v[58:61], v2 offset:352
	ds_load_b64 v[62:63], v2 offset:368
	s_mov_b32 s0, exec_lo
	s_wait_loadcnt_dscnt 0x101
	v_fma_f64 v[52:53], v[52:53], v[58:59], 0
	s_wait_loadcnt 0x0
	s_delay_alu instid0(VALU_DEP_1) | instskip(SKIP_1) | instid1(VALU_DEP_1)
	v_fmac_f64_e32 v[52:53], v[54:55], v[60:61]
	s_wait_dscnt 0x0
	v_fmac_f64_e32 v[52:53], v[56:57], v[62:63]
	s_delay_alu instid0(VALU_DEP_1)
	v_add_f64_e64 v[50:51], v[50:51], -v[52:53]
	scratch_store_b64 off, v[50:51], off offset:152
	s_wait_xcnt 0x0
	v_cmpx_lt_u32_e32 18, v0
	s_cbranch_execz .LBB22_111
; %bb.110:
	scratch_load_b64 v[50:51], off, off offset:144
	v_mov_b64_e32 v[52:53], 0
	scratch_store_b64 off, v[52:53], off offset:144
	s_wait_loadcnt 0x0
	ds_store_b64 v1, v[50:51]
.LBB22_111:
	s_wait_xcnt 0x0
	s_or_b32 exec_lo, exec_lo, s0
	s_wait_storecnt_dscnt 0x0
	s_barrier_signal -1
	s_barrier_wait -1
	s_clause 0x2
	scratch_load_b128 v[50:53], off, off offset:144
	scratch_load_b128 v[54:57], off, off offset:160
	scratch_load_b64 v[66:67], off, off offset:176
	ds_load_2addr_b64 v[58:61], v2 offset0:43 offset1:44
	ds_load_2addr_b64 v[62:65], v2 offset0:45 offset1:46
	s_mov_b32 s0, exec_lo
	s_wait_loadcnt_dscnt 0x201
	v_fma_f64 v[2:3], v[52:53], v[58:59], 0
	s_wait_loadcnt 0x1
	s_delay_alu instid0(VALU_DEP_1) | instskip(SKIP_1) | instid1(VALU_DEP_1)
	v_fmac_f64_e32 v[2:3], v[54:55], v[60:61]
	s_wait_dscnt 0x0
	v_fmac_f64_e32 v[2:3], v[56:57], v[62:63]
	s_wait_loadcnt 0x0
	s_delay_alu instid0(VALU_DEP_1) | instskip(NEXT) | instid1(VALU_DEP_1)
	v_fmac_f64_e32 v[2:3], v[66:67], v[64:65]
	v_add_f64_e64 v[2:3], v[50:51], -v[2:3]
	scratch_store_b64 off, v[2:3], off offset:144
	s_wait_xcnt 0x0
	v_cmpx_lt_u32_e32 17, v0
	s_cbranch_execz .LBB22_113
; %bb.112:
	scratch_load_b64 v[2:3], off, off offset:136
	v_mov_b64_e32 v[50:51], 0
	scratch_store_b64 off, v[50:51], off offset:136
	s_wait_loadcnt 0x0
	ds_store_b64 v1, v[2:3]
.LBB22_113:
	s_wait_xcnt 0x0
	s_or_b32 exec_lo, exec_lo, s0
	s_wait_storecnt_dscnt 0x0
	s_barrier_signal -1
	s_barrier_wait -1
	s_clause 0x2
	scratch_load_b128 v[50:53], off, off offset:136
	scratch_load_b128 v[54:57], off, off offset:152
	;; [unrolled: 1-line block ×3, first 2 shown]
	v_mov_b32_e32 v2, 0
	ds_load_b128 v[62:65], v2 offset:336
	ds_load_b128 v[66:69], v2 offset:352
	s_mov_b32 s0, exec_lo
	s_wait_loadcnt_dscnt 0x201
	v_fma_f64 v[52:53], v[52:53], v[62:63], 0
	s_wait_loadcnt 0x1
	s_delay_alu instid0(VALU_DEP_1) | instskip(SKIP_4) | instid1(VALU_DEP_1)
	v_fmac_f64_e32 v[52:53], v[54:55], v[64:65]
	ds_load_b64 v[54:55], v2 offset:368
	s_wait_dscnt 0x1
	v_fmac_f64_e32 v[52:53], v[56:57], v[66:67]
	s_wait_loadcnt 0x0
	v_fmac_f64_e32 v[52:53], v[58:59], v[68:69]
	s_wait_dscnt 0x0
	s_delay_alu instid0(VALU_DEP_1) | instskip(NEXT) | instid1(VALU_DEP_1)
	v_fmac_f64_e32 v[52:53], v[60:61], v[54:55]
	v_add_f64_e64 v[50:51], v[50:51], -v[52:53]
	scratch_store_b64 off, v[50:51], off offset:136
	s_wait_xcnt 0x0
	v_cmpx_lt_u32_e32 16, v0
	s_cbranch_execz .LBB22_115
; %bb.114:
	scratch_load_b64 v[50:51], off, off offset:128
	v_mov_b64_e32 v[52:53], 0
	scratch_store_b64 off, v[52:53], off offset:128
	s_wait_loadcnt 0x0
	ds_store_b64 v1, v[50:51]
.LBB22_115:
	s_wait_xcnt 0x0
	s_or_b32 exec_lo, exec_lo, s0
	s_wait_storecnt_dscnt 0x0
	s_barrier_signal -1
	s_barrier_wait -1
	s_clause 0x3
	scratch_load_b128 v[50:53], off, off offset:128
	scratch_load_b128 v[54:57], off, off offset:144
	;; [unrolled: 1-line block ×3, first 2 shown]
	scratch_load_b64 v[70:71], off, off offset:176
	ds_load_2addr_b64 v[62:65], v2 offset0:41 offset1:42
	ds_load_2addr_b64 v[66:69], v2 offset0:43 offset1:44
	s_mov_b32 s0, exec_lo
	s_wait_loadcnt_dscnt 0x301
	v_fma_f64 v[62:63], v[52:53], v[62:63], 0
	s_wait_loadcnt 0x2
	s_delay_alu instid0(VALU_DEP_1) | instskip(SKIP_4) | instid1(VALU_DEP_1)
	v_fmac_f64_e32 v[62:63], v[54:55], v[64:65]
	ds_load_2addr_b64 v[52:55], v2 offset0:45 offset1:46
	s_wait_dscnt 0x1
	v_fmac_f64_e32 v[62:63], v[56:57], v[66:67]
	s_wait_loadcnt 0x1
	v_fmac_f64_e32 v[62:63], v[58:59], v[68:69]
	s_wait_dscnt 0x0
	s_delay_alu instid0(VALU_DEP_1) | instskip(SKIP_1) | instid1(VALU_DEP_1)
	v_fmac_f64_e32 v[62:63], v[60:61], v[52:53]
	s_wait_loadcnt 0x0
	v_fmac_f64_e32 v[62:63], v[70:71], v[54:55]
	s_delay_alu instid0(VALU_DEP_1)
	v_add_f64_e64 v[2:3], v[50:51], -v[62:63]
	scratch_store_b64 off, v[2:3], off offset:128
	s_wait_xcnt 0x0
	v_cmpx_lt_u32_e32 15, v0
	s_cbranch_execz .LBB22_117
; %bb.116:
	scratch_load_b64 v[2:3], off, off offset:120
	v_mov_b64_e32 v[50:51], 0
	scratch_store_b64 off, v[50:51], off offset:120
	s_wait_loadcnt 0x0
	ds_store_b64 v1, v[2:3]
.LBB22_117:
	s_wait_xcnt 0x0
	s_or_b32 exec_lo, exec_lo, s0
	s_wait_storecnt_dscnt 0x0
	s_barrier_signal -1
	s_barrier_wait -1
	s_clause 0x3
	scratch_load_b128 v[50:53], off, off offset:120
	scratch_load_b128 v[54:57], off, off offset:136
	;; [unrolled: 1-line block ×4, first 2 shown]
	v_mov_b32_e32 v2, 0
	ds_load_b128 v[66:69], v2 offset:320
	ds_load_b128 v[70:73], v2 offset:336
	s_mov_b32 s0, exec_lo
	s_wait_loadcnt_dscnt 0x301
	v_fma_f64 v[66:67], v[52:53], v[66:67], 0
	s_wait_loadcnt 0x2
	s_delay_alu instid0(VALU_DEP_1) | instskip(SKIP_1) | instid1(VALU_DEP_1)
	v_fmac_f64_e32 v[66:67], v[54:55], v[68:69]
	s_wait_dscnt 0x0
	v_fmac_f64_e32 v[66:67], v[56:57], v[70:71]
	ds_load_b128 v[52:55], v2 offset:352
	ds_load_b64 v[56:57], v2 offset:368
	s_wait_loadcnt 0x1
	v_fmac_f64_e32 v[66:67], v[58:59], v[72:73]
	s_wait_dscnt 0x1
	s_delay_alu instid0(VALU_DEP_1) | instskip(SKIP_1) | instid1(VALU_DEP_1)
	v_fmac_f64_e32 v[66:67], v[60:61], v[52:53]
	s_wait_loadcnt 0x0
	v_fmac_f64_e32 v[66:67], v[62:63], v[54:55]
	s_wait_dscnt 0x0
	s_delay_alu instid0(VALU_DEP_1) | instskip(NEXT) | instid1(VALU_DEP_1)
	v_fmac_f64_e32 v[66:67], v[64:65], v[56:57]
	v_add_f64_e64 v[50:51], v[50:51], -v[66:67]
	scratch_store_b64 off, v[50:51], off offset:120
	s_wait_xcnt 0x0
	v_cmpx_lt_u32_e32 14, v0
	s_cbranch_execz .LBB22_119
; %bb.118:
	scratch_load_b64 v[50:51], off, off offset:112
	v_mov_b64_e32 v[52:53], 0
	scratch_store_b64 off, v[52:53], off offset:112
	s_wait_loadcnt 0x0
	ds_store_b64 v1, v[50:51]
.LBB22_119:
	s_wait_xcnt 0x0
	s_or_b32 exec_lo, exec_lo, s0
	s_wait_storecnt_dscnt 0x0
	s_barrier_signal -1
	s_barrier_wait -1
	s_clause 0x4
	scratch_load_b128 v[50:53], off, off offset:112
	scratch_load_b128 v[54:57], off, off offset:128
	;; [unrolled: 1-line block ×4, first 2 shown]
	scratch_load_b64 v[74:75], off, off offset:176
	ds_load_2addr_b64 v[66:69], v2 offset0:39 offset1:40
	ds_load_2addr_b64 v[70:73], v2 offset0:41 offset1:42
	s_mov_b32 s0, exec_lo
	s_wait_loadcnt_dscnt 0x401
	v_fma_f64 v[66:67], v[52:53], v[66:67], 0
	s_wait_loadcnt 0x3
	s_delay_alu instid0(VALU_DEP_1) | instskip(SKIP_1) | instid1(VALU_DEP_1)
	v_fmac_f64_e32 v[66:67], v[54:55], v[68:69]
	s_wait_dscnt 0x0
	v_fmac_f64_e32 v[66:67], v[56:57], v[70:71]
	s_wait_loadcnt 0x2
	s_delay_alu instid0(VALU_DEP_1)
	v_fmac_f64_e32 v[66:67], v[58:59], v[72:73]
	ds_load_2addr_b64 v[52:55], v2 offset0:43 offset1:44
	ds_load_2addr_b64 v[56:59], v2 offset0:45 offset1:46
	s_wait_dscnt 0x1
	v_fmac_f64_e32 v[66:67], v[60:61], v[52:53]
	s_wait_loadcnt 0x1
	s_delay_alu instid0(VALU_DEP_1) | instskip(SKIP_1) | instid1(VALU_DEP_1)
	v_fmac_f64_e32 v[66:67], v[62:63], v[54:55]
	s_wait_dscnt 0x0
	v_fmac_f64_e32 v[66:67], v[64:65], v[56:57]
	s_wait_loadcnt 0x0
	s_delay_alu instid0(VALU_DEP_1) | instskip(NEXT) | instid1(VALU_DEP_1)
	v_fmac_f64_e32 v[66:67], v[74:75], v[58:59]
	v_add_f64_e64 v[2:3], v[50:51], -v[66:67]
	scratch_store_b64 off, v[2:3], off offset:112
	s_wait_xcnt 0x0
	v_cmpx_lt_u32_e32 13, v0
	s_cbranch_execz .LBB22_121
; %bb.120:
	scratch_load_b64 v[2:3], off, off offset:104
	v_mov_b64_e32 v[50:51], 0
	scratch_store_b64 off, v[50:51], off offset:104
	s_wait_loadcnt 0x0
	ds_store_b64 v1, v[2:3]
.LBB22_121:
	s_wait_xcnt 0x0
	s_or_b32 exec_lo, exec_lo, s0
	s_wait_storecnt_dscnt 0x0
	s_barrier_signal -1
	s_barrier_wait -1
	s_clause 0x4
	scratch_load_b128 v[50:53], off, off offset:104
	scratch_load_b128 v[54:57], off, off offset:120
	;; [unrolled: 1-line block ×5, first 2 shown]
	v_mov_b32_e32 v2, 0
	ds_load_b128 v[70:73], v2 offset:304
	ds_load_b128 v[74:77], v2 offset:320
	s_mov_b32 s0, exec_lo
	s_wait_loadcnt_dscnt 0x401
	v_fma_f64 v[70:71], v[52:53], v[70:71], 0
	s_wait_loadcnt 0x3
	s_delay_alu instid0(VALU_DEP_1) | instskip(SKIP_1) | instid1(VALU_DEP_1)
	v_fmac_f64_e32 v[70:71], v[54:55], v[72:73]
	s_wait_dscnt 0x0
	v_fmac_f64_e32 v[70:71], v[56:57], v[74:75]
	s_wait_loadcnt 0x2
	s_delay_alu instid0(VALU_DEP_1)
	v_fmac_f64_e32 v[70:71], v[58:59], v[76:77]
	ds_load_b128 v[52:55], v2 offset:336
	ds_load_b128 v[56:59], v2 offset:352
	s_wait_dscnt 0x1
	v_fmac_f64_e32 v[70:71], v[60:61], v[52:53]
	ds_load_b64 v[52:53], v2 offset:368
	s_wait_loadcnt 0x1
	v_fmac_f64_e32 v[70:71], v[62:63], v[54:55]
	s_wait_dscnt 0x1
	s_delay_alu instid0(VALU_DEP_1) | instskip(SKIP_1) | instid1(VALU_DEP_1)
	v_fmac_f64_e32 v[70:71], v[64:65], v[56:57]
	s_wait_loadcnt 0x0
	v_fmac_f64_e32 v[70:71], v[66:67], v[58:59]
	s_wait_dscnt 0x0
	s_delay_alu instid0(VALU_DEP_1) | instskip(NEXT) | instid1(VALU_DEP_1)
	v_fmac_f64_e32 v[70:71], v[68:69], v[52:53]
	v_add_f64_e64 v[50:51], v[50:51], -v[70:71]
	scratch_store_b64 off, v[50:51], off offset:104
	s_wait_xcnt 0x0
	v_cmpx_lt_u32_e32 12, v0
	s_cbranch_execz .LBB22_123
; %bb.122:
	scratch_load_b64 v[50:51], off, off offset:96
	v_mov_b64_e32 v[52:53], 0
	scratch_store_b64 off, v[52:53], off offset:96
	s_wait_loadcnt 0x0
	ds_store_b64 v1, v[50:51]
.LBB22_123:
	s_wait_xcnt 0x0
	s_or_b32 exec_lo, exec_lo, s0
	s_wait_storecnt_dscnt 0x0
	s_barrier_signal -1
	s_barrier_wait -1
	s_clause 0x5
	scratch_load_b128 v[50:53], off, off offset:96
	scratch_load_b128 v[54:57], off, off offset:112
	;; [unrolled: 1-line block ×5, first 2 shown]
	scratch_load_b64 v[78:79], off, off offset:176
	ds_load_2addr_b64 v[70:73], v2 offset0:37 offset1:38
	ds_load_2addr_b64 v[74:77], v2 offset0:39 offset1:40
	s_mov_b32 s0, exec_lo
	s_wait_loadcnt_dscnt 0x501
	v_fma_f64 v[70:71], v[52:53], v[70:71], 0
	s_wait_loadcnt 0x4
	s_delay_alu instid0(VALU_DEP_1) | instskip(SKIP_1) | instid1(VALU_DEP_1)
	v_fmac_f64_e32 v[70:71], v[54:55], v[72:73]
	s_wait_dscnt 0x0
	v_fmac_f64_e32 v[70:71], v[56:57], v[74:75]
	s_wait_loadcnt 0x3
	s_delay_alu instid0(VALU_DEP_1)
	v_fmac_f64_e32 v[70:71], v[58:59], v[76:77]
	ds_load_2addr_b64 v[52:55], v2 offset0:41 offset1:42
	ds_load_2addr_b64 v[56:59], v2 offset0:43 offset1:44
	s_wait_dscnt 0x1
	v_fmac_f64_e32 v[70:71], v[60:61], v[52:53]
	s_wait_loadcnt 0x2
	s_delay_alu instid0(VALU_DEP_1) | instskip(SKIP_4) | instid1(VALU_DEP_1)
	v_fmac_f64_e32 v[70:71], v[62:63], v[54:55]
	ds_load_2addr_b64 v[52:55], v2 offset0:45 offset1:46
	s_wait_dscnt 0x1
	v_fmac_f64_e32 v[70:71], v[64:65], v[56:57]
	s_wait_loadcnt 0x1
	v_fmac_f64_e32 v[70:71], v[66:67], v[58:59]
	s_wait_dscnt 0x0
	s_delay_alu instid0(VALU_DEP_1) | instskip(SKIP_1) | instid1(VALU_DEP_1)
	v_fmac_f64_e32 v[70:71], v[68:69], v[52:53]
	s_wait_loadcnt 0x0
	v_fmac_f64_e32 v[70:71], v[78:79], v[54:55]
	s_delay_alu instid0(VALU_DEP_1)
	v_add_f64_e64 v[2:3], v[50:51], -v[70:71]
	scratch_store_b64 off, v[2:3], off offset:96
	s_wait_xcnt 0x0
	v_cmpx_lt_u32_e32 11, v0
	s_cbranch_execz .LBB22_125
; %bb.124:
	scratch_load_b64 v[2:3], off, off offset:88
	v_mov_b64_e32 v[50:51], 0
	scratch_store_b64 off, v[50:51], off offset:88
	s_wait_loadcnt 0x0
	ds_store_b64 v1, v[2:3]
.LBB22_125:
	s_wait_xcnt 0x0
	s_or_b32 exec_lo, exec_lo, s0
	s_wait_storecnt_dscnt 0x0
	s_barrier_signal -1
	s_barrier_wait -1
	s_clause 0x5
	scratch_load_b128 v[50:53], off, off offset:88
	scratch_load_b128 v[54:57], off, off offset:104
	;; [unrolled: 1-line block ×6, first 2 shown]
	v_mov_b32_e32 v2, 0
	ds_load_b128 v[74:77], v2 offset:288
	ds_load_b128 v[78:81], v2 offset:304
	s_mov_b32 s0, exec_lo
	s_wait_loadcnt_dscnt 0x501
	v_fma_f64 v[74:75], v[52:53], v[74:75], 0
	s_wait_loadcnt 0x4
	s_delay_alu instid0(VALU_DEP_1) | instskip(SKIP_1) | instid1(VALU_DEP_1)
	v_fmac_f64_e32 v[74:75], v[54:55], v[76:77]
	s_wait_dscnt 0x0
	v_fmac_f64_e32 v[74:75], v[56:57], v[78:79]
	s_wait_loadcnt 0x3
	s_delay_alu instid0(VALU_DEP_1)
	v_fmac_f64_e32 v[74:75], v[58:59], v[80:81]
	ds_load_b128 v[52:55], v2 offset:320
	ds_load_b128 v[56:59], v2 offset:336
	s_wait_dscnt 0x1
	v_fmac_f64_e32 v[74:75], v[60:61], v[52:53]
	s_wait_loadcnt 0x2
	s_delay_alu instid0(VALU_DEP_1) | instskip(SKIP_1) | instid1(VALU_DEP_1)
	v_fmac_f64_e32 v[74:75], v[62:63], v[54:55]
	s_wait_dscnt 0x0
	v_fmac_f64_e32 v[74:75], v[64:65], v[56:57]
	ds_load_b128 v[52:55], v2 offset:352
	ds_load_b64 v[56:57], v2 offset:368
	s_wait_loadcnt 0x1
	v_fmac_f64_e32 v[74:75], v[66:67], v[58:59]
	s_wait_dscnt 0x1
	s_delay_alu instid0(VALU_DEP_1) | instskip(SKIP_1) | instid1(VALU_DEP_1)
	v_fmac_f64_e32 v[74:75], v[68:69], v[52:53]
	s_wait_loadcnt 0x0
	v_fmac_f64_e32 v[74:75], v[70:71], v[54:55]
	s_wait_dscnt 0x0
	s_delay_alu instid0(VALU_DEP_1) | instskip(NEXT) | instid1(VALU_DEP_1)
	v_fmac_f64_e32 v[74:75], v[72:73], v[56:57]
	v_add_f64_e64 v[50:51], v[50:51], -v[74:75]
	scratch_store_b64 off, v[50:51], off offset:88
	s_wait_xcnt 0x0
	v_cmpx_lt_u32_e32 10, v0
	s_cbranch_execz .LBB22_127
; %bb.126:
	scratch_load_b64 v[50:51], off, off offset:80
	v_mov_b64_e32 v[52:53], 0
	scratch_store_b64 off, v[52:53], off offset:80
	s_wait_loadcnt 0x0
	ds_store_b64 v1, v[50:51]
.LBB22_127:
	s_wait_xcnt 0x0
	s_or_b32 exec_lo, exec_lo, s0
	s_wait_storecnt_dscnt 0x0
	s_barrier_signal -1
	s_barrier_wait -1
	s_clause 0x5
	scratch_load_b128 v[50:53], off, off offset:80
	scratch_load_b128 v[54:57], off, off offset:96
	;; [unrolled: 1-line block ×6, first 2 shown]
	ds_load_2addr_b64 v[74:77], v2 offset0:35 offset1:36
	ds_load_2addr_b64 v[78:81], v2 offset0:37 offset1:38
	s_mov_b32 s0, exec_lo
	s_wait_loadcnt_dscnt 0x501
	v_fma_f64 v[74:75], v[52:53], v[74:75], 0
	s_wait_loadcnt 0x4
	s_delay_alu instid0(VALU_DEP_1) | instskip(SKIP_4) | instid1(VALU_DEP_1)
	v_fmac_f64_e32 v[74:75], v[54:55], v[76:77]
	scratch_load_b64 v[76:77], off, off offset:176
	s_wait_dscnt 0x0
	v_fmac_f64_e32 v[74:75], v[56:57], v[78:79]
	s_wait_loadcnt 0x4
	v_fmac_f64_e32 v[74:75], v[58:59], v[80:81]
	ds_load_2addr_b64 v[52:55], v2 offset0:39 offset1:40
	ds_load_2addr_b64 v[56:59], v2 offset0:41 offset1:42
	s_wait_dscnt 0x1
	v_fmac_f64_e32 v[74:75], v[60:61], v[52:53]
	s_wait_loadcnt 0x3
	s_delay_alu instid0(VALU_DEP_1) | instskip(SKIP_1) | instid1(VALU_DEP_1)
	v_fmac_f64_e32 v[74:75], v[62:63], v[54:55]
	s_wait_dscnt 0x0
	v_fmac_f64_e32 v[74:75], v[64:65], v[56:57]
	s_wait_loadcnt 0x2
	s_delay_alu instid0(VALU_DEP_1)
	v_fmac_f64_e32 v[74:75], v[66:67], v[58:59]
	ds_load_2addr_b64 v[52:55], v2 offset0:43 offset1:44
	ds_load_2addr_b64 v[56:59], v2 offset0:45 offset1:46
	s_wait_dscnt 0x1
	v_fmac_f64_e32 v[74:75], v[68:69], v[52:53]
	s_wait_loadcnt 0x1
	s_delay_alu instid0(VALU_DEP_1) | instskip(SKIP_1) | instid1(VALU_DEP_1)
	v_fmac_f64_e32 v[74:75], v[70:71], v[54:55]
	s_wait_dscnt 0x0
	v_fmac_f64_e32 v[74:75], v[72:73], v[56:57]
	s_wait_loadcnt 0x0
	s_delay_alu instid0(VALU_DEP_1) | instskip(NEXT) | instid1(VALU_DEP_1)
	v_fmac_f64_e32 v[74:75], v[76:77], v[58:59]
	v_add_f64_e64 v[2:3], v[50:51], -v[74:75]
	scratch_store_b64 off, v[2:3], off offset:80
	s_wait_xcnt 0x0
	v_cmpx_lt_u32_e32 9, v0
	s_cbranch_execz .LBB22_129
; %bb.128:
	scratch_load_b64 v[2:3], off, off offset:72
	v_mov_b64_e32 v[50:51], 0
	scratch_store_b64 off, v[50:51], off offset:72
	s_wait_loadcnt 0x0
	ds_store_b64 v1, v[2:3]
.LBB22_129:
	s_wait_xcnt 0x0
	s_or_b32 exec_lo, exec_lo, s0
	s_wait_storecnt_dscnt 0x0
	s_barrier_signal -1
	s_barrier_wait -1
	s_clause 0x5
	scratch_load_b128 v[50:53], off, off offset:72
	scratch_load_b128 v[54:57], off, off offset:88
	;; [unrolled: 1-line block ×6, first 2 shown]
	v_mov_b32_e32 v2, 0
	ds_load_b128 v[74:77], v2 offset:272
	ds_load_b128 v[78:81], v2 offset:288
	s_mov_b32 s0, exec_lo
	s_wait_loadcnt_dscnt 0x501
	v_fma_f64 v[82:83], v[52:53], v[74:75], 0
	s_wait_loadcnt 0x4
	s_delay_alu instid0(VALU_DEP_1) | instskip(SKIP_4) | instid1(VALU_DEP_1)
	v_fmac_f64_e32 v[82:83], v[54:55], v[76:77]
	scratch_load_b128 v[52:55], off, off offset:168
	s_wait_dscnt 0x0
	v_fmac_f64_e32 v[82:83], v[56:57], v[78:79]
	s_wait_loadcnt 0x4
	v_fmac_f64_e32 v[82:83], v[58:59], v[80:81]
	ds_load_b128 v[56:59], v2 offset:304
	ds_load_b128 v[74:77], v2 offset:320
	s_wait_dscnt 0x1
	v_fmac_f64_e32 v[82:83], v[60:61], v[56:57]
	s_wait_loadcnt 0x3
	s_delay_alu instid0(VALU_DEP_1)
	v_fmac_f64_e32 v[82:83], v[62:63], v[58:59]
	ds_load_b128 v[56:59], v2 offset:336
	ds_load_b128 v[60:63], v2 offset:352
	s_wait_dscnt 0x2
	v_fmac_f64_e32 v[82:83], v[64:65], v[74:75]
	s_wait_loadcnt 0x2
	s_delay_alu instid0(VALU_DEP_1) | instskip(SKIP_1) | instid1(VALU_DEP_1)
	v_fmac_f64_e32 v[82:83], v[66:67], v[76:77]
	s_wait_dscnt 0x1
	v_fmac_f64_e32 v[82:83], v[68:69], v[56:57]
	s_wait_loadcnt 0x1
	s_delay_alu instid0(VALU_DEP_1) | instskip(SKIP_1) | instid1(VALU_DEP_1)
	v_fmac_f64_e32 v[82:83], v[70:71], v[58:59]
	s_wait_dscnt 0x0
	v_fmac_f64_e32 v[82:83], v[72:73], v[60:61]
	s_wait_loadcnt 0x0
	s_delay_alu instid0(VALU_DEP_1) | instskip(SKIP_3) | instid1(VALU_DEP_1)
	v_fmac_f64_e32 v[82:83], v[52:53], v[62:63]
	ds_load_b64 v[52:53], v2 offset:368
	s_wait_dscnt 0x0
	v_fmac_f64_e32 v[82:83], v[54:55], v[52:53]
	v_add_f64_e64 v[50:51], v[50:51], -v[82:83]
	scratch_store_b64 off, v[50:51], off offset:72
	s_wait_xcnt 0x0
	v_cmpx_lt_u32_e32 8, v0
	s_cbranch_execz .LBB22_131
; %bb.130:
	scratch_load_b64 v[50:51], off, off offset:64
	v_mov_b64_e32 v[52:53], 0
	scratch_store_b64 off, v[52:53], off offset:64
	s_wait_loadcnt 0x0
	ds_store_b64 v1, v[50:51]
.LBB22_131:
	s_wait_xcnt 0x0
	s_or_b32 exec_lo, exec_lo, s0
	s_wait_storecnt_dscnt 0x0
	s_barrier_signal -1
	s_barrier_wait -1
	s_clause 0x5
	scratch_load_b128 v[50:53], off, off offset:64
	scratch_load_b128 v[54:57], off, off offset:80
	;; [unrolled: 1-line block ×6, first 2 shown]
	ds_load_2addr_b64 v[74:77], v2 offset0:33 offset1:34
	ds_load_2addr_b64 v[78:81], v2 offset0:35 offset1:36
	s_mov_b32 s0, exec_lo
	s_wait_loadcnt_dscnt 0x501
	v_fma_f64 v[82:83], v[52:53], v[74:75], 0
	s_wait_loadcnt 0x4
	s_delay_alu instid0(VALU_DEP_1)
	v_fmac_f64_e32 v[82:83], v[54:55], v[76:77]
	scratch_load_b128 v[52:55], off, off offset:160
	s_wait_dscnt 0x0
	v_fmac_f64_e32 v[82:83], v[56:57], v[78:79]
	scratch_load_b64 v[78:79], off, off offset:176
	s_wait_loadcnt 0x5
	v_fmac_f64_e32 v[82:83], v[58:59], v[80:81]
	ds_load_2addr_b64 v[56:59], v2 offset0:37 offset1:38
	ds_load_2addr_b64 v[74:77], v2 offset0:39 offset1:40
	s_wait_dscnt 0x1
	v_fmac_f64_e32 v[82:83], v[60:61], v[56:57]
	s_wait_loadcnt 0x4
	s_delay_alu instid0(VALU_DEP_1)
	v_fmac_f64_e32 v[82:83], v[62:63], v[58:59]
	ds_load_2addr_b64 v[56:59], v2 offset0:41 offset1:42
	ds_load_2addr_b64 v[60:63], v2 offset0:43 offset1:44
	s_wait_dscnt 0x2
	v_fmac_f64_e32 v[82:83], v[64:65], v[74:75]
	s_wait_loadcnt 0x3
	s_delay_alu instid0(VALU_DEP_1) | instskip(SKIP_1) | instid1(VALU_DEP_1)
	v_fmac_f64_e32 v[82:83], v[66:67], v[76:77]
	s_wait_dscnt 0x1
	v_fmac_f64_e32 v[82:83], v[68:69], v[56:57]
	s_wait_loadcnt 0x2
	s_delay_alu instid0(VALU_DEP_1) | instskip(SKIP_4) | instid1(VALU_DEP_1)
	v_fmac_f64_e32 v[82:83], v[70:71], v[58:59]
	ds_load_2addr_b64 v[56:59], v2 offset0:45 offset1:46
	s_wait_dscnt 0x1
	v_fmac_f64_e32 v[82:83], v[72:73], v[60:61]
	s_wait_loadcnt 0x1
	v_fmac_f64_e32 v[82:83], v[52:53], v[62:63]
	s_wait_dscnt 0x0
	s_delay_alu instid0(VALU_DEP_1) | instskip(SKIP_1) | instid1(VALU_DEP_1)
	v_fmac_f64_e32 v[82:83], v[54:55], v[56:57]
	s_wait_loadcnt 0x0
	v_fmac_f64_e32 v[82:83], v[78:79], v[58:59]
	s_delay_alu instid0(VALU_DEP_1)
	v_add_f64_e64 v[2:3], v[50:51], -v[82:83]
	scratch_store_b64 off, v[2:3], off offset:64
	s_wait_xcnt 0x0
	v_cmpx_lt_u32_e32 7, v0
	s_cbranch_execz .LBB22_133
; %bb.132:
	scratch_load_b64 v[2:3], off, off offset:56
	v_mov_b64_e32 v[50:51], 0
	scratch_store_b64 off, v[50:51], off offset:56
	s_wait_loadcnt 0x0
	ds_store_b64 v1, v[2:3]
.LBB22_133:
	s_wait_xcnt 0x0
	s_or_b32 exec_lo, exec_lo, s0
	s_wait_storecnt_dscnt 0x0
	s_barrier_signal -1
	s_barrier_wait -1
	s_clause 0x5
	scratch_load_b128 v[50:53], off, off offset:56
	scratch_load_b128 v[54:57], off, off offset:72
	;; [unrolled: 1-line block ×6, first 2 shown]
	v_mov_b32_e32 v2, 0
	ds_load_b128 v[74:77], v2 offset:256
	ds_load_b128 v[78:81], v2 offset:272
	s_mov_b32 s0, exec_lo
	s_wait_loadcnt_dscnt 0x501
	v_fma_f64 v[82:83], v[52:53], v[74:75], 0
	s_wait_loadcnt 0x4
	s_delay_alu instid0(VALU_DEP_1) | instskip(SKIP_4) | instid1(VALU_DEP_1)
	v_fmac_f64_e32 v[82:83], v[54:55], v[76:77]
	scratch_load_b128 v[52:55], off, off offset:152
	s_wait_dscnt 0x0
	v_fmac_f64_e32 v[82:83], v[56:57], v[78:79]
	s_wait_loadcnt 0x4
	v_fmac_f64_e32 v[82:83], v[58:59], v[80:81]
	scratch_load_b128 v[56:59], off, off offset:168
	ds_load_b128 v[74:77], v2 offset:288
	ds_load_b128 v[78:81], v2 offset:304
	s_wait_dscnt 0x1
	v_fmac_f64_e32 v[82:83], v[60:61], v[74:75]
	s_wait_loadcnt 0x4
	s_delay_alu instid0(VALU_DEP_1) | instskip(SKIP_1) | instid1(VALU_DEP_1)
	v_fmac_f64_e32 v[82:83], v[62:63], v[76:77]
	s_wait_dscnt 0x0
	v_fmac_f64_e32 v[82:83], v[64:65], v[78:79]
	s_wait_loadcnt 0x3
	s_delay_alu instid0(VALU_DEP_1)
	v_fmac_f64_e32 v[82:83], v[66:67], v[80:81]
	ds_load_b128 v[60:63], v2 offset:320
	ds_load_b128 v[64:67], v2 offset:336
	s_wait_dscnt 0x1
	v_fmac_f64_e32 v[82:83], v[68:69], v[60:61]
	s_wait_loadcnt 0x2
	s_delay_alu instid0(VALU_DEP_1) | instskip(SKIP_1) | instid1(VALU_DEP_1)
	v_fmac_f64_e32 v[82:83], v[70:71], v[62:63]
	s_wait_dscnt 0x0
	v_fmac_f64_e32 v[82:83], v[72:73], v[64:65]
	s_wait_loadcnt 0x1
	s_delay_alu instid0(VALU_DEP_1)
	v_fmac_f64_e32 v[82:83], v[52:53], v[66:67]
	ds_load_b128 v[60:63], v2 offset:352
	ds_load_b64 v[52:53], v2 offset:368
	s_wait_dscnt 0x1
	v_fmac_f64_e32 v[82:83], v[54:55], v[60:61]
	s_wait_loadcnt 0x0
	s_delay_alu instid0(VALU_DEP_1) | instskip(SKIP_1) | instid1(VALU_DEP_1)
	v_fmac_f64_e32 v[82:83], v[56:57], v[62:63]
	s_wait_dscnt 0x0
	v_fmac_f64_e32 v[82:83], v[58:59], v[52:53]
	s_delay_alu instid0(VALU_DEP_1)
	v_add_f64_e64 v[50:51], v[50:51], -v[82:83]
	scratch_store_b64 off, v[50:51], off offset:56
	s_wait_xcnt 0x0
	v_cmpx_lt_u32_e32 6, v0
	s_cbranch_execz .LBB22_135
; %bb.134:
	scratch_load_b64 v[50:51], off, off offset:48
	v_mov_b64_e32 v[52:53], 0
	scratch_store_b64 off, v[52:53], off offset:48
	s_wait_loadcnt 0x0
	ds_store_b64 v1, v[50:51]
.LBB22_135:
	s_wait_xcnt 0x0
	s_or_b32 exec_lo, exec_lo, s0
	s_wait_storecnt_dscnt 0x0
	s_barrier_signal -1
	s_barrier_wait -1
	s_clause 0x5
	scratch_load_b128 v[50:53], off, off offset:48
	scratch_load_b128 v[54:57], off, off offset:64
	scratch_load_b128 v[58:61], off, off offset:80
	scratch_load_b128 v[62:65], off, off offset:96
	scratch_load_b128 v[66:69], off, off offset:112
	scratch_load_b128 v[70:73], off, off offset:128
	ds_load_2addr_b64 v[74:77], v2 offset0:31 offset1:32
	ds_load_2addr_b64 v[78:81], v2 offset0:33 offset1:34
	s_mov_b32 s0, exec_lo
	s_wait_loadcnt_dscnt 0x501
	v_fma_f64 v[82:83], v[52:53], v[74:75], 0
	s_wait_loadcnt 0x4
	s_delay_alu instid0(VALU_DEP_1) | instskip(SKIP_4) | instid1(VALU_DEP_1)
	v_fmac_f64_e32 v[82:83], v[54:55], v[76:77]
	scratch_load_b128 v[52:55], off, off offset:144
	s_wait_dscnt 0x0
	v_fmac_f64_e32 v[82:83], v[56:57], v[78:79]
	s_wait_loadcnt 0x4
	v_fmac_f64_e32 v[82:83], v[58:59], v[80:81]
	scratch_load_b128 v[56:59], off, off offset:160
	ds_load_2addr_b64 v[74:77], v2 offset0:35 offset1:36
	ds_load_2addr_b64 v[78:81], v2 offset0:37 offset1:38
	s_wait_dscnt 0x1
	v_fmac_f64_e32 v[82:83], v[60:61], v[74:75]
	scratch_load_b64 v[74:75], off, off offset:176
	s_wait_loadcnt 0x5
	v_fmac_f64_e32 v[82:83], v[62:63], v[76:77]
	s_wait_dscnt 0x0
	s_delay_alu instid0(VALU_DEP_1) | instskip(SKIP_1) | instid1(VALU_DEP_1)
	v_fmac_f64_e32 v[82:83], v[64:65], v[78:79]
	s_wait_loadcnt 0x4
	v_fmac_f64_e32 v[82:83], v[66:67], v[80:81]
	ds_load_2addr_b64 v[60:63], v2 offset0:39 offset1:40
	ds_load_2addr_b64 v[64:67], v2 offset0:41 offset1:42
	s_wait_dscnt 0x1
	v_fmac_f64_e32 v[82:83], v[68:69], v[60:61]
	s_wait_loadcnt 0x3
	s_delay_alu instid0(VALU_DEP_1) | instskip(SKIP_1) | instid1(VALU_DEP_1)
	v_fmac_f64_e32 v[82:83], v[70:71], v[62:63]
	s_wait_dscnt 0x0
	v_fmac_f64_e32 v[82:83], v[72:73], v[64:65]
	s_wait_loadcnt 0x2
	s_delay_alu instid0(VALU_DEP_1)
	v_fmac_f64_e32 v[82:83], v[52:53], v[66:67]
	ds_load_2addr_b64 v[60:63], v2 offset0:43 offset1:44
	ds_load_2addr_b64 v[64:67], v2 offset0:45 offset1:46
	s_wait_dscnt 0x1
	v_fmac_f64_e32 v[82:83], v[54:55], v[60:61]
	s_wait_loadcnt 0x1
	s_delay_alu instid0(VALU_DEP_1) | instskip(SKIP_1) | instid1(VALU_DEP_1)
	v_fmac_f64_e32 v[82:83], v[56:57], v[62:63]
	s_wait_dscnt 0x0
	v_fmac_f64_e32 v[82:83], v[58:59], v[64:65]
	s_wait_loadcnt 0x0
	s_delay_alu instid0(VALU_DEP_1) | instskip(NEXT) | instid1(VALU_DEP_1)
	v_fmac_f64_e32 v[82:83], v[74:75], v[66:67]
	v_add_f64_e64 v[2:3], v[50:51], -v[82:83]
	scratch_store_b64 off, v[2:3], off offset:48
	s_wait_xcnt 0x0
	v_cmpx_lt_u32_e32 5, v0
	s_cbranch_execz .LBB22_137
; %bb.136:
	scratch_load_b64 v[2:3], off, off offset:40
	v_mov_b64_e32 v[50:51], 0
	scratch_store_b64 off, v[50:51], off offset:40
	s_wait_loadcnt 0x0
	ds_store_b64 v1, v[2:3]
.LBB22_137:
	s_wait_xcnt 0x0
	s_or_b32 exec_lo, exec_lo, s0
	s_wait_storecnt_dscnt 0x0
	s_barrier_signal -1
	s_barrier_wait -1
	s_clause 0x5
	scratch_load_b128 v[50:53], off, off offset:40
	scratch_load_b128 v[54:57], off, off offset:56
	;; [unrolled: 1-line block ×6, first 2 shown]
	v_mov_b32_e32 v2, 0
	ds_load_b128 v[74:77], v2 offset:240
	ds_load_b128 v[78:81], v2 offset:256
	s_mov_b32 s0, exec_lo
	s_wait_loadcnt_dscnt 0x501
	v_fma_f64 v[82:83], v[52:53], v[74:75], 0
	s_wait_loadcnt 0x4
	s_delay_alu instid0(VALU_DEP_1) | instskip(SKIP_4) | instid1(VALU_DEP_1)
	v_fmac_f64_e32 v[82:83], v[54:55], v[76:77]
	scratch_load_b128 v[52:55], off, off offset:136
	s_wait_dscnt 0x0
	v_fmac_f64_e32 v[82:83], v[56:57], v[78:79]
	s_wait_loadcnt 0x4
	v_fmac_f64_e32 v[82:83], v[58:59], v[80:81]
	scratch_load_b128 v[56:59], off, off offset:152
	ds_load_b128 v[74:77], v2 offset:272
	ds_load_b128 v[78:81], v2 offset:288
	s_wait_dscnt 0x1
	v_fmac_f64_e32 v[82:83], v[60:61], v[74:75]
	s_wait_loadcnt 0x4
	s_delay_alu instid0(VALU_DEP_1) | instskip(SKIP_4) | instid1(VALU_DEP_1)
	v_fmac_f64_e32 v[82:83], v[62:63], v[76:77]
	scratch_load_b128 v[60:63], off, off offset:168
	s_wait_dscnt 0x0
	v_fmac_f64_e32 v[82:83], v[64:65], v[78:79]
	s_wait_loadcnt 0x4
	v_fmac_f64_e32 v[82:83], v[66:67], v[80:81]
	ds_load_b128 v[64:67], v2 offset:304
	ds_load_b128 v[74:77], v2 offset:320
	s_wait_dscnt 0x1
	v_fmac_f64_e32 v[82:83], v[68:69], v[64:65]
	s_wait_loadcnt 0x3
	s_delay_alu instid0(VALU_DEP_1)
	v_fmac_f64_e32 v[82:83], v[70:71], v[66:67]
	ds_load_b128 v[64:67], v2 offset:336
	ds_load_b128 v[68:71], v2 offset:352
	s_wait_dscnt 0x2
	v_fmac_f64_e32 v[82:83], v[72:73], v[74:75]
	s_wait_loadcnt 0x2
	s_delay_alu instid0(VALU_DEP_1) | instskip(SKIP_4) | instid1(VALU_DEP_1)
	v_fmac_f64_e32 v[82:83], v[52:53], v[76:77]
	ds_load_b64 v[52:53], v2 offset:368
	s_wait_dscnt 0x2
	v_fmac_f64_e32 v[82:83], v[54:55], v[64:65]
	s_wait_loadcnt 0x1
	v_fmac_f64_e32 v[82:83], v[56:57], v[66:67]
	s_wait_dscnt 0x1
	s_delay_alu instid0(VALU_DEP_1) | instskip(SKIP_1) | instid1(VALU_DEP_1)
	v_fmac_f64_e32 v[82:83], v[58:59], v[68:69]
	s_wait_loadcnt 0x0
	v_fmac_f64_e32 v[82:83], v[60:61], v[70:71]
	s_wait_dscnt 0x0
	s_delay_alu instid0(VALU_DEP_1) | instskip(NEXT) | instid1(VALU_DEP_1)
	v_fmac_f64_e32 v[82:83], v[62:63], v[52:53]
	v_add_f64_e64 v[50:51], v[50:51], -v[82:83]
	scratch_store_b64 off, v[50:51], off offset:40
	s_wait_xcnt 0x0
	v_cmpx_lt_u32_e32 4, v0
	s_cbranch_execz .LBB22_139
; %bb.138:
	scratch_load_b64 v[50:51], off, off offset:32
	v_mov_b64_e32 v[52:53], 0
	scratch_store_b64 off, v[52:53], off offset:32
	s_wait_loadcnt 0x0
	ds_store_b64 v1, v[50:51]
.LBB22_139:
	s_wait_xcnt 0x0
	s_or_b32 exec_lo, exec_lo, s0
	s_wait_storecnt_dscnt 0x0
	s_barrier_signal -1
	s_barrier_wait -1
	s_clause 0x5
	scratch_load_b128 v[50:53], off, off offset:32
	scratch_load_b128 v[54:57], off, off offset:48
	;; [unrolled: 1-line block ×6, first 2 shown]
	ds_load_2addr_b64 v[74:77], v2 offset0:29 offset1:30
	ds_load_2addr_b64 v[78:81], v2 offset0:31 offset1:32
	s_mov_b32 s0, exec_lo
	s_wait_loadcnt_dscnt 0x501
	v_fma_f64 v[82:83], v[52:53], v[74:75], 0
	s_wait_loadcnt 0x4
	s_delay_alu instid0(VALU_DEP_1) | instskip(SKIP_4) | instid1(VALU_DEP_1)
	v_fmac_f64_e32 v[82:83], v[54:55], v[76:77]
	scratch_load_b128 v[52:55], off, off offset:128
	s_wait_dscnt 0x0
	v_fmac_f64_e32 v[82:83], v[56:57], v[78:79]
	s_wait_loadcnt 0x4
	v_fmac_f64_e32 v[82:83], v[58:59], v[80:81]
	scratch_load_b128 v[56:59], off, off offset:144
	ds_load_2addr_b64 v[74:77], v2 offset0:33 offset1:34
	ds_load_2addr_b64 v[78:81], v2 offset0:35 offset1:36
	s_wait_dscnt 0x1
	v_fmac_f64_e32 v[82:83], v[60:61], v[74:75]
	s_wait_loadcnt 0x4
	s_delay_alu instid0(VALU_DEP_1)
	v_fmac_f64_e32 v[82:83], v[62:63], v[76:77]
	scratch_load_b128 v[60:63], off, off offset:160
	s_wait_dscnt 0x0
	v_fmac_f64_e32 v[82:83], v[64:65], v[78:79]
	scratch_load_b64 v[78:79], off, off offset:176
	s_wait_loadcnt 0x5
	v_fmac_f64_e32 v[82:83], v[66:67], v[80:81]
	ds_load_2addr_b64 v[64:67], v2 offset0:37 offset1:38
	ds_load_2addr_b64 v[74:77], v2 offset0:39 offset1:40
	s_wait_dscnt 0x1
	v_fmac_f64_e32 v[82:83], v[68:69], v[64:65]
	s_wait_loadcnt 0x4
	s_delay_alu instid0(VALU_DEP_1)
	v_fmac_f64_e32 v[82:83], v[70:71], v[66:67]
	ds_load_2addr_b64 v[64:67], v2 offset0:41 offset1:42
	ds_load_2addr_b64 v[68:71], v2 offset0:43 offset1:44
	s_wait_dscnt 0x2
	v_fmac_f64_e32 v[82:83], v[72:73], v[74:75]
	s_wait_loadcnt 0x3
	s_delay_alu instid0(VALU_DEP_1) | instskip(SKIP_1) | instid1(VALU_DEP_1)
	v_fmac_f64_e32 v[82:83], v[52:53], v[76:77]
	s_wait_dscnt 0x1
	v_fmac_f64_e32 v[82:83], v[54:55], v[64:65]
	ds_load_2addr_b64 v[52:55], v2 offset0:45 offset1:46
	s_wait_loadcnt 0x2
	v_fmac_f64_e32 v[82:83], v[56:57], v[66:67]
	s_wait_dscnt 0x1
	s_delay_alu instid0(VALU_DEP_1) | instskip(SKIP_1) | instid1(VALU_DEP_1)
	v_fmac_f64_e32 v[82:83], v[58:59], v[68:69]
	s_wait_loadcnt 0x1
	v_fmac_f64_e32 v[82:83], v[60:61], v[70:71]
	s_wait_dscnt 0x0
	s_delay_alu instid0(VALU_DEP_1) | instskip(SKIP_1) | instid1(VALU_DEP_1)
	v_fmac_f64_e32 v[82:83], v[62:63], v[52:53]
	s_wait_loadcnt 0x0
	v_fmac_f64_e32 v[82:83], v[78:79], v[54:55]
	s_delay_alu instid0(VALU_DEP_1)
	v_add_f64_e64 v[2:3], v[50:51], -v[82:83]
	scratch_store_b64 off, v[2:3], off offset:32
	s_wait_xcnt 0x0
	v_cmpx_lt_u32_e32 3, v0
	s_cbranch_execz .LBB22_141
; %bb.140:
	scratch_load_b64 v[2:3], off, off offset:24
	v_mov_b64_e32 v[50:51], 0
	scratch_store_b64 off, v[50:51], off offset:24
	s_wait_loadcnt 0x0
	ds_store_b64 v1, v[2:3]
.LBB22_141:
	s_wait_xcnt 0x0
	s_or_b32 exec_lo, exec_lo, s0
	s_wait_storecnt_dscnt 0x0
	s_barrier_signal -1
	s_barrier_wait -1
	s_clause 0x5
	scratch_load_b128 v[50:53], off, off offset:24
	scratch_load_b128 v[54:57], off, off offset:40
	;; [unrolled: 1-line block ×6, first 2 shown]
	v_mov_b32_e32 v2, 0
	ds_load_b128 v[74:77], v2 offset:224
	ds_load_b128 v[78:81], v2 offset:240
	s_mov_b32 s0, exec_lo
	s_wait_loadcnt_dscnt 0x501
	v_fma_f64 v[82:83], v[52:53], v[74:75], 0
	s_wait_loadcnt 0x4
	s_delay_alu instid0(VALU_DEP_1) | instskip(SKIP_4) | instid1(VALU_DEP_1)
	v_fmac_f64_e32 v[82:83], v[54:55], v[76:77]
	scratch_load_b128 v[52:55], off, off offset:120
	s_wait_dscnt 0x0
	v_fmac_f64_e32 v[82:83], v[56:57], v[78:79]
	s_wait_loadcnt 0x4
	v_fmac_f64_e32 v[82:83], v[58:59], v[80:81]
	scratch_load_b128 v[56:59], off, off offset:136
	ds_load_b128 v[74:77], v2 offset:256
	ds_load_b128 v[78:81], v2 offset:272
	s_wait_dscnt 0x1
	v_fmac_f64_e32 v[82:83], v[60:61], v[74:75]
	s_wait_loadcnt 0x4
	s_delay_alu instid0(VALU_DEP_1) | instskip(SKIP_4) | instid1(VALU_DEP_1)
	v_fmac_f64_e32 v[82:83], v[62:63], v[76:77]
	scratch_load_b128 v[60:63], off, off offset:152
	s_wait_dscnt 0x0
	v_fmac_f64_e32 v[82:83], v[64:65], v[78:79]
	s_wait_loadcnt 0x4
	v_fmac_f64_e32 v[82:83], v[66:67], v[80:81]
	scratch_load_b128 v[64:67], off, off offset:168
	ds_load_b128 v[74:77], v2 offset:288
	ds_load_b128 v[78:81], v2 offset:304
	s_wait_dscnt 0x1
	v_fmac_f64_e32 v[82:83], v[68:69], v[74:75]
	s_wait_loadcnt 0x4
	s_delay_alu instid0(VALU_DEP_1) | instskip(SKIP_1) | instid1(VALU_DEP_1)
	v_fmac_f64_e32 v[82:83], v[70:71], v[76:77]
	s_wait_dscnt 0x0
	v_fmac_f64_e32 v[82:83], v[72:73], v[78:79]
	ds_load_b128 v[68:71], v2 offset:320
	ds_load_b128 v[72:75], v2 offset:336
	s_wait_loadcnt 0x3
	v_fmac_f64_e32 v[82:83], v[52:53], v[80:81]
	s_wait_dscnt 0x1
	s_delay_alu instid0(VALU_DEP_1) | instskip(SKIP_1) | instid1(VALU_DEP_1)
	v_fmac_f64_e32 v[82:83], v[54:55], v[68:69]
	s_wait_loadcnt 0x2
	v_fmac_f64_e32 v[82:83], v[56:57], v[70:71]
	ds_load_b128 v[52:55], v2 offset:352
	ds_load_b64 v[56:57], v2 offset:368
	s_wait_dscnt 0x2
	v_fmac_f64_e32 v[82:83], v[58:59], v[72:73]
	s_wait_loadcnt 0x1
	s_delay_alu instid0(VALU_DEP_1) | instskip(SKIP_1) | instid1(VALU_DEP_1)
	v_fmac_f64_e32 v[82:83], v[60:61], v[74:75]
	s_wait_dscnt 0x1
	v_fmac_f64_e32 v[82:83], v[62:63], v[52:53]
	s_wait_loadcnt 0x0
	s_delay_alu instid0(VALU_DEP_1) | instskip(SKIP_1) | instid1(VALU_DEP_1)
	v_fmac_f64_e32 v[82:83], v[64:65], v[54:55]
	s_wait_dscnt 0x0
	v_fmac_f64_e32 v[82:83], v[66:67], v[56:57]
	s_delay_alu instid0(VALU_DEP_1)
	v_add_f64_e64 v[50:51], v[50:51], -v[82:83]
	scratch_store_b64 off, v[50:51], off offset:24
	s_wait_xcnt 0x0
	v_cmpx_lt_u32_e32 2, v0
	s_cbranch_execz .LBB22_143
; %bb.142:
	scratch_load_b64 v[50:51], off, off offset:16
	v_mov_b64_e32 v[52:53], 0
	scratch_store_b64 off, v[52:53], off offset:16
	s_wait_loadcnt 0x0
	ds_store_b64 v1, v[50:51]
.LBB22_143:
	s_wait_xcnt 0x0
	s_or_b32 exec_lo, exec_lo, s0
	s_wait_storecnt_dscnt 0x0
	s_barrier_signal -1
	s_barrier_wait -1
	s_clause 0x5
	scratch_load_b128 v[50:53], off, off offset:16
	scratch_load_b128 v[54:57], off, off offset:32
	;; [unrolled: 1-line block ×6, first 2 shown]
	ds_load_2addr_b64 v[74:77], v2 offset0:27 offset1:28
	ds_load_2addr_b64 v[78:81], v2 offset0:29 offset1:30
	s_mov_b32 s0, exec_lo
	s_wait_loadcnt_dscnt 0x501
	v_fma_f64 v[82:83], v[52:53], v[74:75], 0
	s_wait_loadcnt 0x4
	s_delay_alu instid0(VALU_DEP_1) | instskip(SKIP_4) | instid1(VALU_DEP_1)
	v_fmac_f64_e32 v[82:83], v[54:55], v[76:77]
	scratch_load_b128 v[52:55], off, off offset:112
	s_wait_dscnt 0x0
	v_fmac_f64_e32 v[82:83], v[56:57], v[78:79]
	s_wait_loadcnt 0x4
	v_fmac_f64_e32 v[82:83], v[58:59], v[80:81]
	scratch_load_b128 v[56:59], off, off offset:128
	ds_load_2addr_b64 v[74:77], v2 offset0:31 offset1:32
	ds_load_2addr_b64 v[78:81], v2 offset0:33 offset1:34
	s_wait_dscnt 0x1
	v_fmac_f64_e32 v[82:83], v[60:61], v[74:75]
	s_wait_loadcnt 0x4
	s_delay_alu instid0(VALU_DEP_1) | instskip(SKIP_4) | instid1(VALU_DEP_1)
	v_fmac_f64_e32 v[82:83], v[62:63], v[76:77]
	scratch_load_b128 v[60:63], off, off offset:144
	s_wait_dscnt 0x0
	v_fmac_f64_e32 v[82:83], v[64:65], v[78:79]
	s_wait_loadcnt 0x4
	v_fmac_f64_e32 v[82:83], v[66:67], v[80:81]
	scratch_load_b128 v[64:67], off, off offset:160
	ds_load_2addr_b64 v[74:77], v2 offset0:35 offset1:36
	ds_load_2addr_b64 v[78:81], v2 offset0:37 offset1:38
	s_wait_dscnt 0x1
	v_fmac_f64_e32 v[82:83], v[68:69], v[74:75]
	s_wait_loadcnt 0x4
	s_delay_alu instid0(VALU_DEP_1)
	v_fmac_f64_e32 v[82:83], v[70:71], v[76:77]
	scratch_load_b64 v[76:77], off, off offset:176
	s_wait_dscnt 0x0
	v_fmac_f64_e32 v[82:83], v[72:73], v[78:79]
	ds_load_2addr_b64 v[68:71], v2 offset0:39 offset1:40
	ds_load_2addr_b64 v[72:75], v2 offset0:41 offset1:42
	s_wait_loadcnt 0x4
	v_fmac_f64_e32 v[82:83], v[52:53], v[80:81]
	s_wait_dscnt 0x1
	s_delay_alu instid0(VALU_DEP_1) | instskip(SKIP_1) | instid1(VALU_DEP_1)
	v_fmac_f64_e32 v[82:83], v[54:55], v[68:69]
	s_wait_loadcnt 0x3
	v_fmac_f64_e32 v[82:83], v[56:57], v[70:71]
	s_wait_dscnt 0x0
	s_delay_alu instid0(VALU_DEP_1)
	v_fmac_f64_e32 v[82:83], v[58:59], v[72:73]
	ds_load_2addr_b64 v[52:55], v2 offset0:43 offset1:44
	ds_load_2addr_b64 v[56:59], v2 offset0:45 offset1:46
	s_wait_loadcnt 0x2
	v_fmac_f64_e32 v[82:83], v[60:61], v[74:75]
	s_wait_dscnt 0x1
	s_delay_alu instid0(VALU_DEP_1) | instskip(SKIP_1) | instid1(VALU_DEP_1)
	v_fmac_f64_e32 v[82:83], v[62:63], v[52:53]
	s_wait_loadcnt 0x1
	v_fmac_f64_e32 v[82:83], v[64:65], v[54:55]
	s_wait_dscnt 0x0
	s_delay_alu instid0(VALU_DEP_1) | instskip(SKIP_1) | instid1(VALU_DEP_1)
	v_fmac_f64_e32 v[82:83], v[66:67], v[56:57]
	s_wait_loadcnt 0x0
	v_fmac_f64_e32 v[82:83], v[76:77], v[58:59]
	s_delay_alu instid0(VALU_DEP_1)
	v_add_f64_e64 v[2:3], v[50:51], -v[82:83]
	scratch_store_b64 off, v[2:3], off offset:16
	s_wait_xcnt 0x0
	v_cmpx_lt_u32_e32 1, v0
	s_cbranch_execz .LBB22_145
; %bb.144:
	scratch_load_b64 v[2:3], off, off offset:8
	v_mov_b64_e32 v[50:51], 0
	scratch_store_b64 off, v[50:51], off offset:8
	s_wait_loadcnt 0x0
	ds_store_b64 v1, v[2:3]
.LBB22_145:
	s_wait_xcnt 0x0
	s_or_b32 exec_lo, exec_lo, s0
	s_wait_storecnt_dscnt 0x0
	s_barrier_signal -1
	s_barrier_wait -1
	s_clause 0x3
	scratch_load_b128 v[52:55], off, off offset:8
	scratch_load_b128 v[56:59], off, off offset:24
	;; [unrolled: 1-line block ×4, first 2 shown]
	v_mov_b32_e32 v50, 0
	ds_load_b128 v[68:71], v50 offset:208
	ds_load_b128 v[72:75], v50 offset:224
	scratch_load_b128 v[76:79], off, off offset:72
	v_dual_ashrrev_i32 v9, 31, v8 :: v_dual_ashrrev_i32 v11, 31, v10
	v_dual_ashrrev_i32 v13, 31, v12 :: v_dual_ashrrev_i32 v15, 31, v14
	;; [unrolled: 1-line block ×10, first 2 shown]
	v_ashrrev_i32_e32 v49, 31, v48
	s_mov_b32 s0, exec_lo
	s_wait_loadcnt_dscnt 0x401
	v_fma_f64 v[2:3], v[54:55], v[68:69], 0
	s_wait_loadcnt 0x3
	s_delay_alu instid0(VALU_DEP_1) | instskip(SKIP_4) | instid1(VALU_DEP_1)
	v_fmac_f64_e32 v[2:3], v[56:57], v[70:71]
	scratch_load_b128 v[54:57], off, off offset:88
	s_wait_dscnt 0x0
	v_fmac_f64_e32 v[2:3], v[58:59], v[72:73]
	s_wait_loadcnt 0x3
	v_fmac_f64_e32 v[2:3], v[60:61], v[74:75]
	ds_load_b128 v[58:61], v50 offset:240
	ds_load_b128 v[68:71], v50 offset:256
	scratch_load_b128 v[72:75], off, off offset:104
	s_wait_dscnt 0x1
	v_fmac_f64_e32 v[2:3], v[62:63], v[58:59]
	s_wait_loadcnt 0x3
	s_delay_alu instid0(VALU_DEP_1)
	v_fmac_f64_e32 v[2:3], v[64:65], v[60:61]
	scratch_load_b128 v[58:61], off, off offset:120
	s_wait_dscnt 0x0
	v_fmac_f64_e32 v[2:3], v[66:67], v[68:69]
	ds_load_b128 v[62:65], v50 offset:272
	ds_load_b128 v[66:69], v50 offset:288
	s_wait_loadcnt 0x3
	v_fmac_f64_e32 v[2:3], v[76:77], v[70:71]
	s_wait_dscnt 0x1
	s_delay_alu instid0(VALU_DEP_1) | instskip(SKIP_4) | instid1(VALU_DEP_1)
	v_fmac_f64_e32 v[2:3], v[78:79], v[62:63]
	scratch_load_b128 v[76:79], off, off offset:136
	s_wait_loadcnt 0x3
	v_fmac_f64_e32 v[2:3], v[54:55], v[64:65]
	s_wait_dscnt 0x0
	v_fmac_f64_e32 v[2:3], v[56:57], v[66:67]
	scratch_load_b128 v[54:57], off, off offset:152
	s_wait_loadcnt 0x3
	v_fmac_f64_e32 v[2:3], v[72:73], v[68:69]
	ds_load_b128 v[62:65], v50 offset:304
	ds_load_b128 v[66:69], v50 offset:320
	scratch_load_b128 v[70:73], off, off offset:168
	s_wait_dscnt 0x1
	v_fmac_f64_e32 v[2:3], v[74:75], v[62:63]
	s_wait_loadcnt 0x3
	s_delay_alu instid0(VALU_DEP_1) | instskip(SKIP_1) | instid1(VALU_DEP_1)
	v_fmac_f64_e32 v[2:3], v[58:59], v[64:65]
	s_wait_dscnt 0x0
	v_fmac_f64_e32 v[2:3], v[60:61], v[66:67]
	ds_load_b128 v[58:61], v50 offset:336
	ds_load_b128 v[62:65], v50 offset:352
	s_wait_loadcnt 0x2
	v_fmac_f64_e32 v[2:3], v[76:77], v[68:69]
	s_wait_dscnt 0x1
	s_delay_alu instid0(VALU_DEP_1) | instskip(SKIP_1) | instid1(VALU_DEP_1)
	v_fmac_f64_e32 v[2:3], v[78:79], v[58:59]
	s_wait_loadcnt 0x1
	v_fmac_f64_e32 v[2:3], v[54:55], v[60:61]
	ds_load_b64 v[54:55], v50 offset:368
	s_wait_dscnt 0x1
	v_fmac_f64_e32 v[2:3], v[56:57], v[62:63]
	s_wait_loadcnt 0x0
	s_delay_alu instid0(VALU_DEP_1) | instskip(SKIP_1) | instid1(VALU_DEP_1)
	v_fmac_f64_e32 v[2:3], v[70:71], v[64:65]
	s_wait_dscnt 0x0
	v_fmac_f64_e32 v[2:3], v[72:73], v[54:55]
	s_delay_alu instid0(VALU_DEP_1)
	v_add_f64_e64 v[2:3], v[52:53], -v[2:3]
	scratch_store_b64 off, v[2:3], off offset:8
	s_wait_xcnt 0x0
	v_cmpx_ne_u32_e32 0, v0
	s_cbranch_execz .LBB22_147
; %bb.146:
	scratch_load_b64 v[2:3], off, off
	v_mov_b64_e32 v[52:53], 0
	scratch_store_b64 off, v[52:53], off
	s_wait_loadcnt 0x0
	ds_store_b64 v1, v[2:3]
.LBB22_147:
	s_wait_xcnt 0x0
	s_or_b32 exec_lo, exec_lo, s0
	s_wait_storecnt_dscnt 0x0
	s_barrier_signal -1
	s_barrier_wait -1
	s_clause 0x5
	scratch_load_b128 v[52:55], off, off
	scratch_load_b128 v[0:3], off, off offset:16
	scratch_load_b128 v[56:59], off, off offset:32
	;; [unrolled: 1-line block ×5, first 2 shown]
	ds_load_2addr_b64 v[72:75], v50 offset0:25 offset1:26
	s_clause 0x1
	scratch_load_b128 v[76:79], off, off offset:96
	scratch_load_b128 v[80:83], off, off offset:112
	s_and_b32 vcc_lo, exec_lo, s18
	s_wait_loadcnt_dscnt 0x700
	v_fma_f64 v[84:85], v[54:55], v[72:73], 0
	s_wait_loadcnt 0x6
	s_delay_alu instid0(VALU_DEP_1)
	v_fmac_f64_e32 v[84:85], v[0:1], v[74:75]
	ds_load_2addr_b64 v[72:75], v50 offset0:27 offset1:28
	s_wait_dscnt 0x0
	v_fmac_f64_e32 v[84:85], v[2:3], v[72:73]
	ds_load_2addr_b64 v[0:3], v50 offset0:29 offset1:30
	s_wait_loadcnt 0x5
	v_fmac_f64_e32 v[84:85], v[56:57], v[74:75]
	scratch_load_b128 v[54:57], off, off offset:128
	s_wait_dscnt 0x0
	v_fmac_f64_e32 v[84:85], v[58:59], v[0:1]
	s_wait_loadcnt 0x5
	s_delay_alu instid0(VALU_DEP_1)
	v_fmac_f64_e32 v[84:85], v[60:61], v[2:3]
	ds_load_2addr_b64 v[0:3], v50 offset0:31 offset1:32
	scratch_load_b128 v[58:61], off, off offset:144
	s_wait_dscnt 0x0
	v_fmac_f64_e32 v[84:85], v[62:63], v[0:1]
	s_wait_loadcnt 0x5
	s_delay_alu instid0(VALU_DEP_1)
	v_fmac_f64_e32 v[84:85], v[64:65], v[2:3]
	ds_load_2addr_b64 v[62:65], v50 offset0:33 offset1:34
	scratch_load_b128 v[0:3], off, off offset:160
	s_wait_dscnt 0x0
	v_fmac_f64_e32 v[84:85], v[66:67], v[62:63]
	scratch_load_b64 v[66:67], off, off offset:176
	s_wait_loadcnt 0x6
	v_fmac_f64_e32 v[84:85], v[68:69], v[64:65]
	ds_load_2addr_b64 v[62:65], v50 offset0:35 offset1:36
	s_wait_dscnt 0x0
	v_fmac_f64_e32 v[84:85], v[70:71], v[62:63]
	s_wait_loadcnt 0x5
	s_delay_alu instid0(VALU_DEP_1) | instskip(SKIP_4) | instid1(VALU_DEP_1)
	v_fmac_f64_e32 v[84:85], v[76:77], v[64:65]
	ds_load_2addr_b64 v[62:65], v50 offset0:37 offset1:38
	s_wait_dscnt 0x0
	v_fmac_f64_e32 v[84:85], v[78:79], v[62:63]
	s_wait_loadcnt 0x4
	v_fmac_f64_e32 v[84:85], v[80:81], v[64:65]
	ds_load_2addr_b64 v[62:65], v50 offset0:39 offset1:40
	s_wait_dscnt 0x0
	v_fmac_f64_e32 v[84:85], v[82:83], v[62:63]
	s_wait_loadcnt 0x3
	s_delay_alu instid0(VALU_DEP_1)
	v_fmac_f64_e32 v[84:85], v[54:55], v[64:65]
	ds_load_2addr_b64 v[62:65], v50 offset0:41 offset1:42
	s_wait_dscnt 0x0
	v_fmac_f64_e32 v[84:85], v[56:57], v[62:63]
	ds_load_2addr_b64 v[54:57], v50 offset0:43 offset1:44
	s_wait_loadcnt 0x2
	v_fmac_f64_e32 v[84:85], v[58:59], v[64:65]
	s_wait_dscnt 0x0
	s_delay_alu instid0(VALU_DEP_1) | instskip(SKIP_1) | instid1(VALU_DEP_1)
	v_fmac_f64_e32 v[84:85], v[60:61], v[54:55]
	s_wait_loadcnt 0x1
	v_fmac_f64_e32 v[84:85], v[0:1], v[56:57]
	ds_load_2addr_b64 v[54:57], v50 offset0:45 offset1:46
	s_wait_dscnt 0x0
	v_fmac_f64_e32 v[84:85], v[2:3], v[54:55]
	s_wait_loadcnt 0x0
	s_delay_alu instid0(VALU_DEP_1) | instskip(NEXT) | instid1(VALU_DEP_1)
	v_fmac_f64_e32 v[84:85], v[66:67], v[56:57]
	v_add_f64_e64 v[0:1], v[52:53], -v[84:85]
	scratch_store_b64 off, v[0:1], off
	s_cbranch_vccz .LBB22_192
; %bb.148:
	s_wait_xcnt 0x0
	v_mov_b32_e32 v0, 0
	global_load_b32 v1, v0, s[2:3] offset:84
	s_wait_loadcnt 0x0
	v_cmp_ne_u32_e32 vcc_lo, 22, v1
	s_cbranch_vccz .LBB22_150
; %bb.149:
	v_lshlrev_b32_e32 v1, 3, v1
	scratch_load_b64 v[50:51], v1, off offset:-8
	s_wait_loadcnt 0x0
	scratch_store_b64 off, v[50:51], off offset:168
	scratch_store_b64 v1, v[2:3], off offset:-8
.LBB22_150:
	global_load_b32 v0, v0, s[2:3] offset:80
	s_wait_loadcnt 0x0
	v_cmp_eq_u32_e32 vcc_lo, 21, v0
	s_cbranch_vccnz .LBB22_152
; %bb.151:
	s_wait_xcnt 0x0
	v_lshlrev_b32_e32 v0, 3, v0
	s_delay_alu instid0(VALU_DEP_1)
	v_mov_b32_e32 v50, v0
	scratch_load_b64 v[0:1], v50, off offset:-8
	scratch_load_b64 v[2:3], off, off offset:160
	s_wait_loadcnt 0x1
	scratch_store_b64 off, v[0:1], off offset:160
	s_wait_loadcnt 0x0
	scratch_store_b64 v50, v[2:3], off offset:-8
.LBB22_152:
	s_wait_xcnt 0x0
	v_mov_b32_e32 v0, 0
	global_load_b32 v1, v0, s[2:3] offset:76
	s_wait_loadcnt 0x0
	v_cmp_eq_u32_e32 vcc_lo, 20, v1
	s_cbranch_vccnz .LBB22_154
; %bb.153:
	v_lshlrev_b32_e32 v1, 3, v1
	scratch_load_b64 v[2:3], v1, off offset:-8
	scratch_load_b64 v[50:51], off, off offset:152
	s_wait_loadcnt 0x1
	scratch_store_b64 off, v[2:3], off offset:152
	s_wait_loadcnt 0x0
	scratch_store_b64 v1, v[50:51], off offset:-8
.LBB22_154:
	global_load_b32 v0, v0, s[2:3] offset:72
	s_wait_loadcnt 0x0
	v_cmp_eq_u32_e32 vcc_lo, 19, v0
	s_cbranch_vccnz .LBB22_156
; %bb.155:
	s_wait_xcnt 0x0
	v_lshlrev_b32_e32 v0, 3, v0
	s_delay_alu instid0(VALU_DEP_1)
	v_mov_b32_e32 v50, v0
	scratch_load_b64 v[0:1], v50, off offset:-8
	scratch_load_b64 v[2:3], off, off offset:144
	s_wait_loadcnt 0x1
	scratch_store_b64 off, v[0:1], off offset:144
	s_wait_loadcnt 0x0
	scratch_store_b64 v50, v[2:3], off offset:-8
.LBB22_156:
	s_wait_xcnt 0x0
	v_mov_b32_e32 v0, 0
	global_load_b32 v1, v0, s[2:3] offset:68
	s_wait_loadcnt 0x0
	v_cmp_eq_u32_e32 vcc_lo, 18, v1
	s_cbranch_vccnz .LBB22_158
; %bb.157:
	v_lshlrev_b32_e32 v1, 3, v1
	scratch_load_b64 v[2:3], v1, off offset:-8
	scratch_load_b64 v[50:51], off, off offset:136
	s_wait_loadcnt 0x1
	scratch_store_b64 off, v[2:3], off offset:136
	s_wait_loadcnt 0x0
	scratch_store_b64 v1, v[50:51], off offset:-8
.LBB22_158:
	;; [unrolled: 31-line block ×10, first 2 shown]
	global_load_b32 v2, v0, s[2:3]
	scratch_load_b64 v[0:1], off, off
	s_wait_loadcnt 0x1
	v_cmp_eq_u32_e32 vcc_lo, 1, v2
	s_cbranch_vccnz .LBB22_192
; %bb.191:
	v_lshlrev_b32_e32 v2, 3, v2
	s_delay_alu instid0(VALU_DEP_1)
	v_mov_b32_e32 v50, v2
	scratch_load_b64 v[2:3], v50, off offset:-8
	s_wait_loadcnt 0x0
	scratch_store_b64 off, v[2:3], off
	scratch_store_b64 v50, v[0:1], off offset:-8
	scratch_load_b64 v[0:1], off, off
.LBB22_192:
	v_lshl_add_u64 v[54:55], v[8:9], 3, s[4:5]
	v_lshl_add_u64 v[50:51], v[10:11], 3, s[4:5]
	;; [unrolled: 1-line block ×21, first 2 shown]
	s_clause 0x5
	scratch_load_b128 v[42:45], off, off offset:8
	scratch_load_b128 v[46:49], off, off offset:24
	;; [unrolled: 1-line block ×6, first 2 shown]
	s_wait_loadcnt 0x6
	global_store_b64 v[4:5], v[0:1], off
	s_clause 0x1
	scratch_load_b128 v[72:75], off, off offset:104
	scratch_load_b128 v[76:79], off, off offset:120
	s_wait_loadcnt 0x7
	s_clause 0x1
	global_store_b64 v[6:7], v[42:43], off
	global_store_b64 v[54:55], v[44:45], off
	s_clause 0x1
	scratch_load_b128 v[4:7], off, off offset:136
	scratch_load_b128 v[42:45], off, off offset:152
	s_wait_loadcnt 0x8
	s_clause 0x1
	global_store_b64 v[50:51], v[46:47], off
	global_store_b64 v[52:53], v[48:49], off
	scratch_load_b128 v[46:49], off, off offset:168
	s_wait_loadcnt 0x8
	s_clause 0x1
	global_store_b64 v[10:11], v[56:57], off
	global_store_b64 v[12:13], v[58:59], off
	s_wait_loadcnt 0x7
	s_clause 0x1
	global_store_b64 v[14:15], v[60:61], off
	global_store_b64 v[16:17], v[62:63], off
	;; [unrolled: 4-line block ×9, first 2 shown]
	s_sendmsg sendmsg(MSG_DEALLOC_VGPRS)
	s_endpgm
	.section	.rodata,"a",@progbits
	.p2align	6, 0x0
	.amdhsa_kernel _ZN9rocsolver6v33100L18getri_kernel_smallILi23EdPdEEvT1_iilPiilS4_bb
		.amdhsa_group_segment_fixed_size 376
		.amdhsa_private_segment_fixed_size 192
		.amdhsa_kernarg_size 60
		.amdhsa_user_sgpr_count 2
		.amdhsa_user_sgpr_dispatch_ptr 0
		.amdhsa_user_sgpr_queue_ptr 0
		.amdhsa_user_sgpr_kernarg_segment_ptr 1
		.amdhsa_user_sgpr_dispatch_id 0
		.amdhsa_user_sgpr_kernarg_preload_length 0
		.amdhsa_user_sgpr_kernarg_preload_offset 0
		.amdhsa_user_sgpr_private_segment_size 0
		.amdhsa_wavefront_size32 1
		.amdhsa_uses_dynamic_stack 0
		.amdhsa_enable_private_segment 1
		.amdhsa_system_sgpr_workgroup_id_x 1
		.amdhsa_system_sgpr_workgroup_id_y 0
		.amdhsa_system_sgpr_workgroup_id_z 0
		.amdhsa_system_sgpr_workgroup_info 0
		.amdhsa_system_vgpr_workitem_id 0
		.amdhsa_next_free_vgpr 86
		.amdhsa_next_free_sgpr 19
		.amdhsa_named_barrier_count 0
		.amdhsa_reserve_vcc 1
		.amdhsa_float_round_mode_32 0
		.amdhsa_float_round_mode_16_64 0
		.amdhsa_float_denorm_mode_32 3
		.amdhsa_float_denorm_mode_16_64 3
		.amdhsa_fp16_overflow 0
		.amdhsa_memory_ordered 1
		.amdhsa_forward_progress 1
		.amdhsa_inst_pref_size 126
		.amdhsa_round_robin_scheduling 0
		.amdhsa_exception_fp_ieee_invalid_op 0
		.amdhsa_exception_fp_denorm_src 0
		.amdhsa_exception_fp_ieee_div_zero 0
		.amdhsa_exception_fp_ieee_overflow 0
		.amdhsa_exception_fp_ieee_underflow 0
		.amdhsa_exception_fp_ieee_inexact 0
		.amdhsa_exception_int_div_zero 0
	.end_amdhsa_kernel
	.section	.text._ZN9rocsolver6v33100L18getri_kernel_smallILi23EdPdEEvT1_iilPiilS4_bb,"axG",@progbits,_ZN9rocsolver6v33100L18getri_kernel_smallILi23EdPdEEvT1_iilPiilS4_bb,comdat
.Lfunc_end22:
	.size	_ZN9rocsolver6v33100L18getri_kernel_smallILi23EdPdEEvT1_iilPiilS4_bb, .Lfunc_end22-_ZN9rocsolver6v33100L18getri_kernel_smallILi23EdPdEEvT1_iilPiilS4_bb
                                        ; -- End function
	.set _ZN9rocsolver6v33100L18getri_kernel_smallILi23EdPdEEvT1_iilPiilS4_bb.num_vgpr, 86
	.set _ZN9rocsolver6v33100L18getri_kernel_smallILi23EdPdEEvT1_iilPiilS4_bb.num_agpr, 0
	.set _ZN9rocsolver6v33100L18getri_kernel_smallILi23EdPdEEvT1_iilPiilS4_bb.numbered_sgpr, 19
	.set _ZN9rocsolver6v33100L18getri_kernel_smallILi23EdPdEEvT1_iilPiilS4_bb.num_named_barrier, 0
	.set _ZN9rocsolver6v33100L18getri_kernel_smallILi23EdPdEEvT1_iilPiilS4_bb.private_seg_size, 192
	.set _ZN9rocsolver6v33100L18getri_kernel_smallILi23EdPdEEvT1_iilPiilS4_bb.uses_vcc, 1
	.set _ZN9rocsolver6v33100L18getri_kernel_smallILi23EdPdEEvT1_iilPiilS4_bb.uses_flat_scratch, 1
	.set _ZN9rocsolver6v33100L18getri_kernel_smallILi23EdPdEEvT1_iilPiilS4_bb.has_dyn_sized_stack, 0
	.set _ZN9rocsolver6v33100L18getri_kernel_smallILi23EdPdEEvT1_iilPiilS4_bb.has_recursion, 0
	.set _ZN9rocsolver6v33100L18getri_kernel_smallILi23EdPdEEvT1_iilPiilS4_bb.has_indirect_call, 0
	.section	.AMDGPU.csdata,"",@progbits
; Kernel info:
; codeLenInByte = 16072
; TotalNumSgprs: 21
; NumVgprs: 86
; ScratchSize: 192
; MemoryBound: 0
; FloatMode: 240
; IeeeMode: 1
; LDSByteSize: 376 bytes/workgroup (compile time only)
; SGPRBlocks: 0
; VGPRBlocks: 5
; NumSGPRsForWavesPerEU: 21
; NumVGPRsForWavesPerEU: 86
; NamedBarCnt: 0
; Occupancy: 10
; WaveLimiterHint : 1
; COMPUTE_PGM_RSRC2:SCRATCH_EN: 1
; COMPUTE_PGM_RSRC2:USER_SGPR: 2
; COMPUTE_PGM_RSRC2:TRAP_HANDLER: 0
; COMPUTE_PGM_RSRC2:TGID_X_EN: 1
; COMPUTE_PGM_RSRC2:TGID_Y_EN: 0
; COMPUTE_PGM_RSRC2:TGID_Z_EN: 0
; COMPUTE_PGM_RSRC2:TIDIG_COMP_CNT: 0
	.section	.text._ZN9rocsolver6v33100L18getri_kernel_smallILi24EdPdEEvT1_iilPiilS4_bb,"axG",@progbits,_ZN9rocsolver6v33100L18getri_kernel_smallILi24EdPdEEvT1_iilPiilS4_bb,comdat
	.globl	_ZN9rocsolver6v33100L18getri_kernel_smallILi24EdPdEEvT1_iilPiilS4_bb ; -- Begin function _ZN9rocsolver6v33100L18getri_kernel_smallILi24EdPdEEvT1_iilPiilS4_bb
	.p2align	8
	.type	_ZN9rocsolver6v33100L18getri_kernel_smallILi24EdPdEEvT1_iilPiilS4_bb,@function
_ZN9rocsolver6v33100L18getri_kernel_smallILi24EdPdEEvT1_iilPiilS4_bb: ; @_ZN9rocsolver6v33100L18getri_kernel_smallILi24EdPdEEvT1_iilPiilS4_bb
; %bb.0:
	s_mov_b32 s2, exec_lo
	v_cmpx_gt_u32_e32 24, v0
	s_cbranch_execz .LBB23_106
; %bb.1:
	s_clause 0x2
	s_load_b32 s2, s[0:1], 0x38
	s_load_b128 s[12:15], s[0:1], 0x10
	s_load_b128 s[4:7], s[0:1], 0x28
	s_getreg_b32 s9, hwreg(HW_REG_IB_STS2, 6, 4)
	s_wait_kmcnt 0x0
	s_bitcmp1_b32 s2, 8
	s_cselect_b32 s18, -1, 0
	s_bfe_u32 s3, ttmp6, 0x4000c
	s_and_b32 s8, ttmp6, 15
	s_add_co_i32 s3, s3, 1
	s_delay_alu instid0(SALU_CYCLE_1) | instskip(NEXT) | instid1(SALU_CYCLE_1)
	s_mul_i32 s3, ttmp9, s3
	s_add_co_i32 s8, s8, s3
	s_cmp_eq_u32 s9, 0
	s_cselect_b32 s16, ttmp9, s8
	s_bfe_u32 s2, s2, 0x10008
	s_ashr_i32 s17, s16, 31
	s_cmp_eq_u32 s2, 0
                                        ; implicit-def: $sgpr2_sgpr3
	s_cbranch_scc1 .LBB23_3
; %bb.2:
	s_load_b32 s2, s[0:1], 0x20
	s_mul_u64 s[4:5], s[4:5], s[16:17]
	s_delay_alu instid0(SALU_CYCLE_1) | instskip(NEXT) | instid1(SALU_CYCLE_1)
	s_lshl_b64 s[4:5], s[4:5], 2
	s_add_nc_u64 s[4:5], s[14:15], s[4:5]
	s_wait_kmcnt 0x0
	s_ashr_i32 s3, s2, 31
	s_delay_alu instid0(SALU_CYCLE_1) | instskip(NEXT) | instid1(SALU_CYCLE_1)
	s_lshl_b64 s[2:3], s[2:3], 2
	s_add_nc_u64 s[2:3], s[4:5], s[2:3]
.LBB23_3:
	s_clause 0x1
	s_load_b128 s[8:11], s[0:1], 0x0
	s_load_b32 s14, s[0:1], 0x38
	s_wait_xcnt 0x0
	s_mul_u64 s[0:1], s[12:13], s[16:17]
	v_mov_b32_e32 v3, 0
	s_lshl_b64 s[0:1], s[0:1], 3
	s_wait_kmcnt 0x0
	v_add3_u32 v8, s11, s11, v0
	s_ashr_i32 s5, s10, 31
	s_mov_b32 s4, s10
	s_add_nc_u64 s[0:1], s[8:9], s[0:1]
	s_lshl_b64 s[4:5], s[4:5], 3
	v_add_nc_u32_e32 v10, s11, v8
	v_lshlrev_b32_e32 v2, 3, v0
	s_add_nc_u64 s[4:5], s[0:1], s[4:5]
	s_ashr_i32 s1, s11, 31
	s_mov_b32 s0, s11
	v_add_nc_u32_e32 v12, s11, v10
	v_add_nc_u64_e32 v[4:5], s[4:5], v[2:3]
	s_bitcmp0_b32 s14, 0
	s_delay_alu instid0(VALU_DEP_2) | instskip(NEXT) | instid1(VALU_DEP_2)
	v_add_nc_u32_e32 v14, s11, v12
	v_lshl_add_u64 v[6:7], s[0:1], 3, v[4:5]
	s_mov_b32 s1, -1
	s_delay_alu instid0(VALU_DEP_2) | instskip(SKIP_4) | instid1(VALU_DEP_1)
	v_add_nc_u32_e32 v16, s11, v14
	s_clause 0x1
	global_load_b64 v[48:49], v0, s[4:5] scale_offset
	global_load_b64 v[50:51], v[6:7], off
	v_add_nc_u32_e32 v18, s11, v16
	v_add_nc_u32_e32 v20, s11, v18
	s_clause 0x3
	global_load_b64 v[52:53], v8, s[4:5] scale_offset
	global_load_b64 v[54:55], v10, s[4:5] scale_offset
	;; [unrolled: 1-line block ×4, first 2 shown]
	v_add_nc_u32_e32 v22, s11, v20
	s_delay_alu instid0(VALU_DEP_1)
	v_add_nc_u32_e32 v24, s11, v22
	s_clause 0x3
	global_load_b64 v[60:61], v16, s[4:5] scale_offset
	global_load_b64 v[62:63], v18, s[4:5] scale_offset
	;; [unrolled: 1-line block ×4, first 2 shown]
	v_add_nc_u32_e32 v26, s11, v24
	s_delay_alu instid0(VALU_DEP_1) | instskip(NEXT) | instid1(VALU_DEP_1)
	v_add_nc_u32_e32 v28, s11, v26
	v_add_nc_u32_e32 v30, s11, v28
	s_delay_alu instid0(VALU_DEP_1) | instskip(SKIP_4) | instid1(VALU_DEP_1)
	v_add_nc_u32_e32 v32, s11, v30
	s_clause 0x1
	global_load_b64 v[68:69], v24, s[4:5] scale_offset
	global_load_b64 v[70:71], v26, s[4:5] scale_offset
	v_add_nc_u32_e32 v34, s11, v32
	v_add_nc_u32_e32 v36, s11, v34
	s_clause 0x1
	global_load_b64 v[72:73], v28, s[4:5] scale_offset
	global_load_b64 v[74:75], v30, s[4:5] scale_offset
	v_add_nc_u32_e32 v38, s11, v36
	s_delay_alu instid0(VALU_DEP_1) | instskip(NEXT) | instid1(VALU_DEP_1)
	v_add_nc_u32_e32 v40, s11, v38
	v_add_nc_u32_e32 v42, s11, v40
	s_delay_alu instid0(VALU_DEP_1) | instskip(NEXT) | instid1(VALU_DEP_1)
	v_add_nc_u32_e32 v44, s11, v42
	v_add_nc_u32_e32 v46, s11, v44
	s_wait_loadcnt 0xc
	scratch_store_b128 off, v[48:51], off
	s_wait_xcnt 0x0
	v_add_nc_u32_e32 v48, s11, v46
	s_wait_loadcnt 0xa
	scratch_store_b128 off, v[52:55], off offset:16
	s_wait_loadcnt 0x8
	scratch_store_b128 off, v[56:59], off offset:32
	v_add_nc_u32_e32 v50, s11, v48
	s_clause 0x3
	global_load_b64 v[52:53], v32, s[4:5] scale_offset
	global_load_b64 v[54:55], v34, s[4:5] scale_offset
	;; [unrolled: 1-line block ×4, first 2 shown]
	s_wait_loadcnt 0xa
	scratch_store_b128 off, v[60:63], off offset:48
	s_wait_loadcnt 0x8
	scratch_store_b128 off, v[64:67], off offset:64
	s_clause 0x3
	global_load_b64 v[60:61], v40, s[4:5] scale_offset
	global_load_b64 v[62:63], v42, s[4:5] scale_offset
	;; [unrolled: 1-line block ×4, first 2 shown]
	s_wait_loadcnt 0xa
	scratch_store_b128 off, v[68:71], off offset:80
	s_clause 0x1
	global_load_b64 v[68:69], v48, s[4:5] scale_offset
	global_load_b64 v[70:71], v50, s[4:5] scale_offset
	s_wait_loadcnt 0xa
	scratch_store_b128 off, v[72:75], off offset:96
	s_wait_loadcnt 0x8
	scratch_store_b128 off, v[52:55], off offset:112
	;; [unrolled: 2-line block ×6, first 2 shown]
	s_cbranch_scc1 .LBB23_104
; %bb.4:
	v_cmp_eq_u32_e64 s0, 0, v0
	s_wait_xcnt 0x0
	s_and_saveexec_b32 s1, s0
; %bb.5:
	v_mov_b32_e32 v1, 0
	ds_store_b32 v1, v1 offset:384
; %bb.6:
	s_or_b32 exec_lo, exec_lo, s1
	s_wait_storecnt_dscnt 0x0
	s_barrier_signal -1
	s_barrier_wait -1
	scratch_load_b64 v[52:53], v0, off scale_offset
	s_mov_b32 s8, exec_lo
	s_wait_loadcnt 0x0
	v_cmpx_eq_f64_e32 0, v[52:53]
	s_cbranch_execz .LBB23_10
; %bb.7:
	v_mov_b32_e32 v1, 0
	s_mov_b32 s9, 0
	ds_load_b32 v3, v1 offset:384
	s_wait_dscnt 0x0
	v_readfirstlane_b32 s1, v3
	v_add_nc_u32_e32 v3, 1, v0
	s_cmp_eq_u32 s1, 0
	s_delay_alu instid0(VALU_DEP_1) | instskip(SKIP_1) | instid1(SALU_CYCLE_1)
	v_cmp_gt_i32_e32 vcc_lo, s1, v3
	s_cselect_b32 s10, -1, 0
	s_or_b32 s10, s10, vcc_lo
	s_delay_alu instid0(SALU_CYCLE_1)
	s_and_b32 exec_lo, exec_lo, s10
	s_cbranch_execz .LBB23_10
; %bb.8:
	v_mov_b32_e32 v9, s1
.LBB23_9:                               ; =>This Inner Loop Header: Depth=1
	ds_cmpstore_rtn_b32 v9, v1, v3, v9 offset:384
	s_wait_dscnt 0x0
	v_cmp_ne_u32_e32 vcc_lo, 0, v9
	v_cmp_le_i32_e64 s1, v9, v3
	s_and_b32 s1, vcc_lo, s1
	s_delay_alu instid0(SALU_CYCLE_1) | instskip(NEXT) | instid1(SALU_CYCLE_1)
	s_and_b32 s1, exec_lo, s1
	s_or_b32 s9, s1, s9
	s_delay_alu instid0(SALU_CYCLE_1)
	s_and_not1_b32 exec_lo, exec_lo, s9
	s_cbranch_execnz .LBB23_9
.LBB23_10:
	s_or_b32 exec_lo, exec_lo, s8
	v_mov_b32_e32 v1, 0
	s_barrier_signal -1
	s_barrier_wait -1
	ds_load_b32 v3, v1 offset:384
	s_and_saveexec_b32 s1, s0
	s_cbranch_execz .LBB23_12
; %bb.11:
	s_lshl_b64 s[8:9], s[16:17], 2
	s_delay_alu instid0(SALU_CYCLE_1)
	s_add_nc_u64 s[8:9], s[6:7], s[8:9]
	s_wait_dscnt 0x0
	global_store_b32 v1, v3, s[8:9]
.LBB23_12:
	s_wait_xcnt 0x0
	s_or_b32 exec_lo, exec_lo, s1
	s_wait_dscnt 0x0
	v_cmp_ne_u32_e32 vcc_lo, 0, v3
	s_mov_b32 s1, 0
	s_cbranch_vccnz .LBB23_104
; %bb.13:
	v_lshl_add_u32 v3, v0, 3, 0
	v_add_nc_u32_e32 v1, 0xc0, v2
	scratch_load_b64 v[52:53], v3, off
	s_wait_loadcnt 0x0
	v_div_scale_f64 v[54:55], null, v[52:53], v[52:53], 1.0
	v_div_scale_f64 v[60:61], vcc_lo, 1.0, v[52:53], 1.0
	s_delay_alu instid0(VALU_DEP_2) | instskip(SKIP_1) | instid1(TRANS32_DEP_1)
	v_rcp_f64_e32 v[56:57], v[54:55]
	v_nop
	v_fma_f64 v[58:59], -v[54:55], v[56:57], 1.0
	s_delay_alu instid0(VALU_DEP_1) | instskip(NEXT) | instid1(VALU_DEP_1)
	v_fmac_f64_e32 v[56:57], v[56:57], v[58:59]
	v_fma_f64 v[58:59], -v[54:55], v[56:57], 1.0
	s_delay_alu instid0(VALU_DEP_1) | instskip(NEXT) | instid1(VALU_DEP_1)
	v_fmac_f64_e32 v[56:57], v[56:57], v[58:59]
	v_mul_f64_e32 v[58:59], v[60:61], v[56:57]
	s_delay_alu instid0(VALU_DEP_1) | instskip(NEXT) | instid1(VALU_DEP_1)
	v_fma_f64 v[54:55], -v[54:55], v[58:59], v[60:61]
	v_div_fmas_f64 v[54:55], v[54:55], v[56:57], v[58:59]
	s_delay_alu instid0(VALU_DEP_1)
	v_div_fixup_f64 v[52:53], v[54:55], v[52:53], 1.0
	scratch_store_b64 v3, v[52:53], off
	scratch_load_b64 v[54:55], off, off offset:8
	s_wait_xcnt 0x1
	v_xor_b32_e32 v53, 0x80000000, v53
	s_wait_loadcnt 0x0
	ds_store_2addr_b64 v2, v[52:53], v[54:55] offset1:24
	s_wait_storecnt_dscnt 0x0
	s_barrier_signal -1
	s_barrier_wait -1
	s_wait_xcnt 0x0
	s_and_saveexec_b32 s1, s0
	s_cbranch_execz .LBB23_15
; %bb.14:
	scratch_load_b64 v[52:53], v3, off
	ds_load_b64 v[54:55], v1
	s_wait_loadcnt_dscnt 0x0
	v_fma_f64 v[52:53], v[52:53], v[54:55], 0
	v_mov_b32_e32 v9, 0
	ds_load_b64 v[56:57], v9 offset:8
	s_wait_dscnt 0x0
	v_mul_f64_e32 v[52:53], v[52:53], v[56:57]
	scratch_store_b64 off, v[52:53], off offset:8
.LBB23_15:
	s_wait_xcnt 0x0
	s_or_b32 exec_lo, exec_lo, s1
	s_wait_storecnt 0x0
	s_barrier_signal -1
	s_barrier_wait -1
	scratch_load_b64 v[52:53], off, off offset:16
	s_mov_b32 s1, exec_lo
	s_wait_loadcnt 0x0
	ds_store_b64 v1, v[52:53]
	s_wait_dscnt 0x0
	s_barrier_signal -1
	s_barrier_wait -1
	v_cmpx_gt_u32_e32 2, v0
	s_cbranch_execz .LBB23_19
; %bb.16:
	scratch_load_b64 v[52:53], v3, off
	ds_load_b64 v[54:55], v1
	s_wait_loadcnt_dscnt 0x0
	v_fma_f64 v[52:53], v[52:53], v[54:55], 0
	s_and_saveexec_b32 s8, s0
	s_cbranch_execz .LBB23_18
; %bb.17:
	scratch_load_b64 v[54:55], off, off offset:8
	v_mov_b32_e32 v3, 0
	ds_load_b64 v[56:57], v3 offset:200
	s_wait_loadcnt_dscnt 0x0
	v_fmac_f64_e32 v[52:53], v[54:55], v[56:57]
.LBB23_18:
	s_or_b32 exec_lo, exec_lo, s8
	v_mov_b32_e32 v3, 0
	ds_load_b64 v[54:55], v3 offset:16
	s_wait_dscnt 0x0
	v_mul_f64_e32 v[52:53], v[52:53], v[54:55]
	scratch_store_b64 off, v[52:53], off offset:16
.LBB23_19:
	s_wait_xcnt 0x0
	s_or_b32 exec_lo, exec_lo, s1
	s_wait_storecnt 0x0
	s_barrier_signal -1
	s_barrier_wait -1
	scratch_load_b64 v[52:53], off, off offset:24
	v_add_nc_u32_e32 v3, -1, v0
	s_mov_b32 s0, exec_lo
	s_wait_loadcnt 0x0
	ds_store_b64 v1, v[52:53]
	s_wait_dscnt 0x0
	s_barrier_signal -1
	s_barrier_wait -1
	v_cmpx_gt_u32_e32 3, v0
	s_cbranch_execz .LBB23_23
; %bb.20:
	v_mov_b64_e32 v[52:53], 0
	v_dual_add_nc_u32 v9, -1, v0 :: v_dual_mov_b32 v13, v2
	v_add_nc_u32_e32 v11, 0xc0, v2
	s_mov_b32 s1, 0
.LBB23_21:                              ; =>This Inner Loop Header: Depth=1
	scratch_load_b64 v[54:55], v13, off
	ds_load_b64 v[56:57], v11
	v_dual_add_nc_u32 v9, 1, v9 :: v_dual_add_nc_u32 v11, 8, v11
	s_wait_xcnt 0x0
	v_add_nc_u32_e32 v13, 8, v13
	s_delay_alu instid0(VALU_DEP_2)
	v_cmp_lt_u32_e32 vcc_lo, 1, v9
	s_or_b32 s1, vcc_lo, s1
	s_wait_loadcnt_dscnt 0x0
	v_fmac_f64_e32 v[52:53], v[54:55], v[56:57]
	s_and_not1_b32 exec_lo, exec_lo, s1
	s_cbranch_execnz .LBB23_21
; %bb.22:
	s_or_b32 exec_lo, exec_lo, s1
	v_mov_b32_e32 v9, 0
	ds_load_b64 v[54:55], v9 offset:24
	s_wait_dscnt 0x0
	v_mul_f64_e32 v[52:53], v[52:53], v[54:55]
	scratch_store_b64 off, v[52:53], off offset:24
.LBB23_23:
	s_wait_xcnt 0x0
	s_or_b32 exec_lo, exec_lo, s0
	s_wait_storecnt 0x0
	s_barrier_signal -1
	s_barrier_wait -1
	scratch_load_b64 v[52:53], off, off offset:32
	s_mov_b32 s0, exec_lo
	s_wait_loadcnt 0x0
	ds_store_b64 v1, v[52:53]
	s_wait_dscnt 0x0
	s_barrier_signal -1
	s_barrier_wait -1
	v_cmpx_gt_u32_e32 4, v0
	s_cbranch_execz .LBB23_27
; %bb.24:
	v_mov_b64_e32 v[52:53], 0
	v_dual_add_nc_u32 v9, -1, v0 :: v_dual_mov_b32 v13, v2
	v_add_nc_u32_e32 v11, 0xc0, v2
	s_mov_b32 s1, 0
.LBB23_25:                              ; =>This Inner Loop Header: Depth=1
	scratch_load_b64 v[54:55], v13, off
	ds_load_b64 v[56:57], v11
	v_dual_add_nc_u32 v9, 1, v9 :: v_dual_add_nc_u32 v11, 8, v11
	s_wait_xcnt 0x0
	v_add_nc_u32_e32 v13, 8, v13
	s_delay_alu instid0(VALU_DEP_2)
	v_cmp_lt_u32_e32 vcc_lo, 2, v9
	s_or_b32 s1, vcc_lo, s1
	s_wait_loadcnt_dscnt 0x0
	v_fmac_f64_e32 v[52:53], v[54:55], v[56:57]
	s_and_not1_b32 exec_lo, exec_lo, s1
	s_cbranch_execnz .LBB23_25
; %bb.26:
	s_or_b32 exec_lo, exec_lo, s1
	v_mov_b32_e32 v9, 0
	ds_load_b64 v[54:55], v9 offset:32
	s_wait_dscnt 0x0
	v_mul_f64_e32 v[52:53], v[52:53], v[54:55]
	scratch_store_b64 off, v[52:53], off offset:32
.LBB23_27:
	s_wait_xcnt 0x0
	s_or_b32 exec_lo, exec_lo, s0
	s_wait_storecnt 0x0
	s_barrier_signal -1
	s_barrier_wait -1
	scratch_load_b64 v[52:53], off, off offset:40
	;; [unrolled: 40-line block ×20, first 2 shown]
	s_mov_b32 s0, exec_lo
	s_wait_loadcnt 0x0
	ds_store_b64 v1, v[52:53]
	s_wait_dscnt 0x0
	s_barrier_signal -1
	s_barrier_wait -1
	v_cmpx_ne_u32_e32 23, v0
	s_cbranch_execz .LBB23_103
; %bb.100:
	v_mov_b64_e32 v[52:53], 0
	s_mov_b32 s1, 0
.LBB23_101:                             ; =>This Inner Loop Header: Depth=1
	scratch_load_b64 v[54:55], v2, off
	ds_load_b64 v[56:57], v1
	v_dual_add_nc_u32 v3, 1, v3 :: v_dual_add_nc_u32 v1, 8, v1
	s_wait_xcnt 0x0
	v_add_nc_u32_e32 v2, 8, v2
	s_delay_alu instid0(VALU_DEP_2)
	v_cmp_lt_u32_e32 vcc_lo, 21, v3
	s_or_b32 s1, vcc_lo, s1
	s_wait_loadcnt_dscnt 0x0
	v_fmac_f64_e32 v[52:53], v[54:55], v[56:57]
	s_and_not1_b32 exec_lo, exec_lo, s1
	s_cbranch_execnz .LBB23_101
; %bb.102:
	s_or_b32 exec_lo, exec_lo, s1
	v_mov_b32_e32 v1, 0
	ds_load_b64 v[2:3], v1 offset:184
	s_wait_dscnt 0x0
	v_mul_f64_e32 v[2:3], v[52:53], v[2:3]
	scratch_store_b64 off, v[2:3], off offset:184
.LBB23_103:
	s_wait_xcnt 0x0
	s_or_b32 exec_lo, exec_lo, s0
	s_mov_b32 s1, -1
	s_wait_storecnt 0x0
	s_barrier_signal -1
	s_barrier_wait -1
.LBB23_104:
	s_and_b32 vcc_lo, exec_lo, s1
	s_cbranch_vccz .LBB23_106
; %bb.105:
	v_mov_b32_e32 v1, 0
	s_lshl_b64 s[0:1], s[16:17], 2
	s_delay_alu instid0(SALU_CYCLE_1)
	s_add_nc_u64 s[0:1], s[6:7], s[0:1]
	global_load_b32 v1, v1, s[0:1]
	s_wait_loadcnt 0x0
	v_cmp_ne_u32_e32 vcc_lo, 0, v1
	s_cbranch_vccz .LBB23_107
.LBB23_106:
	s_sendmsg sendmsg(MSG_DEALLOC_VGPRS)
	s_endpgm
.LBB23_107:
	s_wait_xcnt 0x0
	v_lshl_add_u32 v1, v0, 3, 0xc0
	s_mov_b32 s0, exec_lo
	v_cmpx_eq_u32_e32 23, v0
	s_cbranch_execz .LBB23_109
; %bb.108:
	scratch_load_b64 v[2:3], off, off offset:176
	v_mov_b64_e32 v[52:53], 0
	scratch_store_b64 off, v[52:53], off offset:176
	s_wait_loadcnt 0x0
	ds_store_b64 v1, v[2:3]
.LBB23_109:
	s_wait_xcnt 0x0
	s_or_b32 exec_lo, exec_lo, s0
	s_wait_storecnt_dscnt 0x0
	s_barrier_signal -1
	s_barrier_wait -1
	scratch_load_b128 v[52:55], off, off offset:176
	v_mov_b32_e32 v2, 0
	s_mov_b32 s0, exec_lo
	ds_load_b64 v[56:57], v2 offset:376
	s_wait_loadcnt_dscnt 0x0
	v_fma_f64 v[54:55], v[54:55], v[56:57], 0
	s_delay_alu instid0(VALU_DEP_1)
	v_add_f64_e64 v[52:53], v[52:53], -v[54:55]
	scratch_store_b64 off, v[52:53], off offset:176
	s_wait_xcnt 0x0
	v_cmpx_lt_u32_e32 21, v0
	s_cbranch_execz .LBB23_111
; %bb.110:
	scratch_load_b64 v[52:53], off, off offset:168
	v_mov_b64_e32 v[54:55], 0
	scratch_store_b64 off, v[54:55], off offset:168
	s_wait_loadcnt 0x0
	ds_store_b64 v1, v[52:53]
.LBB23_111:
	s_wait_xcnt 0x0
	s_or_b32 exec_lo, exec_lo, s0
	s_wait_storecnt_dscnt 0x0
	s_barrier_signal -1
	s_barrier_wait -1
	s_clause 0x1
	scratch_load_b128 v[52:55], off, off offset:168
	scratch_load_b64 v[60:61], off, off offset:184
	ds_load_b128 v[56:59], v2 offset:368
	s_mov_b32 s0, exec_lo
	s_wait_loadcnt_dscnt 0x100
	v_fma_f64 v[2:3], v[54:55], v[56:57], 0
	s_wait_loadcnt 0x0
	s_delay_alu instid0(VALU_DEP_1) | instskip(NEXT) | instid1(VALU_DEP_1)
	v_fmac_f64_e32 v[2:3], v[60:61], v[58:59]
	v_add_f64_e64 v[2:3], v[52:53], -v[2:3]
	scratch_store_b64 off, v[2:3], off offset:168
	s_wait_xcnt 0x0
	v_cmpx_lt_u32_e32 20, v0
	s_cbranch_execz .LBB23_113
; %bb.112:
	scratch_load_b64 v[2:3], off, off offset:160
	v_mov_b64_e32 v[52:53], 0
	scratch_store_b64 off, v[52:53], off offset:160
	s_wait_loadcnt 0x0
	ds_store_b64 v1, v[2:3]
.LBB23_113:
	s_wait_xcnt 0x0
	s_or_b32 exec_lo, exec_lo, s0
	s_wait_storecnt_dscnt 0x0
	s_barrier_signal -1
	s_barrier_wait -1
	s_clause 0x1
	scratch_load_b128 v[52:55], off, off offset:160
	scratch_load_b128 v[56:59], off, off offset:176
	v_mov_b32_e32 v2, 0
	ds_load_2addr_b64 v[60:63], v2 offset0:45 offset1:46
	ds_load_b64 v[64:65], v2 offset:376
	s_mov_b32 s0, exec_lo
	s_wait_loadcnt_dscnt 0x101
	v_fma_f64 v[54:55], v[54:55], v[60:61], 0
	s_wait_loadcnt 0x0
	s_delay_alu instid0(VALU_DEP_1) | instskip(SKIP_1) | instid1(VALU_DEP_1)
	v_fmac_f64_e32 v[54:55], v[56:57], v[62:63]
	s_wait_dscnt 0x0
	v_fmac_f64_e32 v[54:55], v[58:59], v[64:65]
	s_delay_alu instid0(VALU_DEP_1)
	v_add_f64_e64 v[52:53], v[52:53], -v[54:55]
	scratch_store_b64 off, v[52:53], off offset:160
	s_wait_xcnt 0x0
	v_cmpx_lt_u32_e32 19, v0
	s_cbranch_execz .LBB23_115
; %bb.114:
	scratch_load_b64 v[52:53], off, off offset:152
	v_mov_b64_e32 v[54:55], 0
	scratch_store_b64 off, v[54:55], off offset:152
	s_wait_loadcnt 0x0
	ds_store_b64 v1, v[52:53]
.LBB23_115:
	s_wait_xcnt 0x0
	s_or_b32 exec_lo, exec_lo, s0
	s_wait_storecnt_dscnt 0x0
	s_barrier_signal -1
	s_barrier_wait -1
	s_clause 0x2
	scratch_load_b128 v[52:55], off, off offset:152
	scratch_load_b128 v[56:59], off, off offset:168
	scratch_load_b64 v[68:69], off, off offset:184
	ds_load_b128 v[60:63], v2 offset:352
	ds_load_b128 v[64:67], v2 offset:368
	s_mov_b32 s0, exec_lo
	s_wait_loadcnt_dscnt 0x201
	v_fma_f64 v[2:3], v[54:55], v[60:61], 0
	s_wait_loadcnt 0x1
	s_delay_alu instid0(VALU_DEP_1) | instskip(SKIP_1) | instid1(VALU_DEP_1)
	v_fmac_f64_e32 v[2:3], v[56:57], v[62:63]
	s_wait_dscnt 0x0
	v_fmac_f64_e32 v[2:3], v[58:59], v[64:65]
	s_wait_loadcnt 0x0
	s_delay_alu instid0(VALU_DEP_1) | instskip(NEXT) | instid1(VALU_DEP_1)
	v_fmac_f64_e32 v[2:3], v[68:69], v[66:67]
	v_add_f64_e64 v[2:3], v[52:53], -v[2:3]
	scratch_store_b64 off, v[2:3], off offset:152
	s_wait_xcnt 0x0
	v_cmpx_lt_u32_e32 18, v0
	s_cbranch_execz .LBB23_117
; %bb.116:
	scratch_load_b64 v[2:3], off, off offset:144
	v_mov_b64_e32 v[52:53], 0
	scratch_store_b64 off, v[52:53], off offset:144
	s_wait_loadcnt 0x0
	ds_store_b64 v1, v[2:3]
.LBB23_117:
	s_wait_xcnt 0x0
	s_or_b32 exec_lo, exec_lo, s0
	s_wait_storecnt_dscnt 0x0
	s_barrier_signal -1
	s_barrier_wait -1
	s_clause 0x2
	scratch_load_b128 v[52:55], off, off offset:144
	scratch_load_b128 v[56:59], off, off offset:160
	;; [unrolled: 1-line block ×3, first 2 shown]
	v_mov_b32_e32 v2, 0
	ds_load_2addr_b64 v[64:67], v2 offset0:43 offset1:44
	ds_load_2addr_b64 v[68:71], v2 offset0:45 offset1:46
	s_mov_b32 s0, exec_lo
	s_wait_loadcnt_dscnt 0x201
	v_fma_f64 v[54:55], v[54:55], v[64:65], 0
	s_wait_loadcnt 0x1
	s_delay_alu instid0(VALU_DEP_1) | instskip(SKIP_4) | instid1(VALU_DEP_1)
	v_fmac_f64_e32 v[54:55], v[56:57], v[66:67]
	ds_load_b64 v[56:57], v2 offset:376
	s_wait_dscnt 0x1
	v_fmac_f64_e32 v[54:55], v[58:59], v[68:69]
	s_wait_loadcnt 0x0
	v_fmac_f64_e32 v[54:55], v[60:61], v[70:71]
	s_wait_dscnt 0x0
	s_delay_alu instid0(VALU_DEP_1) | instskip(NEXT) | instid1(VALU_DEP_1)
	v_fmac_f64_e32 v[54:55], v[62:63], v[56:57]
	v_add_f64_e64 v[52:53], v[52:53], -v[54:55]
	scratch_store_b64 off, v[52:53], off offset:144
	s_wait_xcnt 0x0
	v_cmpx_lt_u32_e32 17, v0
	s_cbranch_execz .LBB23_119
; %bb.118:
	scratch_load_b64 v[52:53], off, off offset:136
	v_mov_b64_e32 v[54:55], 0
	scratch_store_b64 off, v[54:55], off offset:136
	s_wait_loadcnt 0x0
	ds_store_b64 v1, v[52:53]
.LBB23_119:
	s_wait_xcnt 0x0
	s_or_b32 exec_lo, exec_lo, s0
	s_wait_storecnt_dscnt 0x0
	s_barrier_signal -1
	s_barrier_wait -1
	s_clause 0x3
	scratch_load_b128 v[52:55], off, off offset:136
	scratch_load_b128 v[56:59], off, off offset:152
	;; [unrolled: 1-line block ×3, first 2 shown]
	scratch_load_b64 v[72:73], off, off offset:184
	ds_load_b128 v[64:67], v2 offset:336
	ds_load_b128 v[68:71], v2 offset:352
	s_mov_b32 s0, exec_lo
	s_wait_loadcnt_dscnt 0x301
	v_fma_f64 v[64:65], v[54:55], v[64:65], 0
	s_wait_loadcnt 0x2
	s_delay_alu instid0(VALU_DEP_1) | instskip(SKIP_4) | instid1(VALU_DEP_1)
	v_fmac_f64_e32 v[64:65], v[56:57], v[66:67]
	ds_load_b128 v[54:57], v2 offset:368
	s_wait_dscnt 0x1
	v_fmac_f64_e32 v[64:65], v[58:59], v[68:69]
	s_wait_loadcnt 0x1
	v_fmac_f64_e32 v[64:65], v[60:61], v[70:71]
	s_wait_dscnt 0x0
	s_delay_alu instid0(VALU_DEP_1) | instskip(SKIP_1) | instid1(VALU_DEP_1)
	v_fmac_f64_e32 v[64:65], v[62:63], v[54:55]
	s_wait_loadcnt 0x0
	v_fmac_f64_e32 v[64:65], v[72:73], v[56:57]
	s_delay_alu instid0(VALU_DEP_1)
	v_add_f64_e64 v[2:3], v[52:53], -v[64:65]
	scratch_store_b64 off, v[2:3], off offset:136
	s_wait_xcnt 0x0
	v_cmpx_lt_u32_e32 16, v0
	s_cbranch_execz .LBB23_121
; %bb.120:
	scratch_load_b64 v[2:3], off, off offset:128
	v_mov_b64_e32 v[52:53], 0
	scratch_store_b64 off, v[52:53], off offset:128
	s_wait_loadcnt 0x0
	ds_store_b64 v1, v[2:3]
.LBB23_121:
	s_wait_xcnt 0x0
	s_or_b32 exec_lo, exec_lo, s0
	s_wait_storecnt_dscnt 0x0
	s_barrier_signal -1
	s_barrier_wait -1
	s_clause 0x3
	scratch_load_b128 v[52:55], off, off offset:128
	scratch_load_b128 v[56:59], off, off offset:144
	scratch_load_b128 v[60:63], off, off offset:160
	scratch_load_b128 v[64:67], off, off offset:176
	v_mov_b32_e32 v2, 0
	ds_load_2addr_b64 v[68:71], v2 offset0:41 offset1:42
	ds_load_2addr_b64 v[72:75], v2 offset0:43 offset1:44
	s_mov_b32 s0, exec_lo
	s_wait_loadcnt_dscnt 0x301
	v_fma_f64 v[68:69], v[54:55], v[68:69], 0
	s_wait_loadcnt 0x2
	s_delay_alu instid0(VALU_DEP_1) | instskip(SKIP_1) | instid1(VALU_DEP_1)
	v_fmac_f64_e32 v[68:69], v[56:57], v[70:71]
	s_wait_dscnt 0x0
	v_fmac_f64_e32 v[68:69], v[58:59], v[72:73]
	ds_load_2addr_b64 v[54:57], v2 offset0:45 offset1:46
	ds_load_b64 v[58:59], v2 offset:376
	s_wait_loadcnt 0x1
	v_fmac_f64_e32 v[68:69], v[60:61], v[74:75]
	s_wait_dscnt 0x1
	s_delay_alu instid0(VALU_DEP_1) | instskip(SKIP_1) | instid1(VALU_DEP_1)
	v_fmac_f64_e32 v[68:69], v[62:63], v[54:55]
	s_wait_loadcnt 0x0
	v_fmac_f64_e32 v[68:69], v[64:65], v[56:57]
	s_wait_dscnt 0x0
	s_delay_alu instid0(VALU_DEP_1) | instskip(NEXT) | instid1(VALU_DEP_1)
	v_fmac_f64_e32 v[68:69], v[66:67], v[58:59]
	v_add_f64_e64 v[52:53], v[52:53], -v[68:69]
	scratch_store_b64 off, v[52:53], off offset:128
	s_wait_xcnt 0x0
	v_cmpx_lt_u32_e32 15, v0
	s_cbranch_execz .LBB23_123
; %bb.122:
	scratch_load_b64 v[52:53], off, off offset:120
	v_mov_b64_e32 v[54:55], 0
	scratch_store_b64 off, v[54:55], off offset:120
	s_wait_loadcnt 0x0
	ds_store_b64 v1, v[52:53]
.LBB23_123:
	s_wait_xcnt 0x0
	s_or_b32 exec_lo, exec_lo, s0
	s_wait_storecnt_dscnt 0x0
	s_barrier_signal -1
	s_barrier_wait -1
	s_clause 0x4
	scratch_load_b128 v[52:55], off, off offset:120
	scratch_load_b128 v[56:59], off, off offset:136
	;; [unrolled: 1-line block ×4, first 2 shown]
	scratch_load_b64 v[76:77], off, off offset:184
	ds_load_b128 v[68:71], v2 offset:320
	ds_load_b128 v[72:75], v2 offset:336
	s_mov_b32 s0, exec_lo
	s_wait_loadcnt_dscnt 0x401
	v_fma_f64 v[68:69], v[54:55], v[68:69], 0
	s_wait_loadcnt 0x3
	s_delay_alu instid0(VALU_DEP_1) | instskip(SKIP_1) | instid1(VALU_DEP_1)
	v_fmac_f64_e32 v[68:69], v[56:57], v[70:71]
	s_wait_dscnt 0x0
	v_fmac_f64_e32 v[68:69], v[58:59], v[72:73]
	s_wait_loadcnt 0x2
	s_delay_alu instid0(VALU_DEP_1)
	v_fmac_f64_e32 v[68:69], v[60:61], v[74:75]
	ds_load_b128 v[54:57], v2 offset:352
	ds_load_b128 v[58:61], v2 offset:368
	s_wait_dscnt 0x1
	v_fmac_f64_e32 v[68:69], v[62:63], v[54:55]
	s_wait_loadcnt 0x1
	s_delay_alu instid0(VALU_DEP_1) | instskip(SKIP_1) | instid1(VALU_DEP_1)
	v_fmac_f64_e32 v[68:69], v[64:65], v[56:57]
	s_wait_dscnt 0x0
	v_fmac_f64_e32 v[68:69], v[66:67], v[58:59]
	s_wait_loadcnt 0x0
	s_delay_alu instid0(VALU_DEP_1) | instskip(NEXT) | instid1(VALU_DEP_1)
	v_fmac_f64_e32 v[68:69], v[76:77], v[60:61]
	v_add_f64_e64 v[2:3], v[52:53], -v[68:69]
	scratch_store_b64 off, v[2:3], off offset:120
	s_wait_xcnt 0x0
	v_cmpx_lt_u32_e32 14, v0
	s_cbranch_execz .LBB23_125
; %bb.124:
	scratch_load_b64 v[2:3], off, off offset:112
	v_mov_b64_e32 v[52:53], 0
	scratch_store_b64 off, v[52:53], off offset:112
	s_wait_loadcnt 0x0
	ds_store_b64 v1, v[2:3]
.LBB23_125:
	s_wait_xcnt 0x0
	s_or_b32 exec_lo, exec_lo, s0
	s_wait_storecnt_dscnt 0x0
	s_barrier_signal -1
	s_barrier_wait -1
	s_clause 0x4
	scratch_load_b128 v[52:55], off, off offset:112
	scratch_load_b128 v[56:59], off, off offset:128
	;; [unrolled: 1-line block ×5, first 2 shown]
	v_mov_b32_e32 v2, 0
	ds_load_2addr_b64 v[72:75], v2 offset0:39 offset1:40
	ds_load_2addr_b64 v[76:79], v2 offset0:41 offset1:42
	s_mov_b32 s0, exec_lo
	s_wait_loadcnt_dscnt 0x401
	v_fma_f64 v[72:73], v[54:55], v[72:73], 0
	s_wait_loadcnt 0x3
	s_delay_alu instid0(VALU_DEP_1) | instskip(SKIP_1) | instid1(VALU_DEP_1)
	v_fmac_f64_e32 v[72:73], v[56:57], v[74:75]
	s_wait_dscnt 0x0
	v_fmac_f64_e32 v[72:73], v[58:59], v[76:77]
	s_wait_loadcnt 0x2
	s_delay_alu instid0(VALU_DEP_1)
	v_fmac_f64_e32 v[72:73], v[60:61], v[78:79]
	ds_load_2addr_b64 v[54:57], v2 offset0:43 offset1:44
	ds_load_2addr_b64 v[58:61], v2 offset0:45 offset1:46
	s_wait_dscnt 0x1
	v_fmac_f64_e32 v[72:73], v[62:63], v[54:55]
	ds_load_b64 v[54:55], v2 offset:376
	s_wait_loadcnt 0x1
	v_fmac_f64_e32 v[72:73], v[64:65], v[56:57]
	s_wait_dscnt 0x1
	s_delay_alu instid0(VALU_DEP_1) | instskip(SKIP_1) | instid1(VALU_DEP_1)
	v_fmac_f64_e32 v[72:73], v[66:67], v[58:59]
	s_wait_loadcnt 0x0
	v_fmac_f64_e32 v[72:73], v[68:69], v[60:61]
	s_wait_dscnt 0x0
	s_delay_alu instid0(VALU_DEP_1) | instskip(NEXT) | instid1(VALU_DEP_1)
	v_fmac_f64_e32 v[72:73], v[70:71], v[54:55]
	v_add_f64_e64 v[52:53], v[52:53], -v[72:73]
	scratch_store_b64 off, v[52:53], off offset:112
	s_wait_xcnt 0x0
	v_cmpx_lt_u32_e32 13, v0
	s_cbranch_execz .LBB23_127
; %bb.126:
	scratch_load_b64 v[52:53], off, off offset:104
	v_mov_b64_e32 v[54:55], 0
	scratch_store_b64 off, v[54:55], off offset:104
	s_wait_loadcnt 0x0
	ds_store_b64 v1, v[52:53]
.LBB23_127:
	s_wait_xcnt 0x0
	s_or_b32 exec_lo, exec_lo, s0
	s_wait_storecnt_dscnt 0x0
	s_barrier_signal -1
	s_barrier_wait -1
	s_clause 0x5
	scratch_load_b128 v[52:55], off, off offset:104
	scratch_load_b128 v[56:59], off, off offset:120
	;; [unrolled: 1-line block ×5, first 2 shown]
	scratch_load_b64 v[80:81], off, off offset:184
	ds_load_b128 v[72:75], v2 offset:304
	ds_load_b128 v[76:79], v2 offset:320
	s_mov_b32 s0, exec_lo
	s_wait_loadcnt_dscnt 0x501
	v_fma_f64 v[72:73], v[54:55], v[72:73], 0
	s_wait_loadcnt 0x4
	s_delay_alu instid0(VALU_DEP_1) | instskip(SKIP_1) | instid1(VALU_DEP_1)
	v_fmac_f64_e32 v[72:73], v[56:57], v[74:75]
	s_wait_dscnt 0x0
	v_fmac_f64_e32 v[72:73], v[58:59], v[76:77]
	s_wait_loadcnt 0x3
	s_delay_alu instid0(VALU_DEP_1)
	v_fmac_f64_e32 v[72:73], v[60:61], v[78:79]
	ds_load_b128 v[54:57], v2 offset:336
	ds_load_b128 v[58:61], v2 offset:352
	s_wait_dscnt 0x1
	v_fmac_f64_e32 v[72:73], v[62:63], v[54:55]
	s_wait_loadcnt 0x2
	s_delay_alu instid0(VALU_DEP_1) | instskip(SKIP_4) | instid1(VALU_DEP_1)
	v_fmac_f64_e32 v[72:73], v[64:65], v[56:57]
	ds_load_b128 v[54:57], v2 offset:368
	s_wait_dscnt 0x1
	v_fmac_f64_e32 v[72:73], v[66:67], v[58:59]
	s_wait_loadcnt 0x1
	v_fmac_f64_e32 v[72:73], v[68:69], v[60:61]
	s_wait_dscnt 0x0
	s_delay_alu instid0(VALU_DEP_1) | instskip(SKIP_1) | instid1(VALU_DEP_1)
	v_fmac_f64_e32 v[72:73], v[70:71], v[54:55]
	s_wait_loadcnt 0x0
	v_fmac_f64_e32 v[72:73], v[80:81], v[56:57]
	s_delay_alu instid0(VALU_DEP_1)
	v_add_f64_e64 v[2:3], v[52:53], -v[72:73]
	scratch_store_b64 off, v[2:3], off offset:104
	s_wait_xcnt 0x0
	v_cmpx_lt_u32_e32 12, v0
	s_cbranch_execz .LBB23_129
; %bb.128:
	scratch_load_b64 v[2:3], off, off offset:96
	v_mov_b64_e32 v[52:53], 0
	scratch_store_b64 off, v[52:53], off offset:96
	s_wait_loadcnt 0x0
	ds_store_b64 v1, v[2:3]
.LBB23_129:
	s_wait_xcnt 0x0
	s_or_b32 exec_lo, exec_lo, s0
	s_wait_storecnt_dscnt 0x0
	s_barrier_signal -1
	s_barrier_wait -1
	s_clause 0x5
	scratch_load_b128 v[52:55], off, off offset:96
	scratch_load_b128 v[56:59], off, off offset:112
	;; [unrolled: 1-line block ×6, first 2 shown]
	v_mov_b32_e32 v2, 0
	ds_load_2addr_b64 v[76:79], v2 offset0:37 offset1:38
	ds_load_2addr_b64 v[80:83], v2 offset0:39 offset1:40
	s_mov_b32 s0, exec_lo
	s_wait_loadcnt_dscnt 0x501
	v_fma_f64 v[76:77], v[54:55], v[76:77], 0
	s_wait_loadcnt 0x4
	s_delay_alu instid0(VALU_DEP_1) | instskip(SKIP_1) | instid1(VALU_DEP_1)
	v_fmac_f64_e32 v[76:77], v[56:57], v[78:79]
	s_wait_dscnt 0x0
	v_fmac_f64_e32 v[76:77], v[58:59], v[80:81]
	s_wait_loadcnt 0x3
	s_delay_alu instid0(VALU_DEP_1)
	v_fmac_f64_e32 v[76:77], v[60:61], v[82:83]
	ds_load_2addr_b64 v[54:57], v2 offset0:41 offset1:42
	ds_load_2addr_b64 v[58:61], v2 offset0:43 offset1:44
	s_wait_dscnt 0x1
	v_fmac_f64_e32 v[76:77], v[62:63], v[54:55]
	s_wait_loadcnt 0x2
	s_delay_alu instid0(VALU_DEP_1) | instskip(SKIP_1) | instid1(VALU_DEP_1)
	v_fmac_f64_e32 v[76:77], v[64:65], v[56:57]
	s_wait_dscnt 0x0
	v_fmac_f64_e32 v[76:77], v[66:67], v[58:59]
	ds_load_2addr_b64 v[54:57], v2 offset0:45 offset1:46
	ds_load_b64 v[58:59], v2 offset:376
	s_wait_loadcnt 0x1
	v_fmac_f64_e32 v[76:77], v[68:69], v[60:61]
	s_wait_dscnt 0x1
	s_delay_alu instid0(VALU_DEP_1) | instskip(SKIP_1) | instid1(VALU_DEP_1)
	v_fmac_f64_e32 v[76:77], v[70:71], v[54:55]
	s_wait_loadcnt 0x0
	v_fmac_f64_e32 v[76:77], v[72:73], v[56:57]
	s_wait_dscnt 0x0
	s_delay_alu instid0(VALU_DEP_1) | instskip(NEXT) | instid1(VALU_DEP_1)
	v_fmac_f64_e32 v[76:77], v[74:75], v[58:59]
	v_add_f64_e64 v[52:53], v[52:53], -v[76:77]
	scratch_store_b64 off, v[52:53], off offset:96
	s_wait_xcnt 0x0
	v_cmpx_lt_u32_e32 11, v0
	s_cbranch_execz .LBB23_131
; %bb.130:
	scratch_load_b64 v[52:53], off, off offset:88
	v_mov_b64_e32 v[54:55], 0
	scratch_store_b64 off, v[54:55], off offset:88
	s_wait_loadcnt 0x0
	ds_store_b64 v1, v[52:53]
.LBB23_131:
	s_wait_xcnt 0x0
	s_or_b32 exec_lo, exec_lo, s0
	s_wait_storecnt_dscnt 0x0
	s_barrier_signal -1
	s_barrier_wait -1
	s_clause 0x5
	scratch_load_b128 v[52:55], off, off offset:88
	scratch_load_b128 v[56:59], off, off offset:104
	;; [unrolled: 1-line block ×6, first 2 shown]
	ds_load_b128 v[76:79], v2 offset:288
	ds_load_b128 v[80:83], v2 offset:304
	s_mov_b32 s0, exec_lo
	s_wait_loadcnt_dscnt 0x501
	v_fma_f64 v[76:77], v[54:55], v[76:77], 0
	s_wait_loadcnt 0x4
	s_delay_alu instid0(VALU_DEP_1) | instskip(SKIP_4) | instid1(VALU_DEP_1)
	v_fmac_f64_e32 v[76:77], v[56:57], v[78:79]
	scratch_load_b64 v[78:79], off, off offset:184
	s_wait_dscnt 0x0
	v_fmac_f64_e32 v[76:77], v[58:59], v[80:81]
	s_wait_loadcnt 0x4
	v_fmac_f64_e32 v[76:77], v[60:61], v[82:83]
	ds_load_b128 v[54:57], v2 offset:320
	ds_load_b128 v[58:61], v2 offset:336
	s_wait_dscnt 0x1
	v_fmac_f64_e32 v[76:77], v[62:63], v[54:55]
	s_wait_loadcnt 0x3
	s_delay_alu instid0(VALU_DEP_1) | instskip(SKIP_1) | instid1(VALU_DEP_1)
	v_fmac_f64_e32 v[76:77], v[64:65], v[56:57]
	s_wait_dscnt 0x0
	v_fmac_f64_e32 v[76:77], v[66:67], v[58:59]
	s_wait_loadcnt 0x2
	s_delay_alu instid0(VALU_DEP_1)
	v_fmac_f64_e32 v[76:77], v[68:69], v[60:61]
	ds_load_b128 v[54:57], v2 offset:352
	ds_load_b128 v[58:61], v2 offset:368
	s_wait_dscnt 0x1
	v_fmac_f64_e32 v[76:77], v[70:71], v[54:55]
	s_wait_loadcnt 0x1
	s_delay_alu instid0(VALU_DEP_1) | instskip(SKIP_1) | instid1(VALU_DEP_1)
	v_fmac_f64_e32 v[76:77], v[72:73], v[56:57]
	s_wait_dscnt 0x0
	v_fmac_f64_e32 v[76:77], v[74:75], v[58:59]
	s_wait_loadcnt 0x0
	s_delay_alu instid0(VALU_DEP_1) | instskip(NEXT) | instid1(VALU_DEP_1)
	v_fmac_f64_e32 v[76:77], v[78:79], v[60:61]
	v_add_f64_e64 v[2:3], v[52:53], -v[76:77]
	scratch_store_b64 off, v[2:3], off offset:88
	s_wait_xcnt 0x0
	v_cmpx_lt_u32_e32 10, v0
	s_cbranch_execz .LBB23_133
; %bb.132:
	scratch_load_b64 v[2:3], off, off offset:80
	v_mov_b64_e32 v[52:53], 0
	scratch_store_b64 off, v[52:53], off offset:80
	s_wait_loadcnt 0x0
	ds_store_b64 v1, v[2:3]
.LBB23_133:
	s_wait_xcnt 0x0
	s_or_b32 exec_lo, exec_lo, s0
	s_wait_storecnt_dscnt 0x0
	s_barrier_signal -1
	s_barrier_wait -1
	s_clause 0x5
	scratch_load_b128 v[52:55], off, off offset:80
	scratch_load_b128 v[56:59], off, off offset:96
	;; [unrolled: 1-line block ×6, first 2 shown]
	v_mov_b32_e32 v2, 0
	ds_load_2addr_b64 v[76:79], v2 offset0:35 offset1:36
	ds_load_2addr_b64 v[80:83], v2 offset0:37 offset1:38
	s_mov_b32 s0, exec_lo
	s_wait_loadcnt_dscnt 0x501
	v_fma_f64 v[84:85], v[54:55], v[76:77], 0
	s_wait_loadcnt 0x4
	s_delay_alu instid0(VALU_DEP_1) | instskip(SKIP_4) | instid1(VALU_DEP_1)
	v_fmac_f64_e32 v[84:85], v[56:57], v[78:79]
	scratch_load_b128 v[54:57], off, off offset:176
	s_wait_dscnt 0x0
	v_fmac_f64_e32 v[84:85], v[58:59], v[80:81]
	s_wait_loadcnt 0x4
	v_fmac_f64_e32 v[84:85], v[60:61], v[82:83]
	ds_load_2addr_b64 v[58:61], v2 offset0:39 offset1:40
	ds_load_2addr_b64 v[76:79], v2 offset0:41 offset1:42
	s_wait_dscnt 0x1
	v_fmac_f64_e32 v[84:85], v[62:63], v[58:59]
	s_wait_loadcnt 0x3
	s_delay_alu instid0(VALU_DEP_1)
	v_fmac_f64_e32 v[84:85], v[64:65], v[60:61]
	ds_load_2addr_b64 v[58:61], v2 offset0:43 offset1:44
	ds_load_2addr_b64 v[62:65], v2 offset0:45 offset1:46
	s_wait_dscnt 0x2
	v_fmac_f64_e32 v[84:85], v[66:67], v[76:77]
	s_wait_loadcnt 0x2
	s_delay_alu instid0(VALU_DEP_1) | instskip(SKIP_1) | instid1(VALU_DEP_1)
	v_fmac_f64_e32 v[84:85], v[68:69], v[78:79]
	s_wait_dscnt 0x1
	v_fmac_f64_e32 v[84:85], v[70:71], v[58:59]
	s_wait_loadcnt 0x1
	s_delay_alu instid0(VALU_DEP_1) | instskip(SKIP_1) | instid1(VALU_DEP_1)
	v_fmac_f64_e32 v[84:85], v[72:73], v[60:61]
	s_wait_dscnt 0x0
	v_fmac_f64_e32 v[84:85], v[74:75], v[62:63]
	s_wait_loadcnt 0x0
	s_delay_alu instid0(VALU_DEP_1) | instskip(SKIP_3) | instid1(VALU_DEP_1)
	v_fmac_f64_e32 v[84:85], v[54:55], v[64:65]
	ds_load_b64 v[54:55], v2 offset:376
	s_wait_dscnt 0x0
	v_fmac_f64_e32 v[84:85], v[56:57], v[54:55]
	v_add_f64_e64 v[52:53], v[52:53], -v[84:85]
	scratch_store_b64 off, v[52:53], off offset:80
	s_wait_xcnt 0x0
	v_cmpx_lt_u32_e32 9, v0
	s_cbranch_execz .LBB23_135
; %bb.134:
	scratch_load_b64 v[52:53], off, off offset:72
	v_mov_b64_e32 v[54:55], 0
	scratch_store_b64 off, v[54:55], off offset:72
	s_wait_loadcnt 0x0
	ds_store_b64 v1, v[52:53]
.LBB23_135:
	s_wait_xcnt 0x0
	s_or_b32 exec_lo, exec_lo, s0
	s_wait_storecnt_dscnt 0x0
	s_barrier_signal -1
	s_barrier_wait -1
	s_clause 0x5
	scratch_load_b128 v[52:55], off, off offset:72
	scratch_load_b128 v[56:59], off, off offset:88
	;; [unrolled: 1-line block ×6, first 2 shown]
	ds_load_b128 v[76:79], v2 offset:272
	ds_load_b128 v[80:83], v2 offset:288
	s_mov_b32 s0, exec_lo
	s_wait_loadcnt_dscnt 0x501
	v_fma_f64 v[84:85], v[54:55], v[76:77], 0
	s_wait_loadcnt 0x4
	s_delay_alu instid0(VALU_DEP_1)
	v_fmac_f64_e32 v[84:85], v[56:57], v[78:79]
	scratch_load_b128 v[54:57], off, off offset:168
	s_wait_dscnt 0x0
	v_fmac_f64_e32 v[84:85], v[58:59], v[80:81]
	scratch_load_b64 v[80:81], off, off offset:184
	s_wait_loadcnt 0x5
	v_fmac_f64_e32 v[84:85], v[60:61], v[82:83]
	ds_load_b128 v[58:61], v2 offset:304
	ds_load_b128 v[76:79], v2 offset:320
	s_wait_dscnt 0x1
	v_fmac_f64_e32 v[84:85], v[62:63], v[58:59]
	s_wait_loadcnt 0x4
	s_delay_alu instid0(VALU_DEP_1)
	v_fmac_f64_e32 v[84:85], v[64:65], v[60:61]
	ds_load_b128 v[58:61], v2 offset:336
	ds_load_b128 v[62:65], v2 offset:352
	s_wait_dscnt 0x2
	v_fmac_f64_e32 v[84:85], v[66:67], v[76:77]
	s_wait_loadcnt 0x3
	s_delay_alu instid0(VALU_DEP_1) | instskip(SKIP_1) | instid1(VALU_DEP_1)
	v_fmac_f64_e32 v[84:85], v[68:69], v[78:79]
	s_wait_dscnt 0x1
	v_fmac_f64_e32 v[84:85], v[70:71], v[58:59]
	s_wait_loadcnt 0x2
	s_delay_alu instid0(VALU_DEP_1) | instskip(SKIP_4) | instid1(VALU_DEP_1)
	v_fmac_f64_e32 v[84:85], v[72:73], v[60:61]
	ds_load_b128 v[58:61], v2 offset:368
	s_wait_dscnt 0x1
	v_fmac_f64_e32 v[84:85], v[74:75], v[62:63]
	s_wait_loadcnt 0x1
	v_fmac_f64_e32 v[84:85], v[54:55], v[64:65]
	s_wait_dscnt 0x0
	s_delay_alu instid0(VALU_DEP_1) | instskip(SKIP_1) | instid1(VALU_DEP_1)
	v_fmac_f64_e32 v[84:85], v[56:57], v[58:59]
	s_wait_loadcnt 0x0
	v_fmac_f64_e32 v[84:85], v[80:81], v[60:61]
	s_delay_alu instid0(VALU_DEP_1)
	v_add_f64_e64 v[2:3], v[52:53], -v[84:85]
	scratch_store_b64 off, v[2:3], off offset:72
	s_wait_xcnt 0x0
	v_cmpx_lt_u32_e32 8, v0
	s_cbranch_execz .LBB23_137
; %bb.136:
	scratch_load_b64 v[2:3], off, off offset:64
	v_mov_b64_e32 v[52:53], 0
	scratch_store_b64 off, v[52:53], off offset:64
	s_wait_loadcnt 0x0
	ds_store_b64 v1, v[2:3]
.LBB23_137:
	s_wait_xcnt 0x0
	s_or_b32 exec_lo, exec_lo, s0
	s_wait_storecnt_dscnt 0x0
	s_barrier_signal -1
	s_barrier_wait -1
	s_clause 0x5
	scratch_load_b128 v[52:55], off, off offset:64
	scratch_load_b128 v[56:59], off, off offset:80
	;; [unrolled: 1-line block ×6, first 2 shown]
	v_mov_b32_e32 v2, 0
	ds_load_2addr_b64 v[76:79], v2 offset0:33 offset1:34
	ds_load_2addr_b64 v[80:83], v2 offset0:35 offset1:36
	s_mov_b32 s0, exec_lo
	s_wait_loadcnt_dscnt 0x501
	v_fma_f64 v[84:85], v[54:55], v[76:77], 0
	s_wait_loadcnt 0x4
	s_delay_alu instid0(VALU_DEP_1) | instskip(SKIP_4) | instid1(VALU_DEP_1)
	v_fmac_f64_e32 v[84:85], v[56:57], v[78:79]
	scratch_load_b128 v[54:57], off, off offset:160
	s_wait_dscnt 0x0
	v_fmac_f64_e32 v[84:85], v[58:59], v[80:81]
	s_wait_loadcnt 0x4
	v_fmac_f64_e32 v[84:85], v[60:61], v[82:83]
	scratch_load_b128 v[58:61], off, off offset:176
	ds_load_2addr_b64 v[76:79], v2 offset0:37 offset1:38
	ds_load_2addr_b64 v[80:83], v2 offset0:39 offset1:40
	s_wait_dscnt 0x1
	v_fmac_f64_e32 v[84:85], v[62:63], v[76:77]
	s_wait_loadcnt 0x4
	s_delay_alu instid0(VALU_DEP_1) | instskip(SKIP_1) | instid1(VALU_DEP_1)
	v_fmac_f64_e32 v[84:85], v[64:65], v[78:79]
	s_wait_dscnt 0x0
	v_fmac_f64_e32 v[84:85], v[66:67], v[80:81]
	s_wait_loadcnt 0x3
	s_delay_alu instid0(VALU_DEP_1)
	v_fmac_f64_e32 v[84:85], v[68:69], v[82:83]
	ds_load_2addr_b64 v[62:65], v2 offset0:41 offset1:42
	ds_load_2addr_b64 v[66:69], v2 offset0:43 offset1:44
	s_wait_dscnt 0x1
	v_fmac_f64_e32 v[84:85], v[70:71], v[62:63]
	s_wait_loadcnt 0x2
	s_delay_alu instid0(VALU_DEP_1) | instskip(SKIP_1) | instid1(VALU_DEP_1)
	v_fmac_f64_e32 v[84:85], v[72:73], v[64:65]
	s_wait_dscnt 0x0
	v_fmac_f64_e32 v[84:85], v[74:75], v[66:67]
	s_wait_loadcnt 0x1
	s_delay_alu instid0(VALU_DEP_1)
	v_fmac_f64_e32 v[84:85], v[54:55], v[68:69]
	ds_load_2addr_b64 v[62:65], v2 offset0:45 offset1:46
	ds_load_b64 v[54:55], v2 offset:376
	s_wait_dscnt 0x1
	v_fmac_f64_e32 v[84:85], v[56:57], v[62:63]
	s_wait_loadcnt 0x0
	s_delay_alu instid0(VALU_DEP_1) | instskip(SKIP_1) | instid1(VALU_DEP_1)
	v_fmac_f64_e32 v[84:85], v[58:59], v[64:65]
	s_wait_dscnt 0x0
	v_fmac_f64_e32 v[84:85], v[60:61], v[54:55]
	s_delay_alu instid0(VALU_DEP_1)
	v_add_f64_e64 v[52:53], v[52:53], -v[84:85]
	scratch_store_b64 off, v[52:53], off offset:64
	s_wait_xcnt 0x0
	v_cmpx_lt_u32_e32 7, v0
	s_cbranch_execz .LBB23_139
; %bb.138:
	scratch_load_b64 v[52:53], off, off offset:56
	v_mov_b64_e32 v[54:55], 0
	scratch_store_b64 off, v[54:55], off offset:56
	s_wait_loadcnt 0x0
	ds_store_b64 v1, v[52:53]
.LBB23_139:
	s_wait_xcnt 0x0
	s_or_b32 exec_lo, exec_lo, s0
	s_wait_storecnt_dscnt 0x0
	s_barrier_signal -1
	s_barrier_wait -1
	s_clause 0x5
	scratch_load_b128 v[52:55], off, off offset:56
	scratch_load_b128 v[56:59], off, off offset:72
	;; [unrolled: 1-line block ×6, first 2 shown]
	ds_load_b128 v[76:79], v2 offset:256
	ds_load_b128 v[80:83], v2 offset:272
	s_mov_b32 s0, exec_lo
	s_wait_loadcnt_dscnt 0x501
	v_fma_f64 v[84:85], v[54:55], v[76:77], 0
	s_wait_loadcnt 0x4
	s_delay_alu instid0(VALU_DEP_1) | instskip(SKIP_4) | instid1(VALU_DEP_1)
	v_fmac_f64_e32 v[84:85], v[56:57], v[78:79]
	scratch_load_b128 v[54:57], off, off offset:152
	s_wait_dscnt 0x0
	v_fmac_f64_e32 v[84:85], v[58:59], v[80:81]
	s_wait_loadcnt 0x4
	v_fmac_f64_e32 v[84:85], v[60:61], v[82:83]
	scratch_load_b128 v[58:61], off, off offset:168
	ds_load_b128 v[76:79], v2 offset:288
	ds_load_b128 v[80:83], v2 offset:304
	s_wait_dscnt 0x1
	v_fmac_f64_e32 v[84:85], v[62:63], v[76:77]
	scratch_load_b64 v[76:77], off, off offset:184
	s_wait_loadcnt 0x5
	v_fmac_f64_e32 v[84:85], v[64:65], v[78:79]
	s_wait_dscnt 0x0
	s_delay_alu instid0(VALU_DEP_1) | instskip(SKIP_1) | instid1(VALU_DEP_1)
	v_fmac_f64_e32 v[84:85], v[66:67], v[80:81]
	s_wait_loadcnt 0x4
	v_fmac_f64_e32 v[84:85], v[68:69], v[82:83]
	ds_load_b128 v[62:65], v2 offset:320
	ds_load_b128 v[66:69], v2 offset:336
	s_wait_dscnt 0x1
	v_fmac_f64_e32 v[84:85], v[70:71], v[62:63]
	s_wait_loadcnt 0x3
	s_delay_alu instid0(VALU_DEP_1) | instskip(SKIP_1) | instid1(VALU_DEP_1)
	v_fmac_f64_e32 v[84:85], v[72:73], v[64:65]
	s_wait_dscnt 0x0
	v_fmac_f64_e32 v[84:85], v[74:75], v[66:67]
	s_wait_loadcnt 0x2
	s_delay_alu instid0(VALU_DEP_1)
	v_fmac_f64_e32 v[84:85], v[54:55], v[68:69]
	ds_load_b128 v[62:65], v2 offset:352
	ds_load_b128 v[66:69], v2 offset:368
	s_wait_dscnt 0x1
	v_fmac_f64_e32 v[84:85], v[56:57], v[62:63]
	s_wait_loadcnt 0x1
	s_delay_alu instid0(VALU_DEP_1) | instskip(SKIP_1) | instid1(VALU_DEP_1)
	v_fmac_f64_e32 v[84:85], v[58:59], v[64:65]
	s_wait_dscnt 0x0
	v_fmac_f64_e32 v[84:85], v[60:61], v[66:67]
	s_wait_loadcnt 0x0
	s_delay_alu instid0(VALU_DEP_1) | instskip(NEXT) | instid1(VALU_DEP_1)
	v_fmac_f64_e32 v[84:85], v[76:77], v[68:69]
	v_add_f64_e64 v[2:3], v[52:53], -v[84:85]
	scratch_store_b64 off, v[2:3], off offset:56
	s_wait_xcnt 0x0
	v_cmpx_lt_u32_e32 6, v0
	s_cbranch_execz .LBB23_141
; %bb.140:
	scratch_load_b64 v[2:3], off, off offset:48
	v_mov_b64_e32 v[52:53], 0
	scratch_store_b64 off, v[52:53], off offset:48
	s_wait_loadcnt 0x0
	ds_store_b64 v1, v[2:3]
.LBB23_141:
	s_wait_xcnt 0x0
	s_or_b32 exec_lo, exec_lo, s0
	s_wait_storecnt_dscnt 0x0
	s_barrier_signal -1
	s_barrier_wait -1
	s_clause 0x5
	scratch_load_b128 v[52:55], off, off offset:48
	scratch_load_b128 v[56:59], off, off offset:64
	;; [unrolled: 1-line block ×6, first 2 shown]
	v_mov_b32_e32 v2, 0
	ds_load_2addr_b64 v[76:79], v2 offset0:31 offset1:32
	ds_load_2addr_b64 v[80:83], v2 offset0:33 offset1:34
	s_mov_b32 s0, exec_lo
	s_wait_loadcnt_dscnt 0x501
	v_fma_f64 v[84:85], v[54:55], v[76:77], 0
	s_wait_loadcnt 0x4
	s_delay_alu instid0(VALU_DEP_1) | instskip(SKIP_4) | instid1(VALU_DEP_1)
	v_fmac_f64_e32 v[84:85], v[56:57], v[78:79]
	scratch_load_b128 v[54:57], off, off offset:144
	s_wait_dscnt 0x0
	v_fmac_f64_e32 v[84:85], v[58:59], v[80:81]
	s_wait_loadcnt 0x4
	v_fmac_f64_e32 v[84:85], v[60:61], v[82:83]
	scratch_load_b128 v[58:61], off, off offset:160
	ds_load_2addr_b64 v[76:79], v2 offset0:35 offset1:36
	ds_load_2addr_b64 v[80:83], v2 offset0:37 offset1:38
	s_wait_dscnt 0x1
	v_fmac_f64_e32 v[84:85], v[62:63], v[76:77]
	s_wait_loadcnt 0x4
	s_delay_alu instid0(VALU_DEP_1) | instskip(SKIP_4) | instid1(VALU_DEP_1)
	v_fmac_f64_e32 v[84:85], v[64:65], v[78:79]
	scratch_load_b128 v[62:65], off, off offset:176
	s_wait_dscnt 0x0
	v_fmac_f64_e32 v[84:85], v[66:67], v[80:81]
	s_wait_loadcnt 0x4
	v_fmac_f64_e32 v[84:85], v[68:69], v[82:83]
	ds_load_2addr_b64 v[66:69], v2 offset0:39 offset1:40
	ds_load_2addr_b64 v[76:79], v2 offset0:41 offset1:42
	s_wait_dscnt 0x1
	v_fmac_f64_e32 v[84:85], v[70:71], v[66:67]
	s_wait_loadcnt 0x3
	s_delay_alu instid0(VALU_DEP_1)
	v_fmac_f64_e32 v[84:85], v[72:73], v[68:69]
	ds_load_2addr_b64 v[66:69], v2 offset0:43 offset1:44
	ds_load_2addr_b64 v[70:73], v2 offset0:45 offset1:46
	s_wait_dscnt 0x2
	v_fmac_f64_e32 v[84:85], v[74:75], v[76:77]
	s_wait_loadcnt 0x2
	s_delay_alu instid0(VALU_DEP_1) | instskip(SKIP_4) | instid1(VALU_DEP_1)
	v_fmac_f64_e32 v[84:85], v[54:55], v[78:79]
	ds_load_b64 v[54:55], v2 offset:376
	s_wait_dscnt 0x2
	v_fmac_f64_e32 v[84:85], v[56:57], v[66:67]
	s_wait_loadcnt 0x1
	v_fmac_f64_e32 v[84:85], v[58:59], v[68:69]
	s_wait_dscnt 0x1
	s_delay_alu instid0(VALU_DEP_1) | instskip(SKIP_1) | instid1(VALU_DEP_1)
	v_fmac_f64_e32 v[84:85], v[60:61], v[70:71]
	s_wait_loadcnt 0x0
	v_fmac_f64_e32 v[84:85], v[62:63], v[72:73]
	s_wait_dscnt 0x0
	s_delay_alu instid0(VALU_DEP_1) | instskip(NEXT) | instid1(VALU_DEP_1)
	v_fmac_f64_e32 v[84:85], v[64:65], v[54:55]
	v_add_f64_e64 v[52:53], v[52:53], -v[84:85]
	scratch_store_b64 off, v[52:53], off offset:48
	s_wait_xcnt 0x0
	v_cmpx_lt_u32_e32 5, v0
	s_cbranch_execz .LBB23_143
; %bb.142:
	scratch_load_b64 v[52:53], off, off offset:40
	v_mov_b64_e32 v[54:55], 0
	scratch_store_b64 off, v[54:55], off offset:40
	s_wait_loadcnt 0x0
	ds_store_b64 v1, v[52:53]
.LBB23_143:
	s_wait_xcnt 0x0
	s_or_b32 exec_lo, exec_lo, s0
	s_wait_storecnt_dscnt 0x0
	s_barrier_signal -1
	s_barrier_wait -1
	s_clause 0x5
	scratch_load_b128 v[52:55], off, off offset:40
	scratch_load_b128 v[56:59], off, off offset:56
	;; [unrolled: 1-line block ×6, first 2 shown]
	ds_load_b128 v[76:79], v2 offset:240
	ds_load_b128 v[80:83], v2 offset:256
	s_mov_b32 s0, exec_lo
	s_wait_loadcnt_dscnt 0x501
	v_fma_f64 v[84:85], v[54:55], v[76:77], 0
	s_wait_loadcnt 0x4
	s_delay_alu instid0(VALU_DEP_1) | instskip(SKIP_4) | instid1(VALU_DEP_1)
	v_fmac_f64_e32 v[84:85], v[56:57], v[78:79]
	scratch_load_b128 v[54:57], off, off offset:136
	s_wait_dscnt 0x0
	v_fmac_f64_e32 v[84:85], v[58:59], v[80:81]
	s_wait_loadcnt 0x4
	v_fmac_f64_e32 v[84:85], v[60:61], v[82:83]
	scratch_load_b128 v[58:61], off, off offset:152
	ds_load_b128 v[76:79], v2 offset:272
	ds_load_b128 v[80:83], v2 offset:288
	s_wait_dscnt 0x1
	v_fmac_f64_e32 v[84:85], v[62:63], v[76:77]
	s_wait_loadcnt 0x4
	s_delay_alu instid0(VALU_DEP_1)
	v_fmac_f64_e32 v[84:85], v[64:65], v[78:79]
	scratch_load_b128 v[62:65], off, off offset:168
	s_wait_dscnt 0x0
	v_fmac_f64_e32 v[84:85], v[66:67], v[80:81]
	scratch_load_b64 v[80:81], off, off offset:184
	s_wait_loadcnt 0x5
	v_fmac_f64_e32 v[84:85], v[68:69], v[82:83]
	ds_load_b128 v[66:69], v2 offset:304
	ds_load_b128 v[76:79], v2 offset:320
	s_wait_dscnt 0x1
	v_fmac_f64_e32 v[84:85], v[70:71], v[66:67]
	s_wait_loadcnt 0x4
	s_delay_alu instid0(VALU_DEP_1)
	v_fmac_f64_e32 v[84:85], v[72:73], v[68:69]
	ds_load_b128 v[66:69], v2 offset:336
	ds_load_b128 v[70:73], v2 offset:352
	s_wait_dscnt 0x2
	v_fmac_f64_e32 v[84:85], v[74:75], v[76:77]
	s_wait_loadcnt 0x3
	s_delay_alu instid0(VALU_DEP_1) | instskip(SKIP_1) | instid1(VALU_DEP_1)
	v_fmac_f64_e32 v[84:85], v[54:55], v[78:79]
	s_wait_dscnt 0x1
	v_fmac_f64_e32 v[84:85], v[56:57], v[66:67]
	ds_load_b128 v[54:57], v2 offset:368
	s_wait_loadcnt 0x2
	v_fmac_f64_e32 v[84:85], v[58:59], v[68:69]
	s_wait_dscnt 0x1
	s_delay_alu instid0(VALU_DEP_1) | instskip(SKIP_1) | instid1(VALU_DEP_1)
	v_fmac_f64_e32 v[84:85], v[60:61], v[70:71]
	s_wait_loadcnt 0x1
	v_fmac_f64_e32 v[84:85], v[62:63], v[72:73]
	s_wait_dscnt 0x0
	s_delay_alu instid0(VALU_DEP_1) | instskip(SKIP_1) | instid1(VALU_DEP_1)
	v_fmac_f64_e32 v[84:85], v[64:65], v[54:55]
	s_wait_loadcnt 0x0
	v_fmac_f64_e32 v[84:85], v[80:81], v[56:57]
	s_delay_alu instid0(VALU_DEP_1)
	v_add_f64_e64 v[2:3], v[52:53], -v[84:85]
	scratch_store_b64 off, v[2:3], off offset:40
	s_wait_xcnt 0x0
	v_cmpx_lt_u32_e32 4, v0
	s_cbranch_execz .LBB23_145
; %bb.144:
	scratch_load_b64 v[2:3], off, off offset:32
	v_mov_b64_e32 v[52:53], 0
	scratch_store_b64 off, v[52:53], off offset:32
	s_wait_loadcnt 0x0
	ds_store_b64 v1, v[2:3]
.LBB23_145:
	s_wait_xcnt 0x0
	s_or_b32 exec_lo, exec_lo, s0
	s_wait_storecnt_dscnt 0x0
	s_barrier_signal -1
	s_barrier_wait -1
	s_clause 0x5
	scratch_load_b128 v[52:55], off, off offset:32
	scratch_load_b128 v[56:59], off, off offset:48
	;; [unrolled: 1-line block ×6, first 2 shown]
	v_mov_b32_e32 v2, 0
	ds_load_2addr_b64 v[76:79], v2 offset0:29 offset1:30
	ds_load_2addr_b64 v[80:83], v2 offset0:31 offset1:32
	s_mov_b32 s0, exec_lo
	s_wait_loadcnt_dscnt 0x501
	v_fma_f64 v[84:85], v[54:55], v[76:77], 0
	s_wait_loadcnt 0x4
	s_delay_alu instid0(VALU_DEP_1) | instskip(SKIP_4) | instid1(VALU_DEP_1)
	v_fmac_f64_e32 v[84:85], v[56:57], v[78:79]
	scratch_load_b128 v[54:57], off, off offset:128
	s_wait_dscnt 0x0
	v_fmac_f64_e32 v[84:85], v[58:59], v[80:81]
	s_wait_loadcnt 0x4
	v_fmac_f64_e32 v[84:85], v[60:61], v[82:83]
	scratch_load_b128 v[58:61], off, off offset:144
	ds_load_2addr_b64 v[76:79], v2 offset0:33 offset1:34
	ds_load_2addr_b64 v[80:83], v2 offset0:35 offset1:36
	s_wait_dscnt 0x1
	v_fmac_f64_e32 v[84:85], v[62:63], v[76:77]
	s_wait_loadcnt 0x4
	s_delay_alu instid0(VALU_DEP_1) | instskip(SKIP_4) | instid1(VALU_DEP_1)
	v_fmac_f64_e32 v[84:85], v[64:65], v[78:79]
	scratch_load_b128 v[62:65], off, off offset:160
	s_wait_dscnt 0x0
	v_fmac_f64_e32 v[84:85], v[66:67], v[80:81]
	s_wait_loadcnt 0x4
	v_fmac_f64_e32 v[84:85], v[68:69], v[82:83]
	scratch_load_b128 v[66:69], off, off offset:176
	ds_load_2addr_b64 v[76:79], v2 offset0:37 offset1:38
	ds_load_2addr_b64 v[80:83], v2 offset0:39 offset1:40
	s_wait_dscnt 0x1
	v_fmac_f64_e32 v[84:85], v[70:71], v[76:77]
	s_wait_loadcnt 0x4
	s_delay_alu instid0(VALU_DEP_1) | instskip(SKIP_1) | instid1(VALU_DEP_1)
	v_fmac_f64_e32 v[84:85], v[72:73], v[78:79]
	s_wait_dscnt 0x0
	v_fmac_f64_e32 v[84:85], v[74:75], v[80:81]
	ds_load_2addr_b64 v[70:73], v2 offset0:41 offset1:42
	ds_load_2addr_b64 v[74:77], v2 offset0:43 offset1:44
	s_wait_loadcnt 0x3
	v_fmac_f64_e32 v[84:85], v[54:55], v[82:83]
	s_wait_dscnt 0x1
	s_delay_alu instid0(VALU_DEP_1) | instskip(SKIP_1) | instid1(VALU_DEP_1)
	v_fmac_f64_e32 v[84:85], v[56:57], v[70:71]
	s_wait_loadcnt 0x2
	v_fmac_f64_e32 v[84:85], v[58:59], v[72:73]
	ds_load_2addr_b64 v[54:57], v2 offset0:45 offset1:46
	ds_load_b64 v[58:59], v2 offset:376
	s_wait_dscnt 0x2
	v_fmac_f64_e32 v[84:85], v[60:61], v[74:75]
	s_wait_loadcnt 0x1
	s_delay_alu instid0(VALU_DEP_1) | instskip(SKIP_1) | instid1(VALU_DEP_1)
	v_fmac_f64_e32 v[84:85], v[62:63], v[76:77]
	s_wait_dscnt 0x1
	v_fmac_f64_e32 v[84:85], v[64:65], v[54:55]
	s_wait_loadcnt 0x0
	s_delay_alu instid0(VALU_DEP_1) | instskip(SKIP_1) | instid1(VALU_DEP_1)
	v_fmac_f64_e32 v[84:85], v[66:67], v[56:57]
	s_wait_dscnt 0x0
	v_fmac_f64_e32 v[84:85], v[68:69], v[58:59]
	s_delay_alu instid0(VALU_DEP_1)
	v_add_f64_e64 v[52:53], v[52:53], -v[84:85]
	scratch_store_b64 off, v[52:53], off offset:32
	s_wait_xcnt 0x0
	v_cmpx_lt_u32_e32 3, v0
	s_cbranch_execz .LBB23_147
; %bb.146:
	scratch_load_b64 v[52:53], off, off offset:24
	v_mov_b64_e32 v[54:55], 0
	scratch_store_b64 off, v[54:55], off offset:24
	s_wait_loadcnt 0x0
	ds_store_b64 v1, v[52:53]
.LBB23_147:
	s_wait_xcnt 0x0
	s_or_b32 exec_lo, exec_lo, s0
	s_wait_storecnt_dscnt 0x0
	s_barrier_signal -1
	s_barrier_wait -1
	s_clause 0x5
	scratch_load_b128 v[52:55], off, off offset:24
	scratch_load_b128 v[56:59], off, off offset:40
	;; [unrolled: 1-line block ×6, first 2 shown]
	ds_load_b128 v[76:79], v2 offset:224
	ds_load_b128 v[80:83], v2 offset:240
	s_mov_b32 s0, exec_lo
	s_wait_loadcnt_dscnt 0x501
	v_fma_f64 v[84:85], v[54:55], v[76:77], 0
	s_wait_loadcnt 0x4
	s_delay_alu instid0(VALU_DEP_1) | instskip(SKIP_4) | instid1(VALU_DEP_1)
	v_fmac_f64_e32 v[84:85], v[56:57], v[78:79]
	scratch_load_b128 v[54:57], off, off offset:120
	s_wait_dscnt 0x0
	v_fmac_f64_e32 v[84:85], v[58:59], v[80:81]
	s_wait_loadcnt 0x4
	v_fmac_f64_e32 v[84:85], v[60:61], v[82:83]
	scratch_load_b128 v[58:61], off, off offset:136
	ds_load_b128 v[76:79], v2 offset:256
	ds_load_b128 v[80:83], v2 offset:272
	s_wait_dscnt 0x1
	v_fmac_f64_e32 v[84:85], v[62:63], v[76:77]
	s_wait_loadcnt 0x4
	s_delay_alu instid0(VALU_DEP_1) | instskip(SKIP_4) | instid1(VALU_DEP_1)
	v_fmac_f64_e32 v[84:85], v[64:65], v[78:79]
	scratch_load_b128 v[62:65], off, off offset:152
	s_wait_dscnt 0x0
	v_fmac_f64_e32 v[84:85], v[66:67], v[80:81]
	s_wait_loadcnt 0x4
	v_fmac_f64_e32 v[84:85], v[68:69], v[82:83]
	scratch_load_b128 v[66:69], off, off offset:168
	ds_load_b128 v[76:79], v2 offset:288
	ds_load_b128 v[80:83], v2 offset:304
	s_wait_dscnt 0x1
	v_fmac_f64_e32 v[84:85], v[70:71], v[76:77]
	s_wait_loadcnt 0x4
	s_delay_alu instid0(VALU_DEP_1)
	v_fmac_f64_e32 v[84:85], v[72:73], v[78:79]
	scratch_load_b64 v[78:79], off, off offset:184
	s_wait_dscnt 0x0
	v_fmac_f64_e32 v[84:85], v[74:75], v[80:81]
	ds_load_b128 v[70:73], v2 offset:320
	ds_load_b128 v[74:77], v2 offset:336
	s_wait_loadcnt 0x4
	v_fmac_f64_e32 v[84:85], v[54:55], v[82:83]
	s_wait_dscnt 0x1
	s_delay_alu instid0(VALU_DEP_1) | instskip(SKIP_1) | instid1(VALU_DEP_1)
	v_fmac_f64_e32 v[84:85], v[56:57], v[70:71]
	s_wait_loadcnt 0x3
	v_fmac_f64_e32 v[84:85], v[58:59], v[72:73]
	s_wait_dscnt 0x0
	s_delay_alu instid0(VALU_DEP_1)
	v_fmac_f64_e32 v[84:85], v[60:61], v[74:75]
	ds_load_b128 v[54:57], v2 offset:352
	ds_load_b128 v[58:61], v2 offset:368
	s_wait_loadcnt 0x2
	v_fmac_f64_e32 v[84:85], v[62:63], v[76:77]
	s_wait_dscnt 0x1
	s_delay_alu instid0(VALU_DEP_1) | instskip(SKIP_1) | instid1(VALU_DEP_1)
	v_fmac_f64_e32 v[84:85], v[64:65], v[54:55]
	s_wait_loadcnt 0x1
	v_fmac_f64_e32 v[84:85], v[66:67], v[56:57]
	s_wait_dscnt 0x0
	s_delay_alu instid0(VALU_DEP_1) | instskip(SKIP_1) | instid1(VALU_DEP_1)
	v_fmac_f64_e32 v[84:85], v[68:69], v[58:59]
	s_wait_loadcnt 0x0
	v_fmac_f64_e32 v[84:85], v[78:79], v[60:61]
	s_delay_alu instid0(VALU_DEP_1)
	v_add_f64_e64 v[2:3], v[52:53], -v[84:85]
	scratch_store_b64 off, v[2:3], off offset:24
	s_wait_xcnt 0x0
	v_cmpx_lt_u32_e32 2, v0
	s_cbranch_execz .LBB23_149
; %bb.148:
	scratch_load_b64 v[2:3], off, off offset:16
	v_mov_b64_e32 v[52:53], 0
	scratch_store_b64 off, v[52:53], off offset:16
	s_wait_loadcnt 0x0
	ds_store_b64 v1, v[2:3]
.LBB23_149:
	s_wait_xcnt 0x0
	s_or_b32 exec_lo, exec_lo, s0
	s_wait_storecnt_dscnt 0x0
	s_barrier_signal -1
	s_barrier_wait -1
	s_clause 0x5
	scratch_load_b128 v[52:55], off, off offset:16
	scratch_load_b128 v[56:59], off, off offset:32
	;; [unrolled: 1-line block ×6, first 2 shown]
	v_mov_b32_e32 v2, 0
	ds_load_2addr_b64 v[76:79], v2 offset0:27 offset1:28
	ds_load_2addr_b64 v[80:83], v2 offset0:29 offset1:30
	s_mov_b32 s0, exec_lo
	s_wait_loadcnt_dscnt 0x501
	v_fma_f64 v[84:85], v[54:55], v[76:77], 0
	s_wait_loadcnt 0x4
	s_delay_alu instid0(VALU_DEP_1) | instskip(SKIP_4) | instid1(VALU_DEP_1)
	v_fmac_f64_e32 v[84:85], v[56:57], v[78:79]
	scratch_load_b128 v[54:57], off, off offset:112
	s_wait_dscnt 0x0
	v_fmac_f64_e32 v[84:85], v[58:59], v[80:81]
	s_wait_loadcnt 0x4
	v_fmac_f64_e32 v[84:85], v[60:61], v[82:83]
	scratch_load_b128 v[58:61], off, off offset:128
	ds_load_2addr_b64 v[76:79], v2 offset0:31 offset1:32
	ds_load_2addr_b64 v[80:83], v2 offset0:33 offset1:34
	s_wait_dscnt 0x1
	v_fmac_f64_e32 v[84:85], v[62:63], v[76:77]
	s_wait_loadcnt 0x4
	s_delay_alu instid0(VALU_DEP_1) | instskip(SKIP_4) | instid1(VALU_DEP_1)
	v_fmac_f64_e32 v[84:85], v[64:65], v[78:79]
	scratch_load_b128 v[62:65], off, off offset:144
	s_wait_dscnt 0x0
	v_fmac_f64_e32 v[84:85], v[66:67], v[80:81]
	s_wait_loadcnt 0x4
	v_fmac_f64_e32 v[84:85], v[68:69], v[82:83]
	scratch_load_b128 v[66:69], off, off offset:160
	ds_load_2addr_b64 v[76:79], v2 offset0:35 offset1:36
	ds_load_2addr_b64 v[80:83], v2 offset0:37 offset1:38
	s_wait_dscnt 0x1
	v_fmac_f64_e32 v[84:85], v[70:71], v[76:77]
	s_wait_loadcnt 0x4
	s_delay_alu instid0(VALU_DEP_1)
	v_fmac_f64_e32 v[84:85], v[72:73], v[78:79]
	scratch_load_b128 v[70:73], off, off offset:176
	s_wait_dscnt 0x0
	v_fmac_f64_e32 v[84:85], v[74:75], v[80:81]
	ds_load_2addr_b64 v[74:77], v2 offset0:39 offset1:40
	ds_load_2addr_b64 v[78:81], v2 offset0:41 offset1:42
	s_wait_loadcnt 0x4
	v_fmac_f64_e32 v[84:85], v[54:55], v[82:83]
	s_wait_dscnt 0x1
	s_delay_alu instid0(VALU_DEP_1) | instskip(SKIP_1) | instid1(VALU_DEP_1)
	v_fmac_f64_e32 v[84:85], v[56:57], v[74:75]
	s_wait_loadcnt 0x3
	v_fmac_f64_e32 v[84:85], v[58:59], v[76:77]
	s_wait_dscnt 0x0
	s_delay_alu instid0(VALU_DEP_1)
	v_fmac_f64_e32 v[84:85], v[60:61], v[78:79]
	ds_load_2addr_b64 v[54:57], v2 offset0:43 offset1:44
	ds_load_2addr_b64 v[58:61], v2 offset0:45 offset1:46
	s_wait_loadcnt 0x2
	v_fmac_f64_e32 v[84:85], v[62:63], v[80:81]
	s_wait_dscnt 0x1
	s_delay_alu instid0(VALU_DEP_1) | instskip(SKIP_4) | instid1(VALU_DEP_1)
	v_fmac_f64_e32 v[84:85], v[64:65], v[54:55]
	ds_load_b64 v[54:55], v2 offset:376
	s_wait_loadcnt 0x1
	v_fmac_f64_e32 v[84:85], v[66:67], v[56:57]
	s_wait_dscnt 0x1
	v_fmac_f64_e32 v[84:85], v[68:69], v[58:59]
	s_wait_loadcnt 0x0
	s_delay_alu instid0(VALU_DEP_1) | instskip(SKIP_1) | instid1(VALU_DEP_1)
	v_fmac_f64_e32 v[84:85], v[70:71], v[60:61]
	s_wait_dscnt 0x0
	v_fmac_f64_e32 v[84:85], v[72:73], v[54:55]
	s_delay_alu instid0(VALU_DEP_1)
	v_add_f64_e64 v[52:53], v[52:53], -v[84:85]
	scratch_store_b64 off, v[52:53], off offset:16
	s_wait_xcnt 0x0
	v_cmpx_lt_u32_e32 1, v0
	s_cbranch_execz .LBB23_151
; %bb.150:
	scratch_load_b64 v[52:53], off, off offset:8
	v_mov_b64_e32 v[54:55], 0
	scratch_store_b64 off, v[54:55], off offset:8
	s_wait_loadcnt 0x0
	ds_store_b64 v1, v[52:53]
.LBB23_151:
	s_wait_xcnt 0x0
	s_or_b32 exec_lo, exec_lo, s0
	s_wait_storecnt_dscnt 0x0
	s_barrier_signal -1
	s_barrier_wait -1
	s_clause 0x3
	scratch_load_b128 v[52:55], off, off offset:8
	scratch_load_b128 v[56:59], off, off offset:24
	;; [unrolled: 1-line block ×4, first 2 shown]
	ds_load_b128 v[68:71], v2 offset:208
	ds_load_b128 v[72:75], v2 offset:224
	scratch_load_b128 v[76:79], off, off offset:72
	v_dual_ashrrev_i32 v9, 31, v8 :: v_dual_ashrrev_i32 v15, 31, v14
	v_dual_ashrrev_i32 v13, 31, v12 :: v_dual_ashrrev_i32 v19, 31, v18
	;; [unrolled: 1-line block ×10, first 2 shown]
	v_ashrrev_i32_e32 v49, 31, v48
	s_mov_b32 s0, exec_lo
	v_ashrrev_i32_e32 v11, 31, v10
	s_wait_loadcnt_dscnt 0x401
	v_fma_f64 v[80:81], v[54:55], v[68:69], 0
	s_wait_loadcnt 0x3
	s_delay_alu instid0(VALU_DEP_1) | instskip(SKIP_4) | instid1(VALU_DEP_1)
	v_fmac_f64_e32 v[80:81], v[56:57], v[70:71]
	scratch_load_b128 v[54:57], off, off offset:88
	s_wait_dscnt 0x0
	v_fmac_f64_e32 v[80:81], v[58:59], v[72:73]
	s_wait_loadcnt 0x3
	v_fmac_f64_e32 v[80:81], v[60:61], v[74:75]
	ds_load_b128 v[58:61], v2 offset:240
	ds_load_b128 v[68:71], v2 offset:256
	scratch_load_b128 v[72:75], off, off offset:104
	s_wait_dscnt 0x1
	v_fmac_f64_e32 v[80:81], v[62:63], v[58:59]
	s_wait_loadcnt 0x3
	s_delay_alu instid0(VALU_DEP_1)
	v_fmac_f64_e32 v[80:81], v[64:65], v[60:61]
	scratch_load_b128 v[58:61], off, off offset:120
	s_wait_dscnt 0x0
	v_fmac_f64_e32 v[80:81], v[66:67], v[68:69]
	ds_load_b128 v[62:65], v2 offset:272
	ds_load_b128 v[66:69], v2 offset:288
	s_wait_loadcnt 0x3
	v_fmac_f64_e32 v[80:81], v[76:77], v[70:71]
	s_wait_dscnt 0x1
	s_delay_alu instid0(VALU_DEP_1) | instskip(SKIP_4) | instid1(VALU_DEP_1)
	v_fmac_f64_e32 v[80:81], v[78:79], v[62:63]
	scratch_load_b128 v[76:79], off, off offset:136
	s_wait_loadcnt 0x3
	v_fmac_f64_e32 v[80:81], v[54:55], v[64:65]
	s_wait_dscnt 0x0
	v_fmac_f64_e32 v[80:81], v[56:57], v[66:67]
	scratch_load_b128 v[54:57], off, off offset:152
	s_wait_loadcnt 0x3
	v_fmac_f64_e32 v[80:81], v[72:73], v[68:69]
	ds_load_b128 v[62:65], v2 offset:304
	ds_load_b128 v[66:69], v2 offset:320
	scratch_load_b128 v[70:73], off, off offset:168
	s_wait_dscnt 0x1
	v_fmac_f64_e32 v[80:81], v[74:75], v[62:63]
	scratch_load_b64 v[74:75], off, off offset:184
	s_wait_loadcnt 0x4
	v_fmac_f64_e32 v[80:81], v[58:59], v[64:65]
	s_wait_dscnt 0x0
	s_delay_alu instid0(VALU_DEP_1)
	v_fmac_f64_e32 v[80:81], v[60:61], v[66:67]
	ds_load_b128 v[58:61], v2 offset:336
	ds_load_b128 v[62:65], v2 offset:352
	s_wait_loadcnt 0x3
	v_fmac_f64_e32 v[80:81], v[76:77], v[68:69]
	s_wait_dscnt 0x1
	s_delay_alu instid0(VALU_DEP_1) | instskip(SKIP_1) | instid1(VALU_DEP_1)
	v_fmac_f64_e32 v[80:81], v[78:79], v[58:59]
	s_wait_loadcnt 0x2
	v_fmac_f64_e32 v[80:81], v[54:55], v[60:61]
	s_wait_dscnt 0x0
	s_delay_alu instid0(VALU_DEP_1) | instskip(SKIP_4) | instid1(VALU_DEP_1)
	v_fmac_f64_e32 v[80:81], v[56:57], v[62:63]
	ds_load_b128 v[54:57], v2 offset:368
	s_wait_loadcnt 0x1
	v_fmac_f64_e32 v[80:81], v[70:71], v[64:65]
	s_wait_dscnt 0x0
	v_fmac_f64_e32 v[80:81], v[72:73], v[54:55]
	s_wait_loadcnt 0x0
	s_delay_alu instid0(VALU_DEP_1) | instskip(NEXT) | instid1(VALU_DEP_1)
	v_fmac_f64_e32 v[80:81], v[74:75], v[56:57]
	v_add_f64_e64 v[2:3], v[52:53], -v[80:81]
	scratch_store_b64 off, v[2:3], off offset:8
	s_wait_xcnt 0x0
	v_cmpx_ne_u32_e32 0, v0
	s_cbranch_execz .LBB23_153
; %bb.152:
	scratch_load_b64 v[2:3], off, off
	v_mov_b64_e32 v[52:53], 0
	scratch_store_b64 off, v[52:53], off
	s_wait_loadcnt 0x0
	ds_store_b64 v1, v[2:3]
.LBB23_153:
	s_wait_xcnt 0x0
	s_or_b32 exec_lo, exec_lo, s0
	s_wait_storecnt_dscnt 0x0
	s_barrier_signal -1
	s_barrier_wait -1
	s_clause 0x5
	scratch_load_b128 v[54:57], off, off
	scratch_load_b128 v[0:3], off, off offset:16
	scratch_load_b128 v[58:61], off, off offset:32
	;; [unrolled: 1-line block ×5, first 2 shown]
	v_mov_b32_e32 v52, 0
	s_clause 0x1
	scratch_load_b128 v[78:81], off, off offset:96
	scratch_load_b128 v[82:85], off, off offset:112
	s_and_b32 vcc_lo, exec_lo, s18
	ds_load_2addr_b64 v[74:77], v52 offset0:25 offset1:26
	s_wait_loadcnt_dscnt 0x700
	v_fma_f64 v[86:87], v[56:57], v[74:75], 0
	s_wait_loadcnt 0x6
	s_delay_alu instid0(VALU_DEP_1)
	v_fmac_f64_e32 v[86:87], v[0:1], v[76:77]
	ds_load_2addr_b64 v[74:77], v52 offset0:27 offset1:28
	s_wait_dscnt 0x0
	v_fmac_f64_e32 v[86:87], v[2:3], v[74:75]
	ds_load_2addr_b64 v[0:3], v52 offset0:29 offset1:30
	s_wait_loadcnt 0x5
	v_fmac_f64_e32 v[86:87], v[58:59], v[76:77]
	scratch_load_b128 v[56:59], off, off offset:128
	s_wait_dscnt 0x0
	v_fmac_f64_e32 v[86:87], v[60:61], v[0:1]
	s_wait_loadcnt 0x5
	s_delay_alu instid0(VALU_DEP_1)
	v_fmac_f64_e32 v[86:87], v[62:63], v[2:3]
	ds_load_2addr_b64 v[0:3], v52 offset0:31 offset1:32
	scratch_load_b128 v[60:63], off, off offset:144
	s_wait_dscnt 0x0
	v_fmac_f64_e32 v[86:87], v[64:65], v[0:1]
	s_wait_loadcnt 0x5
	s_delay_alu instid0(VALU_DEP_1)
	v_fmac_f64_e32 v[86:87], v[66:67], v[2:3]
	ds_load_2addr_b64 v[0:3], v52 offset0:33 offset1:34
	;; [unrolled: 7-line block ×3, first 2 shown]
	scratch_load_b128 v[0:3], off, off offset:176
	s_wait_dscnt 0x0
	v_fmac_f64_e32 v[86:87], v[72:73], v[68:69]
	s_wait_loadcnt 0x5
	s_delay_alu instid0(VALU_DEP_1) | instskip(SKIP_4) | instid1(VALU_DEP_1)
	v_fmac_f64_e32 v[86:87], v[78:79], v[70:71]
	ds_load_2addr_b64 v[68:71], v52 offset0:37 offset1:38
	s_wait_dscnt 0x0
	v_fmac_f64_e32 v[86:87], v[80:81], v[68:69]
	s_wait_loadcnt 0x4
	v_fmac_f64_e32 v[86:87], v[82:83], v[70:71]
	ds_load_2addr_b64 v[68:71], v52 offset0:39 offset1:40
	s_wait_dscnt 0x0
	v_fmac_f64_e32 v[86:87], v[84:85], v[68:69]
	s_wait_loadcnt 0x3
	s_delay_alu instid0(VALU_DEP_1)
	v_fmac_f64_e32 v[86:87], v[56:57], v[70:71]
	ds_load_2addr_b64 v[68:71], v52 offset0:41 offset1:42
	s_wait_dscnt 0x0
	v_fmac_f64_e32 v[86:87], v[58:59], v[68:69]
	ds_load_2addr_b64 v[56:59], v52 offset0:43 offset1:44
	s_wait_loadcnt 0x2
	v_fmac_f64_e32 v[86:87], v[60:61], v[70:71]
	s_wait_dscnt 0x0
	s_delay_alu instid0(VALU_DEP_1) | instskip(SKIP_1) | instid1(VALU_DEP_1)
	v_fmac_f64_e32 v[86:87], v[62:63], v[56:57]
	s_wait_loadcnt 0x1
	v_fmac_f64_e32 v[86:87], v[64:65], v[58:59]
	ds_load_2addr_b64 v[56:59], v52 offset0:45 offset1:46
	s_wait_dscnt 0x0
	v_fmac_f64_e32 v[86:87], v[66:67], v[56:57]
	ds_load_b64 v[56:57], v52 offset:376
	s_wait_loadcnt 0x0
	v_fmac_f64_e32 v[86:87], v[0:1], v[58:59]
	s_wait_dscnt 0x0
	s_delay_alu instid0(VALU_DEP_1) | instskip(NEXT) | instid1(VALU_DEP_1)
	v_fmac_f64_e32 v[86:87], v[2:3], v[56:57]
	v_add_f64_e64 v[2:3], v[54:55], -v[86:87]
	scratch_store_b64 off, v[2:3], off
	s_cbranch_vccz .LBB23_200
; %bb.154:
	global_load_b32 v2, v52, s[2:3] offset:88
	s_wait_loadcnt 0x0
	v_cmp_ne_u32_e32 vcc_lo, 23, v2
	s_cbranch_vccz .LBB23_156
; %bb.155:
	v_lshlrev_b32_e32 v2, 3, v2
	s_wait_xcnt 0x0
	s_delay_alu instid0(VALU_DEP_1)
	v_mov_b32_e32 v52, v2
	scratch_load_b64 v[2:3], v52, off offset:-8
	s_wait_loadcnt 0x0
	scratch_store_b64 off, v[2:3], off offset:176
	scratch_store_b64 v52, v[0:1], off offset:-8
.LBB23_156:
	s_wait_xcnt 0x0
	v_mov_b32_e32 v0, 0
	global_load_b32 v1, v0, s[2:3] offset:84
	s_wait_loadcnt 0x0
	v_cmp_eq_u32_e32 vcc_lo, 22, v1
	s_cbranch_vccnz .LBB23_158
; %bb.157:
	v_lshlrev_b32_e32 v1, 3, v1
	scratch_load_b64 v[2:3], v1, off offset:-8
	scratch_load_b64 v[52:53], off, off offset:168
	s_wait_loadcnt 0x1
	scratch_store_b64 off, v[2:3], off offset:168
	s_wait_loadcnt 0x0
	scratch_store_b64 v1, v[52:53], off offset:-8
.LBB23_158:
	global_load_b32 v0, v0, s[2:3] offset:80
	s_wait_loadcnt 0x0
	v_cmp_eq_u32_e32 vcc_lo, 21, v0
	s_cbranch_vccnz .LBB23_160
; %bb.159:
	s_wait_xcnt 0x0
	v_lshlrev_b32_e32 v0, 3, v0
	s_delay_alu instid0(VALU_DEP_1)
	v_mov_b32_e32 v52, v0
	scratch_load_b64 v[0:1], v52, off offset:-8
	scratch_load_b64 v[2:3], off, off offset:160
	s_wait_loadcnt 0x1
	scratch_store_b64 off, v[0:1], off offset:160
	s_wait_loadcnt 0x0
	scratch_store_b64 v52, v[2:3], off offset:-8
.LBB23_160:
	s_wait_xcnt 0x0
	v_mov_b32_e32 v0, 0
	global_load_b32 v1, v0, s[2:3] offset:76
	s_wait_loadcnt 0x0
	v_cmp_eq_u32_e32 vcc_lo, 20, v1
	s_cbranch_vccnz .LBB23_162
; %bb.161:
	v_lshlrev_b32_e32 v1, 3, v1
	scratch_load_b64 v[2:3], v1, off offset:-8
	scratch_load_b64 v[52:53], off, off offset:152
	s_wait_loadcnt 0x1
	scratch_store_b64 off, v[2:3], off offset:152
	s_wait_loadcnt 0x0
	scratch_store_b64 v1, v[52:53], off offset:-8
.LBB23_162:
	global_load_b32 v0, v0, s[2:3] offset:72
	s_wait_loadcnt 0x0
	v_cmp_eq_u32_e32 vcc_lo, 19, v0
	s_cbranch_vccnz .LBB23_164
; %bb.163:
	s_wait_xcnt 0x0
	v_lshlrev_b32_e32 v0, 3, v0
	s_delay_alu instid0(VALU_DEP_1)
	v_mov_b32_e32 v52, v0
	scratch_load_b64 v[0:1], v52, off offset:-8
	scratch_load_b64 v[2:3], off, off offset:144
	s_wait_loadcnt 0x1
	scratch_store_b64 off, v[0:1], off offset:144
	s_wait_loadcnt 0x0
	scratch_store_b64 v52, v[2:3], off offset:-8
.LBB23_164:
	;; [unrolled: 31-line block ×10, first 2 shown]
	s_wait_xcnt 0x0
	v_mov_b32_e32 v0, 0
	global_load_b32 v1, v0, s[2:3] offset:4
	s_wait_loadcnt 0x0
	v_cmp_eq_u32_e32 vcc_lo, 2, v1
	s_cbranch_vccnz .LBB23_198
; %bb.197:
	v_lshlrev_b32_e32 v1, 3, v1
	scratch_load_b64 v[2:3], v1, off offset:-8
	scratch_load_b64 v[52:53], off, off offset:8
	s_wait_loadcnt 0x1
	scratch_store_b64 off, v[2:3], off offset:8
	s_wait_loadcnt 0x0
	scratch_store_b64 v1, v[52:53], off offset:-8
.LBB23_198:
	global_load_b32 v0, v0, s[2:3]
	scratch_load_b64 v[2:3], off, off
	s_wait_loadcnt 0x1
	v_cmp_eq_u32_e32 vcc_lo, 1, v0
	s_cbranch_vccnz .LBB23_200
; %bb.199:
	s_wait_xcnt 0x1
	v_lshlrev_b32_e32 v0, 3, v0
	s_delay_alu instid0(VALU_DEP_1)
	v_mov_b32_e32 v52, v0
	scratch_load_b64 v[0:1], v52, off offset:-8
	s_wait_loadcnt 0x0
	scratch_store_b64 off, v[0:1], off
	scratch_store_b64 v52, v[2:3], off offset:-8
	scratch_load_b64 v[2:3], off, off
.LBB23_200:
	v_lshl_add_u64 v[56:57], v[8:9], 3, s[4:5]
	v_lshl_add_u64 v[54:55], v[10:11], 3, s[4:5]
	;; [unrolled: 1-line block ×3, first 2 shown]
	s_wait_xcnt 0x1
	v_lshl_add_u64 v[0:1], v[14:15], 3, s[4:5]
	v_lshl_add_u64 v[8:9], v[16:17], 3, s[4:5]
	;; [unrolled: 1-line block ×19, first 2 shown]
	s_clause 0x5
	scratch_load_b128 v[44:47], off, off offset:8
	scratch_load_b128 v[48:51], off, off offset:24
	;; [unrolled: 1-line block ×6, first 2 shown]
	s_wait_loadcnt 0x6
	global_store_b64 v[4:5], v[2:3], off
	s_clause 0x1
	scratch_load_b128 v[2:5], off, off offset:104
	scratch_load_b128 v[74:77], off, off offset:120
	s_wait_loadcnt 0x7
	s_clause 0x1
	global_store_b64 v[6:7], v[44:45], off
	global_store_b64 v[56:57], v[46:47], off
	s_wait_loadcnt 0x6
	s_clause 0x1
	global_store_b64 v[54:55], v[48:49], off
	global_store_b64 v[52:53], v[50:51], off
	s_clause 0x3
	scratch_load_b128 v[44:47], off, off offset:136
	scratch_load_b128 v[54:57], off, off offset:152
	;; [unrolled: 1-line block ×3, first 2 shown]
	scratch_load_b64 v[6:7], off, off offset:184
	s_wait_loadcnt 0x9
	s_clause 0x1
	global_store_b64 v[0:1], v[58:59], off
	global_store_b64 v[8:9], v[60:61], off
	s_wait_loadcnt 0x8
	s_clause 0x1
	global_store_b64 v[10:11], v[62:63], off
	global_store_b64 v[12:13], v[64:65], off
	s_wait_loadcnt 0x7
	s_clause 0x1
	global_store_b64 v[14:15], v[66:67], off
	global_store_b64 v[16:17], v[68:69], off
	s_wait_loadcnt 0x6
	s_clause 0x1
	global_store_b64 v[18:19], v[70:71], off
	global_store_b64 v[20:21], v[72:73], off
	s_wait_loadcnt 0x5
	s_clause 0x1
	global_store_b64 v[22:23], v[2:3], off
	global_store_b64 v[24:25], v[4:5], off
	s_wait_loadcnt 0x4
	s_clause 0x1
	global_store_b64 v[26:27], v[74:75], off
	global_store_b64 v[28:29], v[76:77], off
	s_wait_loadcnt 0x3
	s_clause 0x1
	global_store_b64 v[30:31], v[44:45], off
	global_store_b64 v[32:33], v[46:47], off
	s_wait_loadcnt 0x2
	s_clause 0x1
	global_store_b64 v[34:35], v[54:55], off
	global_store_b64 v[36:37], v[56:57], off
	s_wait_loadcnt 0x1
	s_clause 0x1
	global_store_b64 v[38:39], v[48:49], off
	global_store_b64 v[40:41], v[50:51], off
	s_wait_loadcnt 0x0
	global_store_b64 v[42:43], v[6:7], off
	s_sendmsg sendmsg(MSG_DEALLOC_VGPRS)
	s_endpgm
	.section	.rodata,"a",@progbits
	.p2align	6, 0x0
	.amdhsa_kernel _ZN9rocsolver6v33100L18getri_kernel_smallILi24EdPdEEvT1_iilPiilS4_bb
		.amdhsa_group_segment_fixed_size 392
		.amdhsa_private_segment_fixed_size 208
		.amdhsa_kernarg_size 60
		.amdhsa_user_sgpr_count 2
		.amdhsa_user_sgpr_dispatch_ptr 0
		.amdhsa_user_sgpr_queue_ptr 0
		.amdhsa_user_sgpr_kernarg_segment_ptr 1
		.amdhsa_user_sgpr_dispatch_id 0
		.amdhsa_user_sgpr_kernarg_preload_length 0
		.amdhsa_user_sgpr_kernarg_preload_offset 0
		.amdhsa_user_sgpr_private_segment_size 0
		.amdhsa_wavefront_size32 1
		.amdhsa_uses_dynamic_stack 0
		.amdhsa_enable_private_segment 1
		.amdhsa_system_sgpr_workgroup_id_x 1
		.amdhsa_system_sgpr_workgroup_id_y 0
		.amdhsa_system_sgpr_workgroup_id_z 0
		.amdhsa_system_sgpr_workgroup_info 0
		.amdhsa_system_vgpr_workitem_id 0
		.amdhsa_next_free_vgpr 88
		.amdhsa_next_free_sgpr 19
		.amdhsa_named_barrier_count 0
		.amdhsa_reserve_vcc 1
		.amdhsa_float_round_mode_32 0
		.amdhsa_float_round_mode_16_64 0
		.amdhsa_float_denorm_mode_32 3
		.amdhsa_float_denorm_mode_16_64 3
		.amdhsa_fp16_overflow 0
		.amdhsa_memory_ordered 1
		.amdhsa_forward_progress 1
		.amdhsa_inst_pref_size 133
		.amdhsa_round_robin_scheduling 0
		.amdhsa_exception_fp_ieee_invalid_op 0
		.amdhsa_exception_fp_denorm_src 0
		.amdhsa_exception_fp_ieee_div_zero 0
		.amdhsa_exception_fp_ieee_overflow 0
		.amdhsa_exception_fp_ieee_underflow 0
		.amdhsa_exception_fp_ieee_inexact 0
		.amdhsa_exception_int_div_zero 0
	.end_amdhsa_kernel
	.section	.text._ZN9rocsolver6v33100L18getri_kernel_smallILi24EdPdEEvT1_iilPiilS4_bb,"axG",@progbits,_ZN9rocsolver6v33100L18getri_kernel_smallILi24EdPdEEvT1_iilPiilS4_bb,comdat
.Lfunc_end23:
	.size	_ZN9rocsolver6v33100L18getri_kernel_smallILi24EdPdEEvT1_iilPiilS4_bb, .Lfunc_end23-_ZN9rocsolver6v33100L18getri_kernel_smallILi24EdPdEEvT1_iilPiilS4_bb
                                        ; -- End function
	.set _ZN9rocsolver6v33100L18getri_kernel_smallILi24EdPdEEvT1_iilPiilS4_bb.num_vgpr, 88
	.set _ZN9rocsolver6v33100L18getri_kernel_smallILi24EdPdEEvT1_iilPiilS4_bb.num_agpr, 0
	.set _ZN9rocsolver6v33100L18getri_kernel_smallILi24EdPdEEvT1_iilPiilS4_bb.numbered_sgpr, 19
	.set _ZN9rocsolver6v33100L18getri_kernel_smallILi24EdPdEEvT1_iilPiilS4_bb.num_named_barrier, 0
	.set _ZN9rocsolver6v33100L18getri_kernel_smallILi24EdPdEEvT1_iilPiilS4_bb.private_seg_size, 208
	.set _ZN9rocsolver6v33100L18getri_kernel_smallILi24EdPdEEvT1_iilPiilS4_bb.uses_vcc, 1
	.set _ZN9rocsolver6v33100L18getri_kernel_smallILi24EdPdEEvT1_iilPiilS4_bb.uses_flat_scratch, 1
	.set _ZN9rocsolver6v33100L18getri_kernel_smallILi24EdPdEEvT1_iilPiilS4_bb.has_dyn_sized_stack, 0
	.set _ZN9rocsolver6v33100L18getri_kernel_smallILi24EdPdEEvT1_iilPiilS4_bb.has_recursion, 0
	.set _ZN9rocsolver6v33100L18getri_kernel_smallILi24EdPdEEvT1_iilPiilS4_bb.has_indirect_call, 0
	.section	.AMDGPU.csdata,"",@progbits
; Kernel info:
; codeLenInByte = 17004
; TotalNumSgprs: 21
; NumVgprs: 88
; ScratchSize: 208
; MemoryBound: 0
; FloatMode: 240
; IeeeMode: 1
; LDSByteSize: 392 bytes/workgroup (compile time only)
; SGPRBlocks: 0
; VGPRBlocks: 5
; NumSGPRsForWavesPerEU: 21
; NumVGPRsForWavesPerEU: 88
; NamedBarCnt: 0
; Occupancy: 10
; WaveLimiterHint : 1
; COMPUTE_PGM_RSRC2:SCRATCH_EN: 1
; COMPUTE_PGM_RSRC2:USER_SGPR: 2
; COMPUTE_PGM_RSRC2:TRAP_HANDLER: 0
; COMPUTE_PGM_RSRC2:TGID_X_EN: 1
; COMPUTE_PGM_RSRC2:TGID_Y_EN: 0
; COMPUTE_PGM_RSRC2:TGID_Z_EN: 0
; COMPUTE_PGM_RSRC2:TIDIG_COMP_CNT: 0
	.section	.text._ZN9rocsolver6v33100L18getri_kernel_smallILi25EdPdEEvT1_iilPiilS4_bb,"axG",@progbits,_ZN9rocsolver6v33100L18getri_kernel_smallILi25EdPdEEvT1_iilPiilS4_bb,comdat
	.globl	_ZN9rocsolver6v33100L18getri_kernel_smallILi25EdPdEEvT1_iilPiilS4_bb ; -- Begin function _ZN9rocsolver6v33100L18getri_kernel_smallILi25EdPdEEvT1_iilPiilS4_bb
	.p2align	8
	.type	_ZN9rocsolver6v33100L18getri_kernel_smallILi25EdPdEEvT1_iilPiilS4_bb,@function
_ZN9rocsolver6v33100L18getri_kernel_smallILi25EdPdEEvT1_iilPiilS4_bb: ; @_ZN9rocsolver6v33100L18getri_kernel_smallILi25EdPdEEvT1_iilPiilS4_bb
; %bb.0:
	s_mov_b32 s2, exec_lo
	v_cmpx_gt_u32_e32 25, v0
	s_cbranch_execz .LBB24_110
; %bb.1:
	s_clause 0x2
	s_load_b32 s2, s[0:1], 0x38
	s_load_b128 s[12:15], s[0:1], 0x10
	s_load_b128 s[4:7], s[0:1], 0x28
	s_getreg_b32 s9, hwreg(HW_REG_IB_STS2, 6, 4)
	s_wait_kmcnt 0x0
	s_bitcmp1_b32 s2, 8
	s_cselect_b32 s18, -1, 0
	s_bfe_u32 s3, ttmp6, 0x4000c
	s_and_b32 s8, ttmp6, 15
	s_add_co_i32 s3, s3, 1
	s_delay_alu instid0(SALU_CYCLE_1) | instskip(NEXT) | instid1(SALU_CYCLE_1)
	s_mul_i32 s3, ttmp9, s3
	s_add_co_i32 s8, s8, s3
	s_cmp_eq_u32 s9, 0
	s_cselect_b32 s16, ttmp9, s8
	s_bfe_u32 s2, s2, 0x10008
	s_ashr_i32 s17, s16, 31
	s_cmp_eq_u32 s2, 0
                                        ; implicit-def: $sgpr2_sgpr3
	s_cbranch_scc1 .LBB24_3
; %bb.2:
	s_load_b32 s2, s[0:1], 0x20
	s_mul_u64 s[4:5], s[4:5], s[16:17]
	s_delay_alu instid0(SALU_CYCLE_1) | instskip(NEXT) | instid1(SALU_CYCLE_1)
	s_lshl_b64 s[4:5], s[4:5], 2
	s_add_nc_u64 s[4:5], s[14:15], s[4:5]
	s_wait_kmcnt 0x0
	s_ashr_i32 s3, s2, 31
	s_delay_alu instid0(SALU_CYCLE_1) | instskip(NEXT) | instid1(SALU_CYCLE_1)
	s_lshl_b64 s[2:3], s[2:3], 2
	s_add_nc_u64 s[2:3], s[4:5], s[2:3]
.LBB24_3:
	s_clause 0x1
	s_load_b128 s[8:11], s[0:1], 0x0
	s_load_b32 s14, s[0:1], 0x38
	s_wait_xcnt 0x0
	s_mul_u64 s[0:1], s[12:13], s[16:17]
	v_dual_mov_b32 v3, 0 :: v_dual_lshlrev_b32 v2, 3, v0
	s_lshl_b64 s[0:1], s[0:1], 3
	s_wait_kmcnt 0x0
	v_add3_u32 v8, s11, s11, v0
	s_ashr_i32 s5, s10, 31
	s_mov_b32 s4, s10
	s_add_nc_u64 s[0:1], s[8:9], s[0:1]
	s_lshl_b64 s[4:5], s[4:5], 3
	v_add_nc_u32_e32 v10, s11, v8
	s_add_nc_u64 s[4:5], s[0:1], s[4:5]
	s_ashr_i32 s1, s11, 31
	v_add_nc_u64_e32 v[6:7], s[4:5], v[2:3]
	s_mov_b32 s0, s11
	v_add_nc_u32_e32 v12, s11, v10
	s_bitcmp0_b32 s14, 0
	s_delay_alu instid0(VALU_DEP_2) | instskip(NEXT) | instid1(VALU_DEP_2)
	v_lshl_add_u64 v[4:5], s[0:1], 3, v[6:7]
	v_add_nc_u32_e32 v14, s11, v12
	s_clause 0x1
	global_load_b64 v[52:53], v0, s[4:5] scale_offset
	global_load_b64 v[54:55], v[4:5], off
	s_mov_b32 s1, -1
	v_add_nc_u32_e32 v16, s11, v14
	s_delay_alu instid0(VALU_DEP_1) | instskip(NEXT) | instid1(VALU_DEP_1)
	v_add_nc_u32_e32 v18, s11, v16
	v_add_nc_u32_e32 v20, s11, v18
	s_clause 0x3
	global_load_b64 v[56:57], v8, s[4:5] scale_offset
	global_load_b64 v[58:59], v10, s[4:5] scale_offset
	;; [unrolled: 1-line block ×4, first 2 shown]
	v_add_nc_u32_e32 v22, s11, v20
	s_delay_alu instid0(VALU_DEP_1) | instskip(NEXT) | instid1(VALU_DEP_1)
	v_add_nc_u32_e32 v24, s11, v22
	v_add_nc_u32_e32 v26, s11, v24
	s_delay_alu instid0(VALU_DEP_1)
	v_add_nc_u32_e32 v28, s11, v26
	s_clause 0x3
	global_load_b64 v[64:65], v16, s[4:5] scale_offset
	global_load_b64 v[66:67], v18, s[4:5] scale_offset
	global_load_b64 v[68:69], v20, s[4:5] scale_offset
	global_load_b64 v[70:71], v22, s[4:5] scale_offset
	v_add_nc_u32_e32 v30, s11, v28
	s_delay_alu instid0(VALU_DEP_1)
	v_add_nc_u32_e32 v32, s11, v30
	s_clause 0x3
	global_load_b64 v[72:73], v24, s[4:5] scale_offset
	global_load_b64 v[74:75], v26, s[4:5] scale_offset
	;; [unrolled: 1-line block ×4, first 2 shown]
	v_add_nc_u32_e32 v34, s11, v32
	s_delay_alu instid0(VALU_DEP_1) | instskip(NEXT) | instid1(VALU_DEP_1)
	v_add_nc_u32_e32 v36, s11, v34
	v_add_nc_u32_e32 v38, s11, v36
	s_delay_alu instid0(VALU_DEP_1) | instskip(NEXT) | instid1(VALU_DEP_1)
	v_add_nc_u32_e32 v40, s11, v38
	v_add_nc_u32_e32 v42, s11, v40
	s_delay_alu instid0(VALU_DEP_1)
	v_add_nc_u32_e32 v44, s11, v42
	s_clause 0x3
	global_load_b64 v[80:81], v32, s[4:5] scale_offset
	global_load_b64 v[82:83], v34, s[4:5] scale_offset
	;; [unrolled: 1-line block ×4, first 2 shown]
	v_add_nc_u32_e32 v46, s11, v44
	s_delay_alu instid0(VALU_DEP_1) | instskip(NEXT) | instid1(VALU_DEP_1)
	v_add_nc_u32_e32 v48, s11, v46
	v_add_nc_u32_e32 v50, s11, v48
	s_wait_loadcnt 0x10
	scratch_store_b128 off, v[52:55], off
	s_wait_xcnt 0x0
	v_add_nc_u32_e32 v52, s11, v50
	s_clause 0x3
	global_load_b64 v[88:89], v40, s[4:5] scale_offset
	global_load_b64 v[90:91], v42, s[4:5] scale_offset
	;; [unrolled: 1-line block ×4, first 2 shown]
	s_wait_loadcnt 0x12
	scratch_store_b128 off, v[56:59], off offset:16
	s_wait_loadcnt 0x10
	scratch_store_b128 off, v[60:63], off offset:32
	s_clause 0x2
	global_load_b64 v[54:55], v48, s[4:5] scale_offset
	global_load_b64 v[56:57], v50, s[4:5] scale_offset
	;; [unrolled: 1-line block ×3, first 2 shown]
	s_wait_loadcnt 0x11
	scratch_store_b128 off, v[64:67], off offset:48
	s_wait_loadcnt 0xf
	scratch_store_b128 off, v[68:71], off offset:64
	;; [unrolled: 2-line block ×9, first 2 shown]
	s_wait_loadcnt 0x0
	scratch_store_b64 off, v[58:59], off offset:192
	s_cbranch_scc1 .LBB24_108
; %bb.4:
	v_cmp_eq_u32_e64 s0, 0, v0
	s_wait_xcnt 0x0
	s_and_saveexec_b32 s1, s0
; %bb.5:
	v_mov_b32_e32 v1, 0
	ds_store_b32 v1, v1 offset:200
; %bb.6:
	s_or_b32 exec_lo, exec_lo, s1
	s_wait_storecnt_dscnt 0x0
	s_barrier_signal -1
	s_barrier_wait -1
	scratch_load_b64 v[54:55], v0, off scale_offset
	s_mov_b32 s8, exec_lo
	s_wait_loadcnt 0x0
	v_cmpx_eq_f64_e32 0, v[54:55]
	s_cbranch_execz .LBB24_10
; %bb.7:
	v_mov_b32_e32 v1, 0
	s_mov_b32 s9, 0
	ds_load_b32 v3, v1 offset:200
	s_wait_dscnt 0x0
	v_readfirstlane_b32 s1, v3
	v_add_nc_u32_e32 v3, 1, v0
	s_cmp_eq_u32 s1, 0
	s_delay_alu instid0(VALU_DEP_1) | instskip(SKIP_1) | instid1(SALU_CYCLE_1)
	v_cmp_gt_i32_e32 vcc_lo, s1, v3
	s_cselect_b32 s10, -1, 0
	s_or_b32 s10, s10, vcc_lo
	s_delay_alu instid0(SALU_CYCLE_1)
	s_and_b32 exec_lo, exec_lo, s10
	s_cbranch_execz .LBB24_10
; %bb.8:
	v_mov_b32_e32 v9, s1
.LBB24_9:                               ; =>This Inner Loop Header: Depth=1
	ds_cmpstore_rtn_b32 v9, v1, v3, v9 offset:200
	s_wait_dscnt 0x0
	v_cmp_ne_u32_e32 vcc_lo, 0, v9
	v_cmp_le_i32_e64 s1, v9, v3
	s_and_b32 s1, vcc_lo, s1
	s_delay_alu instid0(SALU_CYCLE_1) | instskip(NEXT) | instid1(SALU_CYCLE_1)
	s_and_b32 s1, exec_lo, s1
	s_or_b32 s9, s1, s9
	s_delay_alu instid0(SALU_CYCLE_1)
	s_and_not1_b32 exec_lo, exec_lo, s9
	s_cbranch_execnz .LBB24_9
.LBB24_10:
	s_or_b32 exec_lo, exec_lo, s8
	v_mov_b32_e32 v1, 0
	s_barrier_signal -1
	s_barrier_wait -1
	ds_load_b32 v3, v1 offset:200
	s_and_saveexec_b32 s1, s0
	s_cbranch_execz .LBB24_12
; %bb.11:
	s_lshl_b64 s[8:9], s[16:17], 2
	s_delay_alu instid0(SALU_CYCLE_1)
	s_add_nc_u64 s[8:9], s[6:7], s[8:9]
	s_wait_dscnt 0x0
	global_store_b32 v1, v3, s[8:9]
.LBB24_12:
	s_wait_xcnt 0x0
	s_or_b32 exec_lo, exec_lo, s1
	s_wait_dscnt 0x0
	v_cmp_ne_u32_e32 vcc_lo, 0, v3
	s_mov_b32 s1, 0
	s_cbranch_vccnz .LBB24_108
; %bb.13:
	v_lshl_add_u32 v3, v0, 3, 0
	v_add_nc_u32_e32 v1, 0xd0, v2
	scratch_load_b64 v[54:55], v3, off
	s_wait_loadcnt 0x0
	v_div_scale_f64 v[56:57], null, v[54:55], v[54:55], 1.0
	v_div_scale_f64 v[62:63], vcc_lo, 1.0, v[54:55], 1.0
	s_delay_alu instid0(VALU_DEP_2) | instskip(SKIP_1) | instid1(TRANS32_DEP_1)
	v_rcp_f64_e32 v[58:59], v[56:57]
	v_nop
	v_fma_f64 v[60:61], -v[56:57], v[58:59], 1.0
	s_delay_alu instid0(VALU_DEP_1) | instskip(NEXT) | instid1(VALU_DEP_1)
	v_fmac_f64_e32 v[58:59], v[58:59], v[60:61]
	v_fma_f64 v[60:61], -v[56:57], v[58:59], 1.0
	s_delay_alu instid0(VALU_DEP_1) | instskip(NEXT) | instid1(VALU_DEP_1)
	v_fmac_f64_e32 v[58:59], v[58:59], v[60:61]
	v_mul_f64_e32 v[60:61], v[62:63], v[58:59]
	s_delay_alu instid0(VALU_DEP_1) | instskip(NEXT) | instid1(VALU_DEP_1)
	v_fma_f64 v[56:57], -v[56:57], v[60:61], v[62:63]
	v_div_fmas_f64 v[56:57], v[56:57], v[58:59], v[60:61]
	s_delay_alu instid0(VALU_DEP_1)
	v_div_fixup_f64 v[54:55], v[56:57], v[54:55], 1.0
	scratch_store_b64 v3, v[54:55], off
	scratch_load_b64 v[56:57], off, off offset:8
	s_wait_xcnt 0x1
	v_xor_b32_e32 v55, 0x80000000, v55
	s_wait_loadcnt 0x0
	ds_store_2addr_b64 v2, v[54:55], v[56:57] offset1:26
	s_wait_storecnt_dscnt 0x0
	s_barrier_signal -1
	s_barrier_wait -1
	s_wait_xcnt 0x0
	s_and_saveexec_b32 s1, s0
	s_cbranch_execz .LBB24_15
; %bb.14:
	scratch_load_b64 v[54:55], v3, off
	ds_load_b64 v[56:57], v1
	s_wait_loadcnt_dscnt 0x0
	v_fma_f64 v[54:55], v[54:55], v[56:57], 0
	v_mov_b32_e32 v9, 0
	ds_load_b64 v[58:59], v9 offset:8
	s_wait_dscnt 0x0
	v_mul_f64_e32 v[54:55], v[54:55], v[58:59]
	scratch_store_b64 off, v[54:55], off offset:8
.LBB24_15:
	s_wait_xcnt 0x0
	s_or_b32 exec_lo, exec_lo, s1
	s_wait_storecnt 0x0
	s_barrier_signal -1
	s_barrier_wait -1
	scratch_load_b64 v[54:55], off, off offset:16
	s_mov_b32 s1, exec_lo
	s_wait_loadcnt 0x0
	ds_store_b64 v1, v[54:55]
	s_wait_dscnt 0x0
	s_barrier_signal -1
	s_barrier_wait -1
	v_cmpx_gt_u32_e32 2, v0
	s_cbranch_execz .LBB24_19
; %bb.16:
	scratch_load_b64 v[54:55], v3, off
	ds_load_b64 v[56:57], v1
	s_wait_loadcnt_dscnt 0x0
	v_fma_f64 v[54:55], v[54:55], v[56:57], 0
	s_and_saveexec_b32 s8, s0
	s_cbranch_execz .LBB24_18
; %bb.17:
	scratch_load_b64 v[56:57], off, off offset:8
	v_mov_b32_e32 v3, 0
	ds_load_b64 v[58:59], v3 offset:216
	s_wait_loadcnt_dscnt 0x0
	v_fmac_f64_e32 v[54:55], v[56:57], v[58:59]
.LBB24_18:
	s_or_b32 exec_lo, exec_lo, s8
	v_mov_b32_e32 v3, 0
	ds_load_b64 v[56:57], v3 offset:16
	s_wait_dscnt 0x0
	v_mul_f64_e32 v[54:55], v[54:55], v[56:57]
	scratch_store_b64 off, v[54:55], off offset:16
.LBB24_19:
	s_wait_xcnt 0x0
	s_or_b32 exec_lo, exec_lo, s1
	s_wait_storecnt 0x0
	s_barrier_signal -1
	s_barrier_wait -1
	scratch_load_b64 v[54:55], off, off offset:24
	v_add_nc_u32_e32 v3, -1, v0
	s_mov_b32 s0, exec_lo
	s_wait_loadcnt 0x0
	ds_store_b64 v1, v[54:55]
	s_wait_dscnt 0x0
	s_barrier_signal -1
	s_barrier_wait -1
	v_cmpx_gt_u32_e32 3, v0
	s_cbranch_execz .LBB24_23
; %bb.20:
	v_mov_b64_e32 v[54:55], 0
	v_dual_add_nc_u32 v9, -1, v0 :: v_dual_mov_b32 v13, v2
	v_add_nc_u32_e32 v11, 0xd0, v2
	s_mov_b32 s1, 0
.LBB24_21:                              ; =>This Inner Loop Header: Depth=1
	scratch_load_b64 v[56:57], v13, off
	ds_load_b64 v[58:59], v11
	v_dual_add_nc_u32 v9, 1, v9 :: v_dual_add_nc_u32 v11, 8, v11
	s_wait_xcnt 0x0
	v_add_nc_u32_e32 v13, 8, v13
	s_delay_alu instid0(VALU_DEP_2)
	v_cmp_lt_u32_e32 vcc_lo, 1, v9
	s_or_b32 s1, vcc_lo, s1
	s_wait_loadcnt_dscnt 0x0
	v_fmac_f64_e32 v[54:55], v[56:57], v[58:59]
	s_and_not1_b32 exec_lo, exec_lo, s1
	s_cbranch_execnz .LBB24_21
; %bb.22:
	s_or_b32 exec_lo, exec_lo, s1
	v_mov_b32_e32 v9, 0
	ds_load_b64 v[56:57], v9 offset:24
	s_wait_dscnt 0x0
	v_mul_f64_e32 v[54:55], v[54:55], v[56:57]
	scratch_store_b64 off, v[54:55], off offset:24
.LBB24_23:
	s_wait_xcnt 0x0
	s_or_b32 exec_lo, exec_lo, s0
	s_wait_storecnt 0x0
	s_barrier_signal -1
	s_barrier_wait -1
	scratch_load_b64 v[54:55], off, off offset:32
	s_mov_b32 s0, exec_lo
	s_wait_loadcnt 0x0
	ds_store_b64 v1, v[54:55]
	s_wait_dscnt 0x0
	s_barrier_signal -1
	s_barrier_wait -1
	v_cmpx_gt_u32_e32 4, v0
	s_cbranch_execz .LBB24_27
; %bb.24:
	v_mov_b64_e32 v[54:55], 0
	v_dual_add_nc_u32 v9, -1, v0 :: v_dual_mov_b32 v13, v2
	v_add_nc_u32_e32 v11, 0xd0, v2
	s_mov_b32 s1, 0
.LBB24_25:                              ; =>This Inner Loop Header: Depth=1
	scratch_load_b64 v[56:57], v13, off
	ds_load_b64 v[58:59], v11
	v_dual_add_nc_u32 v9, 1, v9 :: v_dual_add_nc_u32 v11, 8, v11
	s_wait_xcnt 0x0
	v_add_nc_u32_e32 v13, 8, v13
	s_delay_alu instid0(VALU_DEP_2)
	v_cmp_lt_u32_e32 vcc_lo, 2, v9
	s_or_b32 s1, vcc_lo, s1
	s_wait_loadcnt_dscnt 0x0
	v_fmac_f64_e32 v[54:55], v[56:57], v[58:59]
	s_and_not1_b32 exec_lo, exec_lo, s1
	s_cbranch_execnz .LBB24_25
; %bb.26:
	s_or_b32 exec_lo, exec_lo, s1
	v_mov_b32_e32 v9, 0
	ds_load_b64 v[56:57], v9 offset:32
	s_wait_dscnt 0x0
	v_mul_f64_e32 v[54:55], v[54:55], v[56:57]
	scratch_store_b64 off, v[54:55], off offset:32
.LBB24_27:
	s_wait_xcnt 0x0
	s_or_b32 exec_lo, exec_lo, s0
	s_wait_storecnt 0x0
	s_barrier_signal -1
	s_barrier_wait -1
	scratch_load_b64 v[54:55], off, off offset:40
	;; [unrolled: 40-line block ×20, first 2 shown]
	s_mov_b32 s0, exec_lo
	s_wait_loadcnt 0x0
	ds_store_b64 v1, v[54:55]
	s_wait_dscnt 0x0
	s_barrier_signal -1
	s_barrier_wait -1
	v_cmpx_gt_u32_e32 23, v0
	s_cbranch_execz .LBB24_103
; %bb.100:
	v_mov_b64_e32 v[54:55], 0
	v_dual_add_nc_u32 v9, -1, v0 :: v_dual_mov_b32 v13, v2
	v_add_nc_u32_e32 v11, 0xd0, v2
	s_mov_b32 s1, 0
.LBB24_101:                             ; =>This Inner Loop Header: Depth=1
	scratch_load_b64 v[56:57], v13, off
	ds_load_b64 v[58:59], v11
	v_dual_add_nc_u32 v9, 1, v9 :: v_dual_add_nc_u32 v11, 8, v11
	s_wait_xcnt 0x0
	v_add_nc_u32_e32 v13, 8, v13
	s_delay_alu instid0(VALU_DEP_2)
	v_cmp_lt_u32_e32 vcc_lo, 21, v9
	s_or_b32 s1, vcc_lo, s1
	s_wait_loadcnt_dscnt 0x0
	v_fmac_f64_e32 v[54:55], v[56:57], v[58:59]
	s_and_not1_b32 exec_lo, exec_lo, s1
	s_cbranch_execnz .LBB24_101
; %bb.102:
	s_or_b32 exec_lo, exec_lo, s1
	v_mov_b32_e32 v9, 0
	ds_load_b64 v[56:57], v9 offset:184
	s_wait_dscnt 0x0
	v_mul_f64_e32 v[54:55], v[54:55], v[56:57]
	scratch_store_b64 off, v[54:55], off offset:184
.LBB24_103:
	s_wait_xcnt 0x0
	s_or_b32 exec_lo, exec_lo, s0
	s_wait_storecnt 0x0
	s_barrier_signal -1
	s_barrier_wait -1
	scratch_load_b64 v[54:55], off, off offset:192
	s_mov_b32 s0, exec_lo
	s_wait_loadcnt 0x0
	ds_store_b64 v1, v[54:55]
	s_wait_dscnt 0x0
	s_barrier_signal -1
	s_barrier_wait -1
	v_cmpx_ne_u32_e32 24, v0
	s_cbranch_execz .LBB24_107
; %bb.104:
	v_mov_b64_e32 v[54:55], 0
	s_mov_b32 s1, 0
.LBB24_105:                             ; =>This Inner Loop Header: Depth=1
	scratch_load_b64 v[56:57], v2, off
	ds_load_b64 v[58:59], v1
	v_dual_add_nc_u32 v3, 1, v3 :: v_dual_add_nc_u32 v1, 8, v1
	s_wait_xcnt 0x0
	v_add_nc_u32_e32 v2, 8, v2
	s_delay_alu instid0(VALU_DEP_2)
	v_cmp_lt_u32_e32 vcc_lo, 22, v3
	s_or_b32 s1, vcc_lo, s1
	s_wait_loadcnt_dscnt 0x0
	v_fmac_f64_e32 v[54:55], v[56:57], v[58:59]
	s_and_not1_b32 exec_lo, exec_lo, s1
	s_cbranch_execnz .LBB24_105
; %bb.106:
	s_or_b32 exec_lo, exec_lo, s1
	v_mov_b32_e32 v1, 0
	ds_load_b64 v[2:3], v1 offset:192
	s_wait_dscnt 0x0
	v_mul_f64_e32 v[2:3], v[54:55], v[2:3]
	scratch_store_b64 off, v[2:3], off offset:192
.LBB24_107:
	s_wait_xcnt 0x0
	s_or_b32 exec_lo, exec_lo, s0
	s_mov_b32 s1, -1
	s_wait_storecnt 0x0
	s_barrier_signal -1
	s_barrier_wait -1
.LBB24_108:
	s_and_b32 vcc_lo, exec_lo, s1
	s_cbranch_vccz .LBB24_110
; %bb.109:
	v_mov_b32_e32 v1, 0
	s_lshl_b64 s[0:1], s[16:17], 2
	s_delay_alu instid0(SALU_CYCLE_1)
	s_add_nc_u64 s[0:1], s[6:7], s[0:1]
	global_load_b32 v1, v1, s[0:1]
	s_wait_loadcnt 0x0
	v_cmp_ne_u32_e32 vcc_lo, 0, v1
	s_cbranch_vccz .LBB24_111
.LBB24_110:
	s_sendmsg sendmsg(MSG_DEALLOC_VGPRS)
	s_endpgm
.LBB24_111:
	s_wait_xcnt 0x0
	v_lshl_add_u32 v1, v0, 3, 0xd0
	s_mov_b32 s0, exec_lo
	v_cmpx_eq_u32_e32 24, v0
	s_cbranch_execz .LBB24_113
; %bb.112:
	scratch_load_b64 v[2:3], off, off offset:184
	v_mov_b64_e32 v[54:55], 0
	scratch_store_b64 off, v[54:55], off offset:184
	s_wait_loadcnt 0x0
	ds_store_b64 v1, v[2:3]
.LBB24_113:
	s_wait_xcnt 0x0
	s_or_b32 exec_lo, exec_lo, s0
	s_wait_storecnt_dscnt 0x0
	s_barrier_signal -1
	s_barrier_wait -1
	scratch_load_b128 v[54:57], off, off offset:184
	v_mov_b32_e32 v2, 0
	s_mov_b32 s0, exec_lo
	ds_load_b64 v[58:59], v2 offset:400
	s_wait_loadcnt_dscnt 0x0
	v_fma_f64 v[56:57], v[56:57], v[58:59], 0
	s_delay_alu instid0(VALU_DEP_1)
	v_add_f64_e64 v[54:55], v[54:55], -v[56:57]
	scratch_store_b64 off, v[54:55], off offset:184
	s_wait_xcnt 0x0
	v_cmpx_lt_u32_e32 22, v0
	s_cbranch_execz .LBB24_115
; %bb.114:
	scratch_load_b64 v[54:55], off, off offset:176
	v_mov_b64_e32 v[56:57], 0
	scratch_store_b64 off, v[56:57], off offset:176
	s_wait_loadcnt 0x0
	ds_store_b64 v1, v[54:55]
.LBB24_115:
	s_wait_xcnt 0x0
	s_or_b32 exec_lo, exec_lo, s0
	s_wait_storecnt_dscnt 0x0
	s_barrier_signal -1
	s_barrier_wait -1
	s_clause 0x1
	scratch_load_b128 v[54:57], off, off offset:176
	scratch_load_b64 v[62:63], off, off offset:192
	ds_load_2addr_b64 v[58:61], v2 offset0:49 offset1:50
	s_mov_b32 s0, exec_lo
	s_wait_loadcnt_dscnt 0x100
	v_fma_f64 v[2:3], v[56:57], v[58:59], 0
	s_wait_loadcnt 0x0
	s_delay_alu instid0(VALU_DEP_1) | instskip(NEXT) | instid1(VALU_DEP_1)
	v_fmac_f64_e32 v[2:3], v[62:63], v[60:61]
	v_add_f64_e64 v[2:3], v[54:55], -v[2:3]
	scratch_store_b64 off, v[2:3], off offset:176
	s_wait_xcnt 0x0
	v_cmpx_lt_u32_e32 21, v0
	s_cbranch_execz .LBB24_117
; %bb.116:
	scratch_load_b64 v[2:3], off, off offset:168
	v_mov_b64_e32 v[54:55], 0
	scratch_store_b64 off, v[54:55], off offset:168
	s_wait_loadcnt 0x0
	ds_store_b64 v1, v[2:3]
.LBB24_117:
	s_wait_xcnt 0x0
	s_or_b32 exec_lo, exec_lo, s0
	s_wait_storecnt_dscnt 0x0
	s_barrier_signal -1
	s_barrier_wait -1
	s_clause 0x1
	scratch_load_b128 v[54:57], off, off offset:168
	scratch_load_b128 v[58:61], off, off offset:184
	v_mov_b32_e32 v2, 0
	ds_load_b128 v[62:65], v2 offset:384
	ds_load_b64 v[66:67], v2 offset:400
	s_mov_b32 s0, exec_lo
	s_wait_loadcnt_dscnt 0x101
	v_fma_f64 v[56:57], v[56:57], v[62:63], 0
	s_wait_loadcnt 0x0
	s_delay_alu instid0(VALU_DEP_1) | instskip(SKIP_1) | instid1(VALU_DEP_1)
	v_fmac_f64_e32 v[56:57], v[58:59], v[64:65]
	s_wait_dscnt 0x0
	v_fmac_f64_e32 v[56:57], v[60:61], v[66:67]
	s_delay_alu instid0(VALU_DEP_1)
	v_add_f64_e64 v[54:55], v[54:55], -v[56:57]
	scratch_store_b64 off, v[54:55], off offset:168
	s_wait_xcnt 0x0
	v_cmpx_lt_u32_e32 20, v0
	s_cbranch_execz .LBB24_119
; %bb.118:
	scratch_load_b64 v[54:55], off, off offset:160
	v_mov_b64_e32 v[56:57], 0
	scratch_store_b64 off, v[56:57], off offset:160
	s_wait_loadcnt 0x0
	ds_store_b64 v1, v[54:55]
.LBB24_119:
	s_wait_xcnt 0x0
	s_or_b32 exec_lo, exec_lo, s0
	s_wait_storecnt_dscnt 0x0
	s_barrier_signal -1
	s_barrier_wait -1
	s_clause 0x2
	scratch_load_b128 v[54:57], off, off offset:160
	scratch_load_b128 v[58:61], off, off offset:176
	scratch_load_b64 v[70:71], off, off offset:192
	ds_load_2addr_b64 v[62:65], v2 offset0:47 offset1:48
	ds_load_2addr_b64 v[66:69], v2 offset0:49 offset1:50
	s_mov_b32 s0, exec_lo
	s_wait_loadcnt_dscnt 0x201
	v_fma_f64 v[2:3], v[56:57], v[62:63], 0
	s_wait_loadcnt 0x1
	s_delay_alu instid0(VALU_DEP_1) | instskip(SKIP_1) | instid1(VALU_DEP_1)
	v_fmac_f64_e32 v[2:3], v[58:59], v[64:65]
	s_wait_dscnt 0x0
	v_fmac_f64_e32 v[2:3], v[60:61], v[66:67]
	s_wait_loadcnt 0x0
	s_delay_alu instid0(VALU_DEP_1) | instskip(NEXT) | instid1(VALU_DEP_1)
	v_fmac_f64_e32 v[2:3], v[70:71], v[68:69]
	v_add_f64_e64 v[2:3], v[54:55], -v[2:3]
	scratch_store_b64 off, v[2:3], off offset:160
	s_wait_xcnt 0x0
	v_cmpx_lt_u32_e32 19, v0
	s_cbranch_execz .LBB24_121
; %bb.120:
	scratch_load_b64 v[2:3], off, off offset:152
	v_mov_b64_e32 v[54:55], 0
	scratch_store_b64 off, v[54:55], off offset:152
	s_wait_loadcnt 0x0
	ds_store_b64 v1, v[2:3]
.LBB24_121:
	s_wait_xcnt 0x0
	s_or_b32 exec_lo, exec_lo, s0
	s_wait_storecnt_dscnt 0x0
	s_barrier_signal -1
	s_barrier_wait -1
	s_clause 0x2
	scratch_load_b128 v[54:57], off, off offset:152
	scratch_load_b128 v[58:61], off, off offset:168
	;; [unrolled: 1-line block ×3, first 2 shown]
	v_mov_b32_e32 v2, 0
	ds_load_b128 v[66:69], v2 offset:368
	ds_load_b128 v[70:73], v2 offset:384
	s_mov_b32 s0, exec_lo
	s_wait_loadcnt_dscnt 0x201
	v_fma_f64 v[56:57], v[56:57], v[66:67], 0
	s_wait_loadcnt 0x1
	s_delay_alu instid0(VALU_DEP_1) | instskip(SKIP_4) | instid1(VALU_DEP_1)
	v_fmac_f64_e32 v[56:57], v[58:59], v[68:69]
	ds_load_b64 v[58:59], v2 offset:400
	s_wait_dscnt 0x1
	v_fmac_f64_e32 v[56:57], v[60:61], v[70:71]
	s_wait_loadcnt 0x0
	v_fmac_f64_e32 v[56:57], v[62:63], v[72:73]
	s_wait_dscnt 0x0
	s_delay_alu instid0(VALU_DEP_1) | instskip(NEXT) | instid1(VALU_DEP_1)
	v_fmac_f64_e32 v[56:57], v[64:65], v[58:59]
	v_add_f64_e64 v[54:55], v[54:55], -v[56:57]
	scratch_store_b64 off, v[54:55], off offset:152
	s_wait_xcnt 0x0
	v_cmpx_lt_u32_e32 18, v0
	s_cbranch_execz .LBB24_123
; %bb.122:
	scratch_load_b64 v[54:55], off, off offset:144
	v_mov_b64_e32 v[56:57], 0
	scratch_store_b64 off, v[56:57], off offset:144
	s_wait_loadcnt 0x0
	ds_store_b64 v1, v[54:55]
.LBB24_123:
	s_wait_xcnt 0x0
	s_or_b32 exec_lo, exec_lo, s0
	s_wait_storecnt_dscnt 0x0
	s_barrier_signal -1
	s_barrier_wait -1
	s_clause 0x3
	scratch_load_b128 v[54:57], off, off offset:144
	scratch_load_b128 v[58:61], off, off offset:160
	;; [unrolled: 1-line block ×3, first 2 shown]
	scratch_load_b64 v[74:75], off, off offset:192
	ds_load_2addr_b64 v[66:69], v2 offset0:45 offset1:46
	ds_load_2addr_b64 v[70:73], v2 offset0:47 offset1:48
	s_mov_b32 s0, exec_lo
	s_wait_loadcnt_dscnt 0x301
	v_fma_f64 v[66:67], v[56:57], v[66:67], 0
	s_wait_loadcnt 0x2
	s_delay_alu instid0(VALU_DEP_1) | instskip(SKIP_4) | instid1(VALU_DEP_1)
	v_fmac_f64_e32 v[66:67], v[58:59], v[68:69]
	ds_load_2addr_b64 v[56:59], v2 offset0:49 offset1:50
	s_wait_dscnt 0x1
	v_fmac_f64_e32 v[66:67], v[60:61], v[70:71]
	s_wait_loadcnt 0x1
	v_fmac_f64_e32 v[66:67], v[62:63], v[72:73]
	s_wait_dscnt 0x0
	s_delay_alu instid0(VALU_DEP_1) | instskip(SKIP_1) | instid1(VALU_DEP_1)
	v_fmac_f64_e32 v[66:67], v[64:65], v[56:57]
	s_wait_loadcnt 0x0
	v_fmac_f64_e32 v[66:67], v[74:75], v[58:59]
	s_delay_alu instid0(VALU_DEP_1)
	v_add_f64_e64 v[2:3], v[54:55], -v[66:67]
	scratch_store_b64 off, v[2:3], off offset:144
	s_wait_xcnt 0x0
	v_cmpx_lt_u32_e32 17, v0
	s_cbranch_execz .LBB24_125
; %bb.124:
	scratch_load_b64 v[2:3], off, off offset:136
	v_mov_b64_e32 v[54:55], 0
	scratch_store_b64 off, v[54:55], off offset:136
	s_wait_loadcnt 0x0
	ds_store_b64 v1, v[2:3]
.LBB24_125:
	s_wait_xcnt 0x0
	s_or_b32 exec_lo, exec_lo, s0
	s_wait_storecnt_dscnt 0x0
	s_barrier_signal -1
	s_barrier_wait -1
	s_clause 0x3
	scratch_load_b128 v[54:57], off, off offset:136
	scratch_load_b128 v[58:61], off, off offset:152
	;; [unrolled: 1-line block ×4, first 2 shown]
	v_mov_b32_e32 v2, 0
	ds_load_b128 v[70:73], v2 offset:352
	ds_load_b128 v[74:77], v2 offset:368
	s_mov_b32 s0, exec_lo
	s_wait_loadcnt_dscnt 0x301
	v_fma_f64 v[70:71], v[56:57], v[70:71], 0
	s_wait_loadcnt 0x2
	s_delay_alu instid0(VALU_DEP_1) | instskip(SKIP_1) | instid1(VALU_DEP_1)
	v_fmac_f64_e32 v[70:71], v[58:59], v[72:73]
	s_wait_dscnt 0x0
	v_fmac_f64_e32 v[70:71], v[60:61], v[74:75]
	ds_load_b128 v[56:59], v2 offset:384
	ds_load_b64 v[60:61], v2 offset:400
	s_wait_loadcnt 0x1
	v_fmac_f64_e32 v[70:71], v[62:63], v[76:77]
	s_wait_dscnt 0x1
	s_delay_alu instid0(VALU_DEP_1) | instskip(SKIP_1) | instid1(VALU_DEP_1)
	v_fmac_f64_e32 v[70:71], v[64:65], v[56:57]
	s_wait_loadcnt 0x0
	v_fmac_f64_e32 v[70:71], v[66:67], v[58:59]
	s_wait_dscnt 0x0
	s_delay_alu instid0(VALU_DEP_1) | instskip(NEXT) | instid1(VALU_DEP_1)
	v_fmac_f64_e32 v[70:71], v[68:69], v[60:61]
	v_add_f64_e64 v[54:55], v[54:55], -v[70:71]
	scratch_store_b64 off, v[54:55], off offset:136
	s_wait_xcnt 0x0
	v_cmpx_lt_u32_e32 16, v0
	s_cbranch_execz .LBB24_127
; %bb.126:
	scratch_load_b64 v[54:55], off, off offset:128
	v_mov_b64_e32 v[56:57], 0
	scratch_store_b64 off, v[56:57], off offset:128
	s_wait_loadcnt 0x0
	ds_store_b64 v1, v[54:55]
.LBB24_127:
	s_wait_xcnt 0x0
	s_or_b32 exec_lo, exec_lo, s0
	s_wait_storecnt_dscnt 0x0
	s_barrier_signal -1
	s_barrier_wait -1
	s_clause 0x4
	scratch_load_b128 v[54:57], off, off offset:128
	scratch_load_b128 v[58:61], off, off offset:144
	;; [unrolled: 1-line block ×4, first 2 shown]
	scratch_load_b64 v[78:79], off, off offset:192
	ds_load_2addr_b64 v[70:73], v2 offset0:43 offset1:44
	ds_load_2addr_b64 v[74:77], v2 offset0:45 offset1:46
	s_mov_b32 s0, exec_lo
	s_wait_loadcnt_dscnt 0x401
	v_fma_f64 v[70:71], v[56:57], v[70:71], 0
	s_wait_loadcnt 0x3
	s_delay_alu instid0(VALU_DEP_1) | instskip(SKIP_1) | instid1(VALU_DEP_1)
	v_fmac_f64_e32 v[70:71], v[58:59], v[72:73]
	s_wait_dscnt 0x0
	v_fmac_f64_e32 v[70:71], v[60:61], v[74:75]
	s_wait_loadcnt 0x2
	s_delay_alu instid0(VALU_DEP_1)
	v_fmac_f64_e32 v[70:71], v[62:63], v[76:77]
	ds_load_2addr_b64 v[56:59], v2 offset0:47 offset1:48
	ds_load_2addr_b64 v[60:63], v2 offset0:49 offset1:50
	s_wait_dscnt 0x1
	v_fmac_f64_e32 v[70:71], v[64:65], v[56:57]
	s_wait_loadcnt 0x1
	s_delay_alu instid0(VALU_DEP_1) | instskip(SKIP_1) | instid1(VALU_DEP_1)
	v_fmac_f64_e32 v[70:71], v[66:67], v[58:59]
	s_wait_dscnt 0x0
	v_fmac_f64_e32 v[70:71], v[68:69], v[60:61]
	s_wait_loadcnt 0x0
	s_delay_alu instid0(VALU_DEP_1) | instskip(NEXT) | instid1(VALU_DEP_1)
	v_fmac_f64_e32 v[70:71], v[78:79], v[62:63]
	v_add_f64_e64 v[2:3], v[54:55], -v[70:71]
	scratch_store_b64 off, v[2:3], off offset:128
	s_wait_xcnt 0x0
	v_cmpx_lt_u32_e32 15, v0
	s_cbranch_execz .LBB24_129
; %bb.128:
	scratch_load_b64 v[2:3], off, off offset:120
	v_mov_b64_e32 v[54:55], 0
	scratch_store_b64 off, v[54:55], off offset:120
	s_wait_loadcnt 0x0
	ds_store_b64 v1, v[2:3]
.LBB24_129:
	s_wait_xcnt 0x0
	s_or_b32 exec_lo, exec_lo, s0
	s_wait_storecnt_dscnt 0x0
	s_barrier_signal -1
	s_barrier_wait -1
	s_clause 0x4
	scratch_load_b128 v[54:57], off, off offset:120
	scratch_load_b128 v[58:61], off, off offset:136
	scratch_load_b128 v[62:65], off, off offset:152
	scratch_load_b128 v[66:69], off, off offset:168
	scratch_load_b128 v[70:73], off, off offset:184
	v_mov_b32_e32 v2, 0
	ds_load_b128 v[74:77], v2 offset:336
	ds_load_b128 v[78:81], v2 offset:352
	s_mov_b32 s0, exec_lo
	s_wait_loadcnt_dscnt 0x401
	v_fma_f64 v[74:75], v[56:57], v[74:75], 0
	s_wait_loadcnt 0x3
	s_delay_alu instid0(VALU_DEP_1) | instskip(SKIP_1) | instid1(VALU_DEP_1)
	v_fmac_f64_e32 v[74:75], v[58:59], v[76:77]
	s_wait_dscnt 0x0
	v_fmac_f64_e32 v[74:75], v[60:61], v[78:79]
	s_wait_loadcnt 0x2
	s_delay_alu instid0(VALU_DEP_1)
	v_fmac_f64_e32 v[74:75], v[62:63], v[80:81]
	ds_load_b128 v[56:59], v2 offset:368
	ds_load_b128 v[60:63], v2 offset:384
	s_wait_dscnt 0x1
	v_fmac_f64_e32 v[74:75], v[64:65], v[56:57]
	ds_load_b64 v[56:57], v2 offset:400
	s_wait_loadcnt 0x1
	v_fmac_f64_e32 v[74:75], v[66:67], v[58:59]
	s_wait_dscnt 0x1
	s_delay_alu instid0(VALU_DEP_1) | instskip(SKIP_1) | instid1(VALU_DEP_1)
	v_fmac_f64_e32 v[74:75], v[68:69], v[60:61]
	s_wait_loadcnt 0x0
	v_fmac_f64_e32 v[74:75], v[70:71], v[62:63]
	s_wait_dscnt 0x0
	s_delay_alu instid0(VALU_DEP_1) | instskip(NEXT) | instid1(VALU_DEP_1)
	v_fmac_f64_e32 v[74:75], v[72:73], v[56:57]
	v_add_f64_e64 v[54:55], v[54:55], -v[74:75]
	scratch_store_b64 off, v[54:55], off offset:120
	s_wait_xcnt 0x0
	v_cmpx_lt_u32_e32 14, v0
	s_cbranch_execz .LBB24_131
; %bb.130:
	scratch_load_b64 v[54:55], off, off offset:112
	v_mov_b64_e32 v[56:57], 0
	scratch_store_b64 off, v[56:57], off offset:112
	s_wait_loadcnt 0x0
	ds_store_b64 v1, v[54:55]
.LBB24_131:
	s_wait_xcnt 0x0
	s_or_b32 exec_lo, exec_lo, s0
	s_wait_storecnt_dscnt 0x0
	s_barrier_signal -1
	s_barrier_wait -1
	s_clause 0x5
	scratch_load_b128 v[54:57], off, off offset:112
	scratch_load_b128 v[58:61], off, off offset:128
	;; [unrolled: 1-line block ×5, first 2 shown]
	scratch_load_b64 v[82:83], off, off offset:192
	ds_load_2addr_b64 v[74:77], v2 offset0:41 offset1:42
	ds_load_2addr_b64 v[78:81], v2 offset0:43 offset1:44
	s_mov_b32 s0, exec_lo
	s_wait_loadcnt_dscnt 0x501
	v_fma_f64 v[74:75], v[56:57], v[74:75], 0
	s_wait_loadcnt 0x4
	s_delay_alu instid0(VALU_DEP_1) | instskip(SKIP_1) | instid1(VALU_DEP_1)
	v_fmac_f64_e32 v[74:75], v[58:59], v[76:77]
	s_wait_dscnt 0x0
	v_fmac_f64_e32 v[74:75], v[60:61], v[78:79]
	s_wait_loadcnt 0x3
	s_delay_alu instid0(VALU_DEP_1)
	v_fmac_f64_e32 v[74:75], v[62:63], v[80:81]
	ds_load_2addr_b64 v[56:59], v2 offset0:45 offset1:46
	ds_load_2addr_b64 v[60:63], v2 offset0:47 offset1:48
	s_wait_dscnt 0x1
	v_fmac_f64_e32 v[74:75], v[64:65], v[56:57]
	s_wait_loadcnt 0x2
	s_delay_alu instid0(VALU_DEP_1) | instskip(SKIP_4) | instid1(VALU_DEP_1)
	v_fmac_f64_e32 v[74:75], v[66:67], v[58:59]
	ds_load_2addr_b64 v[56:59], v2 offset0:49 offset1:50
	s_wait_dscnt 0x1
	v_fmac_f64_e32 v[74:75], v[68:69], v[60:61]
	s_wait_loadcnt 0x1
	v_fmac_f64_e32 v[74:75], v[70:71], v[62:63]
	s_wait_dscnt 0x0
	s_delay_alu instid0(VALU_DEP_1) | instskip(SKIP_1) | instid1(VALU_DEP_1)
	v_fmac_f64_e32 v[74:75], v[72:73], v[56:57]
	s_wait_loadcnt 0x0
	v_fmac_f64_e32 v[74:75], v[82:83], v[58:59]
	s_delay_alu instid0(VALU_DEP_1)
	v_add_f64_e64 v[2:3], v[54:55], -v[74:75]
	scratch_store_b64 off, v[2:3], off offset:112
	s_wait_xcnt 0x0
	v_cmpx_lt_u32_e32 13, v0
	s_cbranch_execz .LBB24_133
; %bb.132:
	scratch_load_b64 v[2:3], off, off offset:104
	v_mov_b64_e32 v[54:55], 0
	scratch_store_b64 off, v[54:55], off offset:104
	s_wait_loadcnt 0x0
	ds_store_b64 v1, v[2:3]
.LBB24_133:
	s_wait_xcnt 0x0
	s_or_b32 exec_lo, exec_lo, s0
	s_wait_storecnt_dscnt 0x0
	s_barrier_signal -1
	s_barrier_wait -1
	s_clause 0x5
	scratch_load_b128 v[54:57], off, off offset:104
	scratch_load_b128 v[58:61], off, off offset:120
	;; [unrolled: 1-line block ×6, first 2 shown]
	v_mov_b32_e32 v2, 0
	ds_load_b128 v[78:81], v2 offset:320
	ds_load_b128 v[82:85], v2 offset:336
	s_mov_b32 s0, exec_lo
	s_wait_loadcnt_dscnt 0x501
	v_fma_f64 v[78:79], v[56:57], v[78:79], 0
	s_wait_loadcnt 0x4
	s_delay_alu instid0(VALU_DEP_1) | instskip(SKIP_1) | instid1(VALU_DEP_1)
	v_fmac_f64_e32 v[78:79], v[58:59], v[80:81]
	s_wait_dscnt 0x0
	v_fmac_f64_e32 v[78:79], v[60:61], v[82:83]
	s_wait_loadcnt 0x3
	s_delay_alu instid0(VALU_DEP_1)
	v_fmac_f64_e32 v[78:79], v[62:63], v[84:85]
	ds_load_b128 v[56:59], v2 offset:352
	ds_load_b128 v[60:63], v2 offset:368
	s_wait_dscnt 0x1
	v_fmac_f64_e32 v[78:79], v[64:65], v[56:57]
	s_wait_loadcnt 0x2
	s_delay_alu instid0(VALU_DEP_1) | instskip(SKIP_1) | instid1(VALU_DEP_1)
	v_fmac_f64_e32 v[78:79], v[66:67], v[58:59]
	s_wait_dscnt 0x0
	v_fmac_f64_e32 v[78:79], v[68:69], v[60:61]
	ds_load_b128 v[56:59], v2 offset:384
	ds_load_b64 v[60:61], v2 offset:400
	s_wait_loadcnt 0x1
	v_fmac_f64_e32 v[78:79], v[70:71], v[62:63]
	s_wait_dscnt 0x1
	s_delay_alu instid0(VALU_DEP_1) | instskip(SKIP_1) | instid1(VALU_DEP_1)
	v_fmac_f64_e32 v[78:79], v[72:73], v[56:57]
	s_wait_loadcnt 0x0
	v_fmac_f64_e32 v[78:79], v[74:75], v[58:59]
	s_wait_dscnt 0x0
	s_delay_alu instid0(VALU_DEP_1) | instskip(NEXT) | instid1(VALU_DEP_1)
	v_fmac_f64_e32 v[78:79], v[76:77], v[60:61]
	v_add_f64_e64 v[54:55], v[54:55], -v[78:79]
	scratch_store_b64 off, v[54:55], off offset:104
	s_wait_xcnt 0x0
	v_cmpx_lt_u32_e32 12, v0
	s_cbranch_execz .LBB24_135
; %bb.134:
	scratch_load_b64 v[54:55], off, off offset:96
	v_mov_b64_e32 v[56:57], 0
	scratch_store_b64 off, v[56:57], off offset:96
	s_wait_loadcnt 0x0
	ds_store_b64 v1, v[54:55]
.LBB24_135:
	s_wait_xcnt 0x0
	s_or_b32 exec_lo, exec_lo, s0
	s_wait_storecnt_dscnt 0x0
	s_barrier_signal -1
	s_barrier_wait -1
	s_clause 0x5
	scratch_load_b128 v[54:57], off, off offset:96
	scratch_load_b128 v[58:61], off, off offset:112
	;; [unrolled: 1-line block ×6, first 2 shown]
	ds_load_2addr_b64 v[78:81], v2 offset0:39 offset1:40
	ds_load_2addr_b64 v[82:85], v2 offset0:41 offset1:42
	s_mov_b32 s0, exec_lo
	s_wait_loadcnt_dscnt 0x501
	v_fma_f64 v[78:79], v[56:57], v[78:79], 0
	s_wait_loadcnt 0x4
	s_delay_alu instid0(VALU_DEP_1) | instskip(SKIP_4) | instid1(VALU_DEP_1)
	v_fmac_f64_e32 v[78:79], v[58:59], v[80:81]
	scratch_load_b64 v[80:81], off, off offset:192
	s_wait_dscnt 0x0
	v_fmac_f64_e32 v[78:79], v[60:61], v[82:83]
	s_wait_loadcnt 0x4
	v_fmac_f64_e32 v[78:79], v[62:63], v[84:85]
	ds_load_2addr_b64 v[56:59], v2 offset0:43 offset1:44
	ds_load_2addr_b64 v[60:63], v2 offset0:45 offset1:46
	s_wait_dscnt 0x1
	v_fmac_f64_e32 v[78:79], v[64:65], v[56:57]
	s_wait_loadcnt 0x3
	s_delay_alu instid0(VALU_DEP_1) | instskip(SKIP_1) | instid1(VALU_DEP_1)
	v_fmac_f64_e32 v[78:79], v[66:67], v[58:59]
	s_wait_dscnt 0x0
	v_fmac_f64_e32 v[78:79], v[68:69], v[60:61]
	s_wait_loadcnt 0x2
	s_delay_alu instid0(VALU_DEP_1)
	v_fmac_f64_e32 v[78:79], v[70:71], v[62:63]
	ds_load_2addr_b64 v[56:59], v2 offset0:47 offset1:48
	ds_load_2addr_b64 v[60:63], v2 offset0:49 offset1:50
	s_wait_dscnt 0x1
	v_fmac_f64_e32 v[78:79], v[72:73], v[56:57]
	s_wait_loadcnt 0x1
	s_delay_alu instid0(VALU_DEP_1) | instskip(SKIP_1) | instid1(VALU_DEP_1)
	v_fmac_f64_e32 v[78:79], v[74:75], v[58:59]
	s_wait_dscnt 0x0
	v_fmac_f64_e32 v[78:79], v[76:77], v[60:61]
	s_wait_loadcnt 0x0
	s_delay_alu instid0(VALU_DEP_1) | instskip(NEXT) | instid1(VALU_DEP_1)
	v_fmac_f64_e32 v[78:79], v[80:81], v[62:63]
	v_add_f64_e64 v[2:3], v[54:55], -v[78:79]
	scratch_store_b64 off, v[2:3], off offset:96
	s_wait_xcnt 0x0
	v_cmpx_lt_u32_e32 11, v0
	s_cbranch_execz .LBB24_137
; %bb.136:
	scratch_load_b64 v[2:3], off, off offset:88
	v_mov_b64_e32 v[54:55], 0
	scratch_store_b64 off, v[54:55], off offset:88
	s_wait_loadcnt 0x0
	ds_store_b64 v1, v[2:3]
.LBB24_137:
	s_wait_xcnt 0x0
	s_or_b32 exec_lo, exec_lo, s0
	s_wait_storecnt_dscnt 0x0
	s_barrier_signal -1
	s_barrier_wait -1
	s_clause 0x5
	scratch_load_b128 v[54:57], off, off offset:88
	scratch_load_b128 v[58:61], off, off offset:104
	;; [unrolled: 1-line block ×6, first 2 shown]
	v_mov_b32_e32 v2, 0
	ds_load_b128 v[78:81], v2 offset:304
	ds_load_b128 v[82:85], v2 offset:320
	s_mov_b32 s0, exec_lo
	s_wait_loadcnt_dscnt 0x501
	v_fma_f64 v[86:87], v[56:57], v[78:79], 0
	s_wait_loadcnt 0x4
	s_delay_alu instid0(VALU_DEP_1) | instskip(SKIP_4) | instid1(VALU_DEP_1)
	v_fmac_f64_e32 v[86:87], v[58:59], v[80:81]
	scratch_load_b128 v[56:59], off, off offset:184
	s_wait_dscnt 0x0
	v_fmac_f64_e32 v[86:87], v[60:61], v[82:83]
	s_wait_loadcnt 0x4
	v_fmac_f64_e32 v[86:87], v[62:63], v[84:85]
	ds_load_b128 v[60:63], v2 offset:336
	ds_load_b128 v[78:81], v2 offset:352
	s_wait_dscnt 0x1
	v_fmac_f64_e32 v[86:87], v[64:65], v[60:61]
	s_wait_loadcnt 0x3
	s_delay_alu instid0(VALU_DEP_1)
	v_fmac_f64_e32 v[86:87], v[66:67], v[62:63]
	ds_load_b128 v[60:63], v2 offset:368
	ds_load_b128 v[64:67], v2 offset:384
	s_wait_dscnt 0x2
	v_fmac_f64_e32 v[86:87], v[68:69], v[78:79]
	s_wait_loadcnt 0x2
	s_delay_alu instid0(VALU_DEP_1) | instskip(SKIP_1) | instid1(VALU_DEP_1)
	v_fmac_f64_e32 v[86:87], v[70:71], v[80:81]
	s_wait_dscnt 0x1
	v_fmac_f64_e32 v[86:87], v[72:73], v[60:61]
	s_wait_loadcnt 0x1
	s_delay_alu instid0(VALU_DEP_1) | instskip(SKIP_1) | instid1(VALU_DEP_1)
	v_fmac_f64_e32 v[86:87], v[74:75], v[62:63]
	s_wait_dscnt 0x0
	v_fmac_f64_e32 v[86:87], v[76:77], v[64:65]
	s_wait_loadcnt 0x0
	s_delay_alu instid0(VALU_DEP_1) | instskip(SKIP_3) | instid1(VALU_DEP_1)
	v_fmac_f64_e32 v[86:87], v[56:57], v[66:67]
	ds_load_b64 v[56:57], v2 offset:400
	s_wait_dscnt 0x0
	v_fmac_f64_e32 v[86:87], v[58:59], v[56:57]
	v_add_f64_e64 v[54:55], v[54:55], -v[86:87]
	scratch_store_b64 off, v[54:55], off offset:88
	s_wait_xcnt 0x0
	v_cmpx_lt_u32_e32 10, v0
	s_cbranch_execz .LBB24_139
; %bb.138:
	scratch_load_b64 v[54:55], off, off offset:80
	v_mov_b64_e32 v[56:57], 0
	scratch_store_b64 off, v[56:57], off offset:80
	s_wait_loadcnt 0x0
	ds_store_b64 v1, v[54:55]
.LBB24_139:
	s_wait_xcnt 0x0
	s_or_b32 exec_lo, exec_lo, s0
	s_wait_storecnt_dscnt 0x0
	s_barrier_signal -1
	s_barrier_wait -1
	s_clause 0x5
	scratch_load_b128 v[54:57], off, off offset:80
	scratch_load_b128 v[58:61], off, off offset:96
	;; [unrolled: 1-line block ×6, first 2 shown]
	ds_load_2addr_b64 v[78:81], v2 offset0:37 offset1:38
	ds_load_2addr_b64 v[82:85], v2 offset0:39 offset1:40
	s_mov_b32 s0, exec_lo
	s_wait_loadcnt_dscnt 0x501
	v_fma_f64 v[86:87], v[56:57], v[78:79], 0
	s_wait_loadcnt 0x4
	s_delay_alu instid0(VALU_DEP_1)
	v_fmac_f64_e32 v[86:87], v[58:59], v[80:81]
	scratch_load_b128 v[56:59], off, off offset:176
	s_wait_dscnt 0x0
	v_fmac_f64_e32 v[86:87], v[60:61], v[82:83]
	scratch_load_b64 v[82:83], off, off offset:192
	s_wait_loadcnt 0x5
	v_fmac_f64_e32 v[86:87], v[62:63], v[84:85]
	ds_load_2addr_b64 v[60:63], v2 offset0:41 offset1:42
	ds_load_2addr_b64 v[78:81], v2 offset0:43 offset1:44
	s_wait_dscnt 0x1
	v_fmac_f64_e32 v[86:87], v[64:65], v[60:61]
	s_wait_loadcnt 0x4
	s_delay_alu instid0(VALU_DEP_1)
	v_fmac_f64_e32 v[86:87], v[66:67], v[62:63]
	ds_load_2addr_b64 v[60:63], v2 offset0:45 offset1:46
	ds_load_2addr_b64 v[64:67], v2 offset0:47 offset1:48
	s_wait_dscnt 0x2
	v_fmac_f64_e32 v[86:87], v[68:69], v[78:79]
	s_wait_loadcnt 0x3
	s_delay_alu instid0(VALU_DEP_1) | instskip(SKIP_1) | instid1(VALU_DEP_1)
	v_fmac_f64_e32 v[86:87], v[70:71], v[80:81]
	s_wait_dscnt 0x1
	v_fmac_f64_e32 v[86:87], v[72:73], v[60:61]
	s_wait_loadcnt 0x2
	s_delay_alu instid0(VALU_DEP_1) | instskip(SKIP_4) | instid1(VALU_DEP_1)
	v_fmac_f64_e32 v[86:87], v[74:75], v[62:63]
	ds_load_2addr_b64 v[60:63], v2 offset0:49 offset1:50
	s_wait_dscnt 0x1
	v_fmac_f64_e32 v[86:87], v[76:77], v[64:65]
	s_wait_loadcnt 0x1
	v_fmac_f64_e32 v[86:87], v[56:57], v[66:67]
	s_wait_dscnt 0x0
	s_delay_alu instid0(VALU_DEP_1) | instskip(SKIP_1) | instid1(VALU_DEP_1)
	v_fmac_f64_e32 v[86:87], v[58:59], v[60:61]
	s_wait_loadcnt 0x0
	v_fmac_f64_e32 v[86:87], v[82:83], v[62:63]
	s_delay_alu instid0(VALU_DEP_1)
	v_add_f64_e64 v[2:3], v[54:55], -v[86:87]
	scratch_store_b64 off, v[2:3], off offset:80
	s_wait_xcnt 0x0
	v_cmpx_lt_u32_e32 9, v0
	s_cbranch_execz .LBB24_141
; %bb.140:
	scratch_load_b64 v[2:3], off, off offset:72
	v_mov_b64_e32 v[54:55], 0
	scratch_store_b64 off, v[54:55], off offset:72
	s_wait_loadcnt 0x0
	ds_store_b64 v1, v[2:3]
.LBB24_141:
	s_wait_xcnt 0x0
	s_or_b32 exec_lo, exec_lo, s0
	s_wait_storecnt_dscnt 0x0
	s_barrier_signal -1
	s_barrier_wait -1
	s_clause 0x5
	scratch_load_b128 v[54:57], off, off offset:72
	scratch_load_b128 v[58:61], off, off offset:88
	;; [unrolled: 1-line block ×6, first 2 shown]
	v_mov_b32_e32 v2, 0
	ds_load_b128 v[78:81], v2 offset:288
	ds_load_b128 v[82:85], v2 offset:304
	s_mov_b32 s0, exec_lo
	s_wait_loadcnt_dscnt 0x501
	v_fma_f64 v[86:87], v[56:57], v[78:79], 0
	s_wait_loadcnt 0x4
	s_delay_alu instid0(VALU_DEP_1) | instskip(SKIP_4) | instid1(VALU_DEP_1)
	v_fmac_f64_e32 v[86:87], v[58:59], v[80:81]
	scratch_load_b128 v[56:59], off, off offset:168
	s_wait_dscnt 0x0
	v_fmac_f64_e32 v[86:87], v[60:61], v[82:83]
	s_wait_loadcnt 0x4
	v_fmac_f64_e32 v[86:87], v[62:63], v[84:85]
	scratch_load_b128 v[60:63], off, off offset:184
	ds_load_b128 v[78:81], v2 offset:320
	ds_load_b128 v[82:85], v2 offset:336
	s_wait_dscnt 0x1
	v_fmac_f64_e32 v[86:87], v[64:65], v[78:79]
	s_wait_loadcnt 0x4
	s_delay_alu instid0(VALU_DEP_1) | instskip(SKIP_1) | instid1(VALU_DEP_1)
	v_fmac_f64_e32 v[86:87], v[66:67], v[80:81]
	s_wait_dscnt 0x0
	v_fmac_f64_e32 v[86:87], v[68:69], v[82:83]
	s_wait_loadcnt 0x3
	s_delay_alu instid0(VALU_DEP_1)
	v_fmac_f64_e32 v[86:87], v[70:71], v[84:85]
	ds_load_b128 v[64:67], v2 offset:352
	ds_load_b128 v[68:71], v2 offset:368
	s_wait_dscnt 0x1
	v_fmac_f64_e32 v[86:87], v[72:73], v[64:65]
	s_wait_loadcnt 0x2
	s_delay_alu instid0(VALU_DEP_1) | instskip(SKIP_1) | instid1(VALU_DEP_1)
	v_fmac_f64_e32 v[86:87], v[74:75], v[66:67]
	s_wait_dscnt 0x0
	v_fmac_f64_e32 v[86:87], v[76:77], v[68:69]
	s_wait_loadcnt 0x1
	s_delay_alu instid0(VALU_DEP_1)
	v_fmac_f64_e32 v[86:87], v[56:57], v[70:71]
	ds_load_b128 v[64:67], v2 offset:384
	ds_load_b64 v[56:57], v2 offset:400
	s_wait_dscnt 0x1
	v_fmac_f64_e32 v[86:87], v[58:59], v[64:65]
	s_wait_loadcnt 0x0
	s_delay_alu instid0(VALU_DEP_1) | instskip(SKIP_1) | instid1(VALU_DEP_1)
	v_fmac_f64_e32 v[86:87], v[60:61], v[66:67]
	s_wait_dscnt 0x0
	v_fmac_f64_e32 v[86:87], v[62:63], v[56:57]
	s_delay_alu instid0(VALU_DEP_1)
	v_add_f64_e64 v[54:55], v[54:55], -v[86:87]
	scratch_store_b64 off, v[54:55], off offset:72
	s_wait_xcnt 0x0
	v_cmpx_lt_u32_e32 8, v0
	s_cbranch_execz .LBB24_143
; %bb.142:
	scratch_load_b64 v[54:55], off, off offset:64
	v_mov_b64_e32 v[56:57], 0
	scratch_store_b64 off, v[56:57], off offset:64
	s_wait_loadcnt 0x0
	ds_store_b64 v1, v[54:55]
.LBB24_143:
	s_wait_xcnt 0x0
	s_or_b32 exec_lo, exec_lo, s0
	s_wait_storecnt_dscnt 0x0
	s_barrier_signal -1
	s_barrier_wait -1
	s_clause 0x5
	scratch_load_b128 v[54:57], off, off offset:64
	scratch_load_b128 v[58:61], off, off offset:80
	scratch_load_b128 v[62:65], off, off offset:96
	scratch_load_b128 v[66:69], off, off offset:112
	scratch_load_b128 v[70:73], off, off offset:128
	scratch_load_b128 v[74:77], off, off offset:144
	ds_load_2addr_b64 v[78:81], v2 offset0:35 offset1:36
	ds_load_2addr_b64 v[82:85], v2 offset0:37 offset1:38
	s_mov_b32 s0, exec_lo
	s_wait_loadcnt_dscnt 0x501
	v_fma_f64 v[86:87], v[56:57], v[78:79], 0
	s_wait_loadcnt 0x4
	s_delay_alu instid0(VALU_DEP_1) | instskip(SKIP_4) | instid1(VALU_DEP_1)
	v_fmac_f64_e32 v[86:87], v[58:59], v[80:81]
	scratch_load_b128 v[56:59], off, off offset:160
	s_wait_dscnt 0x0
	v_fmac_f64_e32 v[86:87], v[60:61], v[82:83]
	s_wait_loadcnt 0x4
	v_fmac_f64_e32 v[86:87], v[62:63], v[84:85]
	scratch_load_b128 v[60:63], off, off offset:176
	ds_load_2addr_b64 v[78:81], v2 offset0:39 offset1:40
	ds_load_2addr_b64 v[82:85], v2 offset0:41 offset1:42
	s_wait_dscnt 0x1
	v_fmac_f64_e32 v[86:87], v[64:65], v[78:79]
	scratch_load_b64 v[78:79], off, off offset:192
	s_wait_loadcnt 0x5
	v_fmac_f64_e32 v[86:87], v[66:67], v[80:81]
	s_wait_dscnt 0x0
	s_delay_alu instid0(VALU_DEP_1) | instskip(SKIP_1) | instid1(VALU_DEP_1)
	v_fmac_f64_e32 v[86:87], v[68:69], v[82:83]
	s_wait_loadcnt 0x4
	v_fmac_f64_e32 v[86:87], v[70:71], v[84:85]
	ds_load_2addr_b64 v[64:67], v2 offset0:43 offset1:44
	ds_load_2addr_b64 v[68:71], v2 offset0:45 offset1:46
	s_wait_dscnt 0x1
	v_fmac_f64_e32 v[86:87], v[72:73], v[64:65]
	s_wait_loadcnt 0x3
	s_delay_alu instid0(VALU_DEP_1) | instskip(SKIP_1) | instid1(VALU_DEP_1)
	v_fmac_f64_e32 v[86:87], v[74:75], v[66:67]
	s_wait_dscnt 0x0
	v_fmac_f64_e32 v[86:87], v[76:77], v[68:69]
	s_wait_loadcnt 0x2
	s_delay_alu instid0(VALU_DEP_1)
	v_fmac_f64_e32 v[86:87], v[56:57], v[70:71]
	ds_load_2addr_b64 v[64:67], v2 offset0:47 offset1:48
	ds_load_2addr_b64 v[68:71], v2 offset0:49 offset1:50
	s_wait_dscnt 0x1
	v_fmac_f64_e32 v[86:87], v[58:59], v[64:65]
	s_wait_loadcnt 0x1
	s_delay_alu instid0(VALU_DEP_1) | instskip(SKIP_1) | instid1(VALU_DEP_1)
	v_fmac_f64_e32 v[86:87], v[60:61], v[66:67]
	s_wait_dscnt 0x0
	v_fmac_f64_e32 v[86:87], v[62:63], v[68:69]
	s_wait_loadcnt 0x0
	s_delay_alu instid0(VALU_DEP_1) | instskip(NEXT) | instid1(VALU_DEP_1)
	v_fmac_f64_e32 v[86:87], v[78:79], v[70:71]
	v_add_f64_e64 v[2:3], v[54:55], -v[86:87]
	scratch_store_b64 off, v[2:3], off offset:64
	s_wait_xcnt 0x0
	v_cmpx_lt_u32_e32 7, v0
	s_cbranch_execz .LBB24_145
; %bb.144:
	scratch_load_b64 v[2:3], off, off offset:56
	v_mov_b64_e32 v[54:55], 0
	scratch_store_b64 off, v[54:55], off offset:56
	s_wait_loadcnt 0x0
	ds_store_b64 v1, v[2:3]
.LBB24_145:
	s_wait_xcnt 0x0
	s_or_b32 exec_lo, exec_lo, s0
	s_wait_storecnt_dscnt 0x0
	s_barrier_signal -1
	s_barrier_wait -1
	s_clause 0x5
	scratch_load_b128 v[54:57], off, off offset:56
	scratch_load_b128 v[58:61], off, off offset:72
	;; [unrolled: 1-line block ×6, first 2 shown]
	v_mov_b32_e32 v2, 0
	ds_load_b128 v[78:81], v2 offset:272
	ds_load_b128 v[82:85], v2 offset:288
	s_mov_b32 s0, exec_lo
	s_wait_loadcnt_dscnt 0x501
	v_fma_f64 v[86:87], v[56:57], v[78:79], 0
	s_wait_loadcnt 0x4
	s_delay_alu instid0(VALU_DEP_1) | instskip(SKIP_4) | instid1(VALU_DEP_1)
	v_fmac_f64_e32 v[86:87], v[58:59], v[80:81]
	scratch_load_b128 v[56:59], off, off offset:152
	s_wait_dscnt 0x0
	v_fmac_f64_e32 v[86:87], v[60:61], v[82:83]
	s_wait_loadcnt 0x4
	v_fmac_f64_e32 v[86:87], v[62:63], v[84:85]
	scratch_load_b128 v[60:63], off, off offset:168
	ds_load_b128 v[78:81], v2 offset:304
	ds_load_b128 v[82:85], v2 offset:320
	s_wait_dscnt 0x1
	v_fmac_f64_e32 v[86:87], v[64:65], v[78:79]
	s_wait_loadcnt 0x4
	s_delay_alu instid0(VALU_DEP_1) | instskip(SKIP_4) | instid1(VALU_DEP_1)
	v_fmac_f64_e32 v[86:87], v[66:67], v[80:81]
	scratch_load_b128 v[64:67], off, off offset:184
	s_wait_dscnt 0x0
	v_fmac_f64_e32 v[86:87], v[68:69], v[82:83]
	s_wait_loadcnt 0x4
	v_fmac_f64_e32 v[86:87], v[70:71], v[84:85]
	ds_load_b128 v[68:71], v2 offset:336
	ds_load_b128 v[78:81], v2 offset:352
	s_wait_dscnt 0x1
	v_fmac_f64_e32 v[86:87], v[72:73], v[68:69]
	s_wait_loadcnt 0x3
	s_delay_alu instid0(VALU_DEP_1)
	v_fmac_f64_e32 v[86:87], v[74:75], v[70:71]
	ds_load_b128 v[68:71], v2 offset:368
	ds_load_b128 v[72:75], v2 offset:384
	s_wait_dscnt 0x2
	v_fmac_f64_e32 v[86:87], v[76:77], v[78:79]
	s_wait_loadcnt 0x2
	s_delay_alu instid0(VALU_DEP_1) | instskip(SKIP_4) | instid1(VALU_DEP_1)
	v_fmac_f64_e32 v[86:87], v[56:57], v[80:81]
	ds_load_b64 v[56:57], v2 offset:400
	s_wait_dscnt 0x2
	v_fmac_f64_e32 v[86:87], v[58:59], v[68:69]
	s_wait_loadcnt 0x1
	v_fmac_f64_e32 v[86:87], v[60:61], v[70:71]
	s_wait_dscnt 0x1
	s_delay_alu instid0(VALU_DEP_1) | instskip(SKIP_1) | instid1(VALU_DEP_1)
	v_fmac_f64_e32 v[86:87], v[62:63], v[72:73]
	s_wait_loadcnt 0x0
	v_fmac_f64_e32 v[86:87], v[64:65], v[74:75]
	s_wait_dscnt 0x0
	s_delay_alu instid0(VALU_DEP_1) | instskip(NEXT) | instid1(VALU_DEP_1)
	v_fmac_f64_e32 v[86:87], v[66:67], v[56:57]
	v_add_f64_e64 v[54:55], v[54:55], -v[86:87]
	scratch_store_b64 off, v[54:55], off offset:56
	s_wait_xcnt 0x0
	v_cmpx_lt_u32_e32 6, v0
	s_cbranch_execz .LBB24_147
; %bb.146:
	scratch_load_b64 v[54:55], off, off offset:48
	v_mov_b64_e32 v[56:57], 0
	scratch_store_b64 off, v[56:57], off offset:48
	s_wait_loadcnt 0x0
	ds_store_b64 v1, v[54:55]
.LBB24_147:
	s_wait_xcnt 0x0
	s_or_b32 exec_lo, exec_lo, s0
	s_wait_storecnt_dscnt 0x0
	s_barrier_signal -1
	s_barrier_wait -1
	s_clause 0x5
	scratch_load_b128 v[54:57], off, off offset:48
	scratch_load_b128 v[58:61], off, off offset:64
	;; [unrolled: 1-line block ×6, first 2 shown]
	ds_load_2addr_b64 v[78:81], v2 offset0:33 offset1:34
	ds_load_2addr_b64 v[82:85], v2 offset0:35 offset1:36
	s_mov_b32 s0, exec_lo
	s_wait_loadcnt_dscnt 0x501
	v_fma_f64 v[86:87], v[56:57], v[78:79], 0
	s_wait_loadcnt 0x4
	s_delay_alu instid0(VALU_DEP_1) | instskip(SKIP_4) | instid1(VALU_DEP_1)
	v_fmac_f64_e32 v[86:87], v[58:59], v[80:81]
	scratch_load_b128 v[56:59], off, off offset:144
	s_wait_dscnt 0x0
	v_fmac_f64_e32 v[86:87], v[60:61], v[82:83]
	s_wait_loadcnt 0x4
	v_fmac_f64_e32 v[86:87], v[62:63], v[84:85]
	scratch_load_b128 v[60:63], off, off offset:160
	ds_load_2addr_b64 v[78:81], v2 offset0:37 offset1:38
	ds_load_2addr_b64 v[82:85], v2 offset0:39 offset1:40
	s_wait_dscnt 0x1
	v_fmac_f64_e32 v[86:87], v[64:65], v[78:79]
	s_wait_loadcnt 0x4
	s_delay_alu instid0(VALU_DEP_1)
	v_fmac_f64_e32 v[86:87], v[66:67], v[80:81]
	scratch_load_b128 v[64:67], off, off offset:176
	s_wait_dscnt 0x0
	v_fmac_f64_e32 v[86:87], v[68:69], v[82:83]
	scratch_load_b64 v[82:83], off, off offset:192
	s_wait_loadcnt 0x5
	v_fmac_f64_e32 v[86:87], v[70:71], v[84:85]
	ds_load_2addr_b64 v[68:71], v2 offset0:41 offset1:42
	ds_load_2addr_b64 v[78:81], v2 offset0:43 offset1:44
	s_wait_dscnt 0x1
	v_fmac_f64_e32 v[86:87], v[72:73], v[68:69]
	s_wait_loadcnt 0x4
	s_delay_alu instid0(VALU_DEP_1)
	v_fmac_f64_e32 v[86:87], v[74:75], v[70:71]
	ds_load_2addr_b64 v[68:71], v2 offset0:45 offset1:46
	ds_load_2addr_b64 v[72:75], v2 offset0:47 offset1:48
	s_wait_dscnt 0x2
	v_fmac_f64_e32 v[86:87], v[76:77], v[78:79]
	s_wait_loadcnt 0x3
	s_delay_alu instid0(VALU_DEP_1) | instskip(SKIP_1) | instid1(VALU_DEP_1)
	v_fmac_f64_e32 v[86:87], v[56:57], v[80:81]
	s_wait_dscnt 0x1
	v_fmac_f64_e32 v[86:87], v[58:59], v[68:69]
	ds_load_2addr_b64 v[56:59], v2 offset0:49 offset1:50
	s_wait_loadcnt 0x2
	v_fmac_f64_e32 v[86:87], v[60:61], v[70:71]
	s_wait_dscnt 0x1
	s_delay_alu instid0(VALU_DEP_1) | instskip(SKIP_1) | instid1(VALU_DEP_1)
	v_fmac_f64_e32 v[86:87], v[62:63], v[72:73]
	s_wait_loadcnt 0x1
	v_fmac_f64_e32 v[86:87], v[64:65], v[74:75]
	s_wait_dscnt 0x0
	s_delay_alu instid0(VALU_DEP_1) | instskip(SKIP_1) | instid1(VALU_DEP_1)
	v_fmac_f64_e32 v[86:87], v[66:67], v[56:57]
	s_wait_loadcnt 0x0
	v_fmac_f64_e32 v[86:87], v[82:83], v[58:59]
	s_delay_alu instid0(VALU_DEP_1)
	v_add_f64_e64 v[2:3], v[54:55], -v[86:87]
	scratch_store_b64 off, v[2:3], off offset:48
	s_wait_xcnt 0x0
	v_cmpx_lt_u32_e32 5, v0
	s_cbranch_execz .LBB24_149
; %bb.148:
	scratch_load_b64 v[2:3], off, off offset:40
	v_mov_b64_e32 v[54:55], 0
	scratch_store_b64 off, v[54:55], off offset:40
	s_wait_loadcnt 0x0
	ds_store_b64 v1, v[2:3]
.LBB24_149:
	s_wait_xcnt 0x0
	s_or_b32 exec_lo, exec_lo, s0
	s_wait_storecnt_dscnt 0x0
	s_barrier_signal -1
	s_barrier_wait -1
	s_clause 0x5
	scratch_load_b128 v[54:57], off, off offset:40
	scratch_load_b128 v[58:61], off, off offset:56
	;; [unrolled: 1-line block ×6, first 2 shown]
	v_mov_b32_e32 v2, 0
	ds_load_b128 v[78:81], v2 offset:256
	ds_load_b128 v[82:85], v2 offset:272
	s_mov_b32 s0, exec_lo
	s_wait_loadcnt_dscnt 0x501
	v_fma_f64 v[86:87], v[56:57], v[78:79], 0
	s_wait_loadcnt 0x4
	s_delay_alu instid0(VALU_DEP_1) | instskip(SKIP_4) | instid1(VALU_DEP_1)
	v_fmac_f64_e32 v[86:87], v[58:59], v[80:81]
	scratch_load_b128 v[56:59], off, off offset:136
	s_wait_dscnt 0x0
	v_fmac_f64_e32 v[86:87], v[60:61], v[82:83]
	s_wait_loadcnt 0x4
	v_fmac_f64_e32 v[86:87], v[62:63], v[84:85]
	scratch_load_b128 v[60:63], off, off offset:152
	ds_load_b128 v[78:81], v2 offset:288
	ds_load_b128 v[82:85], v2 offset:304
	s_wait_dscnt 0x1
	v_fmac_f64_e32 v[86:87], v[64:65], v[78:79]
	s_wait_loadcnt 0x4
	s_delay_alu instid0(VALU_DEP_1) | instskip(SKIP_4) | instid1(VALU_DEP_1)
	v_fmac_f64_e32 v[86:87], v[66:67], v[80:81]
	scratch_load_b128 v[64:67], off, off offset:168
	s_wait_dscnt 0x0
	v_fmac_f64_e32 v[86:87], v[68:69], v[82:83]
	s_wait_loadcnt 0x4
	v_fmac_f64_e32 v[86:87], v[70:71], v[84:85]
	scratch_load_b128 v[68:71], off, off offset:184
	ds_load_b128 v[78:81], v2 offset:320
	ds_load_b128 v[82:85], v2 offset:336
	s_wait_dscnt 0x1
	v_fmac_f64_e32 v[86:87], v[72:73], v[78:79]
	s_wait_loadcnt 0x4
	s_delay_alu instid0(VALU_DEP_1) | instskip(SKIP_1) | instid1(VALU_DEP_1)
	v_fmac_f64_e32 v[86:87], v[74:75], v[80:81]
	s_wait_dscnt 0x0
	v_fmac_f64_e32 v[86:87], v[76:77], v[82:83]
	ds_load_b128 v[72:75], v2 offset:352
	ds_load_b128 v[76:79], v2 offset:368
	s_wait_loadcnt 0x3
	v_fmac_f64_e32 v[86:87], v[56:57], v[84:85]
	s_wait_dscnt 0x1
	s_delay_alu instid0(VALU_DEP_1) | instskip(SKIP_1) | instid1(VALU_DEP_1)
	v_fmac_f64_e32 v[86:87], v[58:59], v[72:73]
	s_wait_loadcnt 0x2
	v_fmac_f64_e32 v[86:87], v[60:61], v[74:75]
	ds_load_b128 v[56:59], v2 offset:384
	ds_load_b64 v[60:61], v2 offset:400
	s_wait_dscnt 0x2
	v_fmac_f64_e32 v[86:87], v[62:63], v[76:77]
	s_wait_loadcnt 0x1
	s_delay_alu instid0(VALU_DEP_1) | instskip(SKIP_1) | instid1(VALU_DEP_1)
	v_fmac_f64_e32 v[86:87], v[64:65], v[78:79]
	s_wait_dscnt 0x1
	v_fmac_f64_e32 v[86:87], v[66:67], v[56:57]
	s_wait_loadcnt 0x0
	s_delay_alu instid0(VALU_DEP_1) | instskip(SKIP_1) | instid1(VALU_DEP_1)
	v_fmac_f64_e32 v[86:87], v[68:69], v[58:59]
	s_wait_dscnt 0x0
	v_fmac_f64_e32 v[86:87], v[70:71], v[60:61]
	s_delay_alu instid0(VALU_DEP_1)
	v_add_f64_e64 v[54:55], v[54:55], -v[86:87]
	scratch_store_b64 off, v[54:55], off offset:40
	s_wait_xcnt 0x0
	v_cmpx_lt_u32_e32 4, v0
	s_cbranch_execz .LBB24_151
; %bb.150:
	scratch_load_b64 v[54:55], off, off offset:32
	v_mov_b64_e32 v[56:57], 0
	scratch_store_b64 off, v[56:57], off offset:32
	s_wait_loadcnt 0x0
	ds_store_b64 v1, v[54:55]
.LBB24_151:
	s_wait_xcnt 0x0
	s_or_b32 exec_lo, exec_lo, s0
	s_wait_storecnt_dscnt 0x0
	s_barrier_signal -1
	s_barrier_wait -1
	s_clause 0x5
	scratch_load_b128 v[54:57], off, off offset:32
	scratch_load_b128 v[58:61], off, off offset:48
	scratch_load_b128 v[62:65], off, off offset:64
	scratch_load_b128 v[66:69], off, off offset:80
	scratch_load_b128 v[70:73], off, off offset:96
	scratch_load_b128 v[74:77], off, off offset:112
	ds_load_2addr_b64 v[78:81], v2 offset0:31 offset1:32
	ds_load_2addr_b64 v[82:85], v2 offset0:33 offset1:34
	s_mov_b32 s0, exec_lo
	s_wait_loadcnt_dscnt 0x501
	v_fma_f64 v[86:87], v[56:57], v[78:79], 0
	s_wait_loadcnt 0x4
	s_delay_alu instid0(VALU_DEP_1) | instskip(SKIP_4) | instid1(VALU_DEP_1)
	v_fmac_f64_e32 v[86:87], v[58:59], v[80:81]
	scratch_load_b128 v[56:59], off, off offset:128
	s_wait_dscnt 0x0
	v_fmac_f64_e32 v[86:87], v[60:61], v[82:83]
	s_wait_loadcnt 0x4
	v_fmac_f64_e32 v[86:87], v[62:63], v[84:85]
	scratch_load_b128 v[60:63], off, off offset:144
	ds_load_2addr_b64 v[78:81], v2 offset0:35 offset1:36
	ds_load_2addr_b64 v[82:85], v2 offset0:37 offset1:38
	s_wait_dscnt 0x1
	v_fmac_f64_e32 v[86:87], v[64:65], v[78:79]
	s_wait_loadcnt 0x4
	s_delay_alu instid0(VALU_DEP_1) | instskip(SKIP_4) | instid1(VALU_DEP_1)
	v_fmac_f64_e32 v[86:87], v[66:67], v[80:81]
	scratch_load_b128 v[64:67], off, off offset:160
	s_wait_dscnt 0x0
	v_fmac_f64_e32 v[86:87], v[68:69], v[82:83]
	s_wait_loadcnt 0x4
	v_fmac_f64_e32 v[86:87], v[70:71], v[84:85]
	scratch_load_b128 v[68:71], off, off offset:176
	ds_load_2addr_b64 v[78:81], v2 offset0:39 offset1:40
	ds_load_2addr_b64 v[82:85], v2 offset0:41 offset1:42
	s_wait_dscnt 0x1
	v_fmac_f64_e32 v[86:87], v[72:73], v[78:79]
	s_wait_loadcnt 0x4
	s_delay_alu instid0(VALU_DEP_1)
	v_fmac_f64_e32 v[86:87], v[74:75], v[80:81]
	scratch_load_b64 v[80:81], off, off offset:192
	s_wait_dscnt 0x0
	v_fmac_f64_e32 v[86:87], v[76:77], v[82:83]
	ds_load_2addr_b64 v[72:75], v2 offset0:43 offset1:44
	ds_load_2addr_b64 v[76:79], v2 offset0:45 offset1:46
	s_wait_loadcnt 0x4
	v_fmac_f64_e32 v[86:87], v[56:57], v[84:85]
	s_wait_dscnt 0x1
	s_delay_alu instid0(VALU_DEP_1) | instskip(SKIP_1) | instid1(VALU_DEP_1)
	v_fmac_f64_e32 v[86:87], v[58:59], v[72:73]
	s_wait_loadcnt 0x3
	v_fmac_f64_e32 v[86:87], v[60:61], v[74:75]
	s_wait_dscnt 0x0
	s_delay_alu instid0(VALU_DEP_1)
	v_fmac_f64_e32 v[86:87], v[62:63], v[76:77]
	ds_load_2addr_b64 v[56:59], v2 offset0:47 offset1:48
	ds_load_2addr_b64 v[60:63], v2 offset0:49 offset1:50
	s_wait_loadcnt 0x2
	v_fmac_f64_e32 v[86:87], v[64:65], v[78:79]
	s_wait_dscnt 0x1
	s_delay_alu instid0(VALU_DEP_1) | instskip(SKIP_1) | instid1(VALU_DEP_1)
	v_fmac_f64_e32 v[86:87], v[66:67], v[56:57]
	s_wait_loadcnt 0x1
	v_fmac_f64_e32 v[86:87], v[68:69], v[58:59]
	s_wait_dscnt 0x0
	s_delay_alu instid0(VALU_DEP_1) | instskip(SKIP_1) | instid1(VALU_DEP_1)
	v_fmac_f64_e32 v[86:87], v[70:71], v[60:61]
	s_wait_loadcnt 0x0
	v_fmac_f64_e32 v[86:87], v[80:81], v[62:63]
	s_delay_alu instid0(VALU_DEP_1)
	v_add_f64_e64 v[2:3], v[54:55], -v[86:87]
	scratch_store_b64 off, v[2:3], off offset:32
	s_wait_xcnt 0x0
	v_cmpx_lt_u32_e32 3, v0
	s_cbranch_execz .LBB24_153
; %bb.152:
	scratch_load_b64 v[2:3], off, off offset:24
	v_mov_b64_e32 v[54:55], 0
	scratch_store_b64 off, v[54:55], off offset:24
	s_wait_loadcnt 0x0
	ds_store_b64 v1, v[2:3]
.LBB24_153:
	s_wait_xcnt 0x0
	s_or_b32 exec_lo, exec_lo, s0
	s_wait_storecnt_dscnt 0x0
	s_barrier_signal -1
	s_barrier_wait -1
	s_clause 0x5
	scratch_load_b128 v[54:57], off, off offset:24
	scratch_load_b128 v[58:61], off, off offset:40
	;; [unrolled: 1-line block ×6, first 2 shown]
	v_mov_b32_e32 v2, 0
	ds_load_b128 v[78:81], v2 offset:240
	ds_load_b128 v[82:85], v2 offset:256
	s_mov_b32 s0, exec_lo
	s_wait_loadcnt_dscnt 0x501
	v_fma_f64 v[86:87], v[56:57], v[78:79], 0
	s_wait_loadcnt 0x4
	s_delay_alu instid0(VALU_DEP_1) | instskip(SKIP_4) | instid1(VALU_DEP_1)
	v_fmac_f64_e32 v[86:87], v[58:59], v[80:81]
	scratch_load_b128 v[56:59], off, off offset:120
	s_wait_dscnt 0x0
	v_fmac_f64_e32 v[86:87], v[60:61], v[82:83]
	s_wait_loadcnt 0x4
	v_fmac_f64_e32 v[86:87], v[62:63], v[84:85]
	scratch_load_b128 v[60:63], off, off offset:136
	ds_load_b128 v[78:81], v2 offset:272
	ds_load_b128 v[82:85], v2 offset:288
	s_wait_dscnt 0x1
	v_fmac_f64_e32 v[86:87], v[64:65], v[78:79]
	s_wait_loadcnt 0x4
	s_delay_alu instid0(VALU_DEP_1) | instskip(SKIP_4) | instid1(VALU_DEP_1)
	v_fmac_f64_e32 v[86:87], v[66:67], v[80:81]
	scratch_load_b128 v[64:67], off, off offset:152
	s_wait_dscnt 0x0
	v_fmac_f64_e32 v[86:87], v[68:69], v[82:83]
	s_wait_loadcnt 0x4
	v_fmac_f64_e32 v[86:87], v[70:71], v[84:85]
	scratch_load_b128 v[68:71], off, off offset:168
	ds_load_b128 v[78:81], v2 offset:304
	ds_load_b128 v[82:85], v2 offset:320
	s_wait_dscnt 0x1
	v_fmac_f64_e32 v[86:87], v[72:73], v[78:79]
	s_wait_loadcnt 0x4
	s_delay_alu instid0(VALU_DEP_1)
	v_fmac_f64_e32 v[86:87], v[74:75], v[80:81]
	scratch_load_b128 v[72:75], off, off offset:184
	s_wait_dscnt 0x0
	v_fmac_f64_e32 v[86:87], v[76:77], v[82:83]
	ds_load_b128 v[76:79], v2 offset:336
	ds_load_b128 v[80:83], v2 offset:352
	s_wait_loadcnt 0x4
	v_fmac_f64_e32 v[86:87], v[56:57], v[84:85]
	s_wait_dscnt 0x1
	s_delay_alu instid0(VALU_DEP_1) | instskip(SKIP_1) | instid1(VALU_DEP_1)
	v_fmac_f64_e32 v[86:87], v[58:59], v[76:77]
	s_wait_loadcnt 0x3
	v_fmac_f64_e32 v[86:87], v[60:61], v[78:79]
	s_wait_dscnt 0x0
	s_delay_alu instid0(VALU_DEP_1)
	v_fmac_f64_e32 v[86:87], v[62:63], v[80:81]
	ds_load_b128 v[56:59], v2 offset:368
	ds_load_b128 v[60:63], v2 offset:384
	s_wait_loadcnt 0x2
	v_fmac_f64_e32 v[86:87], v[64:65], v[82:83]
	s_wait_dscnt 0x1
	s_delay_alu instid0(VALU_DEP_1) | instskip(SKIP_4) | instid1(VALU_DEP_1)
	v_fmac_f64_e32 v[86:87], v[66:67], v[56:57]
	ds_load_b64 v[56:57], v2 offset:400
	s_wait_loadcnt 0x1
	v_fmac_f64_e32 v[86:87], v[68:69], v[58:59]
	s_wait_dscnt 0x1
	v_fmac_f64_e32 v[86:87], v[70:71], v[60:61]
	s_wait_loadcnt 0x0
	s_delay_alu instid0(VALU_DEP_1) | instskip(SKIP_1) | instid1(VALU_DEP_1)
	v_fmac_f64_e32 v[86:87], v[72:73], v[62:63]
	s_wait_dscnt 0x0
	v_fmac_f64_e32 v[86:87], v[74:75], v[56:57]
	s_delay_alu instid0(VALU_DEP_1)
	v_add_f64_e64 v[54:55], v[54:55], -v[86:87]
	scratch_store_b64 off, v[54:55], off offset:24
	s_wait_xcnt 0x0
	v_cmpx_lt_u32_e32 2, v0
	s_cbranch_execz .LBB24_155
; %bb.154:
	scratch_load_b64 v[54:55], off, off offset:16
	v_mov_b64_e32 v[56:57], 0
	scratch_store_b64 off, v[56:57], off offset:16
	s_wait_loadcnt 0x0
	ds_store_b64 v1, v[54:55]
.LBB24_155:
	s_wait_xcnt 0x0
	s_or_b32 exec_lo, exec_lo, s0
	s_wait_storecnt_dscnt 0x0
	s_barrier_signal -1
	s_barrier_wait -1
	s_clause 0x5
	scratch_load_b128 v[54:57], off, off offset:16
	scratch_load_b128 v[58:61], off, off offset:32
	;; [unrolled: 1-line block ×6, first 2 shown]
	ds_load_2addr_b64 v[78:81], v2 offset0:29 offset1:30
	ds_load_2addr_b64 v[82:85], v2 offset0:31 offset1:32
	scratch_load_b128 v[86:89], off, off offset:112
	s_mov_b32 s0, exec_lo
	s_wait_loadcnt_dscnt 0x601
	v_fma_f64 v[90:91], v[56:57], v[78:79], 0
	s_wait_loadcnt 0x5
	s_delay_alu instid0(VALU_DEP_1) | instskip(SKIP_4) | instid1(VALU_DEP_1)
	v_fmac_f64_e32 v[90:91], v[58:59], v[80:81]
	scratch_load_b128 v[56:59], off, off offset:128
	s_wait_dscnt 0x0
	v_fmac_f64_e32 v[90:91], v[60:61], v[82:83]
	s_wait_loadcnt 0x5
	v_fmac_f64_e32 v[90:91], v[62:63], v[84:85]
	ds_load_2addr_b64 v[60:63], v2 offset0:33 offset1:34
	ds_load_2addr_b64 v[78:81], v2 offset0:35 offset1:36
	s_wait_dscnt 0x1
	v_fmac_f64_e32 v[90:91], v[64:65], v[60:61]
	s_wait_loadcnt 0x4
	s_delay_alu instid0(VALU_DEP_1)
	v_fmac_f64_e32 v[90:91], v[66:67], v[62:63]
	s_clause 0x1
	scratch_load_b128 v[60:63], off, off offset:144
	scratch_load_b128 v[64:67], off, off offset:160
	s_wait_dscnt 0x0
	v_fmac_f64_e32 v[90:91], v[68:69], v[78:79]
	s_wait_loadcnt 0x5
	s_delay_alu instid0(VALU_DEP_1)
	v_fmac_f64_e32 v[90:91], v[70:71], v[80:81]
	ds_load_2addr_b64 v[68:71], v2 offset0:37 offset1:38
	ds_load_2addr_b64 v[78:81], v2 offset0:39 offset1:40
	s_wait_dscnt 0x1
	v_fmac_f64_e32 v[90:91], v[72:73], v[68:69]
	s_wait_loadcnt 0x4
	s_delay_alu instid0(VALU_DEP_1) | instskip(SKIP_4) | instid1(VALU_DEP_1)
	v_fmac_f64_e32 v[90:91], v[74:75], v[70:71]
	scratch_load_b128 v[68:71], off, off offset:176
	s_wait_dscnt 0x0
	v_fmac_f64_e32 v[90:91], v[76:77], v[78:79]
	s_wait_loadcnt 0x4
	v_fmac_f64_e32 v[90:91], v[86:87], v[80:81]
	scratch_load_b64 v[80:81], off, off offset:192
	ds_load_2addr_b64 v[72:75], v2 offset0:41 offset1:42
	ds_load_2addr_b64 v[76:79], v2 offset0:43 offset1:44
	s_wait_dscnt 0x1
	v_fmac_f64_e32 v[90:91], v[88:89], v[72:73]
	s_wait_loadcnt 0x4
	s_delay_alu instid0(VALU_DEP_1) | instskip(SKIP_1) | instid1(VALU_DEP_1)
	v_fmac_f64_e32 v[90:91], v[56:57], v[74:75]
	s_wait_dscnt 0x0
	v_fmac_f64_e32 v[90:91], v[58:59], v[76:77]
	ds_load_2addr_b64 v[56:59], v2 offset0:45 offset1:46
	ds_load_2addr_b64 v[72:75], v2 offset0:47 offset1:48
	s_wait_loadcnt 0x3
	v_fmac_f64_e32 v[90:91], v[60:61], v[78:79]
	s_wait_dscnt 0x1
	s_delay_alu instid0(VALU_DEP_1) | instskip(SKIP_1) | instid1(VALU_DEP_1)
	v_fmac_f64_e32 v[90:91], v[62:63], v[56:57]
	s_wait_loadcnt 0x2
	v_fmac_f64_e32 v[90:91], v[64:65], v[58:59]
	ds_load_2addr_b64 v[56:59], v2 offset0:49 offset1:50
	s_wait_dscnt 0x1
	v_fmac_f64_e32 v[90:91], v[66:67], v[72:73]
	s_wait_loadcnt 0x1
	s_delay_alu instid0(VALU_DEP_1) | instskip(SKIP_1) | instid1(VALU_DEP_1)
	v_fmac_f64_e32 v[90:91], v[68:69], v[74:75]
	s_wait_dscnt 0x0
	v_fmac_f64_e32 v[90:91], v[70:71], v[56:57]
	s_wait_loadcnt 0x0
	s_delay_alu instid0(VALU_DEP_1) | instskip(NEXT) | instid1(VALU_DEP_1)
	v_fmac_f64_e32 v[90:91], v[80:81], v[58:59]
	v_add_f64_e64 v[2:3], v[54:55], -v[90:91]
	scratch_store_b64 off, v[2:3], off offset:16
	s_wait_xcnt 0x0
	v_cmpx_lt_u32_e32 1, v0
	s_cbranch_execz .LBB24_157
; %bb.156:
	scratch_load_b64 v[2:3], off, off offset:8
	v_mov_b64_e32 v[54:55], 0
	scratch_store_b64 off, v[54:55], off offset:8
	s_wait_loadcnt 0x0
	ds_store_b64 v1, v[2:3]
.LBB24_157:
	s_wait_xcnt 0x0
	s_or_b32 exec_lo, exec_lo, s0
	s_wait_storecnt_dscnt 0x0
	s_barrier_signal -1
	s_barrier_wait -1
	s_clause 0x5
	scratch_load_b128 v[56:59], off, off offset:8
	scratch_load_b128 v[60:63], off, off offset:24
	;; [unrolled: 1-line block ×6, first 2 shown]
	v_mov_b32_e32 v54, 0
	ds_load_b128 v[80:83], v54 offset:224
	ds_load_b128 v[84:87], v54 offset:240
	scratch_load_b128 v[88:91], off, off offset:104
	v_dual_ashrrev_i32 v9, 31, v8 :: v_dual_ashrrev_i32 v11, 31, v10
	v_dual_ashrrev_i32 v13, 31, v12 :: v_dual_ashrrev_i32 v15, 31, v14
	;; [unrolled: 1-line block ×11, first 2 shown]
	v_ashrrev_i32_e32 v53, 31, v52
	s_mov_b32 s0, exec_lo
	s_wait_loadcnt_dscnt 0x601
	v_fma_f64 v[2:3], v[58:59], v[80:81], 0
	s_wait_loadcnt 0x5
	s_delay_alu instid0(VALU_DEP_1) | instskip(SKIP_4) | instid1(VALU_DEP_1)
	v_fmac_f64_e32 v[2:3], v[60:61], v[82:83]
	scratch_load_b128 v[58:61], off, off offset:120
	s_wait_dscnt 0x0
	v_fmac_f64_e32 v[2:3], v[62:63], v[84:85]
	s_wait_loadcnt 0x5
	v_fmac_f64_e32 v[2:3], v[64:65], v[86:87]
	ds_load_b128 v[62:65], v54 offset:256
	ds_load_b128 v[80:83], v54 offset:272
	s_wait_dscnt 0x1
	v_fmac_f64_e32 v[2:3], v[66:67], v[62:63]
	s_wait_loadcnt 0x4
	s_delay_alu instid0(VALU_DEP_1)
	v_fmac_f64_e32 v[2:3], v[68:69], v[64:65]
	s_clause 0x1
	scratch_load_b128 v[62:65], off, off offset:136
	scratch_load_b128 v[66:69], off, off offset:152
	s_wait_dscnt 0x0
	v_fmac_f64_e32 v[2:3], v[70:71], v[80:81]
	s_wait_loadcnt 0x5
	s_delay_alu instid0(VALU_DEP_1)
	v_fmac_f64_e32 v[2:3], v[72:73], v[82:83]
	ds_load_b128 v[70:73], v54 offset:288
	ds_load_b128 v[80:83], v54 offset:304
	s_wait_dscnt 0x1
	v_fmac_f64_e32 v[2:3], v[74:75], v[70:71]
	s_wait_loadcnt 0x4
	s_delay_alu instid0(VALU_DEP_1)
	v_fmac_f64_e32 v[2:3], v[76:77], v[72:73]
	s_clause 0x1
	scratch_load_b128 v[70:73], off, off offset:168
	scratch_load_b128 v[74:77], off, off offset:184
	s_wait_dscnt 0x0
	v_fmac_f64_e32 v[2:3], v[78:79], v[80:81]
	s_wait_loadcnt 0x5
	s_delay_alu instid0(VALU_DEP_1)
	v_fmac_f64_e32 v[2:3], v[88:89], v[82:83]
	ds_load_b128 v[78:81], v54 offset:320
	ds_load_b128 v[82:85], v54 offset:336
	s_wait_dscnt 0x1
	v_fmac_f64_e32 v[2:3], v[90:91], v[78:79]
	s_wait_loadcnt 0x4
	s_delay_alu instid0(VALU_DEP_1) | instskip(SKIP_1) | instid1(VALU_DEP_1)
	v_fmac_f64_e32 v[2:3], v[58:59], v[80:81]
	s_wait_dscnt 0x0
	v_fmac_f64_e32 v[2:3], v[60:61], v[82:83]
	ds_load_b128 v[58:61], v54 offset:352
	ds_load_b128 v[78:81], v54 offset:368
	s_wait_loadcnt 0x3
	v_fmac_f64_e32 v[2:3], v[62:63], v[84:85]
	s_wait_dscnt 0x1
	s_delay_alu instid0(VALU_DEP_1) | instskip(SKIP_1) | instid1(VALU_DEP_1)
	v_fmac_f64_e32 v[2:3], v[64:65], v[58:59]
	s_wait_loadcnt 0x2
	v_fmac_f64_e32 v[2:3], v[66:67], v[60:61]
	ds_load_b128 v[58:61], v54 offset:384
	s_wait_dscnt 0x1
	v_fmac_f64_e32 v[2:3], v[68:69], v[78:79]
	s_wait_loadcnt 0x1
	s_delay_alu instid0(VALU_DEP_1) | instskip(SKIP_1) | instid1(VALU_DEP_1)
	v_fmac_f64_e32 v[2:3], v[70:71], v[80:81]
	s_wait_dscnt 0x0
	v_fmac_f64_e32 v[2:3], v[72:73], v[58:59]
	ds_load_b64 v[58:59], v54 offset:400
	s_wait_loadcnt 0x0
	v_fmac_f64_e32 v[2:3], v[74:75], v[60:61]
	s_wait_dscnt 0x0
	s_delay_alu instid0(VALU_DEP_1) | instskip(NEXT) | instid1(VALU_DEP_1)
	v_fmac_f64_e32 v[2:3], v[76:77], v[58:59]
	v_add_f64_e64 v[2:3], v[56:57], -v[2:3]
	scratch_store_b64 off, v[2:3], off offset:8
	s_wait_xcnt 0x0
	v_cmpx_ne_u32_e32 0, v0
	s_cbranch_execz .LBB24_159
; %bb.158:
	scratch_load_b64 v[2:3], off, off
	v_mov_b64_e32 v[56:57], 0
	scratch_store_b64 off, v[56:57], off
	s_wait_loadcnt 0x0
	ds_store_b64 v1, v[2:3]
.LBB24_159:
	s_wait_xcnt 0x0
	s_or_b32 exec_lo, exec_lo, s0
	s_wait_storecnt_dscnt 0x0
	s_barrier_signal -1
	s_barrier_wait -1
	s_clause 0x5
	scratch_load_b128 v[56:59], off, off
	scratch_load_b128 v[0:3], off, off offset:16
	scratch_load_b128 v[60:63], off, off offset:32
	;; [unrolled: 1-line block ×5, first 2 shown]
	ds_load_2addr_b64 v[76:79], v54 offset0:27 offset1:28
	s_clause 0x1
	scratch_load_b128 v[80:83], off, off offset:96
	scratch_load_b128 v[84:87], off, off offset:112
	s_and_b32 vcc_lo, exec_lo, s18
	s_wait_loadcnt_dscnt 0x700
	v_fma_f64 v[88:89], v[58:59], v[76:77], 0
	s_wait_loadcnt 0x6
	s_delay_alu instid0(VALU_DEP_1)
	v_fmac_f64_e32 v[88:89], v[0:1], v[78:79]
	ds_load_2addr_b64 v[76:79], v54 offset0:29 offset1:30
	s_wait_dscnt 0x0
	v_fmac_f64_e32 v[88:89], v[2:3], v[76:77]
	ds_load_2addr_b64 v[0:3], v54 offset0:31 offset1:32
	s_wait_loadcnt 0x5
	v_fmac_f64_e32 v[88:89], v[60:61], v[78:79]
	scratch_load_b128 v[58:61], off, off offset:128
	s_wait_dscnt 0x0
	v_fmac_f64_e32 v[88:89], v[62:63], v[0:1]
	s_wait_loadcnt 0x5
	s_delay_alu instid0(VALU_DEP_1)
	v_fmac_f64_e32 v[88:89], v[64:65], v[2:3]
	ds_load_2addr_b64 v[0:3], v54 offset0:33 offset1:34
	scratch_load_b128 v[62:65], off, off offset:144
	s_wait_dscnt 0x0
	v_fmac_f64_e32 v[88:89], v[66:67], v[0:1]
	s_wait_loadcnt 0x5
	s_delay_alu instid0(VALU_DEP_1)
	v_fmac_f64_e32 v[88:89], v[68:69], v[2:3]
	ds_load_2addr_b64 v[0:3], v54 offset0:35 offset1:36
	;; [unrolled: 7-line block ×3, first 2 shown]
	scratch_load_b128 v[0:3], off, off offset:176
	s_wait_dscnt 0x0
	v_fmac_f64_e32 v[88:89], v[74:75], v[70:71]
	scratch_load_b64 v[74:75], off, off offset:192
	s_wait_loadcnt 0x6
	v_fmac_f64_e32 v[88:89], v[80:81], v[72:73]
	ds_load_2addr_b64 v[70:73], v54 offset0:39 offset1:40
	s_wait_dscnt 0x0
	v_fmac_f64_e32 v[88:89], v[82:83], v[70:71]
	s_wait_loadcnt 0x5
	s_delay_alu instid0(VALU_DEP_1) | instskip(SKIP_4) | instid1(VALU_DEP_1)
	v_fmac_f64_e32 v[88:89], v[84:85], v[72:73]
	ds_load_2addr_b64 v[70:73], v54 offset0:41 offset1:42
	s_wait_dscnt 0x0
	v_fmac_f64_e32 v[88:89], v[86:87], v[70:71]
	s_wait_loadcnt 0x4
	v_fmac_f64_e32 v[88:89], v[58:59], v[72:73]
	ds_load_2addr_b64 v[70:73], v54 offset0:43 offset1:44
	s_wait_dscnt 0x0
	v_fmac_f64_e32 v[88:89], v[60:61], v[70:71]
	ds_load_2addr_b64 v[58:61], v54 offset0:45 offset1:46
	s_wait_loadcnt 0x3
	v_fmac_f64_e32 v[88:89], v[62:63], v[72:73]
	s_wait_dscnt 0x0
	s_delay_alu instid0(VALU_DEP_1) | instskip(SKIP_1) | instid1(VALU_DEP_1)
	v_fmac_f64_e32 v[88:89], v[64:65], v[58:59]
	s_wait_loadcnt 0x2
	v_fmac_f64_e32 v[88:89], v[66:67], v[60:61]
	ds_load_2addr_b64 v[58:61], v54 offset0:47 offset1:48
	s_wait_dscnt 0x0
	v_fmac_f64_e32 v[88:89], v[68:69], v[58:59]
	s_wait_loadcnt 0x1
	s_delay_alu instid0(VALU_DEP_1) | instskip(SKIP_4) | instid1(VALU_DEP_1)
	v_fmac_f64_e32 v[88:89], v[0:1], v[60:61]
	ds_load_2addr_b64 v[58:61], v54 offset0:49 offset1:50
	s_wait_dscnt 0x0
	v_fmac_f64_e32 v[88:89], v[2:3], v[58:59]
	s_wait_loadcnt 0x0
	v_fmac_f64_e32 v[88:89], v[74:75], v[60:61]
	s_delay_alu instid0(VALU_DEP_1)
	v_add_f64_e64 v[0:1], v[56:57], -v[88:89]
	scratch_store_b64 off, v[0:1], off
	s_cbranch_vccz .LBB24_208
; %bb.160:
	s_wait_xcnt 0x0
	v_mov_b32_e32 v0, 0
	global_load_b32 v1, v0, s[2:3] offset:92
	s_wait_loadcnt 0x0
	v_cmp_ne_u32_e32 vcc_lo, 24, v1
	s_cbranch_vccz .LBB24_162
; %bb.161:
	v_lshlrev_b32_e32 v1, 3, v1
	scratch_load_b64 v[54:55], v1, off offset:-8
	s_wait_loadcnt 0x0
	scratch_store_b64 off, v[54:55], off offset:184
	scratch_store_b64 v1, v[2:3], off offset:-8
.LBB24_162:
	global_load_b32 v0, v0, s[2:3] offset:88
	s_wait_loadcnt 0x0
	v_cmp_eq_u32_e32 vcc_lo, 23, v0
	s_cbranch_vccnz .LBB24_164
; %bb.163:
	s_wait_xcnt 0x0
	v_lshlrev_b32_e32 v0, 3, v0
	s_delay_alu instid0(VALU_DEP_1)
	v_mov_b32_e32 v54, v0
	scratch_load_b64 v[0:1], v54, off offset:-8
	scratch_load_b64 v[2:3], off, off offset:176
	s_wait_loadcnt 0x1
	scratch_store_b64 off, v[0:1], off offset:176
	s_wait_loadcnt 0x0
	scratch_store_b64 v54, v[2:3], off offset:-8
.LBB24_164:
	s_wait_xcnt 0x0
	v_mov_b32_e32 v0, 0
	global_load_b32 v1, v0, s[2:3] offset:84
	s_wait_loadcnt 0x0
	v_cmp_eq_u32_e32 vcc_lo, 22, v1
	s_cbranch_vccnz .LBB24_166
; %bb.165:
	v_lshlrev_b32_e32 v1, 3, v1
	scratch_load_b64 v[2:3], v1, off offset:-8
	scratch_load_b64 v[54:55], off, off offset:168
	s_wait_loadcnt 0x1
	scratch_store_b64 off, v[2:3], off offset:168
	s_wait_loadcnt 0x0
	scratch_store_b64 v1, v[54:55], off offset:-8
.LBB24_166:
	global_load_b32 v0, v0, s[2:3] offset:80
	s_wait_loadcnt 0x0
	v_cmp_eq_u32_e32 vcc_lo, 21, v0
	s_cbranch_vccnz .LBB24_168
; %bb.167:
	s_wait_xcnt 0x0
	v_lshlrev_b32_e32 v0, 3, v0
	s_delay_alu instid0(VALU_DEP_1)
	v_mov_b32_e32 v54, v0
	scratch_load_b64 v[0:1], v54, off offset:-8
	scratch_load_b64 v[2:3], off, off offset:160
	s_wait_loadcnt 0x1
	scratch_store_b64 off, v[0:1], off offset:160
	s_wait_loadcnt 0x0
	scratch_store_b64 v54, v[2:3], off offset:-8
.LBB24_168:
	s_wait_xcnt 0x0
	v_mov_b32_e32 v0, 0
	global_load_b32 v1, v0, s[2:3] offset:76
	s_wait_loadcnt 0x0
	v_cmp_eq_u32_e32 vcc_lo, 20, v1
	s_cbranch_vccnz .LBB24_170
; %bb.169:
	v_lshlrev_b32_e32 v1, 3, v1
	scratch_load_b64 v[2:3], v1, off offset:-8
	scratch_load_b64 v[54:55], off, off offset:152
	s_wait_loadcnt 0x1
	scratch_store_b64 off, v[2:3], off offset:152
	s_wait_loadcnt 0x0
	scratch_store_b64 v1, v[54:55], off offset:-8
.LBB24_170:
	;; [unrolled: 31-line block ×11, first 2 shown]
	global_load_b32 v2, v0, s[2:3]
	scratch_load_b64 v[0:1], off, off
	s_wait_loadcnt 0x1
	v_cmp_eq_u32_e32 vcc_lo, 1, v2
	s_cbranch_vccnz .LBB24_208
; %bb.207:
	v_lshlrev_b32_e32 v2, 3, v2
	s_delay_alu instid0(VALU_DEP_1)
	v_mov_b32_e32 v54, v2
	scratch_load_b64 v[2:3], v54, off offset:-8
	s_wait_loadcnt 0x0
	scratch_store_b64 off, v[2:3], off
	scratch_store_b64 v54, v[0:1], off offset:-8
	scratch_load_b64 v[0:1], off, off
.LBB24_208:
	v_lshl_add_u64 v[54:55], v[8:9], 3, s[4:5]
	v_lshl_add_u64 v[2:3], v[50:51], 3, s[4:5]
	;; [unrolled: 1-line block ×3, first 2 shown]
	s_clause 0x8
	scratch_load_b128 v[50:53], off, off offset:8
	scratch_load_b128 v[56:59], off, off offset:24
	;; [unrolled: 1-line block ×9, first 2 shown]
	s_wait_loadcnt 0x9
	global_store_b64 v[6:7], v[0:1], off
	s_clause 0x1
	scratch_load_b128 v[88:91], off, off offset:152
	scratch_load_b128 v[92:95], off, off offset:168
	v_lshl_add_u64 v[10:11], v[10:11], 3, s[4:5]
	v_lshl_add_u64 v[12:13], v[12:13], 3, s[4:5]
	;; [unrolled: 1-line block ×20, first 2 shown]
	s_wait_loadcnt 0xa
	s_clause 0x1
	global_store_b64 v[4:5], v[50:51], off
	global_store_b64 v[54:55], v[52:53], off
	scratch_load_b128 v[4:7], off, off offset:184
	s_wait_loadcnt 0xa
	s_clause 0x1
	global_store_b64 v[10:11], v[56:57], off
	global_store_b64 v[12:13], v[58:59], off
	s_wait_loadcnt 0x9
	s_clause 0x1
	global_store_b64 v[14:15], v[60:61], off
	global_store_b64 v[16:17], v[62:63], off
	;; [unrolled: 4-line block ×11, first 2 shown]
	s_sendmsg sendmsg(MSG_DEALLOC_VGPRS)
	s_endpgm
	.section	.rodata,"a",@progbits
	.p2align	6, 0x0
	.amdhsa_kernel _ZN9rocsolver6v33100L18getri_kernel_smallILi25EdPdEEvT1_iilPiilS4_bb
		.amdhsa_group_segment_fixed_size 408
		.amdhsa_private_segment_fixed_size 208
		.amdhsa_kernarg_size 60
		.amdhsa_user_sgpr_count 2
		.amdhsa_user_sgpr_dispatch_ptr 0
		.amdhsa_user_sgpr_queue_ptr 0
		.amdhsa_user_sgpr_kernarg_segment_ptr 1
		.amdhsa_user_sgpr_dispatch_id 0
		.amdhsa_user_sgpr_kernarg_preload_length 0
		.amdhsa_user_sgpr_kernarg_preload_offset 0
		.amdhsa_user_sgpr_private_segment_size 0
		.amdhsa_wavefront_size32 1
		.amdhsa_uses_dynamic_stack 0
		.amdhsa_enable_private_segment 1
		.amdhsa_system_sgpr_workgroup_id_x 1
		.amdhsa_system_sgpr_workgroup_id_y 0
		.amdhsa_system_sgpr_workgroup_id_z 0
		.amdhsa_system_sgpr_workgroup_info 0
		.amdhsa_system_vgpr_workitem_id 0
		.amdhsa_next_free_vgpr 96
		.amdhsa_next_free_sgpr 19
		.amdhsa_named_barrier_count 0
		.amdhsa_reserve_vcc 1
		.amdhsa_float_round_mode_32 0
		.amdhsa_float_round_mode_16_64 0
		.amdhsa_float_denorm_mode_32 3
		.amdhsa_float_denorm_mode_16_64 3
		.amdhsa_fp16_overflow 0
		.amdhsa_memory_ordered 1
		.amdhsa_forward_progress 1
		.amdhsa_inst_pref_size 141
		.amdhsa_round_robin_scheduling 0
		.amdhsa_exception_fp_ieee_invalid_op 0
		.amdhsa_exception_fp_denorm_src 0
		.amdhsa_exception_fp_ieee_div_zero 0
		.amdhsa_exception_fp_ieee_overflow 0
		.amdhsa_exception_fp_ieee_underflow 0
		.amdhsa_exception_fp_ieee_inexact 0
		.amdhsa_exception_int_div_zero 0
	.end_amdhsa_kernel
	.section	.text._ZN9rocsolver6v33100L18getri_kernel_smallILi25EdPdEEvT1_iilPiilS4_bb,"axG",@progbits,_ZN9rocsolver6v33100L18getri_kernel_smallILi25EdPdEEvT1_iilPiilS4_bb,comdat
.Lfunc_end24:
	.size	_ZN9rocsolver6v33100L18getri_kernel_smallILi25EdPdEEvT1_iilPiilS4_bb, .Lfunc_end24-_ZN9rocsolver6v33100L18getri_kernel_smallILi25EdPdEEvT1_iilPiilS4_bb
                                        ; -- End function
	.set _ZN9rocsolver6v33100L18getri_kernel_smallILi25EdPdEEvT1_iilPiilS4_bb.num_vgpr, 96
	.set _ZN9rocsolver6v33100L18getri_kernel_smallILi25EdPdEEvT1_iilPiilS4_bb.num_agpr, 0
	.set _ZN9rocsolver6v33100L18getri_kernel_smallILi25EdPdEEvT1_iilPiilS4_bb.numbered_sgpr, 19
	.set _ZN9rocsolver6v33100L18getri_kernel_smallILi25EdPdEEvT1_iilPiilS4_bb.num_named_barrier, 0
	.set _ZN9rocsolver6v33100L18getri_kernel_smallILi25EdPdEEvT1_iilPiilS4_bb.private_seg_size, 208
	.set _ZN9rocsolver6v33100L18getri_kernel_smallILi25EdPdEEvT1_iilPiilS4_bb.uses_vcc, 1
	.set _ZN9rocsolver6v33100L18getri_kernel_smallILi25EdPdEEvT1_iilPiilS4_bb.uses_flat_scratch, 1
	.set _ZN9rocsolver6v33100L18getri_kernel_smallILi25EdPdEEvT1_iilPiilS4_bb.has_dyn_sized_stack, 0
	.set _ZN9rocsolver6v33100L18getri_kernel_smallILi25EdPdEEvT1_iilPiilS4_bb.has_recursion, 0
	.set _ZN9rocsolver6v33100L18getri_kernel_smallILi25EdPdEEvT1_iilPiilS4_bb.has_indirect_call, 0
	.section	.AMDGPU.csdata,"",@progbits
; Kernel info:
; codeLenInByte = 17952
; TotalNumSgprs: 21
; NumVgprs: 96
; ScratchSize: 208
; MemoryBound: 0
; FloatMode: 240
; IeeeMode: 1
; LDSByteSize: 408 bytes/workgroup (compile time only)
; SGPRBlocks: 0
; VGPRBlocks: 5
; NumSGPRsForWavesPerEU: 21
; NumVGPRsForWavesPerEU: 96
; NamedBarCnt: 0
; Occupancy: 10
; WaveLimiterHint : 1
; COMPUTE_PGM_RSRC2:SCRATCH_EN: 1
; COMPUTE_PGM_RSRC2:USER_SGPR: 2
; COMPUTE_PGM_RSRC2:TRAP_HANDLER: 0
; COMPUTE_PGM_RSRC2:TGID_X_EN: 1
; COMPUTE_PGM_RSRC2:TGID_Y_EN: 0
; COMPUTE_PGM_RSRC2:TGID_Z_EN: 0
; COMPUTE_PGM_RSRC2:TIDIG_COMP_CNT: 0
	.section	.text._ZN9rocsolver6v33100L18getri_kernel_smallILi26EdPdEEvT1_iilPiilS4_bb,"axG",@progbits,_ZN9rocsolver6v33100L18getri_kernel_smallILi26EdPdEEvT1_iilPiilS4_bb,comdat
	.globl	_ZN9rocsolver6v33100L18getri_kernel_smallILi26EdPdEEvT1_iilPiilS4_bb ; -- Begin function _ZN9rocsolver6v33100L18getri_kernel_smallILi26EdPdEEvT1_iilPiilS4_bb
	.p2align	8
	.type	_ZN9rocsolver6v33100L18getri_kernel_smallILi26EdPdEEvT1_iilPiilS4_bb,@function
_ZN9rocsolver6v33100L18getri_kernel_smallILi26EdPdEEvT1_iilPiilS4_bb: ; @_ZN9rocsolver6v33100L18getri_kernel_smallILi26EdPdEEvT1_iilPiilS4_bb
; %bb.0:
	s_mov_b32 s2, exec_lo
	v_cmpx_gt_u32_e32 26, v0
	s_cbranch_execz .LBB25_114
; %bb.1:
	s_clause 0x2
	s_load_b32 s2, s[0:1], 0x38
	s_load_b128 s[12:15], s[0:1], 0x10
	s_load_b128 s[4:7], s[0:1], 0x28
	s_getreg_b32 s9, hwreg(HW_REG_IB_STS2, 6, 4)
	s_wait_kmcnt 0x0
	s_bitcmp1_b32 s2, 8
	s_cselect_b32 s18, -1, 0
	s_bfe_u32 s3, ttmp6, 0x4000c
	s_and_b32 s8, ttmp6, 15
	s_add_co_i32 s3, s3, 1
	s_delay_alu instid0(SALU_CYCLE_1) | instskip(NEXT) | instid1(SALU_CYCLE_1)
	s_mul_i32 s3, ttmp9, s3
	s_add_co_i32 s8, s8, s3
	s_cmp_eq_u32 s9, 0
	s_cselect_b32 s16, ttmp9, s8
	s_bfe_u32 s2, s2, 0x10008
	s_ashr_i32 s17, s16, 31
	s_cmp_eq_u32 s2, 0
                                        ; implicit-def: $sgpr2_sgpr3
	s_cbranch_scc1 .LBB25_3
; %bb.2:
	s_load_b32 s2, s[0:1], 0x20
	s_mul_u64 s[4:5], s[4:5], s[16:17]
	s_delay_alu instid0(SALU_CYCLE_1) | instskip(NEXT) | instid1(SALU_CYCLE_1)
	s_lshl_b64 s[4:5], s[4:5], 2
	s_add_nc_u64 s[4:5], s[14:15], s[4:5]
	s_wait_kmcnt 0x0
	s_ashr_i32 s3, s2, 31
	s_delay_alu instid0(SALU_CYCLE_1) | instskip(NEXT) | instid1(SALU_CYCLE_1)
	s_lshl_b64 s[2:3], s[2:3], 2
	s_add_nc_u64 s[2:3], s[4:5], s[2:3]
.LBB25_3:
	s_clause 0x1
	s_load_b128 s[8:11], s[0:1], 0x0
	s_load_b32 s14, s[0:1], 0x38
	s_wait_xcnt 0x0
	s_mul_u64 s[0:1], s[12:13], s[16:17]
	v_dual_mov_b32 v3, 0 :: v_dual_lshlrev_b32 v2, 3, v0
	s_lshl_b64 s[0:1], s[0:1], 3
	s_wait_kmcnt 0x0
	v_add3_u32 v8, s11, s11, v0
	s_ashr_i32 s5, s10, 31
	s_mov_b32 s4, s10
	s_add_nc_u64 s[0:1], s[8:9], s[0:1]
	s_lshl_b64 s[4:5], s[4:5], 3
	v_add_nc_u32_e32 v10, s11, v8
	s_add_nc_u64 s[4:5], s[0:1], s[4:5]
	s_ashr_i32 s1, s11, 31
	v_add_nc_u64_e32 v[4:5], s[4:5], v[2:3]
	s_mov_b32 s0, s11
	v_add_nc_u32_e32 v12, s11, v10
	s_bitcmp0_b32 s14, 0
	s_delay_alu instid0(VALU_DEP_2) | instskip(NEXT) | instid1(VALU_DEP_2)
	v_lshl_add_u64 v[6:7], s[0:1], 3, v[4:5]
	v_add_nc_u32_e32 v14, s11, v12
	s_clause 0x1
	global_load_b64 v[54:55], v0, s[4:5] scale_offset
	global_load_b64 v[56:57], v[6:7], off
	s_mov_b32 s1, -1
	v_add_nc_u32_e32 v16, s11, v14
	s_clause 0x1
	global_load_b64 v[58:59], v8, s[4:5] scale_offset
	global_load_b64 v[60:61], v10, s[4:5] scale_offset
	v_add_nc_u32_e32 v18, s11, v16
	s_delay_alu instid0(VALU_DEP_1)
	v_add_nc_u32_e32 v20, s11, v18
	s_clause 0x3
	global_load_b64 v[62:63], v12, s[4:5] scale_offset
	global_load_b64 v[64:65], v14, s[4:5] scale_offset
	;; [unrolled: 1-line block ×4, first 2 shown]
	v_add_nc_u32_e32 v22, s11, v20
	s_delay_alu instid0(VALU_DEP_1) | instskip(NEXT) | instid1(VALU_DEP_1)
	v_add_nc_u32_e32 v24, s11, v22
	v_add_nc_u32_e32 v26, s11, v24
	s_delay_alu instid0(VALU_DEP_1) | instskip(SKIP_4) | instid1(VALU_DEP_1)
	v_add_nc_u32_e32 v28, s11, v26
	s_clause 0x1
	global_load_b64 v[70:71], v20, s[4:5] scale_offset
	global_load_b64 v[72:73], v22, s[4:5] scale_offset
	v_add_nc_u32_e32 v30, s11, v28
	v_add_nc_u32_e32 v32, s11, v30
	s_clause 0x3
	global_load_b64 v[74:75], v24, s[4:5] scale_offset
	global_load_b64 v[76:77], v26, s[4:5] scale_offset
	;; [unrolled: 1-line block ×4, first 2 shown]
	v_add_nc_u32_e32 v34, s11, v32
	s_delay_alu instid0(VALU_DEP_1) | instskip(NEXT) | instid1(VALU_DEP_1)
	v_add_nc_u32_e32 v36, s11, v34
	v_add_nc_u32_e32 v38, s11, v36
	s_delay_alu instid0(VALU_DEP_1) | instskip(NEXT) | instid1(VALU_DEP_1)
	v_add_nc_u32_e32 v40, s11, v38
	v_add_nc_u32_e32 v42, s11, v40
	s_delay_alu instid0(VALU_DEP_1)
	v_add_nc_u32_e32 v44, s11, v42
	s_clause 0x3
	global_load_b64 v[82:83], v32, s[4:5] scale_offset
	global_load_b64 v[84:85], v34, s[4:5] scale_offset
	;; [unrolled: 1-line block ×4, first 2 shown]
	s_wait_loadcnt 0x10
	scratch_store_b128 off, v[54:57], off
	s_wait_loadcnt 0xe
	scratch_store_b128 off, v[58:61], off offset:16
	v_add_nc_u32_e32 v46, s11, v44
	s_delay_alu instid0(VALU_DEP_1) | instskip(NEXT) | instid1(VALU_DEP_1)
	v_add_nc_u32_e32 v48, s11, v46
	v_add_nc_u32_e32 v50, s11, v48
	s_delay_alu instid0(VALU_DEP_1)
	v_add_nc_u32_e32 v52, s11, v50
	s_clause 0x3
	global_load_b64 v[56:57], v40, s[4:5] scale_offset
	global_load_b64 v[58:59], v42, s[4:5] scale_offset
	;; [unrolled: 1-line block ×4, first 2 shown]
	s_wait_loadcnt 0x10
	scratch_store_b128 off, v[62:65], off offset:32
	v_add_nc_u32_e32 v54, s11, v52
	s_clause 0x1
	global_load_b64 v[60:61], v48, s[4:5] scale_offset
	global_load_b64 v[62:63], v50, s[4:5] scale_offset
	s_wait_loadcnt 0x10
	scratch_store_b128 off, v[66:69], off offset:48
	s_clause 0x1
	global_load_b64 v[64:65], v52, s[4:5] scale_offset
	global_load_b64 v[66:67], v54, s[4:5] scale_offset
	s_wait_loadcnt 0x10
	scratch_store_b128 off, v[70:73], off offset:64
	s_wait_loadcnt 0xe
	scratch_store_b128 off, v[74:77], off offset:80
	;; [unrolled: 2-line block ×9, first 2 shown]
	s_cbranch_scc1 .LBB25_112
; %bb.4:
	v_cmp_eq_u32_e64 s0, 0, v0
	s_wait_xcnt 0x0
	s_and_saveexec_b32 s1, s0
; %bb.5:
	v_mov_b32_e32 v1, 0
	ds_store_b32 v1, v1 offset:416
; %bb.6:
	s_or_b32 exec_lo, exec_lo, s1
	s_wait_storecnt_dscnt 0x0
	s_barrier_signal -1
	s_barrier_wait -1
	scratch_load_b64 v[56:57], v0, off scale_offset
	s_mov_b32 s8, exec_lo
	s_wait_loadcnt 0x0
	v_cmpx_eq_f64_e32 0, v[56:57]
	s_cbranch_execz .LBB25_10
; %bb.7:
	v_mov_b32_e32 v1, 0
	s_mov_b32 s9, 0
	ds_load_b32 v3, v1 offset:416
	s_wait_dscnt 0x0
	v_readfirstlane_b32 s1, v3
	v_add_nc_u32_e32 v3, 1, v0
	s_cmp_eq_u32 s1, 0
	s_delay_alu instid0(VALU_DEP_1) | instskip(SKIP_1) | instid1(SALU_CYCLE_1)
	v_cmp_gt_i32_e32 vcc_lo, s1, v3
	s_cselect_b32 s10, -1, 0
	s_or_b32 s10, s10, vcc_lo
	s_delay_alu instid0(SALU_CYCLE_1)
	s_and_b32 exec_lo, exec_lo, s10
	s_cbranch_execz .LBB25_10
; %bb.8:
	v_mov_b32_e32 v9, s1
.LBB25_9:                               ; =>This Inner Loop Header: Depth=1
	ds_cmpstore_rtn_b32 v9, v1, v3, v9 offset:416
	s_wait_dscnt 0x0
	v_cmp_ne_u32_e32 vcc_lo, 0, v9
	v_cmp_le_i32_e64 s1, v9, v3
	s_and_b32 s1, vcc_lo, s1
	s_delay_alu instid0(SALU_CYCLE_1) | instskip(NEXT) | instid1(SALU_CYCLE_1)
	s_and_b32 s1, exec_lo, s1
	s_or_b32 s9, s1, s9
	s_delay_alu instid0(SALU_CYCLE_1)
	s_and_not1_b32 exec_lo, exec_lo, s9
	s_cbranch_execnz .LBB25_9
.LBB25_10:
	s_or_b32 exec_lo, exec_lo, s8
	v_mov_b32_e32 v1, 0
	s_barrier_signal -1
	s_barrier_wait -1
	ds_load_b32 v3, v1 offset:416
	s_and_saveexec_b32 s1, s0
	s_cbranch_execz .LBB25_12
; %bb.11:
	s_lshl_b64 s[8:9], s[16:17], 2
	s_delay_alu instid0(SALU_CYCLE_1)
	s_add_nc_u64 s[8:9], s[6:7], s[8:9]
	s_wait_dscnt 0x0
	global_store_b32 v1, v3, s[8:9]
.LBB25_12:
	s_wait_xcnt 0x0
	s_or_b32 exec_lo, exec_lo, s1
	s_wait_dscnt 0x0
	v_cmp_ne_u32_e32 vcc_lo, 0, v3
	s_mov_b32 s1, 0
	s_cbranch_vccnz .LBB25_112
; %bb.13:
	v_lshl_add_u32 v3, v0, 3, 0
	v_add_nc_u32_e32 v1, 0xd0, v2
	scratch_load_b64 v[56:57], v3, off
	s_wait_loadcnt 0x0
	v_div_scale_f64 v[58:59], null, v[56:57], v[56:57], 1.0
	v_div_scale_f64 v[64:65], vcc_lo, 1.0, v[56:57], 1.0
	s_delay_alu instid0(VALU_DEP_2) | instskip(SKIP_1) | instid1(TRANS32_DEP_1)
	v_rcp_f64_e32 v[60:61], v[58:59]
	v_nop
	v_fma_f64 v[62:63], -v[58:59], v[60:61], 1.0
	s_delay_alu instid0(VALU_DEP_1) | instskip(NEXT) | instid1(VALU_DEP_1)
	v_fmac_f64_e32 v[60:61], v[60:61], v[62:63]
	v_fma_f64 v[62:63], -v[58:59], v[60:61], 1.0
	s_delay_alu instid0(VALU_DEP_1) | instskip(NEXT) | instid1(VALU_DEP_1)
	v_fmac_f64_e32 v[60:61], v[60:61], v[62:63]
	v_mul_f64_e32 v[62:63], v[64:65], v[60:61]
	s_delay_alu instid0(VALU_DEP_1) | instskip(NEXT) | instid1(VALU_DEP_1)
	v_fma_f64 v[58:59], -v[58:59], v[62:63], v[64:65]
	v_div_fmas_f64 v[58:59], v[58:59], v[60:61], v[62:63]
	s_delay_alu instid0(VALU_DEP_1)
	v_div_fixup_f64 v[56:57], v[58:59], v[56:57], 1.0
	scratch_store_b64 v3, v[56:57], off
	scratch_load_b64 v[58:59], off, off offset:8
	s_wait_xcnt 0x1
	v_xor_b32_e32 v57, 0x80000000, v57
	s_wait_loadcnt 0x0
	ds_store_2addr_b64 v2, v[56:57], v[58:59] offset1:26
	s_wait_storecnt_dscnt 0x0
	s_barrier_signal -1
	s_barrier_wait -1
	s_wait_xcnt 0x0
	s_and_saveexec_b32 s1, s0
	s_cbranch_execz .LBB25_15
; %bb.14:
	scratch_load_b64 v[56:57], v3, off
	ds_load_b64 v[58:59], v1
	s_wait_loadcnt_dscnt 0x0
	v_fma_f64 v[56:57], v[56:57], v[58:59], 0
	v_mov_b32_e32 v9, 0
	ds_load_b64 v[60:61], v9 offset:8
	s_wait_dscnt 0x0
	v_mul_f64_e32 v[56:57], v[56:57], v[60:61]
	scratch_store_b64 off, v[56:57], off offset:8
.LBB25_15:
	s_wait_xcnt 0x0
	s_or_b32 exec_lo, exec_lo, s1
	s_wait_storecnt 0x0
	s_barrier_signal -1
	s_barrier_wait -1
	scratch_load_b64 v[56:57], off, off offset:16
	s_mov_b32 s1, exec_lo
	s_wait_loadcnt 0x0
	ds_store_b64 v1, v[56:57]
	s_wait_dscnt 0x0
	s_barrier_signal -1
	s_barrier_wait -1
	v_cmpx_gt_u32_e32 2, v0
	s_cbranch_execz .LBB25_19
; %bb.16:
	scratch_load_b64 v[56:57], v3, off
	ds_load_b64 v[58:59], v1
	s_wait_loadcnt_dscnt 0x0
	v_fma_f64 v[56:57], v[56:57], v[58:59], 0
	s_and_saveexec_b32 s8, s0
	s_cbranch_execz .LBB25_18
; %bb.17:
	scratch_load_b64 v[58:59], off, off offset:8
	v_mov_b32_e32 v3, 0
	ds_load_b64 v[60:61], v3 offset:216
	s_wait_loadcnt_dscnt 0x0
	v_fmac_f64_e32 v[56:57], v[58:59], v[60:61]
.LBB25_18:
	s_or_b32 exec_lo, exec_lo, s8
	v_mov_b32_e32 v3, 0
	ds_load_b64 v[58:59], v3 offset:16
	s_wait_dscnt 0x0
	v_mul_f64_e32 v[56:57], v[56:57], v[58:59]
	scratch_store_b64 off, v[56:57], off offset:16
.LBB25_19:
	s_wait_xcnt 0x0
	s_or_b32 exec_lo, exec_lo, s1
	s_wait_storecnt 0x0
	s_barrier_signal -1
	s_barrier_wait -1
	scratch_load_b64 v[56:57], off, off offset:24
	v_add_nc_u32_e32 v3, -1, v0
	s_mov_b32 s0, exec_lo
	s_wait_loadcnt 0x0
	ds_store_b64 v1, v[56:57]
	s_wait_dscnt 0x0
	s_barrier_signal -1
	s_barrier_wait -1
	v_cmpx_gt_u32_e32 3, v0
	s_cbranch_execz .LBB25_23
; %bb.20:
	v_mov_b64_e32 v[56:57], 0
	v_dual_add_nc_u32 v9, -1, v0 :: v_dual_mov_b32 v13, v2
	v_add_nc_u32_e32 v11, 0xd0, v2
	s_mov_b32 s1, 0
.LBB25_21:                              ; =>This Inner Loop Header: Depth=1
	scratch_load_b64 v[58:59], v13, off
	ds_load_b64 v[60:61], v11
	v_dual_add_nc_u32 v9, 1, v9 :: v_dual_add_nc_u32 v11, 8, v11
	s_wait_xcnt 0x0
	v_add_nc_u32_e32 v13, 8, v13
	s_delay_alu instid0(VALU_DEP_2)
	v_cmp_lt_u32_e32 vcc_lo, 1, v9
	s_or_b32 s1, vcc_lo, s1
	s_wait_loadcnt_dscnt 0x0
	v_fmac_f64_e32 v[56:57], v[58:59], v[60:61]
	s_and_not1_b32 exec_lo, exec_lo, s1
	s_cbranch_execnz .LBB25_21
; %bb.22:
	s_or_b32 exec_lo, exec_lo, s1
	v_mov_b32_e32 v9, 0
	ds_load_b64 v[58:59], v9 offset:24
	s_wait_dscnt 0x0
	v_mul_f64_e32 v[56:57], v[56:57], v[58:59]
	scratch_store_b64 off, v[56:57], off offset:24
.LBB25_23:
	s_wait_xcnt 0x0
	s_or_b32 exec_lo, exec_lo, s0
	s_wait_storecnt 0x0
	s_barrier_signal -1
	s_barrier_wait -1
	scratch_load_b64 v[56:57], off, off offset:32
	s_mov_b32 s0, exec_lo
	s_wait_loadcnt 0x0
	ds_store_b64 v1, v[56:57]
	s_wait_dscnt 0x0
	s_barrier_signal -1
	s_barrier_wait -1
	v_cmpx_gt_u32_e32 4, v0
	s_cbranch_execz .LBB25_27
; %bb.24:
	v_mov_b64_e32 v[56:57], 0
	v_dual_add_nc_u32 v9, -1, v0 :: v_dual_mov_b32 v13, v2
	v_add_nc_u32_e32 v11, 0xd0, v2
	s_mov_b32 s1, 0
.LBB25_25:                              ; =>This Inner Loop Header: Depth=1
	scratch_load_b64 v[58:59], v13, off
	ds_load_b64 v[60:61], v11
	v_dual_add_nc_u32 v9, 1, v9 :: v_dual_add_nc_u32 v11, 8, v11
	s_wait_xcnt 0x0
	v_add_nc_u32_e32 v13, 8, v13
	s_delay_alu instid0(VALU_DEP_2)
	v_cmp_lt_u32_e32 vcc_lo, 2, v9
	s_or_b32 s1, vcc_lo, s1
	s_wait_loadcnt_dscnt 0x0
	v_fmac_f64_e32 v[56:57], v[58:59], v[60:61]
	s_and_not1_b32 exec_lo, exec_lo, s1
	s_cbranch_execnz .LBB25_25
; %bb.26:
	s_or_b32 exec_lo, exec_lo, s1
	v_mov_b32_e32 v9, 0
	ds_load_b64 v[58:59], v9 offset:32
	s_wait_dscnt 0x0
	v_mul_f64_e32 v[56:57], v[56:57], v[58:59]
	scratch_store_b64 off, v[56:57], off offset:32
.LBB25_27:
	s_wait_xcnt 0x0
	s_or_b32 exec_lo, exec_lo, s0
	s_wait_storecnt 0x0
	s_barrier_signal -1
	s_barrier_wait -1
	scratch_load_b64 v[56:57], off, off offset:40
	;; [unrolled: 40-line block ×20, first 2 shown]
	s_mov_b32 s0, exec_lo
	s_wait_loadcnt 0x0
	ds_store_b64 v1, v[56:57]
	s_wait_dscnt 0x0
	s_barrier_signal -1
	s_barrier_wait -1
	v_cmpx_gt_u32_e32 23, v0
	s_cbranch_execz .LBB25_103
; %bb.100:
	v_mov_b64_e32 v[56:57], 0
	v_dual_add_nc_u32 v9, -1, v0 :: v_dual_mov_b32 v13, v2
	v_add_nc_u32_e32 v11, 0xd0, v2
	s_mov_b32 s1, 0
.LBB25_101:                             ; =>This Inner Loop Header: Depth=1
	scratch_load_b64 v[58:59], v13, off
	ds_load_b64 v[60:61], v11
	v_dual_add_nc_u32 v9, 1, v9 :: v_dual_add_nc_u32 v11, 8, v11
	s_wait_xcnt 0x0
	v_add_nc_u32_e32 v13, 8, v13
	s_delay_alu instid0(VALU_DEP_2)
	v_cmp_lt_u32_e32 vcc_lo, 21, v9
	s_or_b32 s1, vcc_lo, s1
	s_wait_loadcnt_dscnt 0x0
	v_fmac_f64_e32 v[56:57], v[58:59], v[60:61]
	s_and_not1_b32 exec_lo, exec_lo, s1
	s_cbranch_execnz .LBB25_101
; %bb.102:
	s_or_b32 exec_lo, exec_lo, s1
	v_mov_b32_e32 v9, 0
	ds_load_b64 v[58:59], v9 offset:184
	s_wait_dscnt 0x0
	v_mul_f64_e32 v[56:57], v[56:57], v[58:59]
	scratch_store_b64 off, v[56:57], off offset:184
.LBB25_103:
	s_wait_xcnt 0x0
	s_or_b32 exec_lo, exec_lo, s0
	s_wait_storecnt 0x0
	s_barrier_signal -1
	s_barrier_wait -1
	scratch_load_b64 v[56:57], off, off offset:192
	s_mov_b32 s0, exec_lo
	s_wait_loadcnt 0x0
	ds_store_b64 v1, v[56:57]
	s_wait_dscnt 0x0
	s_barrier_signal -1
	s_barrier_wait -1
	v_cmpx_gt_u32_e32 24, v0
	s_cbranch_execz .LBB25_107
; %bb.104:
	v_mov_b64_e32 v[56:57], 0
	v_dual_add_nc_u32 v9, -1, v0 :: v_dual_mov_b32 v13, v2
	v_add_nc_u32_e32 v11, 0xd0, v2
	s_mov_b32 s1, 0
.LBB25_105:                             ; =>This Inner Loop Header: Depth=1
	scratch_load_b64 v[58:59], v13, off
	ds_load_b64 v[60:61], v11
	v_dual_add_nc_u32 v9, 1, v9 :: v_dual_add_nc_u32 v11, 8, v11
	s_wait_xcnt 0x0
	v_add_nc_u32_e32 v13, 8, v13
	s_delay_alu instid0(VALU_DEP_2)
	v_cmp_lt_u32_e32 vcc_lo, 22, v9
	s_or_b32 s1, vcc_lo, s1
	s_wait_loadcnt_dscnt 0x0
	v_fmac_f64_e32 v[56:57], v[58:59], v[60:61]
	s_and_not1_b32 exec_lo, exec_lo, s1
	s_cbranch_execnz .LBB25_105
; %bb.106:
	s_or_b32 exec_lo, exec_lo, s1
	v_mov_b32_e32 v9, 0
	ds_load_b64 v[58:59], v9 offset:192
	s_wait_dscnt 0x0
	v_mul_f64_e32 v[56:57], v[56:57], v[58:59]
	scratch_store_b64 off, v[56:57], off offset:192
.LBB25_107:
	s_wait_xcnt 0x0
	s_or_b32 exec_lo, exec_lo, s0
	s_wait_storecnt 0x0
	s_barrier_signal -1
	s_barrier_wait -1
	scratch_load_b64 v[56:57], off, off offset:200
	s_mov_b32 s0, exec_lo
	s_wait_loadcnt 0x0
	ds_store_b64 v1, v[56:57]
	s_wait_dscnt 0x0
	s_barrier_signal -1
	s_barrier_wait -1
	v_cmpx_ne_u32_e32 25, v0
	s_cbranch_execz .LBB25_111
; %bb.108:
	v_mov_b64_e32 v[56:57], 0
	s_mov_b32 s1, 0
.LBB25_109:                             ; =>This Inner Loop Header: Depth=1
	scratch_load_b64 v[58:59], v2, off
	ds_load_b64 v[60:61], v1
	v_dual_add_nc_u32 v3, 1, v3 :: v_dual_add_nc_u32 v1, 8, v1
	s_wait_xcnt 0x0
	v_add_nc_u32_e32 v2, 8, v2
	s_delay_alu instid0(VALU_DEP_2)
	v_cmp_lt_u32_e32 vcc_lo, 23, v3
	s_or_b32 s1, vcc_lo, s1
	s_wait_loadcnt_dscnt 0x0
	v_fmac_f64_e32 v[56:57], v[58:59], v[60:61]
	s_and_not1_b32 exec_lo, exec_lo, s1
	s_cbranch_execnz .LBB25_109
; %bb.110:
	s_or_b32 exec_lo, exec_lo, s1
	v_mov_b32_e32 v1, 0
	ds_load_b64 v[2:3], v1 offset:200
	s_wait_dscnt 0x0
	v_mul_f64_e32 v[2:3], v[56:57], v[2:3]
	scratch_store_b64 off, v[2:3], off offset:200
.LBB25_111:
	s_wait_xcnt 0x0
	s_or_b32 exec_lo, exec_lo, s0
	s_mov_b32 s1, -1
	s_wait_storecnt 0x0
	s_barrier_signal -1
	s_barrier_wait -1
.LBB25_112:
	s_and_b32 vcc_lo, exec_lo, s1
	s_cbranch_vccz .LBB25_114
; %bb.113:
	v_mov_b32_e32 v1, 0
	s_lshl_b64 s[0:1], s[16:17], 2
	s_delay_alu instid0(SALU_CYCLE_1)
	s_add_nc_u64 s[0:1], s[6:7], s[0:1]
	global_load_b32 v1, v1, s[0:1]
	s_wait_loadcnt 0x0
	v_cmp_ne_u32_e32 vcc_lo, 0, v1
	s_cbranch_vccz .LBB25_115
.LBB25_114:
	s_sendmsg sendmsg(MSG_DEALLOC_VGPRS)
	s_endpgm
.LBB25_115:
	s_wait_xcnt 0x0
	v_lshl_add_u32 v1, v0, 3, 0xd0
	s_mov_b32 s0, exec_lo
	v_cmpx_eq_u32_e32 25, v0
	s_cbranch_execz .LBB25_117
; %bb.116:
	scratch_load_b64 v[2:3], off, off offset:192
	v_mov_b64_e32 v[56:57], 0
	scratch_store_b64 off, v[56:57], off offset:192
	s_wait_loadcnt 0x0
	ds_store_b64 v1, v[2:3]
.LBB25_117:
	s_wait_xcnt 0x0
	s_or_b32 exec_lo, exec_lo, s0
	s_wait_storecnt_dscnt 0x0
	s_barrier_signal -1
	s_barrier_wait -1
	scratch_load_b128 v[56:59], off, off offset:192
	v_mov_b32_e32 v2, 0
	s_mov_b32 s0, exec_lo
	ds_load_b64 v[60:61], v2 offset:408
	s_wait_loadcnt_dscnt 0x0
	v_fma_f64 v[58:59], v[58:59], v[60:61], 0
	s_delay_alu instid0(VALU_DEP_1)
	v_add_f64_e64 v[56:57], v[56:57], -v[58:59]
	scratch_store_b64 off, v[56:57], off offset:192
	s_wait_xcnt 0x0
	v_cmpx_lt_u32_e32 23, v0
	s_cbranch_execz .LBB25_119
; %bb.118:
	scratch_load_b64 v[56:57], off, off offset:184
	v_mov_b64_e32 v[58:59], 0
	scratch_store_b64 off, v[58:59], off offset:184
	s_wait_loadcnt 0x0
	ds_store_b64 v1, v[56:57]
.LBB25_119:
	s_wait_xcnt 0x0
	s_or_b32 exec_lo, exec_lo, s0
	s_wait_storecnt_dscnt 0x0
	s_barrier_signal -1
	s_barrier_wait -1
	s_clause 0x1
	scratch_load_b128 v[56:59], off, off offset:184
	scratch_load_b64 v[64:65], off, off offset:200
	ds_load_b128 v[60:63], v2 offset:400
	s_mov_b32 s0, exec_lo
	s_wait_loadcnt_dscnt 0x100
	v_fma_f64 v[2:3], v[58:59], v[60:61], 0
	s_wait_loadcnt 0x0
	s_delay_alu instid0(VALU_DEP_1) | instskip(NEXT) | instid1(VALU_DEP_1)
	v_fmac_f64_e32 v[2:3], v[64:65], v[62:63]
	v_add_f64_e64 v[2:3], v[56:57], -v[2:3]
	scratch_store_b64 off, v[2:3], off offset:184
	s_wait_xcnt 0x0
	v_cmpx_lt_u32_e32 22, v0
	s_cbranch_execz .LBB25_121
; %bb.120:
	scratch_load_b64 v[2:3], off, off offset:176
	v_mov_b64_e32 v[56:57], 0
	scratch_store_b64 off, v[56:57], off offset:176
	s_wait_loadcnt 0x0
	ds_store_b64 v1, v[2:3]
.LBB25_121:
	s_wait_xcnt 0x0
	s_or_b32 exec_lo, exec_lo, s0
	s_wait_storecnt_dscnt 0x0
	s_barrier_signal -1
	s_barrier_wait -1
	s_clause 0x1
	scratch_load_b128 v[56:59], off, off offset:176
	scratch_load_b128 v[60:63], off, off offset:192
	v_mov_b32_e32 v2, 0
	ds_load_2addr_b64 v[64:67], v2 offset0:49 offset1:50
	ds_load_b64 v[68:69], v2 offset:408
	s_mov_b32 s0, exec_lo
	s_wait_loadcnt_dscnt 0x101
	v_fma_f64 v[58:59], v[58:59], v[64:65], 0
	s_wait_loadcnt 0x0
	s_delay_alu instid0(VALU_DEP_1) | instskip(SKIP_1) | instid1(VALU_DEP_1)
	v_fmac_f64_e32 v[58:59], v[60:61], v[66:67]
	s_wait_dscnt 0x0
	v_fmac_f64_e32 v[58:59], v[62:63], v[68:69]
	s_delay_alu instid0(VALU_DEP_1)
	v_add_f64_e64 v[56:57], v[56:57], -v[58:59]
	scratch_store_b64 off, v[56:57], off offset:176
	s_wait_xcnt 0x0
	v_cmpx_lt_u32_e32 21, v0
	s_cbranch_execz .LBB25_123
; %bb.122:
	scratch_load_b64 v[56:57], off, off offset:168
	v_mov_b64_e32 v[58:59], 0
	scratch_store_b64 off, v[58:59], off offset:168
	s_wait_loadcnt 0x0
	ds_store_b64 v1, v[56:57]
.LBB25_123:
	s_wait_xcnt 0x0
	s_or_b32 exec_lo, exec_lo, s0
	s_wait_storecnt_dscnt 0x0
	s_barrier_signal -1
	s_barrier_wait -1
	s_clause 0x2
	scratch_load_b128 v[56:59], off, off offset:168
	scratch_load_b128 v[60:63], off, off offset:184
	scratch_load_b64 v[72:73], off, off offset:200
	ds_load_b128 v[64:67], v2 offset:384
	ds_load_b128 v[68:71], v2 offset:400
	s_mov_b32 s0, exec_lo
	s_wait_loadcnt_dscnt 0x201
	v_fma_f64 v[2:3], v[58:59], v[64:65], 0
	s_wait_loadcnt 0x1
	s_delay_alu instid0(VALU_DEP_1) | instskip(SKIP_1) | instid1(VALU_DEP_1)
	v_fmac_f64_e32 v[2:3], v[60:61], v[66:67]
	s_wait_dscnt 0x0
	v_fmac_f64_e32 v[2:3], v[62:63], v[68:69]
	s_wait_loadcnt 0x0
	s_delay_alu instid0(VALU_DEP_1) | instskip(NEXT) | instid1(VALU_DEP_1)
	v_fmac_f64_e32 v[2:3], v[72:73], v[70:71]
	v_add_f64_e64 v[2:3], v[56:57], -v[2:3]
	scratch_store_b64 off, v[2:3], off offset:168
	s_wait_xcnt 0x0
	v_cmpx_lt_u32_e32 20, v0
	s_cbranch_execz .LBB25_125
; %bb.124:
	scratch_load_b64 v[2:3], off, off offset:160
	v_mov_b64_e32 v[56:57], 0
	scratch_store_b64 off, v[56:57], off offset:160
	s_wait_loadcnt 0x0
	ds_store_b64 v1, v[2:3]
.LBB25_125:
	s_wait_xcnt 0x0
	s_or_b32 exec_lo, exec_lo, s0
	s_wait_storecnt_dscnt 0x0
	s_barrier_signal -1
	s_barrier_wait -1
	s_clause 0x2
	scratch_load_b128 v[56:59], off, off offset:160
	scratch_load_b128 v[60:63], off, off offset:176
	;; [unrolled: 1-line block ×3, first 2 shown]
	v_mov_b32_e32 v2, 0
	ds_load_2addr_b64 v[68:71], v2 offset0:47 offset1:48
	ds_load_2addr_b64 v[72:75], v2 offset0:49 offset1:50
	s_mov_b32 s0, exec_lo
	s_wait_loadcnt_dscnt 0x201
	v_fma_f64 v[58:59], v[58:59], v[68:69], 0
	s_wait_loadcnt 0x1
	s_delay_alu instid0(VALU_DEP_1) | instskip(SKIP_4) | instid1(VALU_DEP_1)
	v_fmac_f64_e32 v[58:59], v[60:61], v[70:71]
	ds_load_b64 v[60:61], v2 offset:408
	s_wait_dscnt 0x1
	v_fmac_f64_e32 v[58:59], v[62:63], v[72:73]
	s_wait_loadcnt 0x0
	v_fmac_f64_e32 v[58:59], v[64:65], v[74:75]
	s_wait_dscnt 0x0
	s_delay_alu instid0(VALU_DEP_1) | instskip(NEXT) | instid1(VALU_DEP_1)
	v_fmac_f64_e32 v[58:59], v[66:67], v[60:61]
	v_add_f64_e64 v[56:57], v[56:57], -v[58:59]
	scratch_store_b64 off, v[56:57], off offset:160
	s_wait_xcnt 0x0
	v_cmpx_lt_u32_e32 19, v0
	s_cbranch_execz .LBB25_127
; %bb.126:
	scratch_load_b64 v[56:57], off, off offset:152
	v_mov_b64_e32 v[58:59], 0
	scratch_store_b64 off, v[58:59], off offset:152
	s_wait_loadcnt 0x0
	ds_store_b64 v1, v[56:57]
.LBB25_127:
	s_wait_xcnt 0x0
	s_or_b32 exec_lo, exec_lo, s0
	s_wait_storecnt_dscnt 0x0
	s_barrier_signal -1
	s_barrier_wait -1
	s_clause 0x3
	scratch_load_b128 v[56:59], off, off offset:152
	scratch_load_b128 v[60:63], off, off offset:168
	;; [unrolled: 1-line block ×3, first 2 shown]
	scratch_load_b64 v[76:77], off, off offset:200
	ds_load_b128 v[68:71], v2 offset:368
	ds_load_b128 v[72:75], v2 offset:384
	s_mov_b32 s0, exec_lo
	s_wait_loadcnt_dscnt 0x301
	v_fma_f64 v[68:69], v[58:59], v[68:69], 0
	s_wait_loadcnt 0x2
	s_delay_alu instid0(VALU_DEP_1) | instskip(SKIP_4) | instid1(VALU_DEP_1)
	v_fmac_f64_e32 v[68:69], v[60:61], v[70:71]
	ds_load_b128 v[58:61], v2 offset:400
	s_wait_dscnt 0x1
	v_fmac_f64_e32 v[68:69], v[62:63], v[72:73]
	s_wait_loadcnt 0x1
	v_fmac_f64_e32 v[68:69], v[64:65], v[74:75]
	s_wait_dscnt 0x0
	s_delay_alu instid0(VALU_DEP_1) | instskip(SKIP_1) | instid1(VALU_DEP_1)
	v_fmac_f64_e32 v[68:69], v[66:67], v[58:59]
	s_wait_loadcnt 0x0
	v_fmac_f64_e32 v[68:69], v[76:77], v[60:61]
	s_delay_alu instid0(VALU_DEP_1)
	v_add_f64_e64 v[2:3], v[56:57], -v[68:69]
	scratch_store_b64 off, v[2:3], off offset:152
	s_wait_xcnt 0x0
	v_cmpx_lt_u32_e32 18, v0
	s_cbranch_execz .LBB25_129
; %bb.128:
	scratch_load_b64 v[2:3], off, off offset:144
	v_mov_b64_e32 v[56:57], 0
	scratch_store_b64 off, v[56:57], off offset:144
	s_wait_loadcnt 0x0
	ds_store_b64 v1, v[2:3]
.LBB25_129:
	s_wait_xcnt 0x0
	s_or_b32 exec_lo, exec_lo, s0
	s_wait_storecnt_dscnt 0x0
	s_barrier_signal -1
	s_barrier_wait -1
	s_clause 0x3
	scratch_load_b128 v[56:59], off, off offset:144
	scratch_load_b128 v[60:63], off, off offset:160
	;; [unrolled: 1-line block ×4, first 2 shown]
	v_mov_b32_e32 v2, 0
	ds_load_2addr_b64 v[72:75], v2 offset0:45 offset1:46
	ds_load_2addr_b64 v[76:79], v2 offset0:47 offset1:48
	s_mov_b32 s0, exec_lo
	s_wait_loadcnt_dscnt 0x301
	v_fma_f64 v[72:73], v[58:59], v[72:73], 0
	s_wait_loadcnt 0x2
	s_delay_alu instid0(VALU_DEP_1) | instskip(SKIP_1) | instid1(VALU_DEP_1)
	v_fmac_f64_e32 v[72:73], v[60:61], v[74:75]
	s_wait_dscnt 0x0
	v_fmac_f64_e32 v[72:73], v[62:63], v[76:77]
	ds_load_2addr_b64 v[58:61], v2 offset0:49 offset1:50
	ds_load_b64 v[62:63], v2 offset:408
	s_wait_loadcnt 0x1
	v_fmac_f64_e32 v[72:73], v[64:65], v[78:79]
	s_wait_dscnt 0x1
	s_delay_alu instid0(VALU_DEP_1) | instskip(SKIP_1) | instid1(VALU_DEP_1)
	v_fmac_f64_e32 v[72:73], v[66:67], v[58:59]
	s_wait_loadcnt 0x0
	v_fmac_f64_e32 v[72:73], v[68:69], v[60:61]
	s_wait_dscnt 0x0
	s_delay_alu instid0(VALU_DEP_1) | instskip(NEXT) | instid1(VALU_DEP_1)
	v_fmac_f64_e32 v[72:73], v[70:71], v[62:63]
	v_add_f64_e64 v[56:57], v[56:57], -v[72:73]
	scratch_store_b64 off, v[56:57], off offset:144
	s_wait_xcnt 0x0
	v_cmpx_lt_u32_e32 17, v0
	s_cbranch_execz .LBB25_131
; %bb.130:
	scratch_load_b64 v[56:57], off, off offset:136
	v_mov_b64_e32 v[58:59], 0
	scratch_store_b64 off, v[58:59], off offset:136
	s_wait_loadcnt 0x0
	ds_store_b64 v1, v[56:57]
.LBB25_131:
	s_wait_xcnt 0x0
	s_or_b32 exec_lo, exec_lo, s0
	s_wait_storecnt_dscnt 0x0
	s_barrier_signal -1
	s_barrier_wait -1
	s_clause 0x4
	scratch_load_b128 v[56:59], off, off offset:136
	scratch_load_b128 v[60:63], off, off offset:152
	;; [unrolled: 1-line block ×4, first 2 shown]
	scratch_load_b64 v[80:81], off, off offset:200
	ds_load_b128 v[72:75], v2 offset:352
	ds_load_b128 v[76:79], v2 offset:368
	s_mov_b32 s0, exec_lo
	s_wait_loadcnt_dscnt 0x401
	v_fma_f64 v[72:73], v[58:59], v[72:73], 0
	s_wait_loadcnt 0x3
	s_delay_alu instid0(VALU_DEP_1) | instskip(SKIP_1) | instid1(VALU_DEP_1)
	v_fmac_f64_e32 v[72:73], v[60:61], v[74:75]
	s_wait_dscnt 0x0
	v_fmac_f64_e32 v[72:73], v[62:63], v[76:77]
	s_wait_loadcnt 0x2
	s_delay_alu instid0(VALU_DEP_1)
	v_fmac_f64_e32 v[72:73], v[64:65], v[78:79]
	ds_load_b128 v[58:61], v2 offset:384
	ds_load_b128 v[62:65], v2 offset:400
	s_wait_dscnt 0x1
	v_fmac_f64_e32 v[72:73], v[66:67], v[58:59]
	s_wait_loadcnt 0x1
	s_delay_alu instid0(VALU_DEP_1) | instskip(SKIP_1) | instid1(VALU_DEP_1)
	v_fmac_f64_e32 v[72:73], v[68:69], v[60:61]
	s_wait_dscnt 0x0
	v_fmac_f64_e32 v[72:73], v[70:71], v[62:63]
	s_wait_loadcnt 0x0
	s_delay_alu instid0(VALU_DEP_1) | instskip(NEXT) | instid1(VALU_DEP_1)
	v_fmac_f64_e32 v[72:73], v[80:81], v[64:65]
	v_add_f64_e64 v[2:3], v[56:57], -v[72:73]
	scratch_store_b64 off, v[2:3], off offset:136
	s_wait_xcnt 0x0
	v_cmpx_lt_u32_e32 16, v0
	s_cbranch_execz .LBB25_133
; %bb.132:
	scratch_load_b64 v[2:3], off, off offset:128
	v_mov_b64_e32 v[56:57], 0
	scratch_store_b64 off, v[56:57], off offset:128
	s_wait_loadcnt 0x0
	ds_store_b64 v1, v[2:3]
.LBB25_133:
	s_wait_xcnt 0x0
	s_or_b32 exec_lo, exec_lo, s0
	s_wait_storecnt_dscnt 0x0
	s_barrier_signal -1
	s_barrier_wait -1
	s_clause 0x4
	scratch_load_b128 v[56:59], off, off offset:128
	scratch_load_b128 v[60:63], off, off offset:144
	;; [unrolled: 1-line block ×5, first 2 shown]
	v_mov_b32_e32 v2, 0
	ds_load_2addr_b64 v[76:79], v2 offset0:43 offset1:44
	ds_load_2addr_b64 v[80:83], v2 offset0:45 offset1:46
	s_mov_b32 s0, exec_lo
	s_wait_loadcnt_dscnt 0x401
	v_fma_f64 v[76:77], v[58:59], v[76:77], 0
	s_wait_loadcnt 0x3
	s_delay_alu instid0(VALU_DEP_1) | instskip(SKIP_1) | instid1(VALU_DEP_1)
	v_fmac_f64_e32 v[76:77], v[60:61], v[78:79]
	s_wait_dscnt 0x0
	v_fmac_f64_e32 v[76:77], v[62:63], v[80:81]
	s_wait_loadcnt 0x2
	s_delay_alu instid0(VALU_DEP_1)
	v_fmac_f64_e32 v[76:77], v[64:65], v[82:83]
	ds_load_2addr_b64 v[58:61], v2 offset0:47 offset1:48
	ds_load_2addr_b64 v[62:65], v2 offset0:49 offset1:50
	s_wait_dscnt 0x1
	v_fmac_f64_e32 v[76:77], v[66:67], v[58:59]
	ds_load_b64 v[58:59], v2 offset:408
	s_wait_loadcnt 0x1
	v_fmac_f64_e32 v[76:77], v[68:69], v[60:61]
	s_wait_dscnt 0x1
	s_delay_alu instid0(VALU_DEP_1) | instskip(SKIP_1) | instid1(VALU_DEP_1)
	v_fmac_f64_e32 v[76:77], v[70:71], v[62:63]
	s_wait_loadcnt 0x0
	v_fmac_f64_e32 v[76:77], v[72:73], v[64:65]
	s_wait_dscnt 0x0
	s_delay_alu instid0(VALU_DEP_1) | instskip(NEXT) | instid1(VALU_DEP_1)
	v_fmac_f64_e32 v[76:77], v[74:75], v[58:59]
	v_add_f64_e64 v[56:57], v[56:57], -v[76:77]
	scratch_store_b64 off, v[56:57], off offset:128
	s_wait_xcnt 0x0
	v_cmpx_lt_u32_e32 15, v0
	s_cbranch_execz .LBB25_135
; %bb.134:
	scratch_load_b64 v[56:57], off, off offset:120
	v_mov_b64_e32 v[58:59], 0
	scratch_store_b64 off, v[58:59], off offset:120
	s_wait_loadcnt 0x0
	ds_store_b64 v1, v[56:57]
.LBB25_135:
	s_wait_xcnt 0x0
	s_or_b32 exec_lo, exec_lo, s0
	s_wait_storecnt_dscnt 0x0
	s_barrier_signal -1
	s_barrier_wait -1
	s_clause 0x5
	scratch_load_b128 v[56:59], off, off offset:120
	scratch_load_b128 v[60:63], off, off offset:136
	;; [unrolled: 1-line block ×5, first 2 shown]
	scratch_load_b64 v[84:85], off, off offset:200
	ds_load_b128 v[76:79], v2 offset:336
	ds_load_b128 v[80:83], v2 offset:352
	s_mov_b32 s0, exec_lo
	s_wait_loadcnt_dscnt 0x501
	v_fma_f64 v[76:77], v[58:59], v[76:77], 0
	s_wait_loadcnt 0x4
	s_delay_alu instid0(VALU_DEP_1) | instskip(SKIP_1) | instid1(VALU_DEP_1)
	v_fmac_f64_e32 v[76:77], v[60:61], v[78:79]
	s_wait_dscnt 0x0
	v_fmac_f64_e32 v[76:77], v[62:63], v[80:81]
	s_wait_loadcnt 0x3
	s_delay_alu instid0(VALU_DEP_1)
	v_fmac_f64_e32 v[76:77], v[64:65], v[82:83]
	ds_load_b128 v[58:61], v2 offset:368
	ds_load_b128 v[62:65], v2 offset:384
	s_wait_dscnt 0x1
	v_fmac_f64_e32 v[76:77], v[66:67], v[58:59]
	s_wait_loadcnt 0x2
	s_delay_alu instid0(VALU_DEP_1) | instskip(SKIP_4) | instid1(VALU_DEP_1)
	v_fmac_f64_e32 v[76:77], v[68:69], v[60:61]
	ds_load_b128 v[58:61], v2 offset:400
	s_wait_dscnt 0x1
	v_fmac_f64_e32 v[76:77], v[70:71], v[62:63]
	s_wait_loadcnt 0x1
	v_fmac_f64_e32 v[76:77], v[72:73], v[64:65]
	s_wait_dscnt 0x0
	s_delay_alu instid0(VALU_DEP_1) | instskip(SKIP_1) | instid1(VALU_DEP_1)
	v_fmac_f64_e32 v[76:77], v[74:75], v[58:59]
	s_wait_loadcnt 0x0
	v_fmac_f64_e32 v[76:77], v[84:85], v[60:61]
	s_delay_alu instid0(VALU_DEP_1)
	v_add_f64_e64 v[2:3], v[56:57], -v[76:77]
	scratch_store_b64 off, v[2:3], off offset:120
	s_wait_xcnt 0x0
	v_cmpx_lt_u32_e32 14, v0
	s_cbranch_execz .LBB25_137
; %bb.136:
	scratch_load_b64 v[2:3], off, off offset:112
	v_mov_b64_e32 v[56:57], 0
	scratch_store_b64 off, v[56:57], off offset:112
	s_wait_loadcnt 0x0
	ds_store_b64 v1, v[2:3]
.LBB25_137:
	s_wait_xcnt 0x0
	s_or_b32 exec_lo, exec_lo, s0
	s_wait_storecnt_dscnt 0x0
	s_barrier_signal -1
	s_barrier_wait -1
	s_clause 0x5
	scratch_load_b128 v[56:59], off, off offset:112
	scratch_load_b128 v[60:63], off, off offset:128
	;; [unrolled: 1-line block ×6, first 2 shown]
	v_mov_b32_e32 v2, 0
	ds_load_2addr_b64 v[80:83], v2 offset0:41 offset1:42
	ds_load_2addr_b64 v[84:87], v2 offset0:43 offset1:44
	s_mov_b32 s0, exec_lo
	s_wait_loadcnt_dscnt 0x501
	v_fma_f64 v[80:81], v[58:59], v[80:81], 0
	s_wait_loadcnt 0x4
	s_delay_alu instid0(VALU_DEP_1) | instskip(SKIP_1) | instid1(VALU_DEP_1)
	v_fmac_f64_e32 v[80:81], v[60:61], v[82:83]
	s_wait_dscnt 0x0
	v_fmac_f64_e32 v[80:81], v[62:63], v[84:85]
	s_wait_loadcnt 0x3
	s_delay_alu instid0(VALU_DEP_1)
	v_fmac_f64_e32 v[80:81], v[64:65], v[86:87]
	ds_load_2addr_b64 v[58:61], v2 offset0:45 offset1:46
	ds_load_2addr_b64 v[62:65], v2 offset0:47 offset1:48
	s_wait_dscnt 0x1
	v_fmac_f64_e32 v[80:81], v[66:67], v[58:59]
	s_wait_loadcnt 0x2
	s_delay_alu instid0(VALU_DEP_1) | instskip(SKIP_1) | instid1(VALU_DEP_1)
	v_fmac_f64_e32 v[80:81], v[68:69], v[60:61]
	s_wait_dscnt 0x0
	v_fmac_f64_e32 v[80:81], v[70:71], v[62:63]
	ds_load_2addr_b64 v[58:61], v2 offset0:49 offset1:50
	ds_load_b64 v[62:63], v2 offset:408
	s_wait_loadcnt 0x1
	v_fmac_f64_e32 v[80:81], v[72:73], v[64:65]
	s_wait_dscnt 0x1
	s_delay_alu instid0(VALU_DEP_1) | instskip(SKIP_1) | instid1(VALU_DEP_1)
	v_fmac_f64_e32 v[80:81], v[74:75], v[58:59]
	s_wait_loadcnt 0x0
	v_fmac_f64_e32 v[80:81], v[76:77], v[60:61]
	s_wait_dscnt 0x0
	s_delay_alu instid0(VALU_DEP_1) | instskip(NEXT) | instid1(VALU_DEP_1)
	v_fmac_f64_e32 v[80:81], v[78:79], v[62:63]
	v_add_f64_e64 v[56:57], v[56:57], -v[80:81]
	scratch_store_b64 off, v[56:57], off offset:112
	s_wait_xcnt 0x0
	v_cmpx_lt_u32_e32 13, v0
	s_cbranch_execz .LBB25_139
; %bb.138:
	scratch_load_b64 v[56:57], off, off offset:104
	v_mov_b64_e32 v[58:59], 0
	scratch_store_b64 off, v[58:59], off offset:104
	s_wait_loadcnt 0x0
	ds_store_b64 v1, v[56:57]
.LBB25_139:
	s_wait_xcnt 0x0
	s_or_b32 exec_lo, exec_lo, s0
	s_wait_storecnt_dscnt 0x0
	s_barrier_signal -1
	s_barrier_wait -1
	s_clause 0x5
	scratch_load_b128 v[56:59], off, off offset:104
	scratch_load_b128 v[60:63], off, off offset:120
	;; [unrolled: 1-line block ×6, first 2 shown]
	ds_load_b128 v[80:83], v2 offset:320
	ds_load_b128 v[84:87], v2 offset:336
	s_mov_b32 s0, exec_lo
	s_wait_loadcnt_dscnt 0x501
	v_fma_f64 v[80:81], v[58:59], v[80:81], 0
	s_wait_loadcnt 0x4
	s_delay_alu instid0(VALU_DEP_1) | instskip(SKIP_4) | instid1(VALU_DEP_1)
	v_fmac_f64_e32 v[80:81], v[60:61], v[82:83]
	scratch_load_b64 v[82:83], off, off offset:200
	s_wait_dscnt 0x0
	v_fmac_f64_e32 v[80:81], v[62:63], v[84:85]
	s_wait_loadcnt 0x4
	v_fmac_f64_e32 v[80:81], v[64:65], v[86:87]
	ds_load_b128 v[58:61], v2 offset:352
	ds_load_b128 v[62:65], v2 offset:368
	s_wait_dscnt 0x1
	v_fmac_f64_e32 v[80:81], v[66:67], v[58:59]
	s_wait_loadcnt 0x3
	s_delay_alu instid0(VALU_DEP_1) | instskip(SKIP_1) | instid1(VALU_DEP_1)
	v_fmac_f64_e32 v[80:81], v[68:69], v[60:61]
	s_wait_dscnt 0x0
	v_fmac_f64_e32 v[80:81], v[70:71], v[62:63]
	s_wait_loadcnt 0x2
	s_delay_alu instid0(VALU_DEP_1)
	v_fmac_f64_e32 v[80:81], v[72:73], v[64:65]
	ds_load_b128 v[58:61], v2 offset:384
	ds_load_b128 v[62:65], v2 offset:400
	s_wait_dscnt 0x1
	v_fmac_f64_e32 v[80:81], v[74:75], v[58:59]
	s_wait_loadcnt 0x1
	s_delay_alu instid0(VALU_DEP_1) | instskip(SKIP_1) | instid1(VALU_DEP_1)
	v_fmac_f64_e32 v[80:81], v[76:77], v[60:61]
	s_wait_dscnt 0x0
	v_fmac_f64_e32 v[80:81], v[78:79], v[62:63]
	s_wait_loadcnt 0x0
	s_delay_alu instid0(VALU_DEP_1) | instskip(NEXT) | instid1(VALU_DEP_1)
	v_fmac_f64_e32 v[80:81], v[82:83], v[64:65]
	v_add_f64_e64 v[2:3], v[56:57], -v[80:81]
	scratch_store_b64 off, v[2:3], off offset:104
	s_wait_xcnt 0x0
	v_cmpx_lt_u32_e32 12, v0
	s_cbranch_execz .LBB25_141
; %bb.140:
	scratch_load_b64 v[2:3], off, off offset:96
	v_mov_b64_e32 v[56:57], 0
	scratch_store_b64 off, v[56:57], off offset:96
	s_wait_loadcnt 0x0
	ds_store_b64 v1, v[2:3]
.LBB25_141:
	s_wait_xcnt 0x0
	s_or_b32 exec_lo, exec_lo, s0
	s_wait_storecnt_dscnt 0x0
	s_barrier_signal -1
	s_barrier_wait -1
	s_clause 0x5
	scratch_load_b128 v[56:59], off, off offset:96
	scratch_load_b128 v[60:63], off, off offset:112
	;; [unrolled: 1-line block ×6, first 2 shown]
	v_mov_b32_e32 v2, 0
	ds_load_2addr_b64 v[80:83], v2 offset0:39 offset1:40
	ds_load_2addr_b64 v[84:87], v2 offset0:41 offset1:42
	s_mov_b32 s0, exec_lo
	s_wait_loadcnt_dscnt 0x501
	v_fma_f64 v[88:89], v[58:59], v[80:81], 0
	s_wait_loadcnt 0x4
	s_delay_alu instid0(VALU_DEP_1) | instskip(SKIP_4) | instid1(VALU_DEP_1)
	v_fmac_f64_e32 v[88:89], v[60:61], v[82:83]
	scratch_load_b128 v[58:61], off, off offset:192
	s_wait_dscnt 0x0
	v_fmac_f64_e32 v[88:89], v[62:63], v[84:85]
	s_wait_loadcnt 0x4
	v_fmac_f64_e32 v[88:89], v[64:65], v[86:87]
	ds_load_2addr_b64 v[62:65], v2 offset0:43 offset1:44
	ds_load_2addr_b64 v[80:83], v2 offset0:45 offset1:46
	s_wait_dscnt 0x1
	v_fmac_f64_e32 v[88:89], v[66:67], v[62:63]
	s_wait_loadcnt 0x3
	s_delay_alu instid0(VALU_DEP_1)
	v_fmac_f64_e32 v[88:89], v[68:69], v[64:65]
	ds_load_2addr_b64 v[62:65], v2 offset0:47 offset1:48
	ds_load_2addr_b64 v[66:69], v2 offset0:49 offset1:50
	s_wait_dscnt 0x2
	v_fmac_f64_e32 v[88:89], v[70:71], v[80:81]
	s_wait_loadcnt 0x2
	s_delay_alu instid0(VALU_DEP_1) | instskip(SKIP_1) | instid1(VALU_DEP_1)
	v_fmac_f64_e32 v[88:89], v[72:73], v[82:83]
	s_wait_dscnt 0x1
	v_fmac_f64_e32 v[88:89], v[74:75], v[62:63]
	s_wait_loadcnt 0x1
	s_delay_alu instid0(VALU_DEP_1) | instskip(SKIP_1) | instid1(VALU_DEP_1)
	v_fmac_f64_e32 v[88:89], v[76:77], v[64:65]
	s_wait_dscnt 0x0
	v_fmac_f64_e32 v[88:89], v[78:79], v[66:67]
	s_wait_loadcnt 0x0
	s_delay_alu instid0(VALU_DEP_1) | instskip(SKIP_3) | instid1(VALU_DEP_1)
	v_fmac_f64_e32 v[88:89], v[58:59], v[68:69]
	ds_load_b64 v[58:59], v2 offset:408
	s_wait_dscnt 0x0
	v_fmac_f64_e32 v[88:89], v[60:61], v[58:59]
	v_add_f64_e64 v[56:57], v[56:57], -v[88:89]
	scratch_store_b64 off, v[56:57], off offset:96
	s_wait_xcnt 0x0
	v_cmpx_lt_u32_e32 11, v0
	s_cbranch_execz .LBB25_143
; %bb.142:
	scratch_load_b64 v[56:57], off, off offset:88
	v_mov_b64_e32 v[58:59], 0
	scratch_store_b64 off, v[58:59], off offset:88
	s_wait_loadcnt 0x0
	ds_store_b64 v1, v[56:57]
.LBB25_143:
	s_wait_xcnt 0x0
	s_or_b32 exec_lo, exec_lo, s0
	s_wait_storecnt_dscnt 0x0
	s_barrier_signal -1
	s_barrier_wait -1
	s_clause 0x5
	scratch_load_b128 v[56:59], off, off offset:88
	scratch_load_b128 v[60:63], off, off offset:104
	;; [unrolled: 1-line block ×6, first 2 shown]
	ds_load_b128 v[80:83], v2 offset:304
	ds_load_b128 v[84:87], v2 offset:320
	s_mov_b32 s0, exec_lo
	s_wait_loadcnt_dscnt 0x501
	v_fma_f64 v[88:89], v[58:59], v[80:81], 0
	s_wait_loadcnt 0x4
	s_delay_alu instid0(VALU_DEP_1)
	v_fmac_f64_e32 v[88:89], v[60:61], v[82:83]
	scratch_load_b128 v[58:61], off, off offset:184
	s_wait_dscnt 0x0
	v_fmac_f64_e32 v[88:89], v[62:63], v[84:85]
	scratch_load_b64 v[84:85], off, off offset:200
	s_wait_loadcnt 0x5
	v_fmac_f64_e32 v[88:89], v[64:65], v[86:87]
	ds_load_b128 v[62:65], v2 offset:336
	ds_load_b128 v[80:83], v2 offset:352
	s_wait_dscnt 0x1
	v_fmac_f64_e32 v[88:89], v[66:67], v[62:63]
	s_wait_loadcnt 0x4
	s_delay_alu instid0(VALU_DEP_1)
	v_fmac_f64_e32 v[88:89], v[68:69], v[64:65]
	ds_load_b128 v[62:65], v2 offset:368
	ds_load_b128 v[66:69], v2 offset:384
	s_wait_dscnt 0x2
	v_fmac_f64_e32 v[88:89], v[70:71], v[80:81]
	s_wait_loadcnt 0x3
	s_delay_alu instid0(VALU_DEP_1) | instskip(SKIP_1) | instid1(VALU_DEP_1)
	v_fmac_f64_e32 v[88:89], v[72:73], v[82:83]
	s_wait_dscnt 0x1
	v_fmac_f64_e32 v[88:89], v[74:75], v[62:63]
	s_wait_loadcnt 0x2
	s_delay_alu instid0(VALU_DEP_1) | instskip(SKIP_4) | instid1(VALU_DEP_1)
	v_fmac_f64_e32 v[88:89], v[76:77], v[64:65]
	ds_load_b128 v[62:65], v2 offset:400
	s_wait_dscnt 0x1
	v_fmac_f64_e32 v[88:89], v[78:79], v[66:67]
	s_wait_loadcnt 0x1
	v_fmac_f64_e32 v[88:89], v[58:59], v[68:69]
	s_wait_dscnt 0x0
	s_delay_alu instid0(VALU_DEP_1) | instskip(SKIP_1) | instid1(VALU_DEP_1)
	v_fmac_f64_e32 v[88:89], v[60:61], v[62:63]
	s_wait_loadcnt 0x0
	v_fmac_f64_e32 v[88:89], v[84:85], v[64:65]
	s_delay_alu instid0(VALU_DEP_1)
	v_add_f64_e64 v[2:3], v[56:57], -v[88:89]
	scratch_store_b64 off, v[2:3], off offset:88
	s_wait_xcnt 0x0
	v_cmpx_lt_u32_e32 10, v0
	s_cbranch_execz .LBB25_145
; %bb.144:
	scratch_load_b64 v[2:3], off, off offset:80
	v_mov_b64_e32 v[56:57], 0
	scratch_store_b64 off, v[56:57], off offset:80
	s_wait_loadcnt 0x0
	ds_store_b64 v1, v[2:3]
.LBB25_145:
	s_wait_xcnt 0x0
	s_or_b32 exec_lo, exec_lo, s0
	s_wait_storecnt_dscnt 0x0
	s_barrier_signal -1
	s_barrier_wait -1
	s_clause 0x5
	scratch_load_b128 v[56:59], off, off offset:80
	scratch_load_b128 v[60:63], off, off offset:96
	;; [unrolled: 1-line block ×6, first 2 shown]
	v_mov_b32_e32 v2, 0
	ds_load_2addr_b64 v[80:83], v2 offset0:37 offset1:38
	ds_load_2addr_b64 v[84:87], v2 offset0:39 offset1:40
	s_mov_b32 s0, exec_lo
	s_wait_loadcnt_dscnt 0x501
	v_fma_f64 v[88:89], v[58:59], v[80:81], 0
	s_wait_loadcnt 0x4
	s_delay_alu instid0(VALU_DEP_1) | instskip(SKIP_4) | instid1(VALU_DEP_1)
	v_fmac_f64_e32 v[88:89], v[60:61], v[82:83]
	scratch_load_b128 v[58:61], off, off offset:176
	s_wait_dscnt 0x0
	v_fmac_f64_e32 v[88:89], v[62:63], v[84:85]
	s_wait_loadcnt 0x4
	v_fmac_f64_e32 v[88:89], v[64:65], v[86:87]
	scratch_load_b128 v[62:65], off, off offset:192
	ds_load_2addr_b64 v[80:83], v2 offset0:41 offset1:42
	ds_load_2addr_b64 v[84:87], v2 offset0:43 offset1:44
	s_wait_dscnt 0x1
	v_fmac_f64_e32 v[88:89], v[66:67], v[80:81]
	s_wait_loadcnt 0x4
	s_delay_alu instid0(VALU_DEP_1) | instskip(SKIP_1) | instid1(VALU_DEP_1)
	v_fmac_f64_e32 v[88:89], v[68:69], v[82:83]
	s_wait_dscnt 0x0
	v_fmac_f64_e32 v[88:89], v[70:71], v[84:85]
	s_wait_loadcnt 0x3
	s_delay_alu instid0(VALU_DEP_1)
	v_fmac_f64_e32 v[88:89], v[72:73], v[86:87]
	ds_load_2addr_b64 v[66:69], v2 offset0:45 offset1:46
	ds_load_2addr_b64 v[70:73], v2 offset0:47 offset1:48
	s_wait_dscnt 0x1
	v_fmac_f64_e32 v[88:89], v[74:75], v[66:67]
	s_wait_loadcnt 0x2
	s_delay_alu instid0(VALU_DEP_1) | instskip(SKIP_1) | instid1(VALU_DEP_1)
	v_fmac_f64_e32 v[88:89], v[76:77], v[68:69]
	s_wait_dscnt 0x0
	v_fmac_f64_e32 v[88:89], v[78:79], v[70:71]
	s_wait_loadcnt 0x1
	s_delay_alu instid0(VALU_DEP_1)
	v_fmac_f64_e32 v[88:89], v[58:59], v[72:73]
	ds_load_2addr_b64 v[66:69], v2 offset0:49 offset1:50
	ds_load_b64 v[58:59], v2 offset:408
	s_wait_dscnt 0x1
	v_fmac_f64_e32 v[88:89], v[60:61], v[66:67]
	s_wait_loadcnt 0x0
	s_delay_alu instid0(VALU_DEP_1) | instskip(SKIP_1) | instid1(VALU_DEP_1)
	v_fmac_f64_e32 v[88:89], v[62:63], v[68:69]
	s_wait_dscnt 0x0
	v_fmac_f64_e32 v[88:89], v[64:65], v[58:59]
	s_delay_alu instid0(VALU_DEP_1)
	v_add_f64_e64 v[56:57], v[56:57], -v[88:89]
	scratch_store_b64 off, v[56:57], off offset:80
	s_wait_xcnt 0x0
	v_cmpx_lt_u32_e32 9, v0
	s_cbranch_execz .LBB25_147
; %bb.146:
	scratch_load_b64 v[56:57], off, off offset:72
	v_mov_b64_e32 v[58:59], 0
	scratch_store_b64 off, v[58:59], off offset:72
	s_wait_loadcnt 0x0
	ds_store_b64 v1, v[56:57]
.LBB25_147:
	s_wait_xcnt 0x0
	s_or_b32 exec_lo, exec_lo, s0
	s_wait_storecnt_dscnt 0x0
	s_barrier_signal -1
	s_barrier_wait -1
	s_clause 0x5
	scratch_load_b128 v[56:59], off, off offset:72
	scratch_load_b128 v[60:63], off, off offset:88
	scratch_load_b128 v[64:67], off, off offset:104
	scratch_load_b128 v[68:71], off, off offset:120
	scratch_load_b128 v[72:75], off, off offset:136
	scratch_load_b128 v[76:79], off, off offset:152
	ds_load_b128 v[80:83], v2 offset:288
	ds_load_b128 v[84:87], v2 offset:304
	s_mov_b32 s0, exec_lo
	s_wait_loadcnt_dscnt 0x501
	v_fma_f64 v[88:89], v[58:59], v[80:81], 0
	s_wait_loadcnt 0x4
	s_delay_alu instid0(VALU_DEP_1) | instskip(SKIP_4) | instid1(VALU_DEP_1)
	v_fmac_f64_e32 v[88:89], v[60:61], v[82:83]
	scratch_load_b128 v[58:61], off, off offset:168
	s_wait_dscnt 0x0
	v_fmac_f64_e32 v[88:89], v[62:63], v[84:85]
	s_wait_loadcnt 0x4
	v_fmac_f64_e32 v[88:89], v[64:65], v[86:87]
	scratch_load_b128 v[62:65], off, off offset:184
	ds_load_b128 v[80:83], v2 offset:320
	ds_load_b128 v[84:87], v2 offset:336
	s_wait_dscnt 0x1
	v_fmac_f64_e32 v[88:89], v[66:67], v[80:81]
	scratch_load_b64 v[80:81], off, off offset:200
	s_wait_loadcnt 0x5
	v_fmac_f64_e32 v[88:89], v[68:69], v[82:83]
	s_wait_dscnt 0x0
	s_delay_alu instid0(VALU_DEP_1) | instskip(SKIP_1) | instid1(VALU_DEP_1)
	v_fmac_f64_e32 v[88:89], v[70:71], v[84:85]
	s_wait_loadcnt 0x4
	v_fmac_f64_e32 v[88:89], v[72:73], v[86:87]
	ds_load_b128 v[66:69], v2 offset:352
	ds_load_b128 v[70:73], v2 offset:368
	s_wait_dscnt 0x1
	v_fmac_f64_e32 v[88:89], v[74:75], v[66:67]
	s_wait_loadcnt 0x3
	s_delay_alu instid0(VALU_DEP_1) | instskip(SKIP_1) | instid1(VALU_DEP_1)
	v_fmac_f64_e32 v[88:89], v[76:77], v[68:69]
	s_wait_dscnt 0x0
	v_fmac_f64_e32 v[88:89], v[78:79], v[70:71]
	s_wait_loadcnt 0x2
	s_delay_alu instid0(VALU_DEP_1)
	v_fmac_f64_e32 v[88:89], v[58:59], v[72:73]
	ds_load_b128 v[66:69], v2 offset:384
	ds_load_b128 v[70:73], v2 offset:400
	s_wait_dscnt 0x1
	v_fmac_f64_e32 v[88:89], v[60:61], v[66:67]
	s_wait_loadcnt 0x1
	s_delay_alu instid0(VALU_DEP_1) | instskip(SKIP_1) | instid1(VALU_DEP_1)
	v_fmac_f64_e32 v[88:89], v[62:63], v[68:69]
	s_wait_dscnt 0x0
	v_fmac_f64_e32 v[88:89], v[64:65], v[70:71]
	s_wait_loadcnt 0x0
	s_delay_alu instid0(VALU_DEP_1) | instskip(NEXT) | instid1(VALU_DEP_1)
	v_fmac_f64_e32 v[88:89], v[80:81], v[72:73]
	v_add_f64_e64 v[2:3], v[56:57], -v[88:89]
	scratch_store_b64 off, v[2:3], off offset:72
	s_wait_xcnt 0x0
	v_cmpx_lt_u32_e32 8, v0
	s_cbranch_execz .LBB25_149
; %bb.148:
	scratch_load_b64 v[2:3], off, off offset:64
	v_mov_b64_e32 v[56:57], 0
	scratch_store_b64 off, v[56:57], off offset:64
	s_wait_loadcnt 0x0
	ds_store_b64 v1, v[2:3]
.LBB25_149:
	s_wait_xcnt 0x0
	s_or_b32 exec_lo, exec_lo, s0
	s_wait_storecnt_dscnt 0x0
	s_barrier_signal -1
	s_barrier_wait -1
	s_clause 0x5
	scratch_load_b128 v[56:59], off, off offset:64
	scratch_load_b128 v[60:63], off, off offset:80
	;; [unrolled: 1-line block ×6, first 2 shown]
	v_mov_b32_e32 v2, 0
	ds_load_2addr_b64 v[80:83], v2 offset0:35 offset1:36
	ds_load_2addr_b64 v[84:87], v2 offset0:37 offset1:38
	s_mov_b32 s0, exec_lo
	s_wait_loadcnt_dscnt 0x501
	v_fma_f64 v[88:89], v[58:59], v[80:81], 0
	s_wait_loadcnt 0x4
	s_delay_alu instid0(VALU_DEP_1) | instskip(SKIP_4) | instid1(VALU_DEP_1)
	v_fmac_f64_e32 v[88:89], v[60:61], v[82:83]
	scratch_load_b128 v[58:61], off, off offset:160
	s_wait_dscnt 0x0
	v_fmac_f64_e32 v[88:89], v[62:63], v[84:85]
	s_wait_loadcnt 0x4
	v_fmac_f64_e32 v[88:89], v[64:65], v[86:87]
	scratch_load_b128 v[62:65], off, off offset:176
	ds_load_2addr_b64 v[80:83], v2 offset0:39 offset1:40
	ds_load_2addr_b64 v[84:87], v2 offset0:41 offset1:42
	s_wait_dscnt 0x1
	v_fmac_f64_e32 v[88:89], v[66:67], v[80:81]
	s_wait_loadcnt 0x4
	s_delay_alu instid0(VALU_DEP_1) | instskip(SKIP_4) | instid1(VALU_DEP_1)
	v_fmac_f64_e32 v[88:89], v[68:69], v[82:83]
	scratch_load_b128 v[66:69], off, off offset:192
	s_wait_dscnt 0x0
	v_fmac_f64_e32 v[88:89], v[70:71], v[84:85]
	s_wait_loadcnt 0x4
	v_fmac_f64_e32 v[88:89], v[72:73], v[86:87]
	ds_load_2addr_b64 v[70:73], v2 offset0:43 offset1:44
	ds_load_2addr_b64 v[80:83], v2 offset0:45 offset1:46
	s_wait_dscnt 0x1
	v_fmac_f64_e32 v[88:89], v[74:75], v[70:71]
	s_wait_loadcnt 0x3
	s_delay_alu instid0(VALU_DEP_1)
	v_fmac_f64_e32 v[88:89], v[76:77], v[72:73]
	ds_load_2addr_b64 v[70:73], v2 offset0:47 offset1:48
	ds_load_2addr_b64 v[74:77], v2 offset0:49 offset1:50
	s_wait_dscnt 0x2
	v_fmac_f64_e32 v[88:89], v[78:79], v[80:81]
	s_wait_loadcnt 0x2
	s_delay_alu instid0(VALU_DEP_1) | instskip(SKIP_4) | instid1(VALU_DEP_1)
	v_fmac_f64_e32 v[88:89], v[58:59], v[82:83]
	ds_load_b64 v[58:59], v2 offset:408
	s_wait_dscnt 0x2
	v_fmac_f64_e32 v[88:89], v[60:61], v[70:71]
	s_wait_loadcnt 0x1
	v_fmac_f64_e32 v[88:89], v[62:63], v[72:73]
	s_wait_dscnt 0x1
	s_delay_alu instid0(VALU_DEP_1) | instskip(SKIP_1) | instid1(VALU_DEP_1)
	v_fmac_f64_e32 v[88:89], v[64:65], v[74:75]
	s_wait_loadcnt 0x0
	v_fmac_f64_e32 v[88:89], v[66:67], v[76:77]
	s_wait_dscnt 0x0
	s_delay_alu instid0(VALU_DEP_1) | instskip(NEXT) | instid1(VALU_DEP_1)
	v_fmac_f64_e32 v[88:89], v[68:69], v[58:59]
	v_add_f64_e64 v[56:57], v[56:57], -v[88:89]
	scratch_store_b64 off, v[56:57], off offset:64
	s_wait_xcnt 0x0
	v_cmpx_lt_u32_e32 7, v0
	s_cbranch_execz .LBB25_151
; %bb.150:
	scratch_load_b64 v[56:57], off, off offset:56
	v_mov_b64_e32 v[58:59], 0
	scratch_store_b64 off, v[58:59], off offset:56
	s_wait_loadcnt 0x0
	ds_store_b64 v1, v[56:57]
.LBB25_151:
	s_wait_xcnt 0x0
	s_or_b32 exec_lo, exec_lo, s0
	s_wait_storecnt_dscnt 0x0
	s_barrier_signal -1
	s_barrier_wait -1
	s_clause 0x5
	scratch_load_b128 v[56:59], off, off offset:56
	scratch_load_b128 v[60:63], off, off offset:72
	;; [unrolled: 1-line block ×6, first 2 shown]
	ds_load_b128 v[80:83], v2 offset:272
	ds_load_b128 v[84:87], v2 offset:288
	s_mov_b32 s0, exec_lo
	s_wait_loadcnt_dscnt 0x501
	v_fma_f64 v[88:89], v[58:59], v[80:81], 0
	s_wait_loadcnt 0x4
	s_delay_alu instid0(VALU_DEP_1) | instskip(SKIP_4) | instid1(VALU_DEP_1)
	v_fmac_f64_e32 v[88:89], v[60:61], v[82:83]
	scratch_load_b128 v[58:61], off, off offset:152
	s_wait_dscnt 0x0
	v_fmac_f64_e32 v[88:89], v[62:63], v[84:85]
	s_wait_loadcnt 0x4
	v_fmac_f64_e32 v[88:89], v[64:65], v[86:87]
	scratch_load_b128 v[62:65], off, off offset:168
	ds_load_b128 v[80:83], v2 offset:304
	ds_load_b128 v[84:87], v2 offset:320
	s_wait_dscnt 0x1
	v_fmac_f64_e32 v[88:89], v[66:67], v[80:81]
	s_wait_loadcnt 0x4
	s_delay_alu instid0(VALU_DEP_1)
	v_fmac_f64_e32 v[88:89], v[68:69], v[82:83]
	scratch_load_b128 v[66:69], off, off offset:184
	s_wait_dscnt 0x0
	v_fmac_f64_e32 v[88:89], v[70:71], v[84:85]
	scratch_load_b64 v[84:85], off, off offset:200
	s_wait_loadcnt 0x5
	v_fmac_f64_e32 v[88:89], v[72:73], v[86:87]
	ds_load_b128 v[70:73], v2 offset:336
	ds_load_b128 v[80:83], v2 offset:352
	s_wait_dscnt 0x1
	v_fmac_f64_e32 v[88:89], v[74:75], v[70:71]
	s_wait_loadcnt 0x4
	s_delay_alu instid0(VALU_DEP_1)
	v_fmac_f64_e32 v[88:89], v[76:77], v[72:73]
	ds_load_b128 v[70:73], v2 offset:368
	ds_load_b128 v[74:77], v2 offset:384
	s_wait_dscnt 0x2
	v_fmac_f64_e32 v[88:89], v[78:79], v[80:81]
	s_wait_loadcnt 0x3
	s_delay_alu instid0(VALU_DEP_1) | instskip(SKIP_1) | instid1(VALU_DEP_1)
	v_fmac_f64_e32 v[88:89], v[58:59], v[82:83]
	s_wait_dscnt 0x1
	v_fmac_f64_e32 v[88:89], v[60:61], v[70:71]
	ds_load_b128 v[58:61], v2 offset:400
	s_wait_loadcnt 0x2
	v_fmac_f64_e32 v[88:89], v[62:63], v[72:73]
	s_wait_dscnt 0x1
	s_delay_alu instid0(VALU_DEP_1) | instskip(SKIP_1) | instid1(VALU_DEP_1)
	v_fmac_f64_e32 v[88:89], v[64:65], v[74:75]
	s_wait_loadcnt 0x1
	v_fmac_f64_e32 v[88:89], v[66:67], v[76:77]
	s_wait_dscnt 0x0
	s_delay_alu instid0(VALU_DEP_1) | instskip(SKIP_1) | instid1(VALU_DEP_1)
	v_fmac_f64_e32 v[88:89], v[68:69], v[58:59]
	s_wait_loadcnt 0x0
	v_fmac_f64_e32 v[88:89], v[84:85], v[60:61]
	s_delay_alu instid0(VALU_DEP_1)
	v_add_f64_e64 v[2:3], v[56:57], -v[88:89]
	scratch_store_b64 off, v[2:3], off offset:56
	s_wait_xcnt 0x0
	v_cmpx_lt_u32_e32 6, v0
	s_cbranch_execz .LBB25_153
; %bb.152:
	scratch_load_b64 v[2:3], off, off offset:48
	v_mov_b64_e32 v[56:57], 0
	scratch_store_b64 off, v[56:57], off offset:48
	s_wait_loadcnt 0x0
	ds_store_b64 v1, v[2:3]
.LBB25_153:
	s_wait_xcnt 0x0
	s_or_b32 exec_lo, exec_lo, s0
	s_wait_storecnt_dscnt 0x0
	s_barrier_signal -1
	s_barrier_wait -1
	s_clause 0x5
	scratch_load_b128 v[56:59], off, off offset:48
	scratch_load_b128 v[60:63], off, off offset:64
	;; [unrolled: 1-line block ×6, first 2 shown]
	v_mov_b32_e32 v2, 0
	ds_load_2addr_b64 v[80:83], v2 offset0:33 offset1:34
	ds_load_2addr_b64 v[84:87], v2 offset0:35 offset1:36
	s_mov_b32 s0, exec_lo
	s_wait_loadcnt_dscnt 0x501
	v_fma_f64 v[88:89], v[58:59], v[80:81], 0
	s_wait_loadcnt 0x4
	s_delay_alu instid0(VALU_DEP_1) | instskip(SKIP_4) | instid1(VALU_DEP_1)
	v_fmac_f64_e32 v[88:89], v[60:61], v[82:83]
	scratch_load_b128 v[58:61], off, off offset:144
	s_wait_dscnt 0x0
	v_fmac_f64_e32 v[88:89], v[62:63], v[84:85]
	s_wait_loadcnt 0x4
	v_fmac_f64_e32 v[88:89], v[64:65], v[86:87]
	scratch_load_b128 v[62:65], off, off offset:160
	ds_load_2addr_b64 v[80:83], v2 offset0:37 offset1:38
	ds_load_2addr_b64 v[84:87], v2 offset0:39 offset1:40
	s_wait_dscnt 0x1
	v_fmac_f64_e32 v[88:89], v[66:67], v[80:81]
	s_wait_loadcnt 0x4
	s_delay_alu instid0(VALU_DEP_1) | instskip(SKIP_4) | instid1(VALU_DEP_1)
	v_fmac_f64_e32 v[88:89], v[68:69], v[82:83]
	scratch_load_b128 v[66:69], off, off offset:176
	s_wait_dscnt 0x0
	v_fmac_f64_e32 v[88:89], v[70:71], v[84:85]
	s_wait_loadcnt 0x4
	v_fmac_f64_e32 v[88:89], v[72:73], v[86:87]
	scratch_load_b128 v[70:73], off, off offset:192
	ds_load_2addr_b64 v[80:83], v2 offset0:41 offset1:42
	ds_load_2addr_b64 v[84:87], v2 offset0:43 offset1:44
	s_wait_dscnt 0x1
	v_fmac_f64_e32 v[88:89], v[74:75], v[80:81]
	s_wait_loadcnt 0x4
	s_delay_alu instid0(VALU_DEP_1) | instskip(SKIP_1) | instid1(VALU_DEP_1)
	v_fmac_f64_e32 v[88:89], v[76:77], v[82:83]
	s_wait_dscnt 0x0
	v_fmac_f64_e32 v[88:89], v[78:79], v[84:85]
	ds_load_2addr_b64 v[74:77], v2 offset0:45 offset1:46
	ds_load_2addr_b64 v[78:81], v2 offset0:47 offset1:48
	s_wait_loadcnt 0x3
	v_fmac_f64_e32 v[88:89], v[58:59], v[86:87]
	s_wait_dscnt 0x1
	s_delay_alu instid0(VALU_DEP_1) | instskip(SKIP_1) | instid1(VALU_DEP_1)
	v_fmac_f64_e32 v[88:89], v[60:61], v[74:75]
	s_wait_loadcnt 0x2
	v_fmac_f64_e32 v[88:89], v[62:63], v[76:77]
	ds_load_2addr_b64 v[58:61], v2 offset0:49 offset1:50
	ds_load_b64 v[62:63], v2 offset:408
	s_wait_dscnt 0x2
	v_fmac_f64_e32 v[88:89], v[64:65], v[78:79]
	s_wait_loadcnt 0x1
	s_delay_alu instid0(VALU_DEP_1) | instskip(SKIP_1) | instid1(VALU_DEP_1)
	v_fmac_f64_e32 v[88:89], v[66:67], v[80:81]
	s_wait_dscnt 0x1
	v_fmac_f64_e32 v[88:89], v[68:69], v[58:59]
	s_wait_loadcnt 0x0
	s_delay_alu instid0(VALU_DEP_1) | instskip(SKIP_1) | instid1(VALU_DEP_1)
	v_fmac_f64_e32 v[88:89], v[70:71], v[60:61]
	s_wait_dscnt 0x0
	v_fmac_f64_e32 v[88:89], v[72:73], v[62:63]
	s_delay_alu instid0(VALU_DEP_1)
	v_add_f64_e64 v[56:57], v[56:57], -v[88:89]
	scratch_store_b64 off, v[56:57], off offset:48
	s_wait_xcnt 0x0
	v_cmpx_lt_u32_e32 5, v0
	s_cbranch_execz .LBB25_155
; %bb.154:
	scratch_load_b64 v[56:57], off, off offset:40
	v_mov_b64_e32 v[58:59], 0
	scratch_store_b64 off, v[58:59], off offset:40
	s_wait_loadcnt 0x0
	ds_store_b64 v1, v[56:57]
.LBB25_155:
	s_wait_xcnt 0x0
	s_or_b32 exec_lo, exec_lo, s0
	s_wait_storecnt_dscnt 0x0
	s_barrier_signal -1
	s_barrier_wait -1
	s_clause 0x5
	scratch_load_b128 v[56:59], off, off offset:40
	scratch_load_b128 v[60:63], off, off offset:56
	;; [unrolled: 1-line block ×6, first 2 shown]
	ds_load_b128 v[80:83], v2 offset:256
	ds_load_b128 v[84:87], v2 offset:272
	s_mov_b32 s0, exec_lo
	s_wait_loadcnt_dscnt 0x501
	v_fma_f64 v[88:89], v[58:59], v[80:81], 0
	s_wait_loadcnt 0x4
	s_delay_alu instid0(VALU_DEP_1) | instskip(SKIP_4) | instid1(VALU_DEP_1)
	v_fmac_f64_e32 v[88:89], v[60:61], v[82:83]
	scratch_load_b128 v[58:61], off, off offset:136
	s_wait_dscnt 0x0
	v_fmac_f64_e32 v[88:89], v[62:63], v[84:85]
	s_wait_loadcnt 0x4
	v_fmac_f64_e32 v[88:89], v[64:65], v[86:87]
	scratch_load_b128 v[62:65], off, off offset:152
	ds_load_b128 v[80:83], v2 offset:288
	ds_load_b128 v[84:87], v2 offset:304
	s_wait_dscnt 0x1
	v_fmac_f64_e32 v[88:89], v[66:67], v[80:81]
	s_wait_loadcnt 0x4
	s_delay_alu instid0(VALU_DEP_1) | instskip(SKIP_4) | instid1(VALU_DEP_1)
	v_fmac_f64_e32 v[88:89], v[68:69], v[82:83]
	scratch_load_b128 v[66:69], off, off offset:168
	s_wait_dscnt 0x0
	v_fmac_f64_e32 v[88:89], v[70:71], v[84:85]
	s_wait_loadcnt 0x4
	v_fmac_f64_e32 v[88:89], v[72:73], v[86:87]
	scratch_load_b128 v[70:73], off, off offset:184
	ds_load_b128 v[80:83], v2 offset:320
	ds_load_b128 v[84:87], v2 offset:336
	s_wait_dscnt 0x1
	v_fmac_f64_e32 v[88:89], v[74:75], v[80:81]
	s_wait_loadcnt 0x4
	s_delay_alu instid0(VALU_DEP_1)
	v_fmac_f64_e32 v[88:89], v[76:77], v[82:83]
	scratch_load_b64 v[82:83], off, off offset:200
	s_wait_dscnt 0x0
	v_fmac_f64_e32 v[88:89], v[78:79], v[84:85]
	ds_load_b128 v[74:77], v2 offset:352
	ds_load_b128 v[78:81], v2 offset:368
	s_wait_loadcnt 0x4
	v_fmac_f64_e32 v[88:89], v[58:59], v[86:87]
	s_wait_dscnt 0x1
	s_delay_alu instid0(VALU_DEP_1) | instskip(SKIP_1) | instid1(VALU_DEP_1)
	v_fmac_f64_e32 v[88:89], v[60:61], v[74:75]
	s_wait_loadcnt 0x3
	v_fmac_f64_e32 v[88:89], v[62:63], v[76:77]
	s_wait_dscnt 0x0
	s_delay_alu instid0(VALU_DEP_1)
	v_fmac_f64_e32 v[88:89], v[64:65], v[78:79]
	ds_load_b128 v[58:61], v2 offset:384
	ds_load_b128 v[62:65], v2 offset:400
	s_wait_loadcnt 0x2
	v_fmac_f64_e32 v[88:89], v[66:67], v[80:81]
	s_wait_dscnt 0x1
	s_delay_alu instid0(VALU_DEP_1) | instskip(SKIP_1) | instid1(VALU_DEP_1)
	v_fmac_f64_e32 v[88:89], v[68:69], v[58:59]
	s_wait_loadcnt 0x1
	v_fmac_f64_e32 v[88:89], v[70:71], v[60:61]
	s_wait_dscnt 0x0
	s_delay_alu instid0(VALU_DEP_1) | instskip(SKIP_1) | instid1(VALU_DEP_1)
	v_fmac_f64_e32 v[88:89], v[72:73], v[62:63]
	s_wait_loadcnt 0x0
	v_fmac_f64_e32 v[88:89], v[82:83], v[64:65]
	s_delay_alu instid0(VALU_DEP_1)
	v_add_f64_e64 v[2:3], v[56:57], -v[88:89]
	scratch_store_b64 off, v[2:3], off offset:40
	s_wait_xcnt 0x0
	v_cmpx_lt_u32_e32 4, v0
	s_cbranch_execz .LBB25_157
; %bb.156:
	scratch_load_b64 v[2:3], off, off offset:32
	v_mov_b64_e32 v[56:57], 0
	scratch_store_b64 off, v[56:57], off offset:32
	s_wait_loadcnt 0x0
	ds_store_b64 v1, v[2:3]
.LBB25_157:
	s_wait_xcnt 0x0
	s_or_b32 exec_lo, exec_lo, s0
	s_wait_storecnt_dscnt 0x0
	s_barrier_signal -1
	s_barrier_wait -1
	s_clause 0x5
	scratch_load_b128 v[56:59], off, off offset:32
	scratch_load_b128 v[60:63], off, off offset:48
	;; [unrolled: 1-line block ×6, first 2 shown]
	v_mov_b32_e32 v2, 0
	ds_load_2addr_b64 v[80:83], v2 offset0:31 offset1:32
	ds_load_2addr_b64 v[84:87], v2 offset0:33 offset1:34
	s_mov_b32 s0, exec_lo
	s_wait_loadcnt_dscnt 0x501
	v_fma_f64 v[88:89], v[58:59], v[80:81], 0
	s_wait_loadcnt 0x4
	s_delay_alu instid0(VALU_DEP_1) | instskip(SKIP_4) | instid1(VALU_DEP_1)
	v_fmac_f64_e32 v[88:89], v[60:61], v[82:83]
	scratch_load_b128 v[58:61], off, off offset:128
	s_wait_dscnt 0x0
	v_fmac_f64_e32 v[88:89], v[62:63], v[84:85]
	s_wait_loadcnt 0x4
	v_fmac_f64_e32 v[88:89], v[64:65], v[86:87]
	scratch_load_b128 v[62:65], off, off offset:144
	ds_load_2addr_b64 v[80:83], v2 offset0:35 offset1:36
	ds_load_2addr_b64 v[84:87], v2 offset0:37 offset1:38
	s_wait_dscnt 0x1
	v_fmac_f64_e32 v[88:89], v[66:67], v[80:81]
	s_wait_loadcnt 0x4
	s_delay_alu instid0(VALU_DEP_1) | instskip(SKIP_4) | instid1(VALU_DEP_1)
	v_fmac_f64_e32 v[88:89], v[68:69], v[82:83]
	scratch_load_b128 v[66:69], off, off offset:160
	s_wait_dscnt 0x0
	v_fmac_f64_e32 v[88:89], v[70:71], v[84:85]
	s_wait_loadcnt 0x4
	v_fmac_f64_e32 v[88:89], v[72:73], v[86:87]
	scratch_load_b128 v[70:73], off, off offset:176
	ds_load_2addr_b64 v[80:83], v2 offset0:39 offset1:40
	ds_load_2addr_b64 v[84:87], v2 offset0:41 offset1:42
	s_wait_dscnt 0x1
	v_fmac_f64_e32 v[88:89], v[74:75], v[80:81]
	s_wait_loadcnt 0x4
	s_delay_alu instid0(VALU_DEP_1)
	v_fmac_f64_e32 v[88:89], v[76:77], v[82:83]
	scratch_load_b128 v[74:77], off, off offset:192
	s_wait_dscnt 0x0
	v_fmac_f64_e32 v[88:89], v[78:79], v[84:85]
	ds_load_2addr_b64 v[78:81], v2 offset0:43 offset1:44
	ds_load_2addr_b64 v[82:85], v2 offset0:45 offset1:46
	s_wait_loadcnt 0x4
	v_fmac_f64_e32 v[88:89], v[58:59], v[86:87]
	s_wait_dscnt 0x1
	s_delay_alu instid0(VALU_DEP_1) | instskip(SKIP_1) | instid1(VALU_DEP_1)
	v_fmac_f64_e32 v[88:89], v[60:61], v[78:79]
	s_wait_loadcnt 0x3
	v_fmac_f64_e32 v[88:89], v[62:63], v[80:81]
	s_wait_dscnt 0x0
	s_delay_alu instid0(VALU_DEP_1)
	v_fmac_f64_e32 v[88:89], v[64:65], v[82:83]
	ds_load_2addr_b64 v[58:61], v2 offset0:47 offset1:48
	ds_load_2addr_b64 v[62:65], v2 offset0:49 offset1:50
	s_wait_loadcnt 0x2
	v_fmac_f64_e32 v[88:89], v[66:67], v[84:85]
	s_wait_dscnt 0x1
	s_delay_alu instid0(VALU_DEP_1) | instskip(SKIP_4) | instid1(VALU_DEP_1)
	v_fmac_f64_e32 v[88:89], v[68:69], v[58:59]
	ds_load_b64 v[58:59], v2 offset:408
	s_wait_loadcnt 0x1
	v_fmac_f64_e32 v[88:89], v[70:71], v[60:61]
	s_wait_dscnt 0x1
	v_fmac_f64_e32 v[88:89], v[72:73], v[62:63]
	s_wait_loadcnt 0x0
	s_delay_alu instid0(VALU_DEP_1) | instskip(SKIP_1) | instid1(VALU_DEP_1)
	v_fmac_f64_e32 v[88:89], v[74:75], v[64:65]
	s_wait_dscnt 0x0
	v_fmac_f64_e32 v[88:89], v[76:77], v[58:59]
	s_delay_alu instid0(VALU_DEP_1)
	v_add_f64_e64 v[56:57], v[56:57], -v[88:89]
	scratch_store_b64 off, v[56:57], off offset:32
	s_wait_xcnt 0x0
	v_cmpx_lt_u32_e32 3, v0
	s_cbranch_execz .LBB25_159
; %bb.158:
	scratch_load_b64 v[56:57], off, off offset:24
	v_mov_b64_e32 v[58:59], 0
	scratch_store_b64 off, v[58:59], off offset:24
	s_wait_loadcnt 0x0
	ds_store_b64 v1, v[56:57]
.LBB25_159:
	s_wait_xcnt 0x0
	s_or_b32 exec_lo, exec_lo, s0
	s_wait_storecnt_dscnt 0x0
	s_barrier_signal -1
	s_barrier_wait -1
	s_clause 0x5
	scratch_load_b128 v[56:59], off, off offset:24
	scratch_load_b128 v[60:63], off, off offset:40
	;; [unrolled: 1-line block ×6, first 2 shown]
	ds_load_b128 v[80:83], v2 offset:240
	ds_load_b128 v[84:87], v2 offset:256
	scratch_load_b128 v[88:91], off, off offset:120
	s_mov_b32 s0, exec_lo
	s_wait_loadcnt_dscnt 0x601
	v_fma_f64 v[92:93], v[58:59], v[80:81], 0
	s_wait_loadcnt 0x5
	s_delay_alu instid0(VALU_DEP_1) | instskip(SKIP_4) | instid1(VALU_DEP_1)
	v_fmac_f64_e32 v[92:93], v[60:61], v[82:83]
	scratch_load_b128 v[58:61], off, off offset:136
	s_wait_dscnt 0x0
	v_fmac_f64_e32 v[92:93], v[62:63], v[84:85]
	s_wait_loadcnt 0x5
	v_fmac_f64_e32 v[92:93], v[64:65], v[86:87]
	ds_load_b128 v[62:65], v2 offset:272
	ds_load_b128 v[80:83], v2 offset:288
	s_wait_dscnt 0x1
	v_fmac_f64_e32 v[92:93], v[66:67], v[62:63]
	s_wait_loadcnt 0x4
	s_delay_alu instid0(VALU_DEP_1)
	v_fmac_f64_e32 v[92:93], v[68:69], v[64:65]
	s_clause 0x1
	scratch_load_b128 v[62:65], off, off offset:152
	scratch_load_b128 v[66:69], off, off offset:168
	s_wait_dscnt 0x0
	v_fmac_f64_e32 v[92:93], v[70:71], v[80:81]
	s_wait_loadcnt 0x5
	s_delay_alu instid0(VALU_DEP_1)
	v_fmac_f64_e32 v[92:93], v[72:73], v[82:83]
	ds_load_b128 v[70:73], v2 offset:304
	ds_load_b128 v[80:83], v2 offset:320
	s_wait_dscnt 0x1
	v_fmac_f64_e32 v[92:93], v[74:75], v[70:71]
	s_wait_loadcnt 0x4
	s_delay_alu instid0(VALU_DEP_1) | instskip(SKIP_4) | instid1(VALU_DEP_1)
	v_fmac_f64_e32 v[92:93], v[76:77], v[72:73]
	scratch_load_b128 v[70:73], off, off offset:184
	s_wait_dscnt 0x0
	v_fmac_f64_e32 v[92:93], v[78:79], v[80:81]
	s_wait_loadcnt 0x4
	v_fmac_f64_e32 v[92:93], v[88:89], v[82:83]
	scratch_load_b64 v[82:83], off, off offset:200
	ds_load_b128 v[74:77], v2 offset:336
	ds_load_b128 v[78:81], v2 offset:352
	s_wait_dscnt 0x1
	v_fmac_f64_e32 v[92:93], v[90:91], v[74:75]
	s_wait_loadcnt 0x4
	s_delay_alu instid0(VALU_DEP_1) | instskip(SKIP_1) | instid1(VALU_DEP_1)
	v_fmac_f64_e32 v[92:93], v[58:59], v[76:77]
	s_wait_dscnt 0x0
	v_fmac_f64_e32 v[92:93], v[60:61], v[78:79]
	ds_load_b128 v[58:61], v2 offset:368
	ds_load_b128 v[74:77], v2 offset:384
	s_wait_loadcnt 0x3
	v_fmac_f64_e32 v[92:93], v[62:63], v[80:81]
	s_wait_dscnt 0x1
	s_delay_alu instid0(VALU_DEP_1) | instskip(SKIP_1) | instid1(VALU_DEP_1)
	v_fmac_f64_e32 v[92:93], v[64:65], v[58:59]
	s_wait_loadcnt 0x2
	v_fmac_f64_e32 v[92:93], v[66:67], v[60:61]
	ds_load_b128 v[58:61], v2 offset:400
	s_wait_dscnt 0x1
	v_fmac_f64_e32 v[92:93], v[68:69], v[74:75]
	s_wait_loadcnt 0x1
	s_delay_alu instid0(VALU_DEP_1) | instskip(SKIP_1) | instid1(VALU_DEP_1)
	v_fmac_f64_e32 v[92:93], v[70:71], v[76:77]
	s_wait_dscnt 0x0
	v_fmac_f64_e32 v[92:93], v[72:73], v[58:59]
	s_wait_loadcnt 0x0
	s_delay_alu instid0(VALU_DEP_1) | instskip(NEXT) | instid1(VALU_DEP_1)
	v_fmac_f64_e32 v[92:93], v[82:83], v[60:61]
	v_add_f64_e64 v[2:3], v[56:57], -v[92:93]
	scratch_store_b64 off, v[2:3], off offset:24
	s_wait_xcnt 0x0
	v_cmpx_lt_u32_e32 2, v0
	s_cbranch_execz .LBB25_161
; %bb.160:
	scratch_load_b64 v[2:3], off, off offset:16
	v_mov_b64_e32 v[56:57], 0
	scratch_store_b64 off, v[56:57], off offset:16
	s_wait_loadcnt 0x0
	ds_store_b64 v1, v[2:3]
.LBB25_161:
	s_wait_xcnt 0x0
	s_or_b32 exec_lo, exec_lo, s0
	s_wait_storecnt_dscnt 0x0
	s_barrier_signal -1
	s_barrier_wait -1
	s_clause 0x5
	scratch_load_b128 v[56:59], off, off offset:16
	scratch_load_b128 v[60:63], off, off offset:32
	;; [unrolled: 1-line block ×6, first 2 shown]
	v_mov_b32_e32 v2, 0
	ds_load_2addr_b64 v[80:83], v2 offset0:29 offset1:30
	ds_load_2addr_b64 v[84:87], v2 offset0:31 offset1:32
	scratch_load_b128 v[88:91], off, off offset:112
	s_mov_b32 s0, exec_lo
	s_wait_loadcnt_dscnt 0x601
	v_fma_f64 v[92:93], v[58:59], v[80:81], 0
	s_wait_loadcnt 0x5
	s_delay_alu instid0(VALU_DEP_1) | instskip(SKIP_4) | instid1(VALU_DEP_1)
	v_fmac_f64_e32 v[92:93], v[60:61], v[82:83]
	scratch_load_b128 v[58:61], off, off offset:128
	s_wait_dscnt 0x0
	v_fmac_f64_e32 v[92:93], v[62:63], v[84:85]
	s_wait_loadcnt 0x5
	v_fmac_f64_e32 v[92:93], v[64:65], v[86:87]
	ds_load_2addr_b64 v[62:65], v2 offset0:33 offset1:34
	ds_load_2addr_b64 v[80:83], v2 offset0:35 offset1:36
	s_wait_dscnt 0x1
	v_fmac_f64_e32 v[92:93], v[66:67], v[62:63]
	s_wait_loadcnt 0x4
	s_delay_alu instid0(VALU_DEP_1)
	v_fmac_f64_e32 v[92:93], v[68:69], v[64:65]
	s_clause 0x1
	scratch_load_b128 v[62:65], off, off offset:144
	scratch_load_b128 v[66:69], off, off offset:160
	s_wait_dscnt 0x0
	v_fmac_f64_e32 v[92:93], v[70:71], v[80:81]
	s_wait_loadcnt 0x5
	s_delay_alu instid0(VALU_DEP_1)
	v_fmac_f64_e32 v[92:93], v[72:73], v[82:83]
	ds_load_2addr_b64 v[70:73], v2 offset0:37 offset1:38
	ds_load_2addr_b64 v[80:83], v2 offset0:39 offset1:40
	s_wait_dscnt 0x1
	v_fmac_f64_e32 v[92:93], v[74:75], v[70:71]
	s_wait_loadcnt 0x4
	s_delay_alu instid0(VALU_DEP_1)
	v_fmac_f64_e32 v[92:93], v[76:77], v[72:73]
	s_clause 0x1
	scratch_load_b128 v[70:73], off, off offset:176
	scratch_load_b128 v[74:77], off, off offset:192
	s_wait_dscnt 0x0
	v_fmac_f64_e32 v[92:93], v[78:79], v[80:81]
	s_wait_loadcnt 0x5
	s_delay_alu instid0(VALU_DEP_1)
	v_fmac_f64_e32 v[92:93], v[88:89], v[82:83]
	ds_load_2addr_b64 v[78:81], v2 offset0:41 offset1:42
	ds_load_2addr_b64 v[82:85], v2 offset0:43 offset1:44
	s_wait_dscnt 0x1
	v_fmac_f64_e32 v[92:93], v[90:91], v[78:79]
	s_wait_loadcnt 0x4
	s_delay_alu instid0(VALU_DEP_1) | instskip(SKIP_1) | instid1(VALU_DEP_1)
	v_fmac_f64_e32 v[92:93], v[58:59], v[80:81]
	s_wait_dscnt 0x0
	v_fmac_f64_e32 v[92:93], v[60:61], v[82:83]
	ds_load_2addr_b64 v[58:61], v2 offset0:45 offset1:46
	ds_load_2addr_b64 v[78:81], v2 offset0:47 offset1:48
	s_wait_loadcnt 0x3
	v_fmac_f64_e32 v[92:93], v[62:63], v[84:85]
	s_wait_dscnt 0x1
	s_delay_alu instid0(VALU_DEP_1) | instskip(SKIP_1) | instid1(VALU_DEP_1)
	v_fmac_f64_e32 v[92:93], v[64:65], v[58:59]
	s_wait_loadcnt 0x2
	v_fmac_f64_e32 v[92:93], v[66:67], v[60:61]
	ds_load_2addr_b64 v[58:61], v2 offset0:49 offset1:50
	ds_load_b64 v[62:63], v2 offset:408
	s_wait_dscnt 0x2
	v_fmac_f64_e32 v[92:93], v[68:69], v[78:79]
	s_wait_loadcnt 0x1
	s_delay_alu instid0(VALU_DEP_1) | instskip(SKIP_1) | instid1(VALU_DEP_1)
	v_fmac_f64_e32 v[92:93], v[70:71], v[80:81]
	s_wait_dscnt 0x1
	v_fmac_f64_e32 v[92:93], v[72:73], v[58:59]
	s_wait_loadcnt 0x0
	s_delay_alu instid0(VALU_DEP_1) | instskip(SKIP_1) | instid1(VALU_DEP_1)
	v_fmac_f64_e32 v[92:93], v[74:75], v[60:61]
	s_wait_dscnt 0x0
	v_fmac_f64_e32 v[92:93], v[76:77], v[62:63]
	s_delay_alu instid0(VALU_DEP_1)
	v_add_f64_e64 v[56:57], v[56:57], -v[92:93]
	scratch_store_b64 off, v[56:57], off offset:16
	s_wait_xcnt 0x0
	v_cmpx_lt_u32_e32 1, v0
	s_cbranch_execz .LBB25_163
; %bb.162:
	scratch_load_b64 v[56:57], off, off offset:8
	v_mov_b64_e32 v[58:59], 0
	scratch_store_b64 off, v[58:59], off offset:8
	s_wait_loadcnt 0x0
	ds_store_b64 v1, v[56:57]
.LBB25_163:
	s_wait_xcnt 0x0
	s_or_b32 exec_lo, exec_lo, s0
	s_wait_storecnt_dscnt 0x0
	s_barrier_signal -1
	s_barrier_wait -1
	s_clause 0x5
	scratch_load_b128 v[56:59], off, off offset:8
	scratch_load_b128 v[60:63], off, off offset:24
	scratch_load_b128 v[64:67], off, off offset:40
	scratch_load_b128 v[68:71], off, off offset:56
	scratch_load_b128 v[72:75], off, off offset:72
	scratch_load_b128 v[76:79], off, off offset:88
	ds_load_b128 v[80:83], v2 offset:224
	ds_load_b128 v[84:87], v2 offset:240
	scratch_load_b128 v[88:91], off, off offset:104
	v_dual_ashrrev_i32 v9, 31, v8 :: v_dual_ashrrev_i32 v15, 31, v14
	v_dual_ashrrev_i32 v13, 31, v12 :: v_dual_ashrrev_i32 v19, 31, v18
	;; [unrolled: 1-line block ×11, first 2 shown]
	v_ashrrev_i32_e32 v53, 31, v52
	s_mov_b32 s0, exec_lo
	v_ashrrev_i32_e32 v11, 31, v10
	s_wait_loadcnt_dscnt 0x601
	v_fma_f64 v[92:93], v[58:59], v[80:81], 0
	s_wait_loadcnt 0x5
	s_delay_alu instid0(VALU_DEP_1) | instskip(SKIP_4) | instid1(VALU_DEP_1)
	v_fmac_f64_e32 v[92:93], v[60:61], v[82:83]
	scratch_load_b128 v[58:61], off, off offset:120
	s_wait_dscnt 0x0
	v_fmac_f64_e32 v[92:93], v[62:63], v[84:85]
	s_wait_loadcnt 0x5
	v_fmac_f64_e32 v[92:93], v[64:65], v[86:87]
	ds_load_b128 v[62:65], v2 offset:256
	ds_load_b128 v[80:83], v2 offset:272
	s_wait_dscnt 0x1
	v_fmac_f64_e32 v[92:93], v[66:67], v[62:63]
	s_wait_loadcnt 0x4
	s_delay_alu instid0(VALU_DEP_1)
	v_fmac_f64_e32 v[92:93], v[68:69], v[64:65]
	s_clause 0x1
	scratch_load_b128 v[62:65], off, off offset:136
	scratch_load_b128 v[66:69], off, off offset:152
	s_wait_dscnt 0x0
	v_fmac_f64_e32 v[92:93], v[70:71], v[80:81]
	s_wait_loadcnt 0x5
	s_delay_alu instid0(VALU_DEP_1)
	v_fmac_f64_e32 v[92:93], v[72:73], v[82:83]
	ds_load_b128 v[70:73], v2 offset:288
	ds_load_b128 v[80:83], v2 offset:304
	s_wait_dscnt 0x1
	v_fmac_f64_e32 v[92:93], v[74:75], v[70:71]
	s_wait_loadcnt 0x4
	s_delay_alu instid0(VALU_DEP_1)
	v_fmac_f64_e32 v[92:93], v[76:77], v[72:73]
	s_clause 0x1
	scratch_load_b128 v[70:73], off, off offset:168
	scratch_load_b128 v[74:77], off, off offset:184
	s_wait_dscnt 0x0
	v_fmac_f64_e32 v[92:93], v[78:79], v[80:81]
	s_wait_loadcnt 0x5
	s_delay_alu instid0(VALU_DEP_1)
	v_fmac_f64_e32 v[92:93], v[88:89], v[82:83]
	ds_load_b128 v[78:81], v2 offset:320
	ds_load_b128 v[82:85], v2 offset:336
	scratch_load_b64 v[86:87], off, off offset:200
	s_wait_dscnt 0x1
	v_fmac_f64_e32 v[92:93], v[90:91], v[78:79]
	s_wait_loadcnt 0x5
	s_delay_alu instid0(VALU_DEP_1) | instskip(SKIP_1) | instid1(VALU_DEP_1)
	v_fmac_f64_e32 v[92:93], v[58:59], v[80:81]
	s_wait_dscnt 0x0
	v_fmac_f64_e32 v[92:93], v[60:61], v[82:83]
	ds_load_b128 v[58:61], v2 offset:352
	ds_load_b128 v[78:81], v2 offset:368
	s_wait_loadcnt 0x4
	v_fmac_f64_e32 v[92:93], v[62:63], v[84:85]
	s_wait_dscnt 0x1
	s_delay_alu instid0(VALU_DEP_1) | instskip(SKIP_1) | instid1(VALU_DEP_1)
	v_fmac_f64_e32 v[92:93], v[64:65], v[58:59]
	s_wait_loadcnt 0x3
	v_fmac_f64_e32 v[92:93], v[66:67], v[60:61]
	ds_load_b128 v[58:61], v2 offset:384
	ds_load_b128 v[62:65], v2 offset:400
	s_wait_dscnt 0x2
	v_fmac_f64_e32 v[92:93], v[68:69], v[78:79]
	s_wait_loadcnt 0x2
	s_delay_alu instid0(VALU_DEP_1) | instskip(SKIP_1) | instid1(VALU_DEP_1)
	v_fmac_f64_e32 v[92:93], v[70:71], v[80:81]
	s_wait_dscnt 0x1
	v_fmac_f64_e32 v[92:93], v[72:73], v[58:59]
	s_wait_loadcnt 0x1
	s_delay_alu instid0(VALU_DEP_1) | instskip(SKIP_1) | instid1(VALU_DEP_1)
	v_fmac_f64_e32 v[92:93], v[74:75], v[60:61]
	s_wait_dscnt 0x0
	v_fmac_f64_e32 v[92:93], v[76:77], v[62:63]
	s_wait_loadcnt 0x0
	s_delay_alu instid0(VALU_DEP_1) | instskip(NEXT) | instid1(VALU_DEP_1)
	v_fmac_f64_e32 v[92:93], v[86:87], v[64:65]
	v_add_f64_e64 v[2:3], v[56:57], -v[92:93]
	scratch_store_b64 off, v[2:3], off offset:8
	s_wait_xcnt 0x0
	v_cmpx_ne_u32_e32 0, v0
	s_cbranch_execz .LBB25_165
; %bb.164:
	scratch_load_b64 v[2:3], off, off
	v_mov_b64_e32 v[56:57], 0
	scratch_store_b64 off, v[56:57], off
	s_wait_loadcnt 0x0
	ds_store_b64 v1, v[2:3]
.LBB25_165:
	s_wait_xcnt 0x0
	s_or_b32 exec_lo, exec_lo, s0
	s_wait_storecnt_dscnt 0x0
	s_barrier_signal -1
	s_barrier_wait -1
	s_clause 0x5
	scratch_load_b128 v[60:63], off, off
	scratch_load_b128 v[0:3], off, off offset:16
	scratch_load_b128 v[64:67], off, off offset:32
	;; [unrolled: 1-line block ×5, first 2 shown]
	v_mov_b32_e32 v58, 0
	s_clause 0x1
	scratch_load_b128 v[84:87], off, off offset:96
	scratch_load_b128 v[88:91], off, off offset:112
	s_and_b32 vcc_lo, exec_lo, s18
	ds_load_2addr_b64 v[80:83], v58 offset0:27 offset1:28
	s_wait_loadcnt_dscnt 0x700
	v_fma_f64 v[56:57], v[62:63], v[80:81], 0
	s_wait_loadcnt 0x6
	s_delay_alu instid0(VALU_DEP_1)
	v_fmac_f64_e32 v[56:57], v[0:1], v[82:83]
	ds_load_2addr_b64 v[80:83], v58 offset0:29 offset1:30
	s_wait_dscnt 0x0
	v_fmac_f64_e32 v[56:57], v[2:3], v[80:81]
	ds_load_2addr_b64 v[0:3], v58 offset0:31 offset1:32
	s_wait_loadcnt 0x5
	v_fmac_f64_e32 v[56:57], v[64:65], v[82:83]
	scratch_load_b128 v[62:65], off, off offset:128
	s_wait_dscnt 0x0
	v_fmac_f64_e32 v[56:57], v[66:67], v[0:1]
	s_wait_loadcnt 0x5
	s_delay_alu instid0(VALU_DEP_1)
	v_fmac_f64_e32 v[56:57], v[68:69], v[2:3]
	ds_load_2addr_b64 v[0:3], v58 offset0:33 offset1:34
	scratch_load_b128 v[66:69], off, off offset:144
	s_wait_dscnt 0x0
	v_fmac_f64_e32 v[56:57], v[70:71], v[0:1]
	s_wait_loadcnt 0x5
	s_delay_alu instid0(VALU_DEP_1)
	v_fmac_f64_e32 v[56:57], v[72:73], v[2:3]
	ds_load_2addr_b64 v[0:3], v58 offset0:35 offset1:36
	;; [unrolled: 7-line block ×3, first 2 shown]
	scratch_load_b128 v[74:77], off, off offset:176
	s_wait_dscnt 0x0
	v_fmac_f64_e32 v[56:57], v[78:79], v[0:1]
	ds_load_2addr_b64 v[78:81], v58 offset0:39 offset1:40
	s_wait_loadcnt 0x5
	v_fmac_f64_e32 v[56:57], v[84:85], v[2:3]
	scratch_load_b128 v[0:3], off, off offset:192
	s_wait_dscnt 0x0
	v_fmac_f64_e32 v[56:57], v[86:87], v[78:79]
	s_wait_loadcnt 0x5
	s_delay_alu instid0(VALU_DEP_1) | instskip(SKIP_4) | instid1(VALU_DEP_1)
	v_fmac_f64_e32 v[56:57], v[88:89], v[80:81]
	ds_load_2addr_b64 v[78:81], v58 offset0:41 offset1:42
	s_wait_dscnt 0x0
	v_fmac_f64_e32 v[56:57], v[90:91], v[78:79]
	s_wait_loadcnt 0x4
	v_fmac_f64_e32 v[56:57], v[62:63], v[80:81]
	ds_load_2addr_b64 v[78:81], v58 offset0:43 offset1:44
	s_wait_dscnt 0x0
	v_fmac_f64_e32 v[56:57], v[64:65], v[78:79]
	ds_load_2addr_b64 v[62:65], v58 offset0:45 offset1:46
	s_wait_loadcnt 0x3
	v_fmac_f64_e32 v[56:57], v[66:67], v[80:81]
	s_wait_dscnt 0x0
	s_delay_alu instid0(VALU_DEP_1) | instskip(SKIP_1) | instid1(VALU_DEP_1)
	v_fmac_f64_e32 v[56:57], v[68:69], v[62:63]
	s_wait_loadcnt 0x2
	v_fmac_f64_e32 v[56:57], v[70:71], v[64:65]
	ds_load_2addr_b64 v[62:65], v58 offset0:47 offset1:48
	s_wait_dscnt 0x0
	v_fmac_f64_e32 v[56:57], v[72:73], v[62:63]
	s_wait_loadcnt 0x1
	s_delay_alu instid0(VALU_DEP_1)
	v_fmac_f64_e32 v[56:57], v[74:75], v[64:65]
	ds_load_2addr_b64 v[62:65], v58 offset0:49 offset1:50
	s_wait_dscnt 0x0
	v_fmac_f64_e32 v[56:57], v[76:77], v[62:63]
	ds_load_b64 v[62:63], v58 offset:408
	s_wait_loadcnt 0x0
	v_fmac_f64_e32 v[56:57], v[0:1], v[64:65]
	s_wait_dscnt 0x0
	s_delay_alu instid0(VALU_DEP_1) | instskip(NEXT) | instid1(VALU_DEP_1)
	v_fmac_f64_e32 v[56:57], v[2:3], v[62:63]
	v_add_f64_e64 v[56:57], v[60:61], -v[56:57]
	scratch_store_b64 off, v[56:57], off
	s_cbranch_vccz .LBB25_216
; %bb.166:
	global_load_b32 v2, v58, s[2:3] offset:96
	s_wait_loadcnt 0x0
	v_cmp_ne_u32_e32 vcc_lo, 25, v2
	s_cbranch_vccz .LBB25_168
; %bb.167:
	v_lshlrev_b32_e32 v2, 3, v2
	s_wait_xcnt 0x1
	s_delay_alu instid0(VALU_DEP_1)
	v_mov_b32_e32 v56, v2
	scratch_load_b64 v[2:3], v56, off offset:-8
	s_wait_loadcnt 0x0
	scratch_store_b64 off, v[2:3], off offset:192
	scratch_store_b64 v56, v[0:1], off offset:-8
.LBB25_168:
	s_wait_xcnt 0x0
	v_mov_b32_e32 v0, 0
	global_load_b32 v1, v0, s[2:3] offset:92
	s_wait_loadcnt 0x0
	v_cmp_eq_u32_e32 vcc_lo, 24, v1
	s_cbranch_vccnz .LBB25_170
; %bb.169:
	v_lshlrev_b32_e32 v1, 3, v1
	scratch_load_b64 v[2:3], v1, off offset:-8
	scratch_load_b64 v[56:57], off, off offset:184
	s_wait_loadcnt 0x1
	scratch_store_b64 off, v[2:3], off offset:184
	s_wait_loadcnt 0x0
	scratch_store_b64 v1, v[56:57], off offset:-8
.LBB25_170:
	global_load_b32 v0, v0, s[2:3] offset:88
	s_wait_loadcnt 0x0
	v_cmp_eq_u32_e32 vcc_lo, 23, v0
	s_cbranch_vccnz .LBB25_172
; %bb.171:
	s_wait_xcnt 0x0
	v_lshlrev_b32_e32 v0, 3, v0
	s_delay_alu instid0(VALU_DEP_1)
	v_mov_b32_e32 v56, v0
	scratch_load_b64 v[0:1], v56, off offset:-8
	scratch_load_b64 v[2:3], off, off offset:176
	s_wait_loadcnt 0x1
	scratch_store_b64 off, v[0:1], off offset:176
	s_wait_loadcnt 0x0
	scratch_store_b64 v56, v[2:3], off offset:-8
.LBB25_172:
	s_wait_xcnt 0x0
	v_mov_b32_e32 v0, 0
	global_load_b32 v1, v0, s[2:3] offset:84
	s_wait_loadcnt 0x0
	v_cmp_eq_u32_e32 vcc_lo, 22, v1
	s_cbranch_vccnz .LBB25_174
; %bb.173:
	v_lshlrev_b32_e32 v1, 3, v1
	scratch_load_b64 v[2:3], v1, off offset:-8
	scratch_load_b64 v[56:57], off, off offset:168
	s_wait_loadcnt 0x1
	scratch_store_b64 off, v[2:3], off offset:168
	s_wait_loadcnt 0x0
	scratch_store_b64 v1, v[56:57], off offset:-8
.LBB25_174:
	global_load_b32 v0, v0, s[2:3] offset:80
	s_wait_loadcnt 0x0
	v_cmp_eq_u32_e32 vcc_lo, 21, v0
	s_cbranch_vccnz .LBB25_176
; %bb.175:
	s_wait_xcnt 0x0
	v_lshlrev_b32_e32 v0, 3, v0
	s_delay_alu instid0(VALU_DEP_1)
	v_mov_b32_e32 v56, v0
	scratch_load_b64 v[0:1], v56, off offset:-8
	scratch_load_b64 v[2:3], off, off offset:160
	s_wait_loadcnt 0x1
	scratch_store_b64 off, v[0:1], off offset:160
	s_wait_loadcnt 0x0
	scratch_store_b64 v56, v[2:3], off offset:-8
.LBB25_176:
	;; [unrolled: 31-line block ×11, first 2 shown]
	s_wait_xcnt 0x0
	v_mov_b32_e32 v0, 0
	global_load_b32 v1, v0, s[2:3] offset:4
	s_wait_loadcnt 0x0
	v_cmp_eq_u32_e32 vcc_lo, 2, v1
	s_cbranch_vccnz .LBB25_214
; %bb.213:
	v_lshlrev_b32_e32 v1, 3, v1
	scratch_load_b64 v[2:3], v1, off offset:-8
	scratch_load_b64 v[56:57], off, off offset:8
	s_wait_loadcnt 0x1
	scratch_store_b64 off, v[2:3], off offset:8
	s_wait_loadcnt 0x0
	scratch_store_b64 v1, v[56:57], off offset:-8
.LBB25_214:
	global_load_b32 v0, v0, s[2:3]
	scratch_load_b64 v[56:57], off, off
	s_wait_loadcnt 0x1
	v_cmp_eq_u32_e32 vcc_lo, 1, v0
	s_cbranch_vccnz .LBB25_216
; %bb.215:
	s_wait_xcnt 0x1
	v_lshlrev_b32_e32 v0, 3, v0
	s_delay_alu instid0(VALU_DEP_1)
	v_mov_b32_e32 v2, v0
	scratch_load_b64 v[0:1], v2, off offset:-8
	s_wait_loadcnt 0x0
	scratch_store_b64 off, v[0:1], off
	scratch_store_b64 v2, v[56:57], off offset:-8
	scratch_load_b64 v[56:57], off, off
.LBB25_216:
	v_lshl_add_u64 v[58:59], v[8:9], 3, s[4:5]
	s_wait_xcnt 0x1
	v_lshl_add_u64 v[0:1], v[10:11], 3, s[4:5]
	v_lshl_add_u64 v[8:9], v[14:15], 3, s[4:5]
	;; [unrolled: 1-line block ×15, first 2 shown]
	s_clause 0x8
	scratch_load_b128 v[50:53], off, off offset:8
	scratch_load_b128 v[60:63], off, off offset:24
	;; [unrolled: 1-line block ×9, first 2 shown]
	s_wait_loadcnt 0x9
	global_store_b64 v[4:5], v[56:57], off
	v_lshl_add_u64 v[2:3], v[12:13], 3, s[4:5]
	v_lshl_add_u64 v[12:13], v[18:19], 3, s[4:5]
	v_lshl_add_u64 v[18:19], v[24:25], 3, s[4:5]
	v_lshl_add_u64 v[24:25], v[30:31], 3, s[4:5]
	v_lshl_add_u64 v[30:31], v[36:37], 3, s[4:5]
	v_lshl_add_u64 v[36:37], v[42:43], 3, s[4:5]
	v_lshl_add_u64 v[42:43], v[48:49], 3, s[4:5]
	v_lshl_add_u64 v[48:49], v[54:55], 3, s[4:5]
	scratch_load_b128 v[54:57], off, off offset:152
	s_wait_loadcnt 0x9
	s_clause 0x1
	global_store_b64 v[6:7], v[50:51], off
	global_store_b64 v[58:59], v[52:53], off
	s_clause 0x2
	scratch_load_b128 v[4:7], off, off offset:168
	scratch_load_b128 v[50:53], off, off offset:184
	scratch_load_b64 v[58:59], off, off offset:200
	s_wait_loadcnt 0xb
	s_clause 0x1
	global_store_b64 v[0:1], v[60:61], off
	global_store_b64 v[2:3], v[62:63], off
	s_wait_loadcnt 0xa
	s_clause 0x1
	global_store_b64 v[8:9], v[64:65], off
	global_store_b64 v[10:11], v[66:67], off
	;; [unrolled: 4-line block ×11, first 2 shown]
	s_wait_loadcnt 0x0
	global_store_b64 v[48:49], v[58:59], off
	s_sendmsg sendmsg(MSG_DEALLOC_VGPRS)
	s_endpgm
	.section	.rodata,"a",@progbits
	.p2align	6, 0x0
	.amdhsa_kernel _ZN9rocsolver6v33100L18getri_kernel_smallILi26EdPdEEvT1_iilPiilS4_bb
		.amdhsa_group_segment_fixed_size 424
		.amdhsa_private_segment_fixed_size 224
		.amdhsa_kernarg_size 60
		.amdhsa_user_sgpr_count 2
		.amdhsa_user_sgpr_dispatch_ptr 0
		.amdhsa_user_sgpr_queue_ptr 0
		.amdhsa_user_sgpr_kernarg_segment_ptr 1
		.amdhsa_user_sgpr_dispatch_id 0
		.amdhsa_user_sgpr_kernarg_preload_length 0
		.amdhsa_user_sgpr_kernarg_preload_offset 0
		.amdhsa_user_sgpr_private_segment_size 0
		.amdhsa_wavefront_size32 1
		.amdhsa_uses_dynamic_stack 0
		.amdhsa_enable_private_segment 1
		.amdhsa_system_sgpr_workgroup_id_x 1
		.amdhsa_system_sgpr_workgroup_id_y 0
		.amdhsa_system_sgpr_workgroup_id_z 0
		.amdhsa_system_sgpr_workgroup_info 0
		.amdhsa_system_vgpr_workitem_id 0
		.amdhsa_next_free_vgpr 94
		.amdhsa_next_free_sgpr 19
		.amdhsa_named_barrier_count 0
		.amdhsa_reserve_vcc 1
		.amdhsa_float_round_mode_32 0
		.amdhsa_float_round_mode_16_64 0
		.amdhsa_float_denorm_mode_32 3
		.amdhsa_float_denorm_mode_16_64 3
		.amdhsa_fp16_overflow 0
		.amdhsa_memory_ordered 1
		.amdhsa_forward_progress 1
		.amdhsa_inst_pref_size 148
		.amdhsa_round_robin_scheduling 0
		.amdhsa_exception_fp_ieee_invalid_op 0
		.amdhsa_exception_fp_denorm_src 0
		.amdhsa_exception_fp_ieee_div_zero 0
		.amdhsa_exception_fp_ieee_overflow 0
		.amdhsa_exception_fp_ieee_underflow 0
		.amdhsa_exception_fp_ieee_inexact 0
		.amdhsa_exception_int_div_zero 0
	.end_amdhsa_kernel
	.section	.text._ZN9rocsolver6v33100L18getri_kernel_smallILi26EdPdEEvT1_iilPiilS4_bb,"axG",@progbits,_ZN9rocsolver6v33100L18getri_kernel_smallILi26EdPdEEvT1_iilPiilS4_bb,comdat
.Lfunc_end25:
	.size	_ZN9rocsolver6v33100L18getri_kernel_smallILi26EdPdEEvT1_iilPiilS4_bb, .Lfunc_end25-_ZN9rocsolver6v33100L18getri_kernel_smallILi26EdPdEEvT1_iilPiilS4_bb
                                        ; -- End function
	.set _ZN9rocsolver6v33100L18getri_kernel_smallILi26EdPdEEvT1_iilPiilS4_bb.num_vgpr, 94
	.set _ZN9rocsolver6v33100L18getri_kernel_smallILi26EdPdEEvT1_iilPiilS4_bb.num_agpr, 0
	.set _ZN9rocsolver6v33100L18getri_kernel_smallILi26EdPdEEvT1_iilPiilS4_bb.numbered_sgpr, 19
	.set _ZN9rocsolver6v33100L18getri_kernel_smallILi26EdPdEEvT1_iilPiilS4_bb.num_named_barrier, 0
	.set _ZN9rocsolver6v33100L18getri_kernel_smallILi26EdPdEEvT1_iilPiilS4_bb.private_seg_size, 224
	.set _ZN9rocsolver6v33100L18getri_kernel_smallILi26EdPdEEvT1_iilPiilS4_bb.uses_vcc, 1
	.set _ZN9rocsolver6v33100L18getri_kernel_smallILi26EdPdEEvT1_iilPiilS4_bb.uses_flat_scratch, 1
	.set _ZN9rocsolver6v33100L18getri_kernel_smallILi26EdPdEEvT1_iilPiilS4_bb.has_dyn_sized_stack, 0
	.set _ZN9rocsolver6v33100L18getri_kernel_smallILi26EdPdEEvT1_iilPiilS4_bb.has_recursion, 0
	.set _ZN9rocsolver6v33100L18getri_kernel_smallILi26EdPdEEvT1_iilPiilS4_bb.has_indirect_call, 0
	.section	.AMDGPU.csdata,"",@progbits
; Kernel info:
; codeLenInByte = 18936
; TotalNumSgprs: 21
; NumVgprs: 94
; ScratchSize: 224
; MemoryBound: 0
; FloatMode: 240
; IeeeMode: 1
; LDSByteSize: 424 bytes/workgroup (compile time only)
; SGPRBlocks: 0
; VGPRBlocks: 5
; NumSGPRsForWavesPerEU: 21
; NumVGPRsForWavesPerEU: 94
; NamedBarCnt: 0
; Occupancy: 10
; WaveLimiterHint : 1
; COMPUTE_PGM_RSRC2:SCRATCH_EN: 1
; COMPUTE_PGM_RSRC2:USER_SGPR: 2
; COMPUTE_PGM_RSRC2:TRAP_HANDLER: 0
; COMPUTE_PGM_RSRC2:TGID_X_EN: 1
; COMPUTE_PGM_RSRC2:TGID_Y_EN: 0
; COMPUTE_PGM_RSRC2:TGID_Z_EN: 0
; COMPUTE_PGM_RSRC2:TIDIG_COMP_CNT: 0
	.section	.text._ZN9rocsolver6v33100L18getri_kernel_smallILi27EdPdEEvT1_iilPiilS4_bb,"axG",@progbits,_ZN9rocsolver6v33100L18getri_kernel_smallILi27EdPdEEvT1_iilPiilS4_bb,comdat
	.globl	_ZN9rocsolver6v33100L18getri_kernel_smallILi27EdPdEEvT1_iilPiilS4_bb ; -- Begin function _ZN9rocsolver6v33100L18getri_kernel_smallILi27EdPdEEvT1_iilPiilS4_bb
	.p2align	8
	.type	_ZN9rocsolver6v33100L18getri_kernel_smallILi27EdPdEEvT1_iilPiilS4_bb,@function
_ZN9rocsolver6v33100L18getri_kernel_smallILi27EdPdEEvT1_iilPiilS4_bb: ; @_ZN9rocsolver6v33100L18getri_kernel_smallILi27EdPdEEvT1_iilPiilS4_bb
; %bb.0:
	s_mov_b32 s2, exec_lo
	v_cmpx_gt_u32_e32 27, v0
	s_cbranch_execz .LBB26_118
; %bb.1:
	s_clause 0x2
	s_load_b32 s2, s[0:1], 0x38
	s_load_b128 s[12:15], s[0:1], 0x10
	s_load_b128 s[4:7], s[0:1], 0x28
	s_getreg_b32 s9, hwreg(HW_REG_IB_STS2, 6, 4)
	s_wait_kmcnt 0x0
	s_bitcmp1_b32 s2, 8
	s_cselect_b32 s18, -1, 0
	s_bfe_u32 s3, ttmp6, 0x4000c
	s_and_b32 s8, ttmp6, 15
	s_add_co_i32 s3, s3, 1
	s_delay_alu instid0(SALU_CYCLE_1) | instskip(NEXT) | instid1(SALU_CYCLE_1)
	s_mul_i32 s3, ttmp9, s3
	s_add_co_i32 s8, s8, s3
	s_cmp_eq_u32 s9, 0
	s_cselect_b32 s16, ttmp9, s8
	s_bfe_u32 s2, s2, 0x10008
	s_ashr_i32 s17, s16, 31
	s_cmp_eq_u32 s2, 0
                                        ; implicit-def: $sgpr2_sgpr3
	s_cbranch_scc1 .LBB26_3
; %bb.2:
	s_load_b32 s2, s[0:1], 0x20
	s_mul_u64 s[4:5], s[4:5], s[16:17]
	s_delay_alu instid0(SALU_CYCLE_1) | instskip(NEXT) | instid1(SALU_CYCLE_1)
	s_lshl_b64 s[4:5], s[4:5], 2
	s_add_nc_u64 s[4:5], s[14:15], s[4:5]
	s_wait_kmcnt 0x0
	s_ashr_i32 s3, s2, 31
	s_delay_alu instid0(SALU_CYCLE_1) | instskip(NEXT) | instid1(SALU_CYCLE_1)
	s_lshl_b64 s[2:3], s[2:3], 2
	s_add_nc_u64 s[2:3], s[4:5], s[2:3]
.LBB26_3:
	s_clause 0x1
	s_load_b128 s[8:11], s[0:1], 0x0
	s_load_b32 s14, s[0:1], 0x38
	s_wait_xcnt 0x0
	s_mul_u64 s[0:1], s[12:13], s[16:17]
	v_dual_mov_b32 v3, 0 :: v_dual_lshlrev_b32 v2, 3, v0
	s_lshl_b64 s[0:1], s[0:1], 3
	s_wait_kmcnt 0x0
	v_add3_u32 v8, s11, s11, v0
	s_ashr_i32 s5, s10, 31
	s_mov_b32 s4, s10
	s_add_nc_u64 s[0:1], s[8:9], s[0:1]
	s_lshl_b64 s[4:5], s[4:5], 3
	v_add_nc_u32_e32 v10, s11, v8
	s_add_nc_u64 s[4:5], s[0:1], s[4:5]
	s_ashr_i32 s1, s11, 31
	v_add_nc_u64_e32 v[6:7], s[4:5], v[2:3]
	s_mov_b32 s0, s11
	v_add_nc_u32_e32 v12, s11, v10
	s_bitcmp0_b32 s14, 0
	s_delay_alu instid0(VALU_DEP_2) | instskip(NEXT) | instid1(VALU_DEP_2)
	v_lshl_add_u64 v[4:5], s[0:1], 3, v[6:7]
	v_add_nc_u32_e32 v14, s11, v12
	s_clause 0x1
	global_load_b64 v[56:57], v0, s[4:5] scale_offset
	global_load_b64 v[58:59], v[4:5], off
	s_mov_b32 s1, -1
	v_add_nc_u32_e32 v16, s11, v14
	s_delay_alu instid0(VALU_DEP_1) | instskip(NEXT) | instid1(VALU_DEP_1)
	v_add_nc_u32_e32 v18, s11, v16
	v_add_nc_u32_e32 v20, s11, v18
	s_clause 0x3
	global_load_b64 v[60:61], v8, s[4:5] scale_offset
	global_load_b64 v[62:63], v10, s[4:5] scale_offset
	global_load_b64 v[64:65], v12, s[4:5] scale_offset
	global_load_b64 v[66:67], v14, s[4:5] scale_offset
	v_add_nc_u32_e32 v22, s11, v20
	s_delay_alu instid0(VALU_DEP_1) | instskip(NEXT) | instid1(VALU_DEP_1)
	v_add_nc_u32_e32 v24, s11, v22
	v_add_nc_u32_e32 v26, s11, v24
	s_delay_alu instid0(VALU_DEP_1)
	v_add_nc_u32_e32 v28, s11, v26
	s_clause 0x3
	global_load_b64 v[68:69], v16, s[4:5] scale_offset
	global_load_b64 v[70:71], v18, s[4:5] scale_offset
	;; [unrolled: 1-line block ×4, first 2 shown]
	v_add_nc_u32_e32 v30, s11, v28
	s_delay_alu instid0(VALU_DEP_1)
	v_add_nc_u32_e32 v32, s11, v30
	s_clause 0x3
	global_load_b64 v[76:77], v24, s[4:5] scale_offset
	global_load_b64 v[78:79], v26, s[4:5] scale_offset
	;; [unrolled: 1-line block ×4, first 2 shown]
	v_add_nc_u32_e32 v34, s11, v32
	s_delay_alu instid0(VALU_DEP_1) | instskip(NEXT) | instid1(VALU_DEP_1)
	v_add_nc_u32_e32 v36, s11, v34
	v_add_nc_u32_e32 v38, s11, v36
	s_delay_alu instid0(VALU_DEP_1) | instskip(NEXT) | instid1(VALU_DEP_1)
	v_add_nc_u32_e32 v40, s11, v38
	v_add_nc_u32_e32 v42, s11, v40
	s_delay_alu instid0(VALU_DEP_1)
	v_add_nc_u32_e32 v44, s11, v42
	s_clause 0x3
	global_load_b64 v[84:85], v32, s[4:5] scale_offset
	global_load_b64 v[86:87], v34, s[4:5] scale_offset
	;; [unrolled: 1-line block ×4, first 2 shown]
	s_wait_loadcnt 0x10
	scratch_store_b128 off, v[56:59], off
	s_wait_loadcnt 0xe
	scratch_store_b128 off, v[60:63], off offset:16
	v_add_nc_u32_e32 v46, s11, v44
	s_delay_alu instid0(VALU_DEP_1) | instskip(NEXT) | instid1(VALU_DEP_1)
	v_add_nc_u32_e32 v48, s11, v46
	v_add_nc_u32_e32 v50, s11, v48
	s_delay_alu instid0(VALU_DEP_1)
	v_add_nc_u32_e32 v52, s11, v50
	s_clause 0x3
	global_load_b64 v[58:59], v40, s[4:5] scale_offset
	global_load_b64 v[60:61], v42, s[4:5] scale_offset
	;; [unrolled: 1-line block ×4, first 2 shown]
	s_wait_loadcnt 0x10
	scratch_store_b128 off, v[64:67], off offset:32
	s_wait_loadcnt 0xe
	scratch_store_b128 off, v[68:71], off offset:48
	v_add_nc_u32_e32 v54, s11, v52
	s_delay_alu instid0(VALU_DEP_1)
	v_add_nc_u32_e32 v56, s11, v54
	s_clause 0x1
	global_load_b64 v[62:63], v48, s[4:5] scale_offset
	global_load_b64 v[64:65], v50, s[4:5] scale_offset
	s_wait_loadcnt 0xe
	scratch_store_b128 off, v[72:75], off offset:64
	s_clause 0x2
	global_load_b64 v[66:67], v52, s[4:5] scale_offset
	global_load_b64 v[68:69], v54, s[4:5] scale_offset
	;; [unrolled: 1-line block ×3, first 2 shown]
	s_wait_loadcnt 0xf
	scratch_store_b128 off, v[76:79], off offset:80
	s_wait_loadcnt 0xd
	scratch_store_b128 off, v[80:83], off offset:96
	;; [unrolled: 2-line block ×8, first 2 shown]
	s_wait_loadcnt 0x0
	scratch_store_b64 off, v[70:71], off offset:208
	s_cbranch_scc1 .LBB26_116
; %bb.4:
	v_cmp_eq_u32_e64 s0, 0, v0
	s_wait_xcnt 0x0
	s_and_saveexec_b32 s1, s0
; %bb.5:
	v_mov_b32_e32 v1, 0
	ds_store_b32 v1, v1 offset:216
; %bb.6:
	s_or_b32 exec_lo, exec_lo, s1
	s_wait_storecnt_dscnt 0x0
	s_barrier_signal -1
	s_barrier_wait -1
	scratch_load_b64 v[58:59], v0, off scale_offset
	s_mov_b32 s8, exec_lo
	s_wait_loadcnt 0x0
	v_cmpx_eq_f64_e32 0, v[58:59]
	s_cbranch_execz .LBB26_10
; %bb.7:
	v_mov_b32_e32 v1, 0
	s_mov_b32 s9, 0
	ds_load_b32 v3, v1 offset:216
	s_wait_dscnt 0x0
	v_readfirstlane_b32 s1, v3
	v_add_nc_u32_e32 v3, 1, v0
	s_cmp_eq_u32 s1, 0
	s_delay_alu instid0(VALU_DEP_1) | instskip(SKIP_1) | instid1(SALU_CYCLE_1)
	v_cmp_gt_i32_e32 vcc_lo, s1, v3
	s_cselect_b32 s10, -1, 0
	s_or_b32 s10, s10, vcc_lo
	s_delay_alu instid0(SALU_CYCLE_1)
	s_and_b32 exec_lo, exec_lo, s10
	s_cbranch_execz .LBB26_10
; %bb.8:
	v_mov_b32_e32 v9, s1
.LBB26_9:                               ; =>This Inner Loop Header: Depth=1
	ds_cmpstore_rtn_b32 v9, v1, v3, v9 offset:216
	s_wait_dscnt 0x0
	v_cmp_ne_u32_e32 vcc_lo, 0, v9
	v_cmp_le_i32_e64 s1, v9, v3
	s_and_b32 s1, vcc_lo, s1
	s_delay_alu instid0(SALU_CYCLE_1) | instskip(NEXT) | instid1(SALU_CYCLE_1)
	s_and_b32 s1, exec_lo, s1
	s_or_b32 s9, s1, s9
	s_delay_alu instid0(SALU_CYCLE_1)
	s_and_not1_b32 exec_lo, exec_lo, s9
	s_cbranch_execnz .LBB26_9
.LBB26_10:
	s_or_b32 exec_lo, exec_lo, s8
	v_mov_b32_e32 v1, 0
	s_barrier_signal -1
	s_barrier_wait -1
	ds_load_b32 v3, v1 offset:216
	s_and_saveexec_b32 s1, s0
	s_cbranch_execz .LBB26_12
; %bb.11:
	s_lshl_b64 s[8:9], s[16:17], 2
	s_delay_alu instid0(SALU_CYCLE_1)
	s_add_nc_u64 s[8:9], s[6:7], s[8:9]
	s_wait_dscnt 0x0
	global_store_b32 v1, v3, s[8:9]
.LBB26_12:
	s_wait_xcnt 0x0
	s_or_b32 exec_lo, exec_lo, s1
	s_wait_dscnt 0x0
	v_cmp_ne_u32_e32 vcc_lo, 0, v3
	s_mov_b32 s1, 0
	s_cbranch_vccnz .LBB26_116
; %bb.13:
	v_lshl_add_u32 v3, v0, 3, 0
	v_add_nc_u32_e32 v1, 0xe0, v2
	scratch_load_b64 v[58:59], v3, off
	s_wait_loadcnt 0x0
	v_div_scale_f64 v[60:61], null, v[58:59], v[58:59], 1.0
	v_div_scale_f64 v[66:67], vcc_lo, 1.0, v[58:59], 1.0
	s_delay_alu instid0(VALU_DEP_2) | instskip(SKIP_1) | instid1(TRANS32_DEP_1)
	v_rcp_f64_e32 v[62:63], v[60:61]
	v_nop
	v_fma_f64 v[64:65], -v[60:61], v[62:63], 1.0
	s_delay_alu instid0(VALU_DEP_1) | instskip(NEXT) | instid1(VALU_DEP_1)
	v_fmac_f64_e32 v[62:63], v[62:63], v[64:65]
	v_fma_f64 v[64:65], -v[60:61], v[62:63], 1.0
	s_delay_alu instid0(VALU_DEP_1) | instskip(NEXT) | instid1(VALU_DEP_1)
	v_fmac_f64_e32 v[62:63], v[62:63], v[64:65]
	v_mul_f64_e32 v[64:65], v[66:67], v[62:63]
	s_delay_alu instid0(VALU_DEP_1) | instskip(NEXT) | instid1(VALU_DEP_1)
	v_fma_f64 v[60:61], -v[60:61], v[64:65], v[66:67]
	v_div_fmas_f64 v[60:61], v[60:61], v[62:63], v[64:65]
	s_delay_alu instid0(VALU_DEP_1)
	v_div_fixup_f64 v[58:59], v[60:61], v[58:59], 1.0
	scratch_store_b64 v3, v[58:59], off
	scratch_load_b64 v[60:61], off, off offset:8
	s_wait_xcnt 0x1
	v_xor_b32_e32 v59, 0x80000000, v59
	s_wait_loadcnt 0x0
	ds_store_2addr_b64 v2, v[58:59], v[60:61] offset1:28
	s_wait_storecnt_dscnt 0x0
	s_barrier_signal -1
	s_barrier_wait -1
	s_wait_xcnt 0x0
	s_and_saveexec_b32 s1, s0
	s_cbranch_execz .LBB26_15
; %bb.14:
	scratch_load_b64 v[58:59], v3, off
	ds_load_b64 v[60:61], v1
	s_wait_loadcnt_dscnt 0x0
	v_fma_f64 v[58:59], v[58:59], v[60:61], 0
	v_mov_b32_e32 v9, 0
	ds_load_b64 v[62:63], v9 offset:8
	s_wait_dscnt 0x0
	v_mul_f64_e32 v[58:59], v[58:59], v[62:63]
	scratch_store_b64 off, v[58:59], off offset:8
.LBB26_15:
	s_wait_xcnt 0x0
	s_or_b32 exec_lo, exec_lo, s1
	s_wait_storecnt 0x0
	s_barrier_signal -1
	s_barrier_wait -1
	scratch_load_b64 v[58:59], off, off offset:16
	s_mov_b32 s1, exec_lo
	s_wait_loadcnt 0x0
	ds_store_b64 v1, v[58:59]
	s_wait_dscnt 0x0
	s_barrier_signal -1
	s_barrier_wait -1
	v_cmpx_gt_u32_e32 2, v0
	s_cbranch_execz .LBB26_19
; %bb.16:
	scratch_load_b64 v[58:59], v3, off
	ds_load_b64 v[60:61], v1
	s_wait_loadcnt_dscnt 0x0
	v_fma_f64 v[58:59], v[58:59], v[60:61], 0
	s_and_saveexec_b32 s8, s0
	s_cbranch_execz .LBB26_18
; %bb.17:
	scratch_load_b64 v[60:61], off, off offset:8
	v_mov_b32_e32 v3, 0
	ds_load_b64 v[62:63], v3 offset:232
	s_wait_loadcnt_dscnt 0x0
	v_fmac_f64_e32 v[58:59], v[60:61], v[62:63]
.LBB26_18:
	s_or_b32 exec_lo, exec_lo, s8
	v_mov_b32_e32 v3, 0
	ds_load_b64 v[60:61], v3 offset:16
	s_wait_dscnt 0x0
	v_mul_f64_e32 v[58:59], v[58:59], v[60:61]
	scratch_store_b64 off, v[58:59], off offset:16
.LBB26_19:
	s_wait_xcnt 0x0
	s_or_b32 exec_lo, exec_lo, s1
	s_wait_storecnt 0x0
	s_barrier_signal -1
	s_barrier_wait -1
	scratch_load_b64 v[58:59], off, off offset:24
	v_add_nc_u32_e32 v3, -1, v0
	s_mov_b32 s0, exec_lo
	s_wait_loadcnt 0x0
	ds_store_b64 v1, v[58:59]
	s_wait_dscnt 0x0
	s_barrier_signal -1
	s_barrier_wait -1
	v_cmpx_gt_u32_e32 3, v0
	s_cbranch_execz .LBB26_23
; %bb.20:
	v_mov_b64_e32 v[58:59], 0
	v_dual_add_nc_u32 v9, -1, v0 :: v_dual_mov_b32 v13, v2
	v_add_nc_u32_e32 v11, 0xe0, v2
	s_mov_b32 s1, 0
.LBB26_21:                              ; =>This Inner Loop Header: Depth=1
	scratch_load_b64 v[60:61], v13, off
	ds_load_b64 v[62:63], v11
	v_dual_add_nc_u32 v9, 1, v9 :: v_dual_add_nc_u32 v11, 8, v11
	s_wait_xcnt 0x0
	v_add_nc_u32_e32 v13, 8, v13
	s_delay_alu instid0(VALU_DEP_2)
	v_cmp_lt_u32_e32 vcc_lo, 1, v9
	s_or_b32 s1, vcc_lo, s1
	s_wait_loadcnt_dscnt 0x0
	v_fmac_f64_e32 v[58:59], v[60:61], v[62:63]
	s_and_not1_b32 exec_lo, exec_lo, s1
	s_cbranch_execnz .LBB26_21
; %bb.22:
	s_or_b32 exec_lo, exec_lo, s1
	v_mov_b32_e32 v9, 0
	ds_load_b64 v[60:61], v9 offset:24
	s_wait_dscnt 0x0
	v_mul_f64_e32 v[58:59], v[58:59], v[60:61]
	scratch_store_b64 off, v[58:59], off offset:24
.LBB26_23:
	s_wait_xcnt 0x0
	s_or_b32 exec_lo, exec_lo, s0
	s_wait_storecnt 0x0
	s_barrier_signal -1
	s_barrier_wait -1
	scratch_load_b64 v[58:59], off, off offset:32
	s_mov_b32 s0, exec_lo
	s_wait_loadcnt 0x0
	ds_store_b64 v1, v[58:59]
	s_wait_dscnt 0x0
	s_barrier_signal -1
	s_barrier_wait -1
	v_cmpx_gt_u32_e32 4, v0
	s_cbranch_execz .LBB26_27
; %bb.24:
	v_mov_b64_e32 v[58:59], 0
	v_dual_add_nc_u32 v9, -1, v0 :: v_dual_mov_b32 v13, v2
	v_add_nc_u32_e32 v11, 0xe0, v2
	s_mov_b32 s1, 0
.LBB26_25:                              ; =>This Inner Loop Header: Depth=1
	scratch_load_b64 v[60:61], v13, off
	ds_load_b64 v[62:63], v11
	v_dual_add_nc_u32 v9, 1, v9 :: v_dual_add_nc_u32 v11, 8, v11
	s_wait_xcnt 0x0
	v_add_nc_u32_e32 v13, 8, v13
	s_delay_alu instid0(VALU_DEP_2)
	v_cmp_lt_u32_e32 vcc_lo, 2, v9
	s_or_b32 s1, vcc_lo, s1
	s_wait_loadcnt_dscnt 0x0
	v_fmac_f64_e32 v[58:59], v[60:61], v[62:63]
	s_and_not1_b32 exec_lo, exec_lo, s1
	s_cbranch_execnz .LBB26_25
; %bb.26:
	s_or_b32 exec_lo, exec_lo, s1
	v_mov_b32_e32 v9, 0
	ds_load_b64 v[60:61], v9 offset:32
	s_wait_dscnt 0x0
	v_mul_f64_e32 v[58:59], v[58:59], v[60:61]
	scratch_store_b64 off, v[58:59], off offset:32
.LBB26_27:
	s_wait_xcnt 0x0
	s_or_b32 exec_lo, exec_lo, s0
	s_wait_storecnt 0x0
	s_barrier_signal -1
	s_barrier_wait -1
	scratch_load_b64 v[58:59], off, off offset:40
	s_mov_b32 s0, exec_lo
	s_wait_loadcnt 0x0
	ds_store_b64 v1, v[58:59]
	s_wait_dscnt 0x0
	s_barrier_signal -1
	s_barrier_wait -1
	v_cmpx_gt_u32_e32 5, v0
	s_cbranch_execz .LBB26_31
; %bb.28:
	v_mov_b64_e32 v[58:59], 0
	v_dual_add_nc_u32 v9, -1, v0 :: v_dual_mov_b32 v13, v2
	v_add_nc_u32_e32 v11, 0xe0, v2
	s_mov_b32 s1, 0
.LBB26_29:                              ; =>This Inner Loop Header: Depth=1
	scratch_load_b64 v[60:61], v13, off
	ds_load_b64 v[62:63], v11
	v_dual_add_nc_u32 v9, 1, v9 :: v_dual_add_nc_u32 v11, 8, v11
	s_wait_xcnt 0x0
	v_add_nc_u32_e32 v13, 8, v13
	s_delay_alu instid0(VALU_DEP_2)
	v_cmp_lt_u32_e32 vcc_lo, 3, v9
	s_or_b32 s1, vcc_lo, s1
	s_wait_loadcnt_dscnt 0x0
	v_fmac_f64_e32 v[58:59], v[60:61], v[62:63]
	s_and_not1_b32 exec_lo, exec_lo, s1
	s_cbranch_execnz .LBB26_29
; %bb.30:
	s_or_b32 exec_lo, exec_lo, s1
	v_mov_b32_e32 v9, 0
	ds_load_b64 v[60:61], v9 offset:40
	s_wait_dscnt 0x0
	v_mul_f64_e32 v[58:59], v[58:59], v[60:61]
	scratch_store_b64 off, v[58:59], off offset:40
.LBB26_31:
	s_wait_xcnt 0x0
	s_or_b32 exec_lo, exec_lo, s0
	s_wait_storecnt 0x0
	s_barrier_signal -1
	s_barrier_wait -1
	scratch_load_b64 v[58:59], off, off offset:48
	s_mov_b32 s0, exec_lo
	s_wait_loadcnt 0x0
	ds_store_b64 v1, v[58:59]
	s_wait_dscnt 0x0
	s_barrier_signal -1
	s_barrier_wait -1
	v_cmpx_gt_u32_e32 6, v0
	s_cbranch_execz .LBB26_35
; %bb.32:
	v_mov_b64_e32 v[58:59], 0
	v_dual_add_nc_u32 v9, -1, v0 :: v_dual_mov_b32 v13, v2
	v_add_nc_u32_e32 v11, 0xe0, v2
	s_mov_b32 s1, 0
.LBB26_33:                              ; =>This Inner Loop Header: Depth=1
	scratch_load_b64 v[60:61], v13, off
	ds_load_b64 v[62:63], v11
	v_dual_add_nc_u32 v9, 1, v9 :: v_dual_add_nc_u32 v11, 8, v11
	s_wait_xcnt 0x0
	v_add_nc_u32_e32 v13, 8, v13
	s_delay_alu instid0(VALU_DEP_2)
	v_cmp_lt_u32_e32 vcc_lo, 4, v9
	s_or_b32 s1, vcc_lo, s1
	s_wait_loadcnt_dscnt 0x0
	v_fmac_f64_e32 v[58:59], v[60:61], v[62:63]
	s_and_not1_b32 exec_lo, exec_lo, s1
	s_cbranch_execnz .LBB26_33
; %bb.34:
	s_or_b32 exec_lo, exec_lo, s1
	v_mov_b32_e32 v9, 0
	ds_load_b64 v[60:61], v9 offset:48
	s_wait_dscnt 0x0
	v_mul_f64_e32 v[58:59], v[58:59], v[60:61]
	scratch_store_b64 off, v[58:59], off offset:48
.LBB26_35:
	s_wait_xcnt 0x0
	s_or_b32 exec_lo, exec_lo, s0
	s_wait_storecnt 0x0
	s_barrier_signal -1
	s_barrier_wait -1
	scratch_load_b64 v[58:59], off, off offset:56
	s_mov_b32 s0, exec_lo
	s_wait_loadcnt 0x0
	ds_store_b64 v1, v[58:59]
	s_wait_dscnt 0x0
	s_barrier_signal -1
	s_barrier_wait -1
	v_cmpx_gt_u32_e32 7, v0
	s_cbranch_execz .LBB26_39
; %bb.36:
	v_mov_b64_e32 v[58:59], 0
	v_dual_add_nc_u32 v9, -1, v0 :: v_dual_mov_b32 v13, v2
	v_add_nc_u32_e32 v11, 0xe0, v2
	s_mov_b32 s1, 0
.LBB26_37:                              ; =>This Inner Loop Header: Depth=1
	scratch_load_b64 v[60:61], v13, off
	ds_load_b64 v[62:63], v11
	v_dual_add_nc_u32 v9, 1, v9 :: v_dual_add_nc_u32 v11, 8, v11
	s_wait_xcnt 0x0
	v_add_nc_u32_e32 v13, 8, v13
	s_delay_alu instid0(VALU_DEP_2)
	v_cmp_lt_u32_e32 vcc_lo, 5, v9
	s_or_b32 s1, vcc_lo, s1
	s_wait_loadcnt_dscnt 0x0
	v_fmac_f64_e32 v[58:59], v[60:61], v[62:63]
	s_and_not1_b32 exec_lo, exec_lo, s1
	s_cbranch_execnz .LBB26_37
; %bb.38:
	s_or_b32 exec_lo, exec_lo, s1
	v_mov_b32_e32 v9, 0
	ds_load_b64 v[60:61], v9 offset:56
	s_wait_dscnt 0x0
	v_mul_f64_e32 v[58:59], v[58:59], v[60:61]
	scratch_store_b64 off, v[58:59], off offset:56
.LBB26_39:
	s_wait_xcnt 0x0
	s_or_b32 exec_lo, exec_lo, s0
	s_wait_storecnt 0x0
	s_barrier_signal -1
	s_barrier_wait -1
	scratch_load_b64 v[58:59], off, off offset:64
	s_mov_b32 s0, exec_lo
	s_wait_loadcnt 0x0
	ds_store_b64 v1, v[58:59]
	s_wait_dscnt 0x0
	s_barrier_signal -1
	s_barrier_wait -1
	v_cmpx_gt_u32_e32 8, v0
	s_cbranch_execz .LBB26_43
; %bb.40:
	v_mov_b64_e32 v[58:59], 0
	v_dual_add_nc_u32 v9, -1, v0 :: v_dual_mov_b32 v13, v2
	v_add_nc_u32_e32 v11, 0xe0, v2
	s_mov_b32 s1, 0
.LBB26_41:                              ; =>This Inner Loop Header: Depth=1
	scratch_load_b64 v[60:61], v13, off
	ds_load_b64 v[62:63], v11
	v_dual_add_nc_u32 v9, 1, v9 :: v_dual_add_nc_u32 v11, 8, v11
	s_wait_xcnt 0x0
	v_add_nc_u32_e32 v13, 8, v13
	s_delay_alu instid0(VALU_DEP_2)
	v_cmp_lt_u32_e32 vcc_lo, 6, v9
	s_or_b32 s1, vcc_lo, s1
	s_wait_loadcnt_dscnt 0x0
	v_fmac_f64_e32 v[58:59], v[60:61], v[62:63]
	s_and_not1_b32 exec_lo, exec_lo, s1
	s_cbranch_execnz .LBB26_41
; %bb.42:
	s_or_b32 exec_lo, exec_lo, s1
	v_mov_b32_e32 v9, 0
	ds_load_b64 v[60:61], v9 offset:64
	s_wait_dscnt 0x0
	v_mul_f64_e32 v[58:59], v[58:59], v[60:61]
	scratch_store_b64 off, v[58:59], off offset:64
.LBB26_43:
	s_wait_xcnt 0x0
	s_or_b32 exec_lo, exec_lo, s0
	s_wait_storecnt 0x0
	s_barrier_signal -1
	s_barrier_wait -1
	scratch_load_b64 v[58:59], off, off offset:72
	s_mov_b32 s0, exec_lo
	s_wait_loadcnt 0x0
	ds_store_b64 v1, v[58:59]
	s_wait_dscnt 0x0
	s_barrier_signal -1
	s_barrier_wait -1
	v_cmpx_gt_u32_e32 9, v0
	s_cbranch_execz .LBB26_47
; %bb.44:
	v_mov_b64_e32 v[58:59], 0
	v_dual_add_nc_u32 v9, -1, v0 :: v_dual_mov_b32 v13, v2
	v_add_nc_u32_e32 v11, 0xe0, v2
	s_mov_b32 s1, 0
.LBB26_45:                              ; =>This Inner Loop Header: Depth=1
	scratch_load_b64 v[60:61], v13, off
	ds_load_b64 v[62:63], v11
	v_dual_add_nc_u32 v9, 1, v9 :: v_dual_add_nc_u32 v11, 8, v11
	s_wait_xcnt 0x0
	v_add_nc_u32_e32 v13, 8, v13
	s_delay_alu instid0(VALU_DEP_2)
	v_cmp_lt_u32_e32 vcc_lo, 7, v9
	s_or_b32 s1, vcc_lo, s1
	s_wait_loadcnt_dscnt 0x0
	v_fmac_f64_e32 v[58:59], v[60:61], v[62:63]
	s_and_not1_b32 exec_lo, exec_lo, s1
	s_cbranch_execnz .LBB26_45
; %bb.46:
	s_or_b32 exec_lo, exec_lo, s1
	v_mov_b32_e32 v9, 0
	ds_load_b64 v[60:61], v9 offset:72
	s_wait_dscnt 0x0
	v_mul_f64_e32 v[58:59], v[58:59], v[60:61]
	scratch_store_b64 off, v[58:59], off offset:72
.LBB26_47:
	s_wait_xcnt 0x0
	s_or_b32 exec_lo, exec_lo, s0
	s_wait_storecnt 0x0
	s_barrier_signal -1
	s_barrier_wait -1
	scratch_load_b64 v[58:59], off, off offset:80
	s_mov_b32 s0, exec_lo
	s_wait_loadcnt 0x0
	ds_store_b64 v1, v[58:59]
	s_wait_dscnt 0x0
	s_barrier_signal -1
	s_barrier_wait -1
	v_cmpx_gt_u32_e32 10, v0
	s_cbranch_execz .LBB26_51
; %bb.48:
	v_mov_b64_e32 v[58:59], 0
	v_dual_add_nc_u32 v9, -1, v0 :: v_dual_mov_b32 v13, v2
	v_add_nc_u32_e32 v11, 0xe0, v2
	s_mov_b32 s1, 0
.LBB26_49:                              ; =>This Inner Loop Header: Depth=1
	scratch_load_b64 v[60:61], v13, off
	ds_load_b64 v[62:63], v11
	v_dual_add_nc_u32 v9, 1, v9 :: v_dual_add_nc_u32 v11, 8, v11
	s_wait_xcnt 0x0
	v_add_nc_u32_e32 v13, 8, v13
	s_delay_alu instid0(VALU_DEP_2)
	v_cmp_lt_u32_e32 vcc_lo, 8, v9
	s_or_b32 s1, vcc_lo, s1
	s_wait_loadcnt_dscnt 0x0
	v_fmac_f64_e32 v[58:59], v[60:61], v[62:63]
	s_and_not1_b32 exec_lo, exec_lo, s1
	s_cbranch_execnz .LBB26_49
; %bb.50:
	s_or_b32 exec_lo, exec_lo, s1
	v_mov_b32_e32 v9, 0
	ds_load_b64 v[60:61], v9 offset:80
	s_wait_dscnt 0x0
	v_mul_f64_e32 v[58:59], v[58:59], v[60:61]
	scratch_store_b64 off, v[58:59], off offset:80
.LBB26_51:
	s_wait_xcnt 0x0
	s_or_b32 exec_lo, exec_lo, s0
	s_wait_storecnt 0x0
	s_barrier_signal -1
	s_barrier_wait -1
	scratch_load_b64 v[58:59], off, off offset:88
	s_mov_b32 s0, exec_lo
	s_wait_loadcnt 0x0
	ds_store_b64 v1, v[58:59]
	s_wait_dscnt 0x0
	s_barrier_signal -1
	s_barrier_wait -1
	v_cmpx_gt_u32_e32 11, v0
	s_cbranch_execz .LBB26_55
; %bb.52:
	v_mov_b64_e32 v[58:59], 0
	v_dual_add_nc_u32 v9, -1, v0 :: v_dual_mov_b32 v13, v2
	v_add_nc_u32_e32 v11, 0xe0, v2
	s_mov_b32 s1, 0
.LBB26_53:                              ; =>This Inner Loop Header: Depth=1
	scratch_load_b64 v[60:61], v13, off
	ds_load_b64 v[62:63], v11
	v_dual_add_nc_u32 v9, 1, v9 :: v_dual_add_nc_u32 v11, 8, v11
	s_wait_xcnt 0x0
	v_add_nc_u32_e32 v13, 8, v13
	s_delay_alu instid0(VALU_DEP_2)
	v_cmp_lt_u32_e32 vcc_lo, 9, v9
	s_or_b32 s1, vcc_lo, s1
	s_wait_loadcnt_dscnt 0x0
	v_fmac_f64_e32 v[58:59], v[60:61], v[62:63]
	s_and_not1_b32 exec_lo, exec_lo, s1
	s_cbranch_execnz .LBB26_53
; %bb.54:
	s_or_b32 exec_lo, exec_lo, s1
	v_mov_b32_e32 v9, 0
	ds_load_b64 v[60:61], v9 offset:88
	s_wait_dscnt 0x0
	v_mul_f64_e32 v[58:59], v[58:59], v[60:61]
	scratch_store_b64 off, v[58:59], off offset:88
.LBB26_55:
	s_wait_xcnt 0x0
	s_or_b32 exec_lo, exec_lo, s0
	s_wait_storecnt 0x0
	s_barrier_signal -1
	s_barrier_wait -1
	scratch_load_b64 v[58:59], off, off offset:96
	s_mov_b32 s0, exec_lo
	s_wait_loadcnt 0x0
	ds_store_b64 v1, v[58:59]
	s_wait_dscnt 0x0
	s_barrier_signal -1
	s_barrier_wait -1
	v_cmpx_gt_u32_e32 12, v0
	s_cbranch_execz .LBB26_59
; %bb.56:
	v_mov_b64_e32 v[58:59], 0
	v_dual_add_nc_u32 v9, -1, v0 :: v_dual_mov_b32 v13, v2
	v_add_nc_u32_e32 v11, 0xe0, v2
	s_mov_b32 s1, 0
.LBB26_57:                              ; =>This Inner Loop Header: Depth=1
	scratch_load_b64 v[60:61], v13, off
	ds_load_b64 v[62:63], v11
	v_dual_add_nc_u32 v9, 1, v9 :: v_dual_add_nc_u32 v11, 8, v11
	s_wait_xcnt 0x0
	v_add_nc_u32_e32 v13, 8, v13
	s_delay_alu instid0(VALU_DEP_2)
	v_cmp_lt_u32_e32 vcc_lo, 10, v9
	s_or_b32 s1, vcc_lo, s1
	s_wait_loadcnt_dscnt 0x0
	v_fmac_f64_e32 v[58:59], v[60:61], v[62:63]
	s_and_not1_b32 exec_lo, exec_lo, s1
	s_cbranch_execnz .LBB26_57
; %bb.58:
	s_or_b32 exec_lo, exec_lo, s1
	v_mov_b32_e32 v9, 0
	ds_load_b64 v[60:61], v9 offset:96
	s_wait_dscnt 0x0
	v_mul_f64_e32 v[58:59], v[58:59], v[60:61]
	scratch_store_b64 off, v[58:59], off offset:96
.LBB26_59:
	s_wait_xcnt 0x0
	s_or_b32 exec_lo, exec_lo, s0
	s_wait_storecnt 0x0
	s_barrier_signal -1
	s_barrier_wait -1
	scratch_load_b64 v[58:59], off, off offset:104
	s_mov_b32 s0, exec_lo
	s_wait_loadcnt 0x0
	ds_store_b64 v1, v[58:59]
	s_wait_dscnt 0x0
	s_barrier_signal -1
	s_barrier_wait -1
	v_cmpx_gt_u32_e32 13, v0
	s_cbranch_execz .LBB26_63
; %bb.60:
	v_mov_b64_e32 v[58:59], 0
	v_dual_add_nc_u32 v9, -1, v0 :: v_dual_mov_b32 v13, v2
	v_add_nc_u32_e32 v11, 0xe0, v2
	s_mov_b32 s1, 0
.LBB26_61:                              ; =>This Inner Loop Header: Depth=1
	scratch_load_b64 v[60:61], v13, off
	ds_load_b64 v[62:63], v11
	v_dual_add_nc_u32 v9, 1, v9 :: v_dual_add_nc_u32 v11, 8, v11
	s_wait_xcnt 0x0
	v_add_nc_u32_e32 v13, 8, v13
	s_delay_alu instid0(VALU_DEP_2)
	v_cmp_lt_u32_e32 vcc_lo, 11, v9
	s_or_b32 s1, vcc_lo, s1
	s_wait_loadcnt_dscnt 0x0
	v_fmac_f64_e32 v[58:59], v[60:61], v[62:63]
	s_and_not1_b32 exec_lo, exec_lo, s1
	s_cbranch_execnz .LBB26_61
; %bb.62:
	s_or_b32 exec_lo, exec_lo, s1
	v_mov_b32_e32 v9, 0
	ds_load_b64 v[60:61], v9 offset:104
	s_wait_dscnt 0x0
	v_mul_f64_e32 v[58:59], v[58:59], v[60:61]
	scratch_store_b64 off, v[58:59], off offset:104
.LBB26_63:
	s_wait_xcnt 0x0
	s_or_b32 exec_lo, exec_lo, s0
	s_wait_storecnt 0x0
	s_barrier_signal -1
	s_barrier_wait -1
	scratch_load_b64 v[58:59], off, off offset:112
	s_mov_b32 s0, exec_lo
	s_wait_loadcnt 0x0
	ds_store_b64 v1, v[58:59]
	s_wait_dscnt 0x0
	s_barrier_signal -1
	s_barrier_wait -1
	v_cmpx_gt_u32_e32 14, v0
	s_cbranch_execz .LBB26_67
; %bb.64:
	v_mov_b64_e32 v[58:59], 0
	v_dual_add_nc_u32 v9, -1, v0 :: v_dual_mov_b32 v13, v2
	v_add_nc_u32_e32 v11, 0xe0, v2
	s_mov_b32 s1, 0
.LBB26_65:                              ; =>This Inner Loop Header: Depth=1
	scratch_load_b64 v[60:61], v13, off
	ds_load_b64 v[62:63], v11
	v_dual_add_nc_u32 v9, 1, v9 :: v_dual_add_nc_u32 v11, 8, v11
	s_wait_xcnt 0x0
	v_add_nc_u32_e32 v13, 8, v13
	s_delay_alu instid0(VALU_DEP_2)
	v_cmp_lt_u32_e32 vcc_lo, 12, v9
	s_or_b32 s1, vcc_lo, s1
	s_wait_loadcnt_dscnt 0x0
	v_fmac_f64_e32 v[58:59], v[60:61], v[62:63]
	s_and_not1_b32 exec_lo, exec_lo, s1
	s_cbranch_execnz .LBB26_65
; %bb.66:
	s_or_b32 exec_lo, exec_lo, s1
	v_mov_b32_e32 v9, 0
	ds_load_b64 v[60:61], v9 offset:112
	s_wait_dscnt 0x0
	v_mul_f64_e32 v[58:59], v[58:59], v[60:61]
	scratch_store_b64 off, v[58:59], off offset:112
.LBB26_67:
	s_wait_xcnt 0x0
	s_or_b32 exec_lo, exec_lo, s0
	s_wait_storecnt 0x0
	s_barrier_signal -1
	s_barrier_wait -1
	scratch_load_b64 v[58:59], off, off offset:120
	s_mov_b32 s0, exec_lo
	s_wait_loadcnt 0x0
	ds_store_b64 v1, v[58:59]
	s_wait_dscnt 0x0
	s_barrier_signal -1
	s_barrier_wait -1
	v_cmpx_gt_u32_e32 15, v0
	s_cbranch_execz .LBB26_71
; %bb.68:
	v_mov_b64_e32 v[58:59], 0
	v_dual_add_nc_u32 v9, -1, v0 :: v_dual_mov_b32 v13, v2
	v_add_nc_u32_e32 v11, 0xe0, v2
	s_mov_b32 s1, 0
.LBB26_69:                              ; =>This Inner Loop Header: Depth=1
	scratch_load_b64 v[60:61], v13, off
	ds_load_b64 v[62:63], v11
	v_dual_add_nc_u32 v9, 1, v9 :: v_dual_add_nc_u32 v11, 8, v11
	s_wait_xcnt 0x0
	v_add_nc_u32_e32 v13, 8, v13
	s_delay_alu instid0(VALU_DEP_2)
	v_cmp_lt_u32_e32 vcc_lo, 13, v9
	s_or_b32 s1, vcc_lo, s1
	s_wait_loadcnt_dscnt 0x0
	v_fmac_f64_e32 v[58:59], v[60:61], v[62:63]
	s_and_not1_b32 exec_lo, exec_lo, s1
	s_cbranch_execnz .LBB26_69
; %bb.70:
	s_or_b32 exec_lo, exec_lo, s1
	v_mov_b32_e32 v9, 0
	ds_load_b64 v[60:61], v9 offset:120
	s_wait_dscnt 0x0
	v_mul_f64_e32 v[58:59], v[58:59], v[60:61]
	scratch_store_b64 off, v[58:59], off offset:120
.LBB26_71:
	s_wait_xcnt 0x0
	s_or_b32 exec_lo, exec_lo, s0
	s_wait_storecnt 0x0
	s_barrier_signal -1
	s_barrier_wait -1
	scratch_load_b64 v[58:59], off, off offset:128
	s_mov_b32 s0, exec_lo
	s_wait_loadcnt 0x0
	ds_store_b64 v1, v[58:59]
	s_wait_dscnt 0x0
	s_barrier_signal -1
	s_barrier_wait -1
	v_cmpx_gt_u32_e32 16, v0
	s_cbranch_execz .LBB26_75
; %bb.72:
	v_mov_b64_e32 v[58:59], 0
	v_dual_add_nc_u32 v9, -1, v0 :: v_dual_mov_b32 v13, v2
	v_add_nc_u32_e32 v11, 0xe0, v2
	s_mov_b32 s1, 0
.LBB26_73:                              ; =>This Inner Loop Header: Depth=1
	scratch_load_b64 v[60:61], v13, off
	ds_load_b64 v[62:63], v11
	v_dual_add_nc_u32 v9, 1, v9 :: v_dual_add_nc_u32 v11, 8, v11
	s_wait_xcnt 0x0
	v_add_nc_u32_e32 v13, 8, v13
	s_delay_alu instid0(VALU_DEP_2)
	v_cmp_lt_u32_e32 vcc_lo, 14, v9
	s_or_b32 s1, vcc_lo, s1
	s_wait_loadcnt_dscnt 0x0
	v_fmac_f64_e32 v[58:59], v[60:61], v[62:63]
	s_and_not1_b32 exec_lo, exec_lo, s1
	s_cbranch_execnz .LBB26_73
; %bb.74:
	s_or_b32 exec_lo, exec_lo, s1
	v_mov_b32_e32 v9, 0
	ds_load_b64 v[60:61], v9 offset:128
	s_wait_dscnt 0x0
	v_mul_f64_e32 v[58:59], v[58:59], v[60:61]
	scratch_store_b64 off, v[58:59], off offset:128
.LBB26_75:
	s_wait_xcnt 0x0
	s_or_b32 exec_lo, exec_lo, s0
	s_wait_storecnt 0x0
	s_barrier_signal -1
	s_barrier_wait -1
	scratch_load_b64 v[58:59], off, off offset:136
	s_mov_b32 s0, exec_lo
	s_wait_loadcnt 0x0
	ds_store_b64 v1, v[58:59]
	s_wait_dscnt 0x0
	s_barrier_signal -1
	s_barrier_wait -1
	v_cmpx_gt_u32_e32 17, v0
	s_cbranch_execz .LBB26_79
; %bb.76:
	v_mov_b64_e32 v[58:59], 0
	v_dual_add_nc_u32 v9, -1, v0 :: v_dual_mov_b32 v13, v2
	v_add_nc_u32_e32 v11, 0xe0, v2
	s_mov_b32 s1, 0
.LBB26_77:                              ; =>This Inner Loop Header: Depth=1
	scratch_load_b64 v[60:61], v13, off
	ds_load_b64 v[62:63], v11
	v_dual_add_nc_u32 v9, 1, v9 :: v_dual_add_nc_u32 v11, 8, v11
	s_wait_xcnt 0x0
	v_add_nc_u32_e32 v13, 8, v13
	s_delay_alu instid0(VALU_DEP_2)
	v_cmp_lt_u32_e32 vcc_lo, 15, v9
	s_or_b32 s1, vcc_lo, s1
	s_wait_loadcnt_dscnt 0x0
	v_fmac_f64_e32 v[58:59], v[60:61], v[62:63]
	s_and_not1_b32 exec_lo, exec_lo, s1
	s_cbranch_execnz .LBB26_77
; %bb.78:
	s_or_b32 exec_lo, exec_lo, s1
	v_mov_b32_e32 v9, 0
	ds_load_b64 v[60:61], v9 offset:136
	s_wait_dscnt 0x0
	v_mul_f64_e32 v[58:59], v[58:59], v[60:61]
	scratch_store_b64 off, v[58:59], off offset:136
.LBB26_79:
	s_wait_xcnt 0x0
	s_or_b32 exec_lo, exec_lo, s0
	s_wait_storecnt 0x0
	s_barrier_signal -1
	s_barrier_wait -1
	scratch_load_b64 v[58:59], off, off offset:144
	s_mov_b32 s0, exec_lo
	s_wait_loadcnt 0x0
	ds_store_b64 v1, v[58:59]
	s_wait_dscnt 0x0
	s_barrier_signal -1
	s_barrier_wait -1
	v_cmpx_gt_u32_e32 18, v0
	s_cbranch_execz .LBB26_83
; %bb.80:
	v_mov_b64_e32 v[58:59], 0
	v_dual_add_nc_u32 v9, -1, v0 :: v_dual_mov_b32 v13, v2
	v_add_nc_u32_e32 v11, 0xe0, v2
	s_mov_b32 s1, 0
.LBB26_81:                              ; =>This Inner Loop Header: Depth=1
	scratch_load_b64 v[60:61], v13, off
	ds_load_b64 v[62:63], v11
	v_dual_add_nc_u32 v9, 1, v9 :: v_dual_add_nc_u32 v11, 8, v11
	s_wait_xcnt 0x0
	v_add_nc_u32_e32 v13, 8, v13
	s_delay_alu instid0(VALU_DEP_2)
	v_cmp_lt_u32_e32 vcc_lo, 16, v9
	s_or_b32 s1, vcc_lo, s1
	s_wait_loadcnt_dscnt 0x0
	v_fmac_f64_e32 v[58:59], v[60:61], v[62:63]
	s_and_not1_b32 exec_lo, exec_lo, s1
	s_cbranch_execnz .LBB26_81
; %bb.82:
	s_or_b32 exec_lo, exec_lo, s1
	v_mov_b32_e32 v9, 0
	ds_load_b64 v[60:61], v9 offset:144
	s_wait_dscnt 0x0
	v_mul_f64_e32 v[58:59], v[58:59], v[60:61]
	scratch_store_b64 off, v[58:59], off offset:144
.LBB26_83:
	s_wait_xcnt 0x0
	s_or_b32 exec_lo, exec_lo, s0
	s_wait_storecnt 0x0
	s_barrier_signal -1
	s_barrier_wait -1
	scratch_load_b64 v[58:59], off, off offset:152
	s_mov_b32 s0, exec_lo
	s_wait_loadcnt 0x0
	ds_store_b64 v1, v[58:59]
	s_wait_dscnt 0x0
	s_barrier_signal -1
	s_barrier_wait -1
	v_cmpx_gt_u32_e32 19, v0
	s_cbranch_execz .LBB26_87
; %bb.84:
	v_mov_b64_e32 v[58:59], 0
	v_dual_add_nc_u32 v9, -1, v0 :: v_dual_mov_b32 v13, v2
	v_add_nc_u32_e32 v11, 0xe0, v2
	s_mov_b32 s1, 0
.LBB26_85:                              ; =>This Inner Loop Header: Depth=1
	scratch_load_b64 v[60:61], v13, off
	ds_load_b64 v[62:63], v11
	v_dual_add_nc_u32 v9, 1, v9 :: v_dual_add_nc_u32 v11, 8, v11
	s_wait_xcnt 0x0
	v_add_nc_u32_e32 v13, 8, v13
	s_delay_alu instid0(VALU_DEP_2)
	v_cmp_lt_u32_e32 vcc_lo, 17, v9
	s_or_b32 s1, vcc_lo, s1
	s_wait_loadcnt_dscnt 0x0
	v_fmac_f64_e32 v[58:59], v[60:61], v[62:63]
	s_and_not1_b32 exec_lo, exec_lo, s1
	s_cbranch_execnz .LBB26_85
; %bb.86:
	s_or_b32 exec_lo, exec_lo, s1
	v_mov_b32_e32 v9, 0
	ds_load_b64 v[60:61], v9 offset:152
	s_wait_dscnt 0x0
	v_mul_f64_e32 v[58:59], v[58:59], v[60:61]
	scratch_store_b64 off, v[58:59], off offset:152
.LBB26_87:
	s_wait_xcnt 0x0
	s_or_b32 exec_lo, exec_lo, s0
	s_wait_storecnt 0x0
	s_barrier_signal -1
	s_barrier_wait -1
	scratch_load_b64 v[58:59], off, off offset:160
	s_mov_b32 s0, exec_lo
	s_wait_loadcnt 0x0
	ds_store_b64 v1, v[58:59]
	s_wait_dscnt 0x0
	s_barrier_signal -1
	s_barrier_wait -1
	v_cmpx_gt_u32_e32 20, v0
	s_cbranch_execz .LBB26_91
; %bb.88:
	v_mov_b64_e32 v[58:59], 0
	v_dual_add_nc_u32 v9, -1, v0 :: v_dual_mov_b32 v13, v2
	v_add_nc_u32_e32 v11, 0xe0, v2
	s_mov_b32 s1, 0
.LBB26_89:                              ; =>This Inner Loop Header: Depth=1
	scratch_load_b64 v[60:61], v13, off
	ds_load_b64 v[62:63], v11
	v_dual_add_nc_u32 v9, 1, v9 :: v_dual_add_nc_u32 v11, 8, v11
	s_wait_xcnt 0x0
	v_add_nc_u32_e32 v13, 8, v13
	s_delay_alu instid0(VALU_DEP_2)
	v_cmp_lt_u32_e32 vcc_lo, 18, v9
	s_or_b32 s1, vcc_lo, s1
	s_wait_loadcnt_dscnt 0x0
	v_fmac_f64_e32 v[58:59], v[60:61], v[62:63]
	s_and_not1_b32 exec_lo, exec_lo, s1
	s_cbranch_execnz .LBB26_89
; %bb.90:
	s_or_b32 exec_lo, exec_lo, s1
	v_mov_b32_e32 v9, 0
	ds_load_b64 v[60:61], v9 offset:160
	s_wait_dscnt 0x0
	v_mul_f64_e32 v[58:59], v[58:59], v[60:61]
	scratch_store_b64 off, v[58:59], off offset:160
.LBB26_91:
	s_wait_xcnt 0x0
	s_or_b32 exec_lo, exec_lo, s0
	s_wait_storecnt 0x0
	s_barrier_signal -1
	s_barrier_wait -1
	scratch_load_b64 v[58:59], off, off offset:168
	s_mov_b32 s0, exec_lo
	s_wait_loadcnt 0x0
	ds_store_b64 v1, v[58:59]
	s_wait_dscnt 0x0
	s_barrier_signal -1
	s_barrier_wait -1
	v_cmpx_gt_u32_e32 21, v0
	s_cbranch_execz .LBB26_95
; %bb.92:
	v_mov_b64_e32 v[58:59], 0
	v_dual_add_nc_u32 v9, -1, v0 :: v_dual_mov_b32 v13, v2
	v_add_nc_u32_e32 v11, 0xe0, v2
	s_mov_b32 s1, 0
.LBB26_93:                              ; =>This Inner Loop Header: Depth=1
	scratch_load_b64 v[60:61], v13, off
	ds_load_b64 v[62:63], v11
	v_dual_add_nc_u32 v9, 1, v9 :: v_dual_add_nc_u32 v11, 8, v11
	s_wait_xcnt 0x0
	v_add_nc_u32_e32 v13, 8, v13
	s_delay_alu instid0(VALU_DEP_2)
	v_cmp_lt_u32_e32 vcc_lo, 19, v9
	s_or_b32 s1, vcc_lo, s1
	s_wait_loadcnt_dscnt 0x0
	v_fmac_f64_e32 v[58:59], v[60:61], v[62:63]
	s_and_not1_b32 exec_lo, exec_lo, s1
	s_cbranch_execnz .LBB26_93
; %bb.94:
	s_or_b32 exec_lo, exec_lo, s1
	v_mov_b32_e32 v9, 0
	ds_load_b64 v[60:61], v9 offset:168
	s_wait_dscnt 0x0
	v_mul_f64_e32 v[58:59], v[58:59], v[60:61]
	scratch_store_b64 off, v[58:59], off offset:168
.LBB26_95:
	s_wait_xcnt 0x0
	s_or_b32 exec_lo, exec_lo, s0
	s_wait_storecnt 0x0
	s_barrier_signal -1
	s_barrier_wait -1
	scratch_load_b64 v[58:59], off, off offset:176
	s_mov_b32 s0, exec_lo
	s_wait_loadcnt 0x0
	ds_store_b64 v1, v[58:59]
	s_wait_dscnt 0x0
	s_barrier_signal -1
	s_barrier_wait -1
	v_cmpx_gt_u32_e32 22, v0
	s_cbranch_execz .LBB26_99
; %bb.96:
	v_mov_b64_e32 v[58:59], 0
	v_dual_add_nc_u32 v9, -1, v0 :: v_dual_mov_b32 v13, v2
	v_add_nc_u32_e32 v11, 0xe0, v2
	s_mov_b32 s1, 0
.LBB26_97:                              ; =>This Inner Loop Header: Depth=1
	scratch_load_b64 v[60:61], v13, off
	ds_load_b64 v[62:63], v11
	v_dual_add_nc_u32 v9, 1, v9 :: v_dual_add_nc_u32 v11, 8, v11
	s_wait_xcnt 0x0
	v_add_nc_u32_e32 v13, 8, v13
	s_delay_alu instid0(VALU_DEP_2)
	v_cmp_lt_u32_e32 vcc_lo, 20, v9
	s_or_b32 s1, vcc_lo, s1
	s_wait_loadcnt_dscnt 0x0
	v_fmac_f64_e32 v[58:59], v[60:61], v[62:63]
	s_and_not1_b32 exec_lo, exec_lo, s1
	s_cbranch_execnz .LBB26_97
; %bb.98:
	s_or_b32 exec_lo, exec_lo, s1
	v_mov_b32_e32 v9, 0
	ds_load_b64 v[60:61], v9 offset:176
	s_wait_dscnt 0x0
	v_mul_f64_e32 v[58:59], v[58:59], v[60:61]
	scratch_store_b64 off, v[58:59], off offset:176
.LBB26_99:
	s_wait_xcnt 0x0
	s_or_b32 exec_lo, exec_lo, s0
	s_wait_storecnt 0x0
	s_barrier_signal -1
	s_barrier_wait -1
	scratch_load_b64 v[58:59], off, off offset:184
	s_mov_b32 s0, exec_lo
	s_wait_loadcnt 0x0
	ds_store_b64 v1, v[58:59]
	s_wait_dscnt 0x0
	s_barrier_signal -1
	s_barrier_wait -1
	v_cmpx_gt_u32_e32 23, v0
	s_cbranch_execz .LBB26_103
; %bb.100:
	v_mov_b64_e32 v[58:59], 0
	v_dual_add_nc_u32 v9, -1, v0 :: v_dual_mov_b32 v13, v2
	v_add_nc_u32_e32 v11, 0xe0, v2
	s_mov_b32 s1, 0
.LBB26_101:                             ; =>This Inner Loop Header: Depth=1
	scratch_load_b64 v[60:61], v13, off
	ds_load_b64 v[62:63], v11
	v_dual_add_nc_u32 v9, 1, v9 :: v_dual_add_nc_u32 v11, 8, v11
	s_wait_xcnt 0x0
	v_add_nc_u32_e32 v13, 8, v13
	s_delay_alu instid0(VALU_DEP_2)
	v_cmp_lt_u32_e32 vcc_lo, 21, v9
	s_or_b32 s1, vcc_lo, s1
	s_wait_loadcnt_dscnt 0x0
	v_fmac_f64_e32 v[58:59], v[60:61], v[62:63]
	s_and_not1_b32 exec_lo, exec_lo, s1
	s_cbranch_execnz .LBB26_101
; %bb.102:
	s_or_b32 exec_lo, exec_lo, s1
	v_mov_b32_e32 v9, 0
	ds_load_b64 v[60:61], v9 offset:184
	s_wait_dscnt 0x0
	v_mul_f64_e32 v[58:59], v[58:59], v[60:61]
	scratch_store_b64 off, v[58:59], off offset:184
.LBB26_103:
	s_wait_xcnt 0x0
	s_or_b32 exec_lo, exec_lo, s0
	s_wait_storecnt 0x0
	s_barrier_signal -1
	s_barrier_wait -1
	scratch_load_b64 v[58:59], off, off offset:192
	s_mov_b32 s0, exec_lo
	s_wait_loadcnt 0x0
	ds_store_b64 v1, v[58:59]
	s_wait_dscnt 0x0
	s_barrier_signal -1
	s_barrier_wait -1
	v_cmpx_gt_u32_e32 24, v0
	s_cbranch_execz .LBB26_107
; %bb.104:
	v_mov_b64_e32 v[58:59], 0
	v_dual_add_nc_u32 v9, -1, v0 :: v_dual_mov_b32 v13, v2
	v_add_nc_u32_e32 v11, 0xe0, v2
	s_mov_b32 s1, 0
.LBB26_105:                             ; =>This Inner Loop Header: Depth=1
	scratch_load_b64 v[60:61], v13, off
	ds_load_b64 v[62:63], v11
	v_dual_add_nc_u32 v9, 1, v9 :: v_dual_add_nc_u32 v11, 8, v11
	s_wait_xcnt 0x0
	v_add_nc_u32_e32 v13, 8, v13
	s_delay_alu instid0(VALU_DEP_2)
	v_cmp_lt_u32_e32 vcc_lo, 22, v9
	s_or_b32 s1, vcc_lo, s1
	s_wait_loadcnt_dscnt 0x0
	v_fmac_f64_e32 v[58:59], v[60:61], v[62:63]
	s_and_not1_b32 exec_lo, exec_lo, s1
	s_cbranch_execnz .LBB26_105
; %bb.106:
	s_or_b32 exec_lo, exec_lo, s1
	v_mov_b32_e32 v9, 0
	ds_load_b64 v[60:61], v9 offset:192
	s_wait_dscnt 0x0
	v_mul_f64_e32 v[58:59], v[58:59], v[60:61]
	scratch_store_b64 off, v[58:59], off offset:192
.LBB26_107:
	s_wait_xcnt 0x0
	s_or_b32 exec_lo, exec_lo, s0
	s_wait_storecnt 0x0
	s_barrier_signal -1
	s_barrier_wait -1
	scratch_load_b64 v[58:59], off, off offset:200
	;; [unrolled: 40-line block ×3, first 2 shown]
	s_mov_b32 s0, exec_lo
	s_wait_loadcnt 0x0
	ds_store_b64 v1, v[58:59]
	s_wait_dscnt 0x0
	s_barrier_signal -1
	s_barrier_wait -1
	v_cmpx_ne_u32_e32 26, v0
	s_cbranch_execz .LBB26_115
; %bb.112:
	v_mov_b64_e32 v[58:59], 0
	s_mov_b32 s1, 0
.LBB26_113:                             ; =>This Inner Loop Header: Depth=1
	scratch_load_b64 v[60:61], v2, off
	ds_load_b64 v[62:63], v1
	v_dual_add_nc_u32 v3, 1, v3 :: v_dual_add_nc_u32 v1, 8, v1
	s_wait_xcnt 0x0
	v_add_nc_u32_e32 v2, 8, v2
	s_delay_alu instid0(VALU_DEP_2)
	v_cmp_lt_u32_e32 vcc_lo, 24, v3
	s_or_b32 s1, vcc_lo, s1
	s_wait_loadcnt_dscnt 0x0
	v_fmac_f64_e32 v[58:59], v[60:61], v[62:63]
	s_and_not1_b32 exec_lo, exec_lo, s1
	s_cbranch_execnz .LBB26_113
; %bb.114:
	s_or_b32 exec_lo, exec_lo, s1
	v_mov_b32_e32 v1, 0
	ds_load_b64 v[2:3], v1 offset:208
	s_wait_dscnt 0x0
	v_mul_f64_e32 v[2:3], v[58:59], v[2:3]
	scratch_store_b64 off, v[2:3], off offset:208
.LBB26_115:
	s_wait_xcnt 0x0
	s_or_b32 exec_lo, exec_lo, s0
	s_mov_b32 s1, -1
	s_wait_storecnt 0x0
	s_barrier_signal -1
	s_barrier_wait -1
.LBB26_116:
	s_and_b32 vcc_lo, exec_lo, s1
	s_cbranch_vccz .LBB26_118
; %bb.117:
	v_mov_b32_e32 v1, 0
	s_lshl_b64 s[0:1], s[16:17], 2
	s_delay_alu instid0(SALU_CYCLE_1)
	s_add_nc_u64 s[0:1], s[6:7], s[0:1]
	global_load_b32 v1, v1, s[0:1]
	s_wait_loadcnt 0x0
	v_cmp_ne_u32_e32 vcc_lo, 0, v1
	s_cbranch_vccz .LBB26_119
.LBB26_118:
	s_sendmsg sendmsg(MSG_DEALLOC_VGPRS)
	s_endpgm
.LBB26_119:
	s_wait_xcnt 0x0
	v_lshl_add_u32 v1, v0, 3, 0xe0
	s_mov_b32 s0, exec_lo
	v_cmpx_eq_u32_e32 26, v0
	s_cbranch_execz .LBB26_121
; %bb.120:
	scratch_load_b64 v[2:3], off, off offset:200
	v_mov_b64_e32 v[58:59], 0
	scratch_store_b64 off, v[58:59], off offset:200
	s_wait_loadcnt 0x0
	ds_store_b64 v1, v[2:3]
.LBB26_121:
	s_wait_xcnt 0x0
	s_or_b32 exec_lo, exec_lo, s0
	s_wait_storecnt_dscnt 0x0
	s_barrier_signal -1
	s_barrier_wait -1
	scratch_load_b128 v[58:61], off, off offset:200
	v_mov_b32_e32 v2, 0
	s_mov_b32 s0, exec_lo
	ds_load_b64 v[62:63], v2 offset:432
	s_wait_loadcnt_dscnt 0x0
	v_fma_f64 v[60:61], v[60:61], v[62:63], 0
	s_delay_alu instid0(VALU_DEP_1)
	v_add_f64_e64 v[58:59], v[58:59], -v[60:61]
	scratch_store_b64 off, v[58:59], off offset:200
	s_wait_xcnt 0x0
	v_cmpx_lt_u32_e32 24, v0
	s_cbranch_execz .LBB26_123
; %bb.122:
	scratch_load_b64 v[58:59], off, off offset:192
	v_mov_b64_e32 v[60:61], 0
	scratch_store_b64 off, v[60:61], off offset:192
	s_wait_loadcnt 0x0
	ds_store_b64 v1, v[58:59]
.LBB26_123:
	s_wait_xcnt 0x0
	s_or_b32 exec_lo, exec_lo, s0
	s_wait_storecnt_dscnt 0x0
	s_barrier_signal -1
	s_barrier_wait -1
	s_clause 0x1
	scratch_load_b128 v[58:61], off, off offset:192
	scratch_load_b64 v[66:67], off, off offset:208
	ds_load_2addr_b64 v[62:65], v2 offset0:53 offset1:54
	s_mov_b32 s0, exec_lo
	s_wait_loadcnt_dscnt 0x100
	v_fma_f64 v[2:3], v[60:61], v[62:63], 0
	s_wait_loadcnt 0x0
	s_delay_alu instid0(VALU_DEP_1) | instskip(NEXT) | instid1(VALU_DEP_1)
	v_fmac_f64_e32 v[2:3], v[66:67], v[64:65]
	v_add_f64_e64 v[2:3], v[58:59], -v[2:3]
	scratch_store_b64 off, v[2:3], off offset:192
	s_wait_xcnt 0x0
	v_cmpx_lt_u32_e32 23, v0
	s_cbranch_execz .LBB26_125
; %bb.124:
	scratch_load_b64 v[2:3], off, off offset:184
	v_mov_b64_e32 v[58:59], 0
	scratch_store_b64 off, v[58:59], off offset:184
	s_wait_loadcnt 0x0
	ds_store_b64 v1, v[2:3]
.LBB26_125:
	s_wait_xcnt 0x0
	s_or_b32 exec_lo, exec_lo, s0
	s_wait_storecnt_dscnt 0x0
	s_barrier_signal -1
	s_barrier_wait -1
	s_clause 0x1
	scratch_load_b128 v[58:61], off, off offset:184
	scratch_load_b128 v[62:65], off, off offset:200
	v_mov_b32_e32 v2, 0
	ds_load_b128 v[66:69], v2 offset:416
	ds_load_b64 v[70:71], v2 offset:432
	s_mov_b32 s0, exec_lo
	s_wait_loadcnt_dscnt 0x101
	v_fma_f64 v[60:61], v[60:61], v[66:67], 0
	s_wait_loadcnt 0x0
	s_delay_alu instid0(VALU_DEP_1) | instskip(SKIP_1) | instid1(VALU_DEP_1)
	v_fmac_f64_e32 v[60:61], v[62:63], v[68:69]
	s_wait_dscnt 0x0
	v_fmac_f64_e32 v[60:61], v[64:65], v[70:71]
	s_delay_alu instid0(VALU_DEP_1)
	v_add_f64_e64 v[58:59], v[58:59], -v[60:61]
	scratch_store_b64 off, v[58:59], off offset:184
	s_wait_xcnt 0x0
	v_cmpx_lt_u32_e32 22, v0
	s_cbranch_execz .LBB26_127
; %bb.126:
	scratch_load_b64 v[58:59], off, off offset:176
	v_mov_b64_e32 v[60:61], 0
	scratch_store_b64 off, v[60:61], off offset:176
	s_wait_loadcnt 0x0
	ds_store_b64 v1, v[58:59]
.LBB26_127:
	s_wait_xcnt 0x0
	s_or_b32 exec_lo, exec_lo, s0
	s_wait_storecnt_dscnt 0x0
	s_barrier_signal -1
	s_barrier_wait -1
	s_clause 0x2
	scratch_load_b128 v[58:61], off, off offset:176
	scratch_load_b128 v[62:65], off, off offset:192
	scratch_load_b64 v[74:75], off, off offset:208
	ds_load_2addr_b64 v[66:69], v2 offset0:51 offset1:52
	ds_load_2addr_b64 v[70:73], v2 offset0:53 offset1:54
	s_mov_b32 s0, exec_lo
	s_wait_loadcnt_dscnt 0x201
	v_fma_f64 v[2:3], v[60:61], v[66:67], 0
	s_wait_loadcnt 0x1
	s_delay_alu instid0(VALU_DEP_1) | instskip(SKIP_1) | instid1(VALU_DEP_1)
	v_fmac_f64_e32 v[2:3], v[62:63], v[68:69]
	s_wait_dscnt 0x0
	v_fmac_f64_e32 v[2:3], v[64:65], v[70:71]
	s_wait_loadcnt 0x0
	s_delay_alu instid0(VALU_DEP_1) | instskip(NEXT) | instid1(VALU_DEP_1)
	v_fmac_f64_e32 v[2:3], v[74:75], v[72:73]
	v_add_f64_e64 v[2:3], v[58:59], -v[2:3]
	scratch_store_b64 off, v[2:3], off offset:176
	s_wait_xcnt 0x0
	v_cmpx_lt_u32_e32 21, v0
	s_cbranch_execz .LBB26_129
; %bb.128:
	scratch_load_b64 v[2:3], off, off offset:168
	v_mov_b64_e32 v[58:59], 0
	scratch_store_b64 off, v[58:59], off offset:168
	s_wait_loadcnt 0x0
	ds_store_b64 v1, v[2:3]
.LBB26_129:
	s_wait_xcnt 0x0
	s_or_b32 exec_lo, exec_lo, s0
	s_wait_storecnt_dscnt 0x0
	s_barrier_signal -1
	s_barrier_wait -1
	s_clause 0x2
	scratch_load_b128 v[58:61], off, off offset:168
	scratch_load_b128 v[62:65], off, off offset:184
	scratch_load_b128 v[66:69], off, off offset:200
	v_mov_b32_e32 v2, 0
	ds_load_b128 v[70:73], v2 offset:400
	ds_load_b128 v[74:77], v2 offset:416
	s_mov_b32 s0, exec_lo
	s_wait_loadcnt_dscnt 0x201
	v_fma_f64 v[60:61], v[60:61], v[70:71], 0
	s_wait_loadcnt 0x1
	s_delay_alu instid0(VALU_DEP_1) | instskip(SKIP_4) | instid1(VALU_DEP_1)
	v_fmac_f64_e32 v[60:61], v[62:63], v[72:73]
	ds_load_b64 v[62:63], v2 offset:432
	s_wait_dscnt 0x1
	v_fmac_f64_e32 v[60:61], v[64:65], v[74:75]
	s_wait_loadcnt 0x0
	v_fmac_f64_e32 v[60:61], v[66:67], v[76:77]
	s_wait_dscnt 0x0
	s_delay_alu instid0(VALU_DEP_1) | instskip(NEXT) | instid1(VALU_DEP_1)
	v_fmac_f64_e32 v[60:61], v[68:69], v[62:63]
	v_add_f64_e64 v[58:59], v[58:59], -v[60:61]
	scratch_store_b64 off, v[58:59], off offset:168
	s_wait_xcnt 0x0
	v_cmpx_lt_u32_e32 20, v0
	s_cbranch_execz .LBB26_131
; %bb.130:
	scratch_load_b64 v[58:59], off, off offset:160
	v_mov_b64_e32 v[60:61], 0
	scratch_store_b64 off, v[60:61], off offset:160
	s_wait_loadcnt 0x0
	ds_store_b64 v1, v[58:59]
.LBB26_131:
	s_wait_xcnt 0x0
	s_or_b32 exec_lo, exec_lo, s0
	s_wait_storecnt_dscnt 0x0
	s_barrier_signal -1
	s_barrier_wait -1
	s_clause 0x3
	scratch_load_b128 v[58:61], off, off offset:160
	scratch_load_b128 v[62:65], off, off offset:176
	;; [unrolled: 1-line block ×3, first 2 shown]
	scratch_load_b64 v[78:79], off, off offset:208
	ds_load_2addr_b64 v[70:73], v2 offset0:49 offset1:50
	ds_load_2addr_b64 v[74:77], v2 offset0:51 offset1:52
	s_mov_b32 s0, exec_lo
	s_wait_loadcnt_dscnt 0x301
	v_fma_f64 v[70:71], v[60:61], v[70:71], 0
	s_wait_loadcnt 0x2
	s_delay_alu instid0(VALU_DEP_1) | instskip(SKIP_4) | instid1(VALU_DEP_1)
	v_fmac_f64_e32 v[70:71], v[62:63], v[72:73]
	ds_load_2addr_b64 v[60:63], v2 offset0:53 offset1:54
	s_wait_dscnt 0x1
	v_fmac_f64_e32 v[70:71], v[64:65], v[74:75]
	s_wait_loadcnt 0x1
	v_fmac_f64_e32 v[70:71], v[66:67], v[76:77]
	s_wait_dscnt 0x0
	s_delay_alu instid0(VALU_DEP_1) | instskip(SKIP_1) | instid1(VALU_DEP_1)
	v_fmac_f64_e32 v[70:71], v[68:69], v[60:61]
	s_wait_loadcnt 0x0
	v_fmac_f64_e32 v[70:71], v[78:79], v[62:63]
	s_delay_alu instid0(VALU_DEP_1)
	v_add_f64_e64 v[2:3], v[58:59], -v[70:71]
	scratch_store_b64 off, v[2:3], off offset:160
	s_wait_xcnt 0x0
	v_cmpx_lt_u32_e32 19, v0
	s_cbranch_execz .LBB26_133
; %bb.132:
	scratch_load_b64 v[2:3], off, off offset:152
	v_mov_b64_e32 v[58:59], 0
	scratch_store_b64 off, v[58:59], off offset:152
	s_wait_loadcnt 0x0
	ds_store_b64 v1, v[2:3]
.LBB26_133:
	s_wait_xcnt 0x0
	s_or_b32 exec_lo, exec_lo, s0
	s_wait_storecnt_dscnt 0x0
	s_barrier_signal -1
	s_barrier_wait -1
	s_clause 0x3
	scratch_load_b128 v[58:61], off, off offset:152
	scratch_load_b128 v[62:65], off, off offset:168
	;; [unrolled: 1-line block ×4, first 2 shown]
	v_mov_b32_e32 v2, 0
	ds_load_b128 v[74:77], v2 offset:384
	ds_load_b128 v[78:81], v2 offset:400
	s_mov_b32 s0, exec_lo
	s_wait_loadcnt_dscnt 0x301
	v_fma_f64 v[74:75], v[60:61], v[74:75], 0
	s_wait_loadcnt 0x2
	s_delay_alu instid0(VALU_DEP_1) | instskip(SKIP_1) | instid1(VALU_DEP_1)
	v_fmac_f64_e32 v[74:75], v[62:63], v[76:77]
	s_wait_dscnt 0x0
	v_fmac_f64_e32 v[74:75], v[64:65], v[78:79]
	ds_load_b128 v[60:63], v2 offset:416
	ds_load_b64 v[64:65], v2 offset:432
	s_wait_loadcnt 0x1
	v_fmac_f64_e32 v[74:75], v[66:67], v[80:81]
	s_wait_dscnt 0x1
	s_delay_alu instid0(VALU_DEP_1) | instskip(SKIP_1) | instid1(VALU_DEP_1)
	v_fmac_f64_e32 v[74:75], v[68:69], v[60:61]
	s_wait_loadcnt 0x0
	v_fmac_f64_e32 v[74:75], v[70:71], v[62:63]
	s_wait_dscnt 0x0
	s_delay_alu instid0(VALU_DEP_1) | instskip(NEXT) | instid1(VALU_DEP_1)
	v_fmac_f64_e32 v[74:75], v[72:73], v[64:65]
	v_add_f64_e64 v[58:59], v[58:59], -v[74:75]
	scratch_store_b64 off, v[58:59], off offset:152
	s_wait_xcnt 0x0
	v_cmpx_lt_u32_e32 18, v0
	s_cbranch_execz .LBB26_135
; %bb.134:
	scratch_load_b64 v[58:59], off, off offset:144
	v_mov_b64_e32 v[60:61], 0
	scratch_store_b64 off, v[60:61], off offset:144
	s_wait_loadcnt 0x0
	ds_store_b64 v1, v[58:59]
.LBB26_135:
	s_wait_xcnt 0x0
	s_or_b32 exec_lo, exec_lo, s0
	s_wait_storecnt_dscnt 0x0
	s_barrier_signal -1
	s_barrier_wait -1
	s_clause 0x4
	scratch_load_b128 v[58:61], off, off offset:144
	scratch_load_b128 v[62:65], off, off offset:160
	;; [unrolled: 1-line block ×4, first 2 shown]
	scratch_load_b64 v[82:83], off, off offset:208
	ds_load_2addr_b64 v[74:77], v2 offset0:47 offset1:48
	ds_load_2addr_b64 v[78:81], v2 offset0:49 offset1:50
	s_mov_b32 s0, exec_lo
	s_wait_loadcnt_dscnt 0x401
	v_fma_f64 v[74:75], v[60:61], v[74:75], 0
	s_wait_loadcnt 0x3
	s_delay_alu instid0(VALU_DEP_1) | instskip(SKIP_1) | instid1(VALU_DEP_1)
	v_fmac_f64_e32 v[74:75], v[62:63], v[76:77]
	s_wait_dscnt 0x0
	v_fmac_f64_e32 v[74:75], v[64:65], v[78:79]
	s_wait_loadcnt 0x2
	s_delay_alu instid0(VALU_DEP_1)
	v_fmac_f64_e32 v[74:75], v[66:67], v[80:81]
	ds_load_2addr_b64 v[60:63], v2 offset0:51 offset1:52
	ds_load_2addr_b64 v[64:67], v2 offset0:53 offset1:54
	s_wait_dscnt 0x1
	v_fmac_f64_e32 v[74:75], v[68:69], v[60:61]
	s_wait_loadcnt 0x1
	s_delay_alu instid0(VALU_DEP_1) | instskip(SKIP_1) | instid1(VALU_DEP_1)
	v_fmac_f64_e32 v[74:75], v[70:71], v[62:63]
	s_wait_dscnt 0x0
	v_fmac_f64_e32 v[74:75], v[72:73], v[64:65]
	s_wait_loadcnt 0x0
	s_delay_alu instid0(VALU_DEP_1) | instskip(NEXT) | instid1(VALU_DEP_1)
	v_fmac_f64_e32 v[74:75], v[82:83], v[66:67]
	v_add_f64_e64 v[2:3], v[58:59], -v[74:75]
	scratch_store_b64 off, v[2:3], off offset:144
	s_wait_xcnt 0x0
	v_cmpx_lt_u32_e32 17, v0
	s_cbranch_execz .LBB26_137
; %bb.136:
	scratch_load_b64 v[2:3], off, off offset:136
	v_mov_b64_e32 v[58:59], 0
	scratch_store_b64 off, v[58:59], off offset:136
	s_wait_loadcnt 0x0
	ds_store_b64 v1, v[2:3]
.LBB26_137:
	s_wait_xcnt 0x0
	s_or_b32 exec_lo, exec_lo, s0
	s_wait_storecnt_dscnt 0x0
	s_barrier_signal -1
	s_barrier_wait -1
	s_clause 0x4
	scratch_load_b128 v[58:61], off, off offset:136
	scratch_load_b128 v[62:65], off, off offset:152
	;; [unrolled: 1-line block ×5, first 2 shown]
	v_mov_b32_e32 v2, 0
	ds_load_b128 v[78:81], v2 offset:368
	ds_load_b128 v[82:85], v2 offset:384
	s_mov_b32 s0, exec_lo
	s_wait_loadcnt_dscnt 0x401
	v_fma_f64 v[78:79], v[60:61], v[78:79], 0
	s_wait_loadcnt 0x3
	s_delay_alu instid0(VALU_DEP_1) | instskip(SKIP_1) | instid1(VALU_DEP_1)
	v_fmac_f64_e32 v[78:79], v[62:63], v[80:81]
	s_wait_dscnt 0x0
	v_fmac_f64_e32 v[78:79], v[64:65], v[82:83]
	s_wait_loadcnt 0x2
	s_delay_alu instid0(VALU_DEP_1)
	v_fmac_f64_e32 v[78:79], v[66:67], v[84:85]
	ds_load_b128 v[60:63], v2 offset:400
	ds_load_b128 v[64:67], v2 offset:416
	s_wait_dscnt 0x1
	v_fmac_f64_e32 v[78:79], v[68:69], v[60:61]
	ds_load_b64 v[60:61], v2 offset:432
	s_wait_loadcnt 0x1
	v_fmac_f64_e32 v[78:79], v[70:71], v[62:63]
	s_wait_dscnt 0x1
	s_delay_alu instid0(VALU_DEP_1) | instskip(SKIP_1) | instid1(VALU_DEP_1)
	v_fmac_f64_e32 v[78:79], v[72:73], v[64:65]
	s_wait_loadcnt 0x0
	v_fmac_f64_e32 v[78:79], v[74:75], v[66:67]
	s_wait_dscnt 0x0
	s_delay_alu instid0(VALU_DEP_1) | instskip(NEXT) | instid1(VALU_DEP_1)
	v_fmac_f64_e32 v[78:79], v[76:77], v[60:61]
	v_add_f64_e64 v[58:59], v[58:59], -v[78:79]
	scratch_store_b64 off, v[58:59], off offset:136
	s_wait_xcnt 0x0
	v_cmpx_lt_u32_e32 16, v0
	s_cbranch_execz .LBB26_139
; %bb.138:
	scratch_load_b64 v[58:59], off, off offset:128
	v_mov_b64_e32 v[60:61], 0
	scratch_store_b64 off, v[60:61], off offset:128
	s_wait_loadcnt 0x0
	ds_store_b64 v1, v[58:59]
.LBB26_139:
	s_wait_xcnt 0x0
	s_or_b32 exec_lo, exec_lo, s0
	s_wait_storecnt_dscnt 0x0
	s_barrier_signal -1
	s_barrier_wait -1
	s_clause 0x5
	scratch_load_b128 v[58:61], off, off offset:128
	scratch_load_b128 v[62:65], off, off offset:144
	;; [unrolled: 1-line block ×5, first 2 shown]
	scratch_load_b64 v[86:87], off, off offset:208
	ds_load_2addr_b64 v[78:81], v2 offset0:45 offset1:46
	ds_load_2addr_b64 v[82:85], v2 offset0:47 offset1:48
	s_mov_b32 s0, exec_lo
	s_wait_loadcnt_dscnt 0x501
	v_fma_f64 v[78:79], v[60:61], v[78:79], 0
	s_wait_loadcnt 0x4
	s_delay_alu instid0(VALU_DEP_1) | instskip(SKIP_1) | instid1(VALU_DEP_1)
	v_fmac_f64_e32 v[78:79], v[62:63], v[80:81]
	s_wait_dscnt 0x0
	v_fmac_f64_e32 v[78:79], v[64:65], v[82:83]
	s_wait_loadcnt 0x3
	s_delay_alu instid0(VALU_DEP_1)
	v_fmac_f64_e32 v[78:79], v[66:67], v[84:85]
	ds_load_2addr_b64 v[60:63], v2 offset0:49 offset1:50
	ds_load_2addr_b64 v[64:67], v2 offset0:51 offset1:52
	s_wait_dscnt 0x1
	v_fmac_f64_e32 v[78:79], v[68:69], v[60:61]
	s_wait_loadcnt 0x2
	s_delay_alu instid0(VALU_DEP_1) | instskip(SKIP_4) | instid1(VALU_DEP_1)
	v_fmac_f64_e32 v[78:79], v[70:71], v[62:63]
	ds_load_2addr_b64 v[60:63], v2 offset0:53 offset1:54
	s_wait_dscnt 0x1
	v_fmac_f64_e32 v[78:79], v[72:73], v[64:65]
	s_wait_loadcnt 0x1
	v_fmac_f64_e32 v[78:79], v[74:75], v[66:67]
	s_wait_dscnt 0x0
	s_delay_alu instid0(VALU_DEP_1) | instskip(SKIP_1) | instid1(VALU_DEP_1)
	v_fmac_f64_e32 v[78:79], v[76:77], v[60:61]
	s_wait_loadcnt 0x0
	v_fmac_f64_e32 v[78:79], v[86:87], v[62:63]
	s_delay_alu instid0(VALU_DEP_1)
	v_add_f64_e64 v[2:3], v[58:59], -v[78:79]
	scratch_store_b64 off, v[2:3], off offset:128
	s_wait_xcnt 0x0
	v_cmpx_lt_u32_e32 15, v0
	s_cbranch_execz .LBB26_141
; %bb.140:
	scratch_load_b64 v[2:3], off, off offset:120
	v_mov_b64_e32 v[58:59], 0
	scratch_store_b64 off, v[58:59], off offset:120
	s_wait_loadcnt 0x0
	ds_store_b64 v1, v[2:3]
.LBB26_141:
	s_wait_xcnt 0x0
	s_or_b32 exec_lo, exec_lo, s0
	s_wait_storecnt_dscnt 0x0
	s_barrier_signal -1
	s_barrier_wait -1
	s_clause 0x5
	scratch_load_b128 v[58:61], off, off offset:120
	scratch_load_b128 v[62:65], off, off offset:136
	;; [unrolled: 1-line block ×6, first 2 shown]
	v_mov_b32_e32 v2, 0
	ds_load_b128 v[82:85], v2 offset:352
	ds_load_b128 v[86:89], v2 offset:368
	s_mov_b32 s0, exec_lo
	s_wait_loadcnt_dscnt 0x501
	v_fma_f64 v[82:83], v[60:61], v[82:83], 0
	s_wait_loadcnt 0x4
	s_delay_alu instid0(VALU_DEP_1) | instskip(SKIP_1) | instid1(VALU_DEP_1)
	v_fmac_f64_e32 v[82:83], v[62:63], v[84:85]
	s_wait_dscnt 0x0
	v_fmac_f64_e32 v[82:83], v[64:65], v[86:87]
	s_wait_loadcnt 0x3
	s_delay_alu instid0(VALU_DEP_1)
	v_fmac_f64_e32 v[82:83], v[66:67], v[88:89]
	ds_load_b128 v[60:63], v2 offset:384
	ds_load_b128 v[64:67], v2 offset:400
	s_wait_dscnt 0x1
	v_fmac_f64_e32 v[82:83], v[68:69], v[60:61]
	s_wait_loadcnt 0x2
	s_delay_alu instid0(VALU_DEP_1) | instskip(SKIP_1) | instid1(VALU_DEP_1)
	v_fmac_f64_e32 v[82:83], v[70:71], v[62:63]
	s_wait_dscnt 0x0
	v_fmac_f64_e32 v[82:83], v[72:73], v[64:65]
	ds_load_b128 v[60:63], v2 offset:416
	ds_load_b64 v[64:65], v2 offset:432
	s_wait_loadcnt 0x1
	v_fmac_f64_e32 v[82:83], v[74:75], v[66:67]
	s_wait_dscnt 0x1
	s_delay_alu instid0(VALU_DEP_1) | instskip(SKIP_1) | instid1(VALU_DEP_1)
	v_fmac_f64_e32 v[82:83], v[76:77], v[60:61]
	s_wait_loadcnt 0x0
	v_fmac_f64_e32 v[82:83], v[78:79], v[62:63]
	s_wait_dscnt 0x0
	s_delay_alu instid0(VALU_DEP_1) | instskip(NEXT) | instid1(VALU_DEP_1)
	v_fmac_f64_e32 v[82:83], v[80:81], v[64:65]
	v_add_f64_e64 v[58:59], v[58:59], -v[82:83]
	scratch_store_b64 off, v[58:59], off offset:120
	s_wait_xcnt 0x0
	v_cmpx_lt_u32_e32 14, v0
	s_cbranch_execz .LBB26_143
; %bb.142:
	scratch_load_b64 v[58:59], off, off offset:112
	v_mov_b64_e32 v[60:61], 0
	scratch_store_b64 off, v[60:61], off offset:112
	s_wait_loadcnt 0x0
	ds_store_b64 v1, v[58:59]
.LBB26_143:
	s_wait_xcnt 0x0
	s_or_b32 exec_lo, exec_lo, s0
	s_wait_storecnt_dscnt 0x0
	s_barrier_signal -1
	s_barrier_wait -1
	s_clause 0x5
	scratch_load_b128 v[58:61], off, off offset:112
	scratch_load_b128 v[62:65], off, off offset:128
	;; [unrolled: 1-line block ×6, first 2 shown]
	ds_load_2addr_b64 v[82:85], v2 offset0:43 offset1:44
	ds_load_2addr_b64 v[86:89], v2 offset0:45 offset1:46
	s_mov_b32 s0, exec_lo
	s_wait_loadcnt_dscnt 0x501
	v_fma_f64 v[82:83], v[60:61], v[82:83], 0
	s_wait_loadcnt 0x4
	s_delay_alu instid0(VALU_DEP_1) | instskip(SKIP_4) | instid1(VALU_DEP_1)
	v_fmac_f64_e32 v[82:83], v[62:63], v[84:85]
	scratch_load_b64 v[84:85], off, off offset:208
	s_wait_dscnt 0x0
	v_fmac_f64_e32 v[82:83], v[64:65], v[86:87]
	s_wait_loadcnt 0x4
	v_fmac_f64_e32 v[82:83], v[66:67], v[88:89]
	ds_load_2addr_b64 v[60:63], v2 offset0:47 offset1:48
	ds_load_2addr_b64 v[64:67], v2 offset0:49 offset1:50
	s_wait_dscnt 0x1
	v_fmac_f64_e32 v[82:83], v[68:69], v[60:61]
	s_wait_loadcnt 0x3
	s_delay_alu instid0(VALU_DEP_1) | instskip(SKIP_1) | instid1(VALU_DEP_1)
	v_fmac_f64_e32 v[82:83], v[70:71], v[62:63]
	s_wait_dscnt 0x0
	v_fmac_f64_e32 v[82:83], v[72:73], v[64:65]
	s_wait_loadcnt 0x2
	s_delay_alu instid0(VALU_DEP_1)
	v_fmac_f64_e32 v[82:83], v[74:75], v[66:67]
	ds_load_2addr_b64 v[60:63], v2 offset0:51 offset1:52
	ds_load_2addr_b64 v[64:67], v2 offset0:53 offset1:54
	s_wait_dscnt 0x1
	v_fmac_f64_e32 v[82:83], v[76:77], v[60:61]
	s_wait_loadcnt 0x1
	s_delay_alu instid0(VALU_DEP_1) | instskip(SKIP_1) | instid1(VALU_DEP_1)
	v_fmac_f64_e32 v[82:83], v[78:79], v[62:63]
	s_wait_dscnt 0x0
	v_fmac_f64_e32 v[82:83], v[80:81], v[64:65]
	s_wait_loadcnt 0x0
	s_delay_alu instid0(VALU_DEP_1) | instskip(NEXT) | instid1(VALU_DEP_1)
	v_fmac_f64_e32 v[82:83], v[84:85], v[66:67]
	v_add_f64_e64 v[2:3], v[58:59], -v[82:83]
	scratch_store_b64 off, v[2:3], off offset:112
	s_wait_xcnt 0x0
	v_cmpx_lt_u32_e32 13, v0
	s_cbranch_execz .LBB26_145
; %bb.144:
	scratch_load_b64 v[2:3], off, off offset:104
	v_mov_b64_e32 v[58:59], 0
	scratch_store_b64 off, v[58:59], off offset:104
	s_wait_loadcnt 0x0
	ds_store_b64 v1, v[2:3]
.LBB26_145:
	s_wait_xcnt 0x0
	s_or_b32 exec_lo, exec_lo, s0
	s_wait_storecnt_dscnt 0x0
	s_barrier_signal -1
	s_barrier_wait -1
	s_clause 0x5
	scratch_load_b128 v[58:61], off, off offset:104
	scratch_load_b128 v[62:65], off, off offset:120
	;; [unrolled: 1-line block ×6, first 2 shown]
	v_mov_b32_e32 v2, 0
	ds_load_b128 v[82:85], v2 offset:336
	ds_load_b128 v[86:89], v2 offset:352
	s_mov_b32 s0, exec_lo
	s_wait_loadcnt_dscnt 0x501
	v_fma_f64 v[90:91], v[60:61], v[82:83], 0
	s_wait_loadcnt 0x4
	s_delay_alu instid0(VALU_DEP_1) | instskip(SKIP_4) | instid1(VALU_DEP_1)
	v_fmac_f64_e32 v[90:91], v[62:63], v[84:85]
	scratch_load_b128 v[60:63], off, off offset:200
	s_wait_dscnt 0x0
	v_fmac_f64_e32 v[90:91], v[64:65], v[86:87]
	s_wait_loadcnt 0x4
	v_fmac_f64_e32 v[90:91], v[66:67], v[88:89]
	ds_load_b128 v[64:67], v2 offset:368
	ds_load_b128 v[82:85], v2 offset:384
	s_wait_dscnt 0x1
	v_fmac_f64_e32 v[90:91], v[68:69], v[64:65]
	s_wait_loadcnt 0x3
	s_delay_alu instid0(VALU_DEP_1)
	v_fmac_f64_e32 v[90:91], v[70:71], v[66:67]
	ds_load_b128 v[64:67], v2 offset:400
	ds_load_b128 v[68:71], v2 offset:416
	s_wait_dscnt 0x2
	v_fmac_f64_e32 v[90:91], v[72:73], v[82:83]
	s_wait_loadcnt 0x2
	s_delay_alu instid0(VALU_DEP_1) | instskip(SKIP_1) | instid1(VALU_DEP_1)
	v_fmac_f64_e32 v[90:91], v[74:75], v[84:85]
	s_wait_dscnt 0x1
	v_fmac_f64_e32 v[90:91], v[76:77], v[64:65]
	s_wait_loadcnt 0x1
	s_delay_alu instid0(VALU_DEP_1) | instskip(SKIP_1) | instid1(VALU_DEP_1)
	v_fmac_f64_e32 v[90:91], v[78:79], v[66:67]
	s_wait_dscnt 0x0
	v_fmac_f64_e32 v[90:91], v[80:81], v[68:69]
	s_wait_loadcnt 0x0
	s_delay_alu instid0(VALU_DEP_1) | instskip(SKIP_3) | instid1(VALU_DEP_1)
	v_fmac_f64_e32 v[90:91], v[60:61], v[70:71]
	ds_load_b64 v[60:61], v2 offset:432
	s_wait_dscnt 0x0
	v_fmac_f64_e32 v[90:91], v[62:63], v[60:61]
	v_add_f64_e64 v[58:59], v[58:59], -v[90:91]
	scratch_store_b64 off, v[58:59], off offset:104
	s_wait_xcnt 0x0
	v_cmpx_lt_u32_e32 12, v0
	s_cbranch_execz .LBB26_147
; %bb.146:
	scratch_load_b64 v[58:59], off, off offset:96
	v_mov_b64_e32 v[60:61], 0
	scratch_store_b64 off, v[60:61], off offset:96
	s_wait_loadcnt 0x0
	ds_store_b64 v1, v[58:59]
.LBB26_147:
	s_wait_xcnt 0x0
	s_or_b32 exec_lo, exec_lo, s0
	s_wait_storecnt_dscnt 0x0
	s_barrier_signal -1
	s_barrier_wait -1
	s_clause 0x5
	scratch_load_b128 v[58:61], off, off offset:96
	scratch_load_b128 v[62:65], off, off offset:112
	;; [unrolled: 1-line block ×6, first 2 shown]
	ds_load_2addr_b64 v[82:85], v2 offset0:41 offset1:42
	ds_load_2addr_b64 v[86:89], v2 offset0:43 offset1:44
	s_mov_b32 s0, exec_lo
	s_wait_loadcnt_dscnt 0x501
	v_fma_f64 v[90:91], v[60:61], v[82:83], 0
	s_wait_loadcnt 0x4
	s_delay_alu instid0(VALU_DEP_1)
	v_fmac_f64_e32 v[90:91], v[62:63], v[84:85]
	scratch_load_b128 v[60:63], off, off offset:192
	s_wait_dscnt 0x0
	v_fmac_f64_e32 v[90:91], v[64:65], v[86:87]
	scratch_load_b64 v[86:87], off, off offset:208
	s_wait_loadcnt 0x5
	v_fmac_f64_e32 v[90:91], v[66:67], v[88:89]
	ds_load_2addr_b64 v[64:67], v2 offset0:45 offset1:46
	ds_load_2addr_b64 v[82:85], v2 offset0:47 offset1:48
	s_wait_dscnt 0x1
	v_fmac_f64_e32 v[90:91], v[68:69], v[64:65]
	s_wait_loadcnt 0x4
	s_delay_alu instid0(VALU_DEP_1)
	v_fmac_f64_e32 v[90:91], v[70:71], v[66:67]
	ds_load_2addr_b64 v[64:67], v2 offset0:49 offset1:50
	ds_load_2addr_b64 v[68:71], v2 offset0:51 offset1:52
	s_wait_dscnt 0x2
	v_fmac_f64_e32 v[90:91], v[72:73], v[82:83]
	s_wait_loadcnt 0x3
	s_delay_alu instid0(VALU_DEP_1) | instskip(SKIP_1) | instid1(VALU_DEP_1)
	v_fmac_f64_e32 v[90:91], v[74:75], v[84:85]
	s_wait_dscnt 0x1
	v_fmac_f64_e32 v[90:91], v[76:77], v[64:65]
	s_wait_loadcnt 0x2
	s_delay_alu instid0(VALU_DEP_1) | instskip(SKIP_4) | instid1(VALU_DEP_1)
	v_fmac_f64_e32 v[90:91], v[78:79], v[66:67]
	ds_load_2addr_b64 v[64:67], v2 offset0:53 offset1:54
	s_wait_dscnt 0x1
	v_fmac_f64_e32 v[90:91], v[80:81], v[68:69]
	s_wait_loadcnt 0x1
	v_fmac_f64_e32 v[90:91], v[60:61], v[70:71]
	s_wait_dscnt 0x0
	s_delay_alu instid0(VALU_DEP_1) | instskip(SKIP_1) | instid1(VALU_DEP_1)
	v_fmac_f64_e32 v[90:91], v[62:63], v[64:65]
	s_wait_loadcnt 0x0
	v_fmac_f64_e32 v[90:91], v[86:87], v[66:67]
	s_delay_alu instid0(VALU_DEP_1)
	v_add_f64_e64 v[2:3], v[58:59], -v[90:91]
	scratch_store_b64 off, v[2:3], off offset:96
	s_wait_xcnt 0x0
	v_cmpx_lt_u32_e32 11, v0
	s_cbranch_execz .LBB26_149
; %bb.148:
	scratch_load_b64 v[2:3], off, off offset:88
	v_mov_b64_e32 v[58:59], 0
	scratch_store_b64 off, v[58:59], off offset:88
	s_wait_loadcnt 0x0
	ds_store_b64 v1, v[2:3]
.LBB26_149:
	s_wait_xcnt 0x0
	s_or_b32 exec_lo, exec_lo, s0
	s_wait_storecnt_dscnt 0x0
	s_barrier_signal -1
	s_barrier_wait -1
	s_clause 0x5
	scratch_load_b128 v[58:61], off, off offset:88
	scratch_load_b128 v[62:65], off, off offset:104
	;; [unrolled: 1-line block ×6, first 2 shown]
	v_mov_b32_e32 v2, 0
	ds_load_b128 v[82:85], v2 offset:320
	ds_load_b128 v[86:89], v2 offset:336
	s_mov_b32 s0, exec_lo
	s_wait_loadcnt_dscnt 0x501
	v_fma_f64 v[90:91], v[60:61], v[82:83], 0
	s_wait_loadcnt 0x4
	s_delay_alu instid0(VALU_DEP_1) | instskip(SKIP_4) | instid1(VALU_DEP_1)
	v_fmac_f64_e32 v[90:91], v[62:63], v[84:85]
	scratch_load_b128 v[60:63], off, off offset:184
	s_wait_dscnt 0x0
	v_fmac_f64_e32 v[90:91], v[64:65], v[86:87]
	s_wait_loadcnt 0x4
	v_fmac_f64_e32 v[90:91], v[66:67], v[88:89]
	scratch_load_b128 v[64:67], off, off offset:200
	ds_load_b128 v[82:85], v2 offset:352
	ds_load_b128 v[86:89], v2 offset:368
	s_wait_dscnt 0x1
	v_fmac_f64_e32 v[90:91], v[68:69], v[82:83]
	s_wait_loadcnt 0x4
	s_delay_alu instid0(VALU_DEP_1) | instskip(SKIP_1) | instid1(VALU_DEP_1)
	v_fmac_f64_e32 v[90:91], v[70:71], v[84:85]
	s_wait_dscnt 0x0
	v_fmac_f64_e32 v[90:91], v[72:73], v[86:87]
	s_wait_loadcnt 0x3
	s_delay_alu instid0(VALU_DEP_1)
	v_fmac_f64_e32 v[90:91], v[74:75], v[88:89]
	ds_load_b128 v[68:71], v2 offset:384
	ds_load_b128 v[72:75], v2 offset:400
	s_wait_dscnt 0x1
	v_fmac_f64_e32 v[90:91], v[76:77], v[68:69]
	s_wait_loadcnt 0x2
	s_delay_alu instid0(VALU_DEP_1) | instskip(SKIP_1) | instid1(VALU_DEP_1)
	v_fmac_f64_e32 v[90:91], v[78:79], v[70:71]
	s_wait_dscnt 0x0
	v_fmac_f64_e32 v[90:91], v[80:81], v[72:73]
	s_wait_loadcnt 0x1
	s_delay_alu instid0(VALU_DEP_1)
	v_fmac_f64_e32 v[90:91], v[60:61], v[74:75]
	ds_load_b128 v[68:71], v2 offset:416
	ds_load_b64 v[60:61], v2 offset:432
	s_wait_dscnt 0x1
	v_fmac_f64_e32 v[90:91], v[62:63], v[68:69]
	s_wait_loadcnt 0x0
	s_delay_alu instid0(VALU_DEP_1) | instskip(SKIP_1) | instid1(VALU_DEP_1)
	v_fmac_f64_e32 v[90:91], v[64:65], v[70:71]
	s_wait_dscnt 0x0
	v_fmac_f64_e32 v[90:91], v[66:67], v[60:61]
	s_delay_alu instid0(VALU_DEP_1)
	v_add_f64_e64 v[58:59], v[58:59], -v[90:91]
	scratch_store_b64 off, v[58:59], off offset:88
	s_wait_xcnt 0x0
	v_cmpx_lt_u32_e32 10, v0
	s_cbranch_execz .LBB26_151
; %bb.150:
	scratch_load_b64 v[58:59], off, off offset:80
	v_mov_b64_e32 v[60:61], 0
	scratch_store_b64 off, v[60:61], off offset:80
	s_wait_loadcnt 0x0
	ds_store_b64 v1, v[58:59]
.LBB26_151:
	s_wait_xcnt 0x0
	s_or_b32 exec_lo, exec_lo, s0
	s_wait_storecnt_dscnt 0x0
	s_barrier_signal -1
	s_barrier_wait -1
	s_clause 0x5
	scratch_load_b128 v[58:61], off, off offset:80
	scratch_load_b128 v[62:65], off, off offset:96
	scratch_load_b128 v[66:69], off, off offset:112
	scratch_load_b128 v[70:73], off, off offset:128
	scratch_load_b128 v[74:77], off, off offset:144
	scratch_load_b128 v[78:81], off, off offset:160
	ds_load_2addr_b64 v[82:85], v2 offset0:39 offset1:40
	ds_load_2addr_b64 v[86:89], v2 offset0:41 offset1:42
	s_mov_b32 s0, exec_lo
	s_wait_loadcnt_dscnt 0x501
	v_fma_f64 v[90:91], v[60:61], v[82:83], 0
	s_wait_loadcnt 0x4
	s_delay_alu instid0(VALU_DEP_1) | instskip(SKIP_4) | instid1(VALU_DEP_1)
	v_fmac_f64_e32 v[90:91], v[62:63], v[84:85]
	scratch_load_b128 v[60:63], off, off offset:176
	s_wait_dscnt 0x0
	v_fmac_f64_e32 v[90:91], v[64:65], v[86:87]
	s_wait_loadcnt 0x4
	v_fmac_f64_e32 v[90:91], v[66:67], v[88:89]
	scratch_load_b128 v[64:67], off, off offset:192
	ds_load_2addr_b64 v[82:85], v2 offset0:43 offset1:44
	ds_load_2addr_b64 v[86:89], v2 offset0:45 offset1:46
	s_wait_dscnt 0x1
	v_fmac_f64_e32 v[90:91], v[68:69], v[82:83]
	scratch_load_b64 v[82:83], off, off offset:208
	s_wait_loadcnt 0x5
	v_fmac_f64_e32 v[90:91], v[70:71], v[84:85]
	s_wait_dscnt 0x0
	s_delay_alu instid0(VALU_DEP_1) | instskip(SKIP_1) | instid1(VALU_DEP_1)
	v_fmac_f64_e32 v[90:91], v[72:73], v[86:87]
	s_wait_loadcnt 0x4
	v_fmac_f64_e32 v[90:91], v[74:75], v[88:89]
	ds_load_2addr_b64 v[68:71], v2 offset0:47 offset1:48
	ds_load_2addr_b64 v[72:75], v2 offset0:49 offset1:50
	s_wait_dscnt 0x1
	v_fmac_f64_e32 v[90:91], v[76:77], v[68:69]
	s_wait_loadcnt 0x3
	s_delay_alu instid0(VALU_DEP_1) | instskip(SKIP_1) | instid1(VALU_DEP_1)
	v_fmac_f64_e32 v[90:91], v[78:79], v[70:71]
	s_wait_dscnt 0x0
	v_fmac_f64_e32 v[90:91], v[80:81], v[72:73]
	s_wait_loadcnt 0x2
	s_delay_alu instid0(VALU_DEP_1)
	v_fmac_f64_e32 v[90:91], v[60:61], v[74:75]
	ds_load_2addr_b64 v[68:71], v2 offset0:51 offset1:52
	ds_load_2addr_b64 v[72:75], v2 offset0:53 offset1:54
	s_wait_dscnt 0x1
	v_fmac_f64_e32 v[90:91], v[62:63], v[68:69]
	s_wait_loadcnt 0x1
	s_delay_alu instid0(VALU_DEP_1) | instskip(SKIP_1) | instid1(VALU_DEP_1)
	v_fmac_f64_e32 v[90:91], v[64:65], v[70:71]
	s_wait_dscnt 0x0
	v_fmac_f64_e32 v[90:91], v[66:67], v[72:73]
	s_wait_loadcnt 0x0
	s_delay_alu instid0(VALU_DEP_1) | instskip(NEXT) | instid1(VALU_DEP_1)
	v_fmac_f64_e32 v[90:91], v[82:83], v[74:75]
	v_add_f64_e64 v[2:3], v[58:59], -v[90:91]
	scratch_store_b64 off, v[2:3], off offset:80
	s_wait_xcnt 0x0
	v_cmpx_lt_u32_e32 9, v0
	s_cbranch_execz .LBB26_153
; %bb.152:
	scratch_load_b64 v[2:3], off, off offset:72
	v_mov_b64_e32 v[58:59], 0
	scratch_store_b64 off, v[58:59], off offset:72
	s_wait_loadcnt 0x0
	ds_store_b64 v1, v[2:3]
.LBB26_153:
	s_wait_xcnt 0x0
	s_or_b32 exec_lo, exec_lo, s0
	s_wait_storecnt_dscnt 0x0
	s_barrier_signal -1
	s_barrier_wait -1
	s_clause 0x5
	scratch_load_b128 v[58:61], off, off offset:72
	scratch_load_b128 v[62:65], off, off offset:88
	;; [unrolled: 1-line block ×6, first 2 shown]
	v_mov_b32_e32 v2, 0
	ds_load_b128 v[82:85], v2 offset:304
	ds_load_b128 v[86:89], v2 offset:320
	s_mov_b32 s0, exec_lo
	s_wait_loadcnt_dscnt 0x501
	v_fma_f64 v[90:91], v[60:61], v[82:83], 0
	s_wait_loadcnt 0x4
	s_delay_alu instid0(VALU_DEP_1) | instskip(SKIP_4) | instid1(VALU_DEP_1)
	v_fmac_f64_e32 v[90:91], v[62:63], v[84:85]
	scratch_load_b128 v[60:63], off, off offset:168
	s_wait_dscnt 0x0
	v_fmac_f64_e32 v[90:91], v[64:65], v[86:87]
	s_wait_loadcnt 0x4
	v_fmac_f64_e32 v[90:91], v[66:67], v[88:89]
	scratch_load_b128 v[64:67], off, off offset:184
	ds_load_b128 v[82:85], v2 offset:336
	ds_load_b128 v[86:89], v2 offset:352
	s_wait_dscnt 0x1
	v_fmac_f64_e32 v[90:91], v[68:69], v[82:83]
	s_wait_loadcnt 0x4
	s_delay_alu instid0(VALU_DEP_1) | instskip(SKIP_4) | instid1(VALU_DEP_1)
	v_fmac_f64_e32 v[90:91], v[70:71], v[84:85]
	scratch_load_b128 v[68:71], off, off offset:200
	s_wait_dscnt 0x0
	v_fmac_f64_e32 v[90:91], v[72:73], v[86:87]
	s_wait_loadcnt 0x4
	v_fmac_f64_e32 v[90:91], v[74:75], v[88:89]
	ds_load_b128 v[72:75], v2 offset:368
	ds_load_b128 v[82:85], v2 offset:384
	s_wait_dscnt 0x1
	v_fmac_f64_e32 v[90:91], v[76:77], v[72:73]
	s_wait_loadcnt 0x3
	s_delay_alu instid0(VALU_DEP_1)
	v_fmac_f64_e32 v[90:91], v[78:79], v[74:75]
	ds_load_b128 v[72:75], v2 offset:400
	ds_load_b128 v[76:79], v2 offset:416
	s_wait_dscnt 0x2
	v_fmac_f64_e32 v[90:91], v[80:81], v[82:83]
	s_wait_loadcnt 0x2
	s_delay_alu instid0(VALU_DEP_1) | instskip(SKIP_4) | instid1(VALU_DEP_1)
	v_fmac_f64_e32 v[90:91], v[60:61], v[84:85]
	ds_load_b64 v[60:61], v2 offset:432
	s_wait_dscnt 0x2
	v_fmac_f64_e32 v[90:91], v[62:63], v[72:73]
	s_wait_loadcnt 0x1
	v_fmac_f64_e32 v[90:91], v[64:65], v[74:75]
	s_wait_dscnt 0x1
	s_delay_alu instid0(VALU_DEP_1) | instskip(SKIP_1) | instid1(VALU_DEP_1)
	v_fmac_f64_e32 v[90:91], v[66:67], v[76:77]
	s_wait_loadcnt 0x0
	v_fmac_f64_e32 v[90:91], v[68:69], v[78:79]
	s_wait_dscnt 0x0
	s_delay_alu instid0(VALU_DEP_1) | instskip(NEXT) | instid1(VALU_DEP_1)
	v_fmac_f64_e32 v[90:91], v[70:71], v[60:61]
	v_add_f64_e64 v[58:59], v[58:59], -v[90:91]
	scratch_store_b64 off, v[58:59], off offset:72
	s_wait_xcnt 0x0
	v_cmpx_lt_u32_e32 8, v0
	s_cbranch_execz .LBB26_155
; %bb.154:
	scratch_load_b64 v[58:59], off, off offset:64
	v_mov_b64_e32 v[60:61], 0
	scratch_store_b64 off, v[60:61], off offset:64
	s_wait_loadcnt 0x0
	ds_store_b64 v1, v[58:59]
.LBB26_155:
	s_wait_xcnt 0x0
	s_or_b32 exec_lo, exec_lo, s0
	s_wait_storecnt_dscnt 0x0
	s_barrier_signal -1
	s_barrier_wait -1
	s_clause 0x5
	scratch_load_b128 v[58:61], off, off offset:64
	scratch_load_b128 v[62:65], off, off offset:80
	;; [unrolled: 1-line block ×6, first 2 shown]
	ds_load_2addr_b64 v[82:85], v2 offset0:37 offset1:38
	ds_load_2addr_b64 v[86:89], v2 offset0:39 offset1:40
	s_mov_b32 s0, exec_lo
	s_wait_loadcnt_dscnt 0x501
	v_fma_f64 v[90:91], v[60:61], v[82:83], 0
	s_wait_loadcnt 0x4
	s_delay_alu instid0(VALU_DEP_1) | instskip(SKIP_4) | instid1(VALU_DEP_1)
	v_fmac_f64_e32 v[90:91], v[62:63], v[84:85]
	scratch_load_b128 v[60:63], off, off offset:160
	s_wait_dscnt 0x0
	v_fmac_f64_e32 v[90:91], v[64:65], v[86:87]
	s_wait_loadcnt 0x4
	v_fmac_f64_e32 v[90:91], v[66:67], v[88:89]
	scratch_load_b128 v[64:67], off, off offset:176
	ds_load_2addr_b64 v[82:85], v2 offset0:41 offset1:42
	ds_load_2addr_b64 v[86:89], v2 offset0:43 offset1:44
	s_wait_dscnt 0x1
	v_fmac_f64_e32 v[90:91], v[68:69], v[82:83]
	s_wait_loadcnt 0x4
	s_delay_alu instid0(VALU_DEP_1)
	v_fmac_f64_e32 v[90:91], v[70:71], v[84:85]
	scratch_load_b128 v[68:71], off, off offset:192
	s_wait_dscnt 0x0
	v_fmac_f64_e32 v[90:91], v[72:73], v[86:87]
	scratch_load_b64 v[86:87], off, off offset:208
	s_wait_loadcnt 0x5
	v_fmac_f64_e32 v[90:91], v[74:75], v[88:89]
	ds_load_2addr_b64 v[72:75], v2 offset0:45 offset1:46
	ds_load_2addr_b64 v[82:85], v2 offset0:47 offset1:48
	s_wait_dscnt 0x1
	v_fmac_f64_e32 v[90:91], v[76:77], v[72:73]
	s_wait_loadcnt 0x4
	s_delay_alu instid0(VALU_DEP_1)
	v_fmac_f64_e32 v[90:91], v[78:79], v[74:75]
	ds_load_2addr_b64 v[72:75], v2 offset0:49 offset1:50
	ds_load_2addr_b64 v[76:79], v2 offset0:51 offset1:52
	s_wait_dscnt 0x2
	v_fmac_f64_e32 v[90:91], v[80:81], v[82:83]
	s_wait_loadcnt 0x3
	s_delay_alu instid0(VALU_DEP_1) | instskip(SKIP_1) | instid1(VALU_DEP_1)
	v_fmac_f64_e32 v[90:91], v[60:61], v[84:85]
	s_wait_dscnt 0x1
	v_fmac_f64_e32 v[90:91], v[62:63], v[72:73]
	ds_load_2addr_b64 v[60:63], v2 offset0:53 offset1:54
	s_wait_loadcnt 0x2
	v_fmac_f64_e32 v[90:91], v[64:65], v[74:75]
	s_wait_dscnt 0x1
	s_delay_alu instid0(VALU_DEP_1) | instskip(SKIP_1) | instid1(VALU_DEP_1)
	v_fmac_f64_e32 v[90:91], v[66:67], v[76:77]
	s_wait_loadcnt 0x1
	v_fmac_f64_e32 v[90:91], v[68:69], v[78:79]
	s_wait_dscnt 0x0
	s_delay_alu instid0(VALU_DEP_1) | instskip(SKIP_1) | instid1(VALU_DEP_1)
	v_fmac_f64_e32 v[90:91], v[70:71], v[60:61]
	s_wait_loadcnt 0x0
	v_fmac_f64_e32 v[90:91], v[86:87], v[62:63]
	s_delay_alu instid0(VALU_DEP_1)
	v_add_f64_e64 v[2:3], v[58:59], -v[90:91]
	scratch_store_b64 off, v[2:3], off offset:64
	s_wait_xcnt 0x0
	v_cmpx_lt_u32_e32 7, v0
	s_cbranch_execz .LBB26_157
; %bb.156:
	scratch_load_b64 v[2:3], off, off offset:56
	v_mov_b64_e32 v[58:59], 0
	scratch_store_b64 off, v[58:59], off offset:56
	s_wait_loadcnt 0x0
	ds_store_b64 v1, v[2:3]
.LBB26_157:
	s_wait_xcnt 0x0
	s_or_b32 exec_lo, exec_lo, s0
	s_wait_storecnt_dscnt 0x0
	s_barrier_signal -1
	s_barrier_wait -1
	s_clause 0x5
	scratch_load_b128 v[58:61], off, off offset:56
	scratch_load_b128 v[62:65], off, off offset:72
	;; [unrolled: 1-line block ×6, first 2 shown]
	v_mov_b32_e32 v2, 0
	ds_load_b128 v[82:85], v2 offset:288
	ds_load_b128 v[86:89], v2 offset:304
	s_mov_b32 s0, exec_lo
	s_wait_loadcnt_dscnt 0x501
	v_fma_f64 v[90:91], v[60:61], v[82:83], 0
	s_wait_loadcnt 0x4
	s_delay_alu instid0(VALU_DEP_1) | instskip(SKIP_4) | instid1(VALU_DEP_1)
	v_fmac_f64_e32 v[90:91], v[62:63], v[84:85]
	scratch_load_b128 v[60:63], off, off offset:152
	s_wait_dscnt 0x0
	v_fmac_f64_e32 v[90:91], v[64:65], v[86:87]
	s_wait_loadcnt 0x4
	v_fmac_f64_e32 v[90:91], v[66:67], v[88:89]
	scratch_load_b128 v[64:67], off, off offset:168
	ds_load_b128 v[82:85], v2 offset:320
	ds_load_b128 v[86:89], v2 offset:336
	s_wait_dscnt 0x1
	v_fmac_f64_e32 v[90:91], v[68:69], v[82:83]
	s_wait_loadcnt 0x4
	s_delay_alu instid0(VALU_DEP_1) | instskip(SKIP_4) | instid1(VALU_DEP_1)
	v_fmac_f64_e32 v[90:91], v[70:71], v[84:85]
	scratch_load_b128 v[68:71], off, off offset:184
	s_wait_dscnt 0x0
	v_fmac_f64_e32 v[90:91], v[72:73], v[86:87]
	s_wait_loadcnt 0x4
	v_fmac_f64_e32 v[90:91], v[74:75], v[88:89]
	scratch_load_b128 v[72:75], off, off offset:200
	ds_load_b128 v[82:85], v2 offset:352
	ds_load_b128 v[86:89], v2 offset:368
	s_wait_dscnt 0x1
	v_fmac_f64_e32 v[90:91], v[76:77], v[82:83]
	s_wait_loadcnt 0x4
	s_delay_alu instid0(VALU_DEP_1) | instskip(SKIP_1) | instid1(VALU_DEP_1)
	v_fmac_f64_e32 v[90:91], v[78:79], v[84:85]
	s_wait_dscnt 0x0
	v_fmac_f64_e32 v[90:91], v[80:81], v[86:87]
	ds_load_b128 v[76:79], v2 offset:384
	ds_load_b128 v[80:83], v2 offset:400
	s_wait_loadcnt 0x3
	v_fmac_f64_e32 v[90:91], v[60:61], v[88:89]
	s_wait_dscnt 0x1
	s_delay_alu instid0(VALU_DEP_1) | instskip(SKIP_1) | instid1(VALU_DEP_1)
	v_fmac_f64_e32 v[90:91], v[62:63], v[76:77]
	s_wait_loadcnt 0x2
	v_fmac_f64_e32 v[90:91], v[64:65], v[78:79]
	ds_load_b128 v[60:63], v2 offset:416
	ds_load_b64 v[64:65], v2 offset:432
	s_wait_dscnt 0x2
	v_fmac_f64_e32 v[90:91], v[66:67], v[80:81]
	s_wait_loadcnt 0x1
	s_delay_alu instid0(VALU_DEP_1) | instskip(SKIP_1) | instid1(VALU_DEP_1)
	v_fmac_f64_e32 v[90:91], v[68:69], v[82:83]
	s_wait_dscnt 0x1
	v_fmac_f64_e32 v[90:91], v[70:71], v[60:61]
	s_wait_loadcnt 0x0
	s_delay_alu instid0(VALU_DEP_1) | instskip(SKIP_1) | instid1(VALU_DEP_1)
	v_fmac_f64_e32 v[90:91], v[72:73], v[62:63]
	s_wait_dscnt 0x0
	v_fmac_f64_e32 v[90:91], v[74:75], v[64:65]
	s_delay_alu instid0(VALU_DEP_1)
	v_add_f64_e64 v[58:59], v[58:59], -v[90:91]
	scratch_store_b64 off, v[58:59], off offset:56
	s_wait_xcnt 0x0
	v_cmpx_lt_u32_e32 6, v0
	s_cbranch_execz .LBB26_159
; %bb.158:
	scratch_load_b64 v[58:59], off, off offset:48
	v_mov_b64_e32 v[60:61], 0
	scratch_store_b64 off, v[60:61], off offset:48
	s_wait_loadcnt 0x0
	ds_store_b64 v1, v[58:59]
.LBB26_159:
	s_wait_xcnt 0x0
	s_or_b32 exec_lo, exec_lo, s0
	s_wait_storecnt_dscnt 0x0
	s_barrier_signal -1
	s_barrier_wait -1
	s_clause 0x5
	scratch_load_b128 v[58:61], off, off offset:48
	scratch_load_b128 v[62:65], off, off offset:64
	;; [unrolled: 1-line block ×6, first 2 shown]
	ds_load_2addr_b64 v[82:85], v2 offset0:35 offset1:36
	ds_load_2addr_b64 v[86:89], v2 offset0:37 offset1:38
	s_mov_b32 s0, exec_lo
	s_wait_loadcnt_dscnt 0x501
	v_fma_f64 v[90:91], v[60:61], v[82:83], 0
	s_wait_loadcnt 0x4
	s_delay_alu instid0(VALU_DEP_1) | instskip(SKIP_4) | instid1(VALU_DEP_1)
	v_fmac_f64_e32 v[90:91], v[62:63], v[84:85]
	scratch_load_b128 v[60:63], off, off offset:144
	s_wait_dscnt 0x0
	v_fmac_f64_e32 v[90:91], v[64:65], v[86:87]
	s_wait_loadcnt 0x4
	v_fmac_f64_e32 v[90:91], v[66:67], v[88:89]
	scratch_load_b128 v[64:67], off, off offset:160
	ds_load_2addr_b64 v[82:85], v2 offset0:39 offset1:40
	ds_load_2addr_b64 v[86:89], v2 offset0:41 offset1:42
	s_wait_dscnt 0x1
	v_fmac_f64_e32 v[90:91], v[68:69], v[82:83]
	s_wait_loadcnt 0x4
	s_delay_alu instid0(VALU_DEP_1) | instskip(SKIP_4) | instid1(VALU_DEP_1)
	v_fmac_f64_e32 v[90:91], v[70:71], v[84:85]
	scratch_load_b128 v[68:71], off, off offset:176
	s_wait_dscnt 0x0
	v_fmac_f64_e32 v[90:91], v[72:73], v[86:87]
	s_wait_loadcnt 0x4
	v_fmac_f64_e32 v[90:91], v[74:75], v[88:89]
	scratch_load_b128 v[72:75], off, off offset:192
	ds_load_2addr_b64 v[82:85], v2 offset0:43 offset1:44
	ds_load_2addr_b64 v[86:89], v2 offset0:45 offset1:46
	s_wait_dscnt 0x1
	v_fmac_f64_e32 v[90:91], v[76:77], v[82:83]
	s_wait_loadcnt 0x4
	s_delay_alu instid0(VALU_DEP_1)
	v_fmac_f64_e32 v[90:91], v[78:79], v[84:85]
	scratch_load_b64 v[84:85], off, off offset:208
	s_wait_dscnt 0x0
	v_fmac_f64_e32 v[90:91], v[80:81], v[86:87]
	ds_load_2addr_b64 v[76:79], v2 offset0:47 offset1:48
	ds_load_2addr_b64 v[80:83], v2 offset0:49 offset1:50
	s_wait_loadcnt 0x4
	v_fmac_f64_e32 v[90:91], v[60:61], v[88:89]
	s_wait_dscnt 0x1
	s_delay_alu instid0(VALU_DEP_1) | instskip(SKIP_1) | instid1(VALU_DEP_1)
	v_fmac_f64_e32 v[90:91], v[62:63], v[76:77]
	s_wait_loadcnt 0x3
	v_fmac_f64_e32 v[90:91], v[64:65], v[78:79]
	s_wait_dscnt 0x0
	s_delay_alu instid0(VALU_DEP_1)
	v_fmac_f64_e32 v[90:91], v[66:67], v[80:81]
	ds_load_2addr_b64 v[60:63], v2 offset0:51 offset1:52
	ds_load_2addr_b64 v[64:67], v2 offset0:53 offset1:54
	s_wait_loadcnt 0x2
	v_fmac_f64_e32 v[90:91], v[68:69], v[82:83]
	s_wait_dscnt 0x1
	s_delay_alu instid0(VALU_DEP_1) | instskip(SKIP_1) | instid1(VALU_DEP_1)
	v_fmac_f64_e32 v[90:91], v[70:71], v[60:61]
	s_wait_loadcnt 0x1
	v_fmac_f64_e32 v[90:91], v[72:73], v[62:63]
	s_wait_dscnt 0x0
	s_delay_alu instid0(VALU_DEP_1) | instskip(SKIP_1) | instid1(VALU_DEP_1)
	v_fmac_f64_e32 v[90:91], v[74:75], v[64:65]
	s_wait_loadcnt 0x0
	v_fmac_f64_e32 v[90:91], v[84:85], v[66:67]
	s_delay_alu instid0(VALU_DEP_1)
	v_add_f64_e64 v[2:3], v[58:59], -v[90:91]
	scratch_store_b64 off, v[2:3], off offset:48
	s_wait_xcnt 0x0
	v_cmpx_lt_u32_e32 5, v0
	s_cbranch_execz .LBB26_161
; %bb.160:
	scratch_load_b64 v[2:3], off, off offset:40
	v_mov_b64_e32 v[58:59], 0
	scratch_store_b64 off, v[58:59], off offset:40
	s_wait_loadcnt 0x0
	ds_store_b64 v1, v[2:3]
.LBB26_161:
	s_wait_xcnt 0x0
	s_or_b32 exec_lo, exec_lo, s0
	s_wait_storecnt_dscnt 0x0
	s_barrier_signal -1
	s_barrier_wait -1
	s_clause 0x5
	scratch_load_b128 v[58:61], off, off offset:40
	scratch_load_b128 v[62:65], off, off offset:56
	;; [unrolled: 1-line block ×6, first 2 shown]
	v_mov_b32_e32 v2, 0
	ds_load_b128 v[82:85], v2 offset:272
	ds_load_b128 v[86:89], v2 offset:288
	s_mov_b32 s0, exec_lo
	s_wait_loadcnt_dscnt 0x501
	v_fma_f64 v[90:91], v[60:61], v[82:83], 0
	s_wait_loadcnt 0x4
	s_delay_alu instid0(VALU_DEP_1) | instskip(SKIP_4) | instid1(VALU_DEP_1)
	v_fmac_f64_e32 v[90:91], v[62:63], v[84:85]
	scratch_load_b128 v[60:63], off, off offset:136
	s_wait_dscnt 0x0
	v_fmac_f64_e32 v[90:91], v[64:65], v[86:87]
	s_wait_loadcnt 0x4
	v_fmac_f64_e32 v[90:91], v[66:67], v[88:89]
	scratch_load_b128 v[64:67], off, off offset:152
	ds_load_b128 v[82:85], v2 offset:304
	ds_load_b128 v[86:89], v2 offset:320
	s_wait_dscnt 0x1
	v_fmac_f64_e32 v[90:91], v[68:69], v[82:83]
	s_wait_loadcnt 0x4
	s_delay_alu instid0(VALU_DEP_1) | instskip(SKIP_4) | instid1(VALU_DEP_1)
	v_fmac_f64_e32 v[90:91], v[70:71], v[84:85]
	scratch_load_b128 v[68:71], off, off offset:168
	s_wait_dscnt 0x0
	v_fmac_f64_e32 v[90:91], v[72:73], v[86:87]
	s_wait_loadcnt 0x4
	v_fmac_f64_e32 v[90:91], v[74:75], v[88:89]
	scratch_load_b128 v[72:75], off, off offset:184
	ds_load_b128 v[82:85], v2 offset:336
	ds_load_b128 v[86:89], v2 offset:352
	s_wait_dscnt 0x1
	v_fmac_f64_e32 v[90:91], v[76:77], v[82:83]
	s_wait_loadcnt 0x4
	s_delay_alu instid0(VALU_DEP_1)
	v_fmac_f64_e32 v[90:91], v[78:79], v[84:85]
	scratch_load_b128 v[76:79], off, off offset:200
	s_wait_dscnt 0x0
	v_fmac_f64_e32 v[90:91], v[80:81], v[86:87]
	ds_load_b128 v[80:83], v2 offset:368
	ds_load_b128 v[84:87], v2 offset:384
	s_wait_loadcnt 0x4
	v_fmac_f64_e32 v[90:91], v[60:61], v[88:89]
	s_wait_dscnt 0x1
	s_delay_alu instid0(VALU_DEP_1) | instskip(SKIP_1) | instid1(VALU_DEP_1)
	v_fmac_f64_e32 v[90:91], v[62:63], v[80:81]
	s_wait_loadcnt 0x3
	v_fmac_f64_e32 v[90:91], v[64:65], v[82:83]
	s_wait_dscnt 0x0
	s_delay_alu instid0(VALU_DEP_1)
	v_fmac_f64_e32 v[90:91], v[66:67], v[84:85]
	ds_load_b128 v[60:63], v2 offset:400
	ds_load_b128 v[64:67], v2 offset:416
	s_wait_loadcnt 0x2
	v_fmac_f64_e32 v[90:91], v[68:69], v[86:87]
	s_wait_dscnt 0x1
	s_delay_alu instid0(VALU_DEP_1) | instskip(SKIP_4) | instid1(VALU_DEP_1)
	v_fmac_f64_e32 v[90:91], v[70:71], v[60:61]
	ds_load_b64 v[60:61], v2 offset:432
	s_wait_loadcnt 0x1
	v_fmac_f64_e32 v[90:91], v[72:73], v[62:63]
	s_wait_dscnt 0x1
	v_fmac_f64_e32 v[90:91], v[74:75], v[64:65]
	s_wait_loadcnt 0x0
	s_delay_alu instid0(VALU_DEP_1) | instskip(SKIP_1) | instid1(VALU_DEP_1)
	v_fmac_f64_e32 v[90:91], v[76:77], v[66:67]
	s_wait_dscnt 0x0
	v_fmac_f64_e32 v[90:91], v[78:79], v[60:61]
	s_delay_alu instid0(VALU_DEP_1)
	v_add_f64_e64 v[58:59], v[58:59], -v[90:91]
	scratch_store_b64 off, v[58:59], off offset:40
	s_wait_xcnt 0x0
	v_cmpx_lt_u32_e32 4, v0
	s_cbranch_execz .LBB26_163
; %bb.162:
	scratch_load_b64 v[58:59], off, off offset:32
	v_mov_b64_e32 v[60:61], 0
	scratch_store_b64 off, v[60:61], off offset:32
	s_wait_loadcnt 0x0
	ds_store_b64 v1, v[58:59]
.LBB26_163:
	s_wait_xcnt 0x0
	s_or_b32 exec_lo, exec_lo, s0
	s_wait_storecnt_dscnt 0x0
	s_barrier_signal -1
	s_barrier_wait -1
	s_clause 0x5
	scratch_load_b128 v[58:61], off, off offset:32
	scratch_load_b128 v[62:65], off, off offset:48
	;; [unrolled: 1-line block ×6, first 2 shown]
	ds_load_2addr_b64 v[82:85], v2 offset0:33 offset1:34
	ds_load_2addr_b64 v[86:89], v2 offset0:35 offset1:36
	scratch_load_b128 v[90:93], off, off offset:128
	s_mov_b32 s0, exec_lo
	s_wait_loadcnt_dscnt 0x601
	v_fma_f64 v[94:95], v[60:61], v[82:83], 0
	s_wait_loadcnt 0x5
	s_delay_alu instid0(VALU_DEP_1) | instskip(SKIP_4) | instid1(VALU_DEP_1)
	v_fmac_f64_e32 v[94:95], v[62:63], v[84:85]
	scratch_load_b128 v[60:63], off, off offset:144
	s_wait_dscnt 0x0
	v_fmac_f64_e32 v[94:95], v[64:65], v[86:87]
	s_wait_loadcnt 0x5
	v_fmac_f64_e32 v[94:95], v[66:67], v[88:89]
	ds_load_2addr_b64 v[64:67], v2 offset0:37 offset1:38
	ds_load_2addr_b64 v[82:85], v2 offset0:39 offset1:40
	s_wait_dscnt 0x1
	v_fmac_f64_e32 v[94:95], v[68:69], v[64:65]
	s_wait_loadcnt 0x4
	s_delay_alu instid0(VALU_DEP_1)
	v_fmac_f64_e32 v[94:95], v[70:71], v[66:67]
	s_clause 0x1
	scratch_load_b128 v[64:67], off, off offset:160
	scratch_load_b128 v[68:71], off, off offset:176
	s_wait_dscnt 0x0
	v_fmac_f64_e32 v[94:95], v[72:73], v[82:83]
	s_wait_loadcnt 0x5
	s_delay_alu instid0(VALU_DEP_1)
	v_fmac_f64_e32 v[94:95], v[74:75], v[84:85]
	ds_load_2addr_b64 v[72:75], v2 offset0:41 offset1:42
	ds_load_2addr_b64 v[82:85], v2 offset0:43 offset1:44
	s_wait_dscnt 0x1
	v_fmac_f64_e32 v[94:95], v[76:77], v[72:73]
	s_wait_loadcnt 0x4
	s_delay_alu instid0(VALU_DEP_1) | instskip(SKIP_4) | instid1(VALU_DEP_1)
	v_fmac_f64_e32 v[94:95], v[78:79], v[74:75]
	scratch_load_b128 v[72:75], off, off offset:192
	s_wait_dscnt 0x0
	v_fmac_f64_e32 v[94:95], v[80:81], v[82:83]
	s_wait_loadcnt 0x4
	v_fmac_f64_e32 v[94:95], v[90:91], v[84:85]
	scratch_load_b64 v[84:85], off, off offset:208
	ds_load_2addr_b64 v[76:79], v2 offset0:45 offset1:46
	ds_load_2addr_b64 v[80:83], v2 offset0:47 offset1:48
	s_wait_dscnt 0x1
	v_fmac_f64_e32 v[94:95], v[92:93], v[76:77]
	s_wait_loadcnt 0x4
	s_delay_alu instid0(VALU_DEP_1) | instskip(SKIP_1) | instid1(VALU_DEP_1)
	v_fmac_f64_e32 v[94:95], v[60:61], v[78:79]
	s_wait_dscnt 0x0
	v_fmac_f64_e32 v[94:95], v[62:63], v[80:81]
	ds_load_2addr_b64 v[60:63], v2 offset0:49 offset1:50
	ds_load_2addr_b64 v[76:79], v2 offset0:51 offset1:52
	s_wait_loadcnt 0x3
	v_fmac_f64_e32 v[94:95], v[64:65], v[82:83]
	s_wait_dscnt 0x1
	s_delay_alu instid0(VALU_DEP_1) | instskip(SKIP_1) | instid1(VALU_DEP_1)
	v_fmac_f64_e32 v[94:95], v[66:67], v[60:61]
	s_wait_loadcnt 0x2
	v_fmac_f64_e32 v[94:95], v[68:69], v[62:63]
	ds_load_2addr_b64 v[60:63], v2 offset0:53 offset1:54
	s_wait_dscnt 0x1
	v_fmac_f64_e32 v[94:95], v[70:71], v[76:77]
	s_wait_loadcnt 0x1
	s_delay_alu instid0(VALU_DEP_1) | instskip(SKIP_1) | instid1(VALU_DEP_1)
	v_fmac_f64_e32 v[94:95], v[72:73], v[78:79]
	s_wait_dscnt 0x0
	v_fmac_f64_e32 v[94:95], v[74:75], v[60:61]
	s_wait_loadcnt 0x0
	s_delay_alu instid0(VALU_DEP_1) | instskip(NEXT) | instid1(VALU_DEP_1)
	v_fmac_f64_e32 v[94:95], v[84:85], v[62:63]
	v_add_f64_e64 v[2:3], v[58:59], -v[94:95]
	scratch_store_b64 off, v[2:3], off offset:32
	s_wait_xcnt 0x0
	v_cmpx_lt_u32_e32 3, v0
	s_cbranch_execz .LBB26_165
; %bb.164:
	scratch_load_b64 v[2:3], off, off offset:24
	v_mov_b64_e32 v[58:59], 0
	scratch_store_b64 off, v[58:59], off offset:24
	s_wait_loadcnt 0x0
	ds_store_b64 v1, v[2:3]
.LBB26_165:
	s_wait_xcnt 0x0
	s_or_b32 exec_lo, exec_lo, s0
	s_wait_storecnt_dscnt 0x0
	s_barrier_signal -1
	s_barrier_wait -1
	s_clause 0x5
	scratch_load_b128 v[58:61], off, off offset:24
	scratch_load_b128 v[62:65], off, off offset:40
	;; [unrolled: 1-line block ×6, first 2 shown]
	v_mov_b32_e32 v2, 0
	ds_load_b128 v[82:85], v2 offset:256
	ds_load_b128 v[86:89], v2 offset:272
	scratch_load_b128 v[90:93], off, off offset:120
	s_mov_b32 s0, exec_lo
	s_wait_loadcnt_dscnt 0x601
	v_fma_f64 v[94:95], v[60:61], v[82:83], 0
	s_wait_loadcnt 0x5
	s_delay_alu instid0(VALU_DEP_1) | instskip(SKIP_4) | instid1(VALU_DEP_1)
	v_fmac_f64_e32 v[94:95], v[62:63], v[84:85]
	scratch_load_b128 v[60:63], off, off offset:136
	s_wait_dscnt 0x0
	v_fmac_f64_e32 v[94:95], v[64:65], v[86:87]
	s_wait_loadcnt 0x5
	v_fmac_f64_e32 v[94:95], v[66:67], v[88:89]
	ds_load_b128 v[64:67], v2 offset:288
	ds_load_b128 v[82:85], v2 offset:304
	s_wait_dscnt 0x1
	v_fmac_f64_e32 v[94:95], v[68:69], v[64:65]
	s_wait_loadcnt 0x4
	s_delay_alu instid0(VALU_DEP_1)
	v_fmac_f64_e32 v[94:95], v[70:71], v[66:67]
	s_clause 0x1
	scratch_load_b128 v[64:67], off, off offset:152
	scratch_load_b128 v[68:71], off, off offset:168
	s_wait_dscnt 0x0
	v_fmac_f64_e32 v[94:95], v[72:73], v[82:83]
	s_wait_loadcnt 0x5
	s_delay_alu instid0(VALU_DEP_1)
	v_fmac_f64_e32 v[94:95], v[74:75], v[84:85]
	ds_load_b128 v[72:75], v2 offset:320
	ds_load_b128 v[82:85], v2 offset:336
	s_wait_dscnt 0x1
	v_fmac_f64_e32 v[94:95], v[76:77], v[72:73]
	s_wait_loadcnt 0x4
	s_delay_alu instid0(VALU_DEP_1)
	v_fmac_f64_e32 v[94:95], v[78:79], v[74:75]
	s_clause 0x1
	scratch_load_b128 v[72:75], off, off offset:184
	scratch_load_b128 v[76:79], off, off offset:200
	s_wait_dscnt 0x0
	v_fmac_f64_e32 v[94:95], v[80:81], v[82:83]
	s_wait_loadcnt 0x5
	s_delay_alu instid0(VALU_DEP_1)
	v_fmac_f64_e32 v[94:95], v[90:91], v[84:85]
	ds_load_b128 v[80:83], v2 offset:352
	ds_load_b128 v[84:87], v2 offset:368
	s_wait_dscnt 0x1
	v_fmac_f64_e32 v[94:95], v[92:93], v[80:81]
	s_wait_loadcnt 0x4
	s_delay_alu instid0(VALU_DEP_1) | instskip(SKIP_1) | instid1(VALU_DEP_1)
	v_fmac_f64_e32 v[94:95], v[60:61], v[82:83]
	s_wait_dscnt 0x0
	v_fmac_f64_e32 v[94:95], v[62:63], v[84:85]
	ds_load_b128 v[60:63], v2 offset:384
	ds_load_b128 v[80:83], v2 offset:400
	s_wait_loadcnt 0x3
	v_fmac_f64_e32 v[94:95], v[64:65], v[86:87]
	s_wait_dscnt 0x1
	s_delay_alu instid0(VALU_DEP_1) | instskip(SKIP_1) | instid1(VALU_DEP_1)
	v_fmac_f64_e32 v[94:95], v[66:67], v[60:61]
	s_wait_loadcnt 0x2
	v_fmac_f64_e32 v[94:95], v[68:69], v[62:63]
	ds_load_b128 v[60:63], v2 offset:416
	ds_load_b64 v[64:65], v2 offset:432
	s_wait_dscnt 0x2
	v_fmac_f64_e32 v[94:95], v[70:71], v[80:81]
	s_wait_loadcnt 0x1
	s_delay_alu instid0(VALU_DEP_1) | instskip(SKIP_1) | instid1(VALU_DEP_1)
	v_fmac_f64_e32 v[94:95], v[72:73], v[82:83]
	s_wait_dscnt 0x1
	v_fmac_f64_e32 v[94:95], v[74:75], v[60:61]
	s_wait_loadcnt 0x0
	s_delay_alu instid0(VALU_DEP_1) | instskip(SKIP_1) | instid1(VALU_DEP_1)
	v_fmac_f64_e32 v[94:95], v[76:77], v[62:63]
	s_wait_dscnt 0x0
	v_fmac_f64_e32 v[94:95], v[78:79], v[64:65]
	s_delay_alu instid0(VALU_DEP_1)
	v_add_f64_e64 v[58:59], v[58:59], -v[94:95]
	scratch_store_b64 off, v[58:59], off offset:24
	s_wait_xcnt 0x0
	v_cmpx_lt_u32_e32 2, v0
	s_cbranch_execz .LBB26_167
; %bb.166:
	scratch_load_b64 v[58:59], off, off offset:16
	v_mov_b64_e32 v[60:61], 0
	scratch_store_b64 off, v[60:61], off offset:16
	s_wait_loadcnt 0x0
	ds_store_b64 v1, v[58:59]
.LBB26_167:
	s_wait_xcnt 0x0
	s_or_b32 exec_lo, exec_lo, s0
	s_wait_storecnt_dscnt 0x0
	s_barrier_signal -1
	s_barrier_wait -1
	s_clause 0x5
	scratch_load_b128 v[58:61], off, off offset:16
	scratch_load_b128 v[62:65], off, off offset:32
	;; [unrolled: 1-line block ×6, first 2 shown]
	ds_load_2addr_b64 v[82:85], v2 offset0:31 offset1:32
	ds_load_2addr_b64 v[86:89], v2 offset0:33 offset1:34
	scratch_load_b128 v[90:93], off, off offset:112
	s_mov_b32 s0, exec_lo
	s_wait_loadcnt_dscnt 0x601
	v_fma_f64 v[94:95], v[60:61], v[82:83], 0
	s_wait_loadcnt 0x5
	s_delay_alu instid0(VALU_DEP_1) | instskip(SKIP_4) | instid1(VALU_DEP_1)
	v_fmac_f64_e32 v[94:95], v[62:63], v[84:85]
	scratch_load_b128 v[60:63], off, off offset:128
	s_wait_dscnt 0x0
	v_fmac_f64_e32 v[94:95], v[64:65], v[86:87]
	s_wait_loadcnt 0x5
	v_fmac_f64_e32 v[94:95], v[66:67], v[88:89]
	ds_load_2addr_b64 v[64:67], v2 offset0:35 offset1:36
	ds_load_2addr_b64 v[82:85], v2 offset0:37 offset1:38
	s_wait_dscnt 0x1
	v_fmac_f64_e32 v[94:95], v[68:69], v[64:65]
	s_wait_loadcnt 0x4
	s_delay_alu instid0(VALU_DEP_1)
	v_fmac_f64_e32 v[94:95], v[70:71], v[66:67]
	s_clause 0x1
	scratch_load_b128 v[64:67], off, off offset:144
	scratch_load_b128 v[68:71], off, off offset:160
	s_wait_dscnt 0x0
	v_fmac_f64_e32 v[94:95], v[72:73], v[82:83]
	s_wait_loadcnt 0x5
	s_delay_alu instid0(VALU_DEP_1)
	v_fmac_f64_e32 v[94:95], v[74:75], v[84:85]
	ds_load_2addr_b64 v[72:75], v2 offset0:39 offset1:40
	ds_load_2addr_b64 v[82:85], v2 offset0:41 offset1:42
	s_wait_dscnt 0x1
	v_fmac_f64_e32 v[94:95], v[76:77], v[72:73]
	s_wait_loadcnt 0x4
	s_delay_alu instid0(VALU_DEP_1)
	v_fmac_f64_e32 v[94:95], v[78:79], v[74:75]
	s_clause 0x1
	scratch_load_b128 v[72:75], off, off offset:176
	scratch_load_b128 v[76:79], off, off offset:192
	s_wait_dscnt 0x0
	v_fmac_f64_e32 v[94:95], v[80:81], v[82:83]
	s_wait_loadcnt 0x5
	s_delay_alu instid0(VALU_DEP_1)
	v_fmac_f64_e32 v[94:95], v[90:91], v[84:85]
	ds_load_2addr_b64 v[80:83], v2 offset0:43 offset1:44
	ds_load_2addr_b64 v[84:87], v2 offset0:45 offset1:46
	scratch_load_b64 v[88:89], off, off offset:208
	s_wait_dscnt 0x1
	v_fmac_f64_e32 v[94:95], v[92:93], v[80:81]
	s_wait_loadcnt 0x5
	s_delay_alu instid0(VALU_DEP_1) | instskip(SKIP_1) | instid1(VALU_DEP_1)
	v_fmac_f64_e32 v[94:95], v[60:61], v[82:83]
	s_wait_dscnt 0x0
	v_fmac_f64_e32 v[94:95], v[62:63], v[84:85]
	ds_load_2addr_b64 v[60:63], v2 offset0:47 offset1:48
	ds_load_2addr_b64 v[80:83], v2 offset0:49 offset1:50
	s_wait_loadcnt 0x4
	v_fmac_f64_e32 v[94:95], v[64:65], v[86:87]
	s_wait_dscnt 0x1
	s_delay_alu instid0(VALU_DEP_1) | instskip(SKIP_1) | instid1(VALU_DEP_1)
	v_fmac_f64_e32 v[94:95], v[66:67], v[60:61]
	s_wait_loadcnt 0x3
	v_fmac_f64_e32 v[94:95], v[68:69], v[62:63]
	ds_load_2addr_b64 v[60:63], v2 offset0:51 offset1:52
	ds_load_2addr_b64 v[64:67], v2 offset0:53 offset1:54
	s_wait_dscnt 0x2
	v_fmac_f64_e32 v[94:95], v[70:71], v[80:81]
	s_wait_loadcnt 0x2
	s_delay_alu instid0(VALU_DEP_1) | instskip(SKIP_1) | instid1(VALU_DEP_1)
	v_fmac_f64_e32 v[94:95], v[72:73], v[82:83]
	s_wait_dscnt 0x1
	v_fmac_f64_e32 v[94:95], v[74:75], v[60:61]
	s_wait_loadcnt 0x1
	s_delay_alu instid0(VALU_DEP_1) | instskip(SKIP_1) | instid1(VALU_DEP_1)
	v_fmac_f64_e32 v[94:95], v[76:77], v[62:63]
	s_wait_dscnt 0x0
	v_fmac_f64_e32 v[94:95], v[78:79], v[64:65]
	s_wait_loadcnt 0x0
	s_delay_alu instid0(VALU_DEP_1) | instskip(NEXT) | instid1(VALU_DEP_1)
	v_fmac_f64_e32 v[94:95], v[88:89], v[66:67]
	v_add_f64_e64 v[2:3], v[58:59], -v[94:95]
	scratch_store_b64 off, v[2:3], off offset:16
	s_wait_xcnt 0x0
	v_cmpx_lt_u32_e32 1, v0
	s_cbranch_execz .LBB26_169
; %bb.168:
	scratch_load_b64 v[2:3], off, off offset:8
	v_mov_b64_e32 v[58:59], 0
	scratch_store_b64 off, v[58:59], off offset:8
	s_wait_loadcnt 0x0
	ds_store_b64 v1, v[2:3]
.LBB26_169:
	s_wait_xcnt 0x0
	s_or_b32 exec_lo, exec_lo, s0
	s_wait_storecnt_dscnt 0x0
	s_barrier_signal -1
	s_barrier_wait -1
	s_clause 0x5
	scratch_load_b128 v[60:63], off, off offset:8
	scratch_load_b128 v[64:67], off, off offset:24
	;; [unrolled: 1-line block ×6, first 2 shown]
	v_mov_b32_e32 v58, 0
	ds_load_b128 v[84:87], v58 offset:240
	ds_load_b128 v[88:91], v58 offset:256
	scratch_load_b128 v[92:95], off, off offset:104
	v_dual_ashrrev_i32 v9, 31, v8 :: v_dual_ashrrev_i32 v11, 31, v10
	v_dual_ashrrev_i32 v13, 31, v12 :: v_dual_ashrrev_i32 v15, 31, v14
	;; [unrolled: 1-line block ×12, first 2 shown]
	v_ashrrev_i32_e32 v57, 31, v56
	s_mov_b32 s0, exec_lo
	s_wait_loadcnt_dscnt 0x601
	v_fma_f64 v[2:3], v[62:63], v[84:85], 0
	s_wait_loadcnt 0x5
	s_delay_alu instid0(VALU_DEP_1) | instskip(SKIP_4) | instid1(VALU_DEP_1)
	v_fmac_f64_e32 v[2:3], v[64:65], v[86:87]
	scratch_load_b128 v[62:65], off, off offset:120
	s_wait_dscnt 0x0
	v_fmac_f64_e32 v[2:3], v[66:67], v[88:89]
	s_wait_loadcnt 0x5
	v_fmac_f64_e32 v[2:3], v[68:69], v[90:91]
	ds_load_b128 v[66:69], v58 offset:272
	ds_load_b128 v[84:87], v58 offset:288
	s_wait_dscnt 0x1
	v_fmac_f64_e32 v[2:3], v[70:71], v[66:67]
	s_wait_loadcnt 0x4
	s_delay_alu instid0(VALU_DEP_1)
	v_fmac_f64_e32 v[2:3], v[72:73], v[68:69]
	s_clause 0x1
	scratch_load_b128 v[66:69], off, off offset:136
	scratch_load_b128 v[70:73], off, off offset:152
	s_wait_dscnt 0x0
	v_fmac_f64_e32 v[2:3], v[74:75], v[84:85]
	s_wait_loadcnt 0x5
	s_delay_alu instid0(VALU_DEP_1)
	v_fmac_f64_e32 v[2:3], v[76:77], v[86:87]
	ds_load_b128 v[74:77], v58 offset:304
	ds_load_b128 v[84:87], v58 offset:320
	s_wait_dscnt 0x1
	v_fmac_f64_e32 v[2:3], v[78:79], v[74:75]
	s_wait_loadcnt 0x4
	s_delay_alu instid0(VALU_DEP_1)
	v_fmac_f64_e32 v[2:3], v[80:81], v[76:77]
	s_clause 0x1
	scratch_load_b128 v[74:77], off, off offset:168
	scratch_load_b128 v[78:81], off, off offset:184
	s_wait_dscnt 0x0
	v_fmac_f64_e32 v[2:3], v[82:83], v[84:85]
	s_wait_loadcnt 0x5
	s_delay_alu instid0(VALU_DEP_1)
	v_fmac_f64_e32 v[2:3], v[92:93], v[86:87]
	ds_load_b128 v[82:85], v58 offset:336
	ds_load_b128 v[86:89], v58 offset:352
	s_wait_dscnt 0x1
	v_fmac_f64_e32 v[2:3], v[94:95], v[82:83]
	s_wait_loadcnt 0x4
	s_delay_alu instid0(VALU_DEP_1) | instskip(SKIP_4) | instid1(VALU_DEP_1)
	v_fmac_f64_e32 v[2:3], v[62:63], v[84:85]
	scratch_load_b128 v[82:85], off, off offset:200
	s_wait_dscnt 0x0
	v_fmac_f64_e32 v[2:3], v[64:65], v[86:87]
	s_wait_loadcnt 0x4
	v_fmac_f64_e32 v[2:3], v[66:67], v[88:89]
	ds_load_b128 v[62:65], v58 offset:368
	ds_load_b128 v[86:89], v58 offset:384
	s_wait_dscnt 0x1
	v_fmac_f64_e32 v[2:3], v[68:69], v[62:63]
	s_wait_loadcnt 0x3
	s_delay_alu instid0(VALU_DEP_1)
	v_fmac_f64_e32 v[2:3], v[70:71], v[64:65]
	ds_load_b128 v[62:65], v58 offset:400
	ds_load_b128 v[66:69], v58 offset:416
	s_wait_dscnt 0x2
	v_fmac_f64_e32 v[2:3], v[72:73], v[86:87]
	s_wait_loadcnt 0x2
	s_delay_alu instid0(VALU_DEP_1) | instskip(SKIP_1) | instid1(VALU_DEP_1)
	v_fmac_f64_e32 v[2:3], v[74:75], v[88:89]
	s_wait_dscnt 0x1
	v_fmac_f64_e32 v[2:3], v[76:77], v[62:63]
	ds_load_b64 v[62:63], v58 offset:432
	s_wait_loadcnt 0x1
	v_fmac_f64_e32 v[2:3], v[78:79], v[64:65]
	s_wait_dscnt 0x1
	s_delay_alu instid0(VALU_DEP_1) | instskip(SKIP_1) | instid1(VALU_DEP_1)
	v_fmac_f64_e32 v[2:3], v[80:81], v[66:67]
	s_wait_loadcnt 0x0
	v_fmac_f64_e32 v[2:3], v[82:83], v[68:69]
	s_wait_dscnt 0x0
	s_delay_alu instid0(VALU_DEP_1) | instskip(NEXT) | instid1(VALU_DEP_1)
	v_fmac_f64_e32 v[2:3], v[84:85], v[62:63]
	v_add_f64_e64 v[2:3], v[60:61], -v[2:3]
	scratch_store_b64 off, v[2:3], off offset:8
	s_wait_xcnt 0x0
	v_cmpx_ne_u32_e32 0, v0
	s_cbranch_execz .LBB26_171
; %bb.170:
	scratch_load_b64 v[2:3], off, off
	v_mov_b64_e32 v[60:61], 0
	scratch_store_b64 off, v[60:61], off
	s_wait_loadcnt 0x0
	ds_store_b64 v1, v[2:3]
.LBB26_171:
	s_wait_xcnt 0x0
	s_or_b32 exec_lo, exec_lo, s0
	s_wait_storecnt_dscnt 0x0
	s_barrier_signal -1
	s_barrier_wait -1
	s_clause 0x5
	scratch_load_b128 v[60:63], off, off
	scratch_load_b128 v[0:3], off, off offset:16
	scratch_load_b128 v[64:67], off, off offset:32
	;; [unrolled: 1-line block ×5, first 2 shown]
	ds_load_2addr_b64 v[80:83], v58 offset0:29 offset1:30
	s_clause 0x1
	scratch_load_b128 v[84:87], off, off offset:96
	scratch_load_b128 v[88:91], off, off offset:112
	s_and_b32 vcc_lo, exec_lo, s18
	s_wait_loadcnt_dscnt 0x700
	v_fma_f64 v[92:93], v[62:63], v[80:81], 0
	s_wait_loadcnt 0x6
	s_delay_alu instid0(VALU_DEP_1)
	v_fmac_f64_e32 v[92:93], v[0:1], v[82:83]
	ds_load_2addr_b64 v[80:83], v58 offset0:31 offset1:32
	s_wait_dscnt 0x0
	v_fmac_f64_e32 v[92:93], v[2:3], v[80:81]
	ds_load_2addr_b64 v[0:3], v58 offset0:33 offset1:34
	s_wait_loadcnt 0x5
	v_fmac_f64_e32 v[92:93], v[64:65], v[82:83]
	s_clause 0x1
	scratch_load_b128 v[62:65], off, off offset:128
	scratch_load_b64 v[82:83], off, off offset:208
	s_wait_dscnt 0x0
	v_fmac_f64_e32 v[92:93], v[66:67], v[0:1]
	s_wait_loadcnt 0x6
	s_delay_alu instid0(VALU_DEP_1)
	v_fmac_f64_e32 v[92:93], v[68:69], v[2:3]
	ds_load_2addr_b64 v[0:3], v58 offset0:35 offset1:36
	scratch_load_b128 v[66:69], off, off offset:144
	s_wait_dscnt 0x0
	v_fmac_f64_e32 v[92:93], v[70:71], v[0:1]
	s_wait_loadcnt 0x6
	s_delay_alu instid0(VALU_DEP_1)
	v_fmac_f64_e32 v[92:93], v[72:73], v[2:3]
	ds_load_2addr_b64 v[0:3], v58 offset0:37 offset1:38
	scratch_load_b128 v[70:73], off, off offset:160
	;; [unrolled: 7-line block ×3, first 2 shown]
	s_wait_dscnt 0x0
	v_fmac_f64_e32 v[92:93], v[78:79], v[0:1]
	ds_load_2addr_b64 v[78:81], v58 offset0:41 offset1:42
	s_wait_loadcnt 0x6
	v_fmac_f64_e32 v[92:93], v[84:85], v[2:3]
	scratch_load_b128 v[0:3], off, off offset:192
	s_wait_dscnt 0x0
	v_fmac_f64_e32 v[92:93], v[86:87], v[78:79]
	s_wait_loadcnt 0x6
	s_delay_alu instid0(VALU_DEP_1) | instskip(SKIP_4) | instid1(VALU_DEP_1)
	v_fmac_f64_e32 v[92:93], v[88:89], v[80:81]
	ds_load_2addr_b64 v[78:81], v58 offset0:43 offset1:44
	s_wait_dscnt 0x0
	v_fmac_f64_e32 v[92:93], v[90:91], v[78:79]
	s_wait_loadcnt 0x5
	v_fmac_f64_e32 v[92:93], v[62:63], v[80:81]
	ds_load_2addr_b64 v[78:81], v58 offset0:45 offset1:46
	s_wait_dscnt 0x0
	v_fmac_f64_e32 v[92:93], v[64:65], v[78:79]
	ds_load_2addr_b64 v[62:65], v58 offset0:47 offset1:48
	s_wait_loadcnt 0x3
	v_fmac_f64_e32 v[92:93], v[66:67], v[80:81]
	s_wait_dscnt 0x0
	s_delay_alu instid0(VALU_DEP_1) | instskip(SKIP_1) | instid1(VALU_DEP_1)
	v_fmac_f64_e32 v[92:93], v[68:69], v[62:63]
	s_wait_loadcnt 0x2
	v_fmac_f64_e32 v[92:93], v[70:71], v[64:65]
	ds_load_2addr_b64 v[62:65], v58 offset0:49 offset1:50
	s_wait_dscnt 0x0
	v_fmac_f64_e32 v[92:93], v[72:73], v[62:63]
	s_wait_loadcnt 0x1
	s_delay_alu instid0(VALU_DEP_1) | instskip(SKIP_4) | instid1(VALU_DEP_1)
	v_fmac_f64_e32 v[92:93], v[74:75], v[64:65]
	ds_load_2addr_b64 v[62:65], v58 offset0:51 offset1:52
	s_wait_dscnt 0x0
	v_fmac_f64_e32 v[92:93], v[76:77], v[62:63]
	s_wait_loadcnt 0x0
	v_fmac_f64_e32 v[92:93], v[0:1], v[64:65]
	ds_load_2addr_b64 v[62:65], v58 offset0:53 offset1:54
	s_wait_dscnt 0x0
	v_fmac_f64_e32 v[92:93], v[2:3], v[62:63]
	s_delay_alu instid0(VALU_DEP_1) | instskip(NEXT) | instid1(VALU_DEP_1)
	v_fmac_f64_e32 v[92:93], v[82:83], v[64:65]
	v_add_f64_e64 v[62:63], v[60:61], -v[92:93]
	scratch_store_b64 off, v[62:63], off
	s_cbranch_vccz .LBB26_224
; %bb.172:
	v_mov_b32_e32 v0, 0
	global_load_b32 v1, v0, s[2:3] offset:100
	s_wait_loadcnt 0x0
	v_cmp_ne_u32_e32 vcc_lo, 26, v1
	s_cbranch_vccz .LBB26_174
; %bb.173:
	v_lshlrev_b32_e32 v1, 3, v1
	scratch_load_b64 v[58:59], v1, off offset:-8
	s_wait_loadcnt 0x0
	scratch_store_b64 off, v[58:59], off offset:200
	scratch_store_b64 v1, v[2:3], off offset:-8
.LBB26_174:
	global_load_b32 v0, v0, s[2:3] offset:96
	s_wait_loadcnt 0x0
	v_cmp_eq_u32_e32 vcc_lo, 25, v0
	s_cbranch_vccnz .LBB26_176
; %bb.175:
	s_wait_xcnt 0x0
	v_lshlrev_b32_e32 v0, 3, v0
	s_delay_alu instid0(VALU_DEP_1)
	v_mov_b32_e32 v58, v0
	scratch_load_b64 v[0:1], v58, off offset:-8
	scratch_load_b64 v[2:3], off, off offset:192
	s_wait_loadcnt 0x1
	scratch_store_b64 off, v[0:1], off offset:192
	s_wait_loadcnt 0x0
	scratch_store_b64 v58, v[2:3], off offset:-8
.LBB26_176:
	s_wait_xcnt 0x0
	v_mov_b32_e32 v0, 0
	global_load_b32 v1, v0, s[2:3] offset:92
	s_wait_loadcnt 0x0
	v_cmp_eq_u32_e32 vcc_lo, 24, v1
	s_cbranch_vccnz .LBB26_178
; %bb.177:
	v_lshlrev_b32_e32 v1, 3, v1
	scratch_load_b64 v[2:3], v1, off offset:-8
	scratch_load_b64 v[58:59], off, off offset:184
	s_wait_loadcnt 0x1
	scratch_store_b64 off, v[2:3], off offset:184
	s_wait_loadcnt 0x0
	scratch_store_b64 v1, v[58:59], off offset:-8
.LBB26_178:
	global_load_b32 v0, v0, s[2:3] offset:88
	s_wait_loadcnt 0x0
	v_cmp_eq_u32_e32 vcc_lo, 23, v0
	s_cbranch_vccnz .LBB26_180
; %bb.179:
	s_wait_xcnt 0x0
	v_lshlrev_b32_e32 v0, 3, v0
	s_delay_alu instid0(VALU_DEP_1)
	v_mov_b32_e32 v58, v0
	scratch_load_b64 v[0:1], v58, off offset:-8
	scratch_load_b64 v[2:3], off, off offset:176
	s_wait_loadcnt 0x1
	scratch_store_b64 off, v[0:1], off offset:176
	s_wait_loadcnt 0x0
	scratch_store_b64 v58, v[2:3], off offset:-8
.LBB26_180:
	s_wait_xcnt 0x0
	v_mov_b32_e32 v0, 0
	global_load_b32 v1, v0, s[2:3] offset:84
	s_wait_loadcnt 0x0
	v_cmp_eq_u32_e32 vcc_lo, 22, v1
	s_cbranch_vccnz .LBB26_182
; %bb.181:
	v_lshlrev_b32_e32 v1, 3, v1
	scratch_load_b64 v[2:3], v1, off offset:-8
	scratch_load_b64 v[58:59], off, off offset:168
	s_wait_loadcnt 0x1
	scratch_store_b64 off, v[2:3], off offset:168
	s_wait_loadcnt 0x0
	scratch_store_b64 v1, v[58:59], off offset:-8
.LBB26_182:
	;; [unrolled: 31-line block ×12, first 2 shown]
	global_load_b32 v0, v0, s[2:3]
	scratch_load_b64 v[62:63], off, off
	s_wait_loadcnt 0x1
	v_cmp_eq_u32_e32 vcc_lo, 1, v0
	s_cbranch_vccnz .LBB26_224
; %bb.223:
	s_wait_xcnt 0x1
	v_lshlrev_b32_e32 v0, 3, v0
	s_delay_alu instid0(VALU_DEP_1)
	v_mov_b32_e32 v2, v0
	scratch_load_b64 v[0:1], v2, off offset:-8
	s_wait_loadcnt 0x0
	scratch_store_b64 off, v[0:1], off
	scratch_store_b64 v2, v[62:63], off offset:-8
	scratch_load_b64 v[62:63], off, off
.LBB26_224:
	v_lshl_add_u64 v[64:65], v[8:9], 3, s[4:5]
	v_lshl_add_u64 v[58:59], v[10:11], 3, s[4:5]
	;; [unrolled: 1-line block ×23, first 2 shown]
	s_wait_xcnt 0x1
	v_lshl_add_u64 v[0:1], v[54:55], 3, s[4:5]
	s_clause 0x7
	scratch_load_b128 v[48:51], off, off offset:8
	scratch_load_b128 v[52:55], off, off offset:24
	;; [unrolled: 1-line block ×8, first 2 shown]
	s_wait_loadcnt 0x8
	global_store_b64 v[6:7], v[62:63], off
	s_clause 0x1
	scratch_load_b128 v[90:93], off, off offset:136
	scratch_load_b128 v[94:97], off, off offset:152
	v_lshl_add_u64 v[2:3], v[56:57], 3, s[4:5]
	s_wait_loadcnt 0x9
	s_clause 0x1
	global_store_b64 v[4:5], v[48:49], off
	global_store_b64 v[64:65], v[50:51], off
	s_clause 0x1
	scratch_load_b128 v[4:7], off, off offset:168
	scratch_load_b128 v[48:51], off, off offset:184
	s_wait_loadcnt 0xa
	s_clause 0x1
	global_store_b64 v[58:59], v[52:53], off
	global_store_b64 v[60:61], v[54:55], off
	scratch_load_b128 v[52:55], off, off offset:200
	s_wait_loadcnt 0xa
	s_clause 0x1
	global_store_b64 v[8:9], v[66:67], off
	global_store_b64 v[10:11], v[68:69], off
	s_wait_loadcnt 0x9
	s_clause 0x1
	global_store_b64 v[12:13], v[70:71], off
	global_store_b64 v[14:15], v[72:73], off
	;; [unrolled: 4-line block ×11, first 2 shown]
	s_sendmsg sendmsg(MSG_DEALLOC_VGPRS)
	s_endpgm
	.section	.rodata,"a",@progbits
	.p2align	6, 0x0
	.amdhsa_kernel _ZN9rocsolver6v33100L18getri_kernel_smallILi27EdPdEEvT1_iilPiilS4_bb
		.amdhsa_group_segment_fixed_size 440
		.amdhsa_private_segment_fixed_size 224
		.amdhsa_kernarg_size 60
		.amdhsa_user_sgpr_count 2
		.amdhsa_user_sgpr_dispatch_ptr 0
		.amdhsa_user_sgpr_queue_ptr 0
		.amdhsa_user_sgpr_kernarg_segment_ptr 1
		.amdhsa_user_sgpr_dispatch_id 0
		.amdhsa_user_sgpr_kernarg_preload_length 0
		.amdhsa_user_sgpr_kernarg_preload_offset 0
		.amdhsa_user_sgpr_private_segment_size 0
		.amdhsa_wavefront_size32 1
		.amdhsa_uses_dynamic_stack 0
		.amdhsa_enable_private_segment 1
		.amdhsa_system_sgpr_workgroup_id_x 1
		.amdhsa_system_sgpr_workgroup_id_y 0
		.amdhsa_system_sgpr_workgroup_id_z 0
		.amdhsa_system_sgpr_workgroup_info 0
		.amdhsa_system_vgpr_workitem_id 0
		.amdhsa_next_free_vgpr 98
		.amdhsa_next_free_sgpr 19
		.amdhsa_named_barrier_count 0
		.amdhsa_reserve_vcc 1
		.amdhsa_float_round_mode_32 0
		.amdhsa_float_round_mode_16_64 0
		.amdhsa_float_denorm_mode_32 3
		.amdhsa_float_denorm_mode_16_64 3
		.amdhsa_fp16_overflow 0
		.amdhsa_memory_ordered 1
		.amdhsa_forward_progress 1
		.amdhsa_inst_pref_size 156
		.amdhsa_round_robin_scheduling 0
		.amdhsa_exception_fp_ieee_invalid_op 0
		.amdhsa_exception_fp_denorm_src 0
		.amdhsa_exception_fp_ieee_div_zero 0
		.amdhsa_exception_fp_ieee_overflow 0
		.amdhsa_exception_fp_ieee_underflow 0
		.amdhsa_exception_fp_ieee_inexact 0
		.amdhsa_exception_int_div_zero 0
	.end_amdhsa_kernel
	.section	.text._ZN9rocsolver6v33100L18getri_kernel_smallILi27EdPdEEvT1_iilPiilS4_bb,"axG",@progbits,_ZN9rocsolver6v33100L18getri_kernel_smallILi27EdPdEEvT1_iilPiilS4_bb,comdat
.Lfunc_end26:
	.size	_ZN9rocsolver6v33100L18getri_kernel_smallILi27EdPdEEvT1_iilPiilS4_bb, .Lfunc_end26-_ZN9rocsolver6v33100L18getri_kernel_smallILi27EdPdEEvT1_iilPiilS4_bb
                                        ; -- End function
	.set _ZN9rocsolver6v33100L18getri_kernel_smallILi27EdPdEEvT1_iilPiilS4_bb.num_vgpr, 98
	.set _ZN9rocsolver6v33100L18getri_kernel_smallILi27EdPdEEvT1_iilPiilS4_bb.num_agpr, 0
	.set _ZN9rocsolver6v33100L18getri_kernel_smallILi27EdPdEEvT1_iilPiilS4_bb.numbered_sgpr, 19
	.set _ZN9rocsolver6v33100L18getri_kernel_smallILi27EdPdEEvT1_iilPiilS4_bb.num_named_barrier, 0
	.set _ZN9rocsolver6v33100L18getri_kernel_smallILi27EdPdEEvT1_iilPiilS4_bb.private_seg_size, 224
	.set _ZN9rocsolver6v33100L18getri_kernel_smallILi27EdPdEEvT1_iilPiilS4_bb.uses_vcc, 1
	.set _ZN9rocsolver6v33100L18getri_kernel_smallILi27EdPdEEvT1_iilPiilS4_bb.uses_flat_scratch, 1
	.set _ZN9rocsolver6v33100L18getri_kernel_smallILi27EdPdEEvT1_iilPiilS4_bb.has_dyn_sized_stack, 0
	.set _ZN9rocsolver6v33100L18getri_kernel_smallILi27EdPdEEvT1_iilPiilS4_bb.has_recursion, 0
	.set _ZN9rocsolver6v33100L18getri_kernel_smallILi27EdPdEEvT1_iilPiilS4_bb.has_indirect_call, 0
	.section	.AMDGPU.csdata,"",@progbits
; Kernel info:
; codeLenInByte = 19928
; TotalNumSgprs: 21
; NumVgprs: 98
; ScratchSize: 224
; MemoryBound: 0
; FloatMode: 240
; IeeeMode: 1
; LDSByteSize: 440 bytes/workgroup (compile time only)
; SGPRBlocks: 0
; VGPRBlocks: 6
; NumSGPRsForWavesPerEU: 21
; NumVGPRsForWavesPerEU: 98
; NamedBarCnt: 0
; Occupancy: 9
; WaveLimiterHint : 1
; COMPUTE_PGM_RSRC2:SCRATCH_EN: 1
; COMPUTE_PGM_RSRC2:USER_SGPR: 2
; COMPUTE_PGM_RSRC2:TRAP_HANDLER: 0
; COMPUTE_PGM_RSRC2:TGID_X_EN: 1
; COMPUTE_PGM_RSRC2:TGID_Y_EN: 0
; COMPUTE_PGM_RSRC2:TGID_Z_EN: 0
; COMPUTE_PGM_RSRC2:TIDIG_COMP_CNT: 0
	.section	.text._ZN9rocsolver6v33100L18getri_kernel_smallILi28EdPdEEvT1_iilPiilS4_bb,"axG",@progbits,_ZN9rocsolver6v33100L18getri_kernel_smallILi28EdPdEEvT1_iilPiilS4_bb,comdat
	.globl	_ZN9rocsolver6v33100L18getri_kernel_smallILi28EdPdEEvT1_iilPiilS4_bb ; -- Begin function _ZN9rocsolver6v33100L18getri_kernel_smallILi28EdPdEEvT1_iilPiilS4_bb
	.p2align	8
	.type	_ZN9rocsolver6v33100L18getri_kernel_smallILi28EdPdEEvT1_iilPiilS4_bb,@function
_ZN9rocsolver6v33100L18getri_kernel_smallILi28EdPdEEvT1_iilPiilS4_bb: ; @_ZN9rocsolver6v33100L18getri_kernel_smallILi28EdPdEEvT1_iilPiilS4_bb
; %bb.0:
	s_mov_b32 s2, exec_lo
	v_cmpx_gt_u32_e32 28, v0
	s_cbranch_execz .LBB27_122
; %bb.1:
	s_clause 0x2
	s_load_b32 s2, s[0:1], 0x38
	s_load_b128 s[12:15], s[0:1], 0x10
	s_load_b128 s[4:7], s[0:1], 0x28
	s_getreg_b32 s9, hwreg(HW_REG_IB_STS2, 6, 4)
	s_wait_kmcnt 0x0
	s_bitcmp1_b32 s2, 8
	s_cselect_b32 s18, -1, 0
	s_bfe_u32 s3, ttmp6, 0x4000c
	s_and_b32 s8, ttmp6, 15
	s_add_co_i32 s3, s3, 1
	s_delay_alu instid0(SALU_CYCLE_1) | instskip(NEXT) | instid1(SALU_CYCLE_1)
	s_mul_i32 s3, ttmp9, s3
	s_add_co_i32 s8, s8, s3
	s_cmp_eq_u32 s9, 0
	s_cselect_b32 s16, ttmp9, s8
	s_bfe_u32 s2, s2, 0x10008
	s_ashr_i32 s17, s16, 31
	s_cmp_eq_u32 s2, 0
                                        ; implicit-def: $sgpr2_sgpr3
	s_cbranch_scc1 .LBB27_3
; %bb.2:
	s_load_b32 s2, s[0:1], 0x20
	s_mul_u64 s[4:5], s[4:5], s[16:17]
	s_delay_alu instid0(SALU_CYCLE_1) | instskip(NEXT) | instid1(SALU_CYCLE_1)
	s_lshl_b64 s[4:5], s[4:5], 2
	s_add_nc_u64 s[4:5], s[14:15], s[4:5]
	s_wait_kmcnt 0x0
	s_ashr_i32 s3, s2, 31
	s_delay_alu instid0(SALU_CYCLE_1) | instskip(NEXT) | instid1(SALU_CYCLE_1)
	s_lshl_b64 s[2:3], s[2:3], 2
	s_add_nc_u64 s[2:3], s[4:5], s[2:3]
.LBB27_3:
	s_clause 0x1
	s_load_b128 s[8:11], s[0:1], 0x0
	s_load_b32 s14, s[0:1], 0x38
	s_wait_xcnt 0x0
	s_mul_u64 s[0:1], s[12:13], s[16:17]
	v_mov_b32_e32 v3, 0
	s_lshl_b64 s[0:1], s[0:1], 3
	s_wait_kmcnt 0x0
	v_add3_u32 v8, s11, s11, v0
	s_ashr_i32 s5, s10, 31
	s_mov_b32 s4, s10
	s_add_nc_u64 s[0:1], s[8:9], s[0:1]
	s_lshl_b64 s[4:5], s[4:5], 3
	v_add_nc_u32_e32 v10, s11, v8
	v_lshlrev_b32_e32 v2, 3, v0
	s_add_nc_u64 s[4:5], s[0:1], s[4:5]
	s_ashr_i32 s1, s11, 31
	s_mov_b32 s0, s11
	v_add_nc_u32_e32 v12, s11, v10
	v_add_nc_u64_e32 v[4:5], s[4:5], v[2:3]
	s_bitcmp0_b32 s14, 0
	s_delay_alu instid0(VALU_DEP_2) | instskip(NEXT) | instid1(VALU_DEP_2)
	v_add_nc_u32_e32 v14, s11, v12
	v_lshl_add_u64 v[6:7], s[0:1], 3, v[4:5]
	s_mov_b32 s1, -1
	s_delay_alu instid0(VALU_DEP_2) | instskip(SKIP_4) | instid1(VALU_DEP_1)
	v_add_nc_u32_e32 v16, s11, v14
	s_clause 0x1
	global_load_b64 v[56:57], v0, s[4:5] scale_offset
	global_load_b64 v[58:59], v[6:7], off
	v_add_nc_u32_e32 v18, s11, v16
	v_add_nc_u32_e32 v20, s11, v18
	s_clause 0x3
	global_load_b64 v[60:61], v8, s[4:5] scale_offset
	global_load_b64 v[62:63], v10, s[4:5] scale_offset
	;; [unrolled: 1-line block ×4, first 2 shown]
	v_add_nc_u32_e32 v22, s11, v20
	s_delay_alu instid0(VALU_DEP_1)
	v_add_nc_u32_e32 v24, s11, v22
	s_clause 0x3
	global_load_b64 v[68:69], v16, s[4:5] scale_offset
	global_load_b64 v[70:71], v18, s[4:5] scale_offset
	;; [unrolled: 1-line block ×4, first 2 shown]
	v_add_nc_u32_e32 v26, s11, v24
	s_delay_alu instid0(VALU_DEP_1) | instskip(NEXT) | instid1(VALU_DEP_1)
	v_add_nc_u32_e32 v28, s11, v26
	v_add_nc_u32_e32 v30, s11, v28
	s_delay_alu instid0(VALU_DEP_1) | instskip(SKIP_4) | instid1(VALU_DEP_1)
	v_add_nc_u32_e32 v32, s11, v30
	s_clause 0x1
	global_load_b64 v[76:77], v24, s[4:5] scale_offset
	global_load_b64 v[78:79], v26, s[4:5] scale_offset
	v_add_nc_u32_e32 v34, s11, v32
	v_add_nc_u32_e32 v36, s11, v34
	s_clause 0x1
	global_load_b64 v[80:81], v28, s[4:5] scale_offset
	global_load_b64 v[82:83], v30, s[4:5] scale_offset
	v_add_nc_u32_e32 v38, s11, v36
	s_delay_alu instid0(VALU_DEP_1) | instskip(NEXT) | instid1(VALU_DEP_1)
	v_add_nc_u32_e32 v40, s11, v38
	v_add_nc_u32_e32 v42, s11, v40
	s_delay_alu instid0(VALU_DEP_1)
	v_add_nc_u32_e32 v44, s11, v42
	s_clause 0x3
	global_load_b64 v[84:85], v32, s[4:5] scale_offset
	global_load_b64 v[86:87], v34, s[4:5] scale_offset
	;; [unrolled: 1-line block ×4, first 2 shown]
	v_add_nc_u32_e32 v46, s11, v44
	s_delay_alu instid0(VALU_DEP_1) | instskip(NEXT) | instid1(VALU_DEP_1)
	v_add_nc_u32_e32 v48, s11, v46
	v_add_nc_u32_e32 v50, s11, v48
	s_delay_alu instid0(VALU_DEP_1) | instskip(NEXT) | instid1(VALU_DEP_1)
	v_add_nc_u32_e32 v52, s11, v50
	v_add_nc_u32_e32 v54, s11, v52
	s_wait_loadcnt 0x10
	scratch_store_b128 off, v[56:59], off
	s_wait_xcnt 0x0
	v_add_nc_u32_e32 v56, s11, v54
	s_wait_loadcnt 0xe
	scratch_store_b128 off, v[60:63], off offset:16
	s_wait_loadcnt 0xc
	scratch_store_b128 off, v[64:67], off offset:32
	v_add_nc_u32_e32 v58, s11, v56
	s_clause 0x3
	global_load_b64 v[60:61], v40, s[4:5] scale_offset
	global_load_b64 v[62:63], v42, s[4:5] scale_offset
	;; [unrolled: 1-line block ×4, first 2 shown]
	s_wait_loadcnt 0xe
	scratch_store_b128 off, v[68:71], off offset:48
	s_wait_loadcnt 0xc
	scratch_store_b128 off, v[72:75], off offset:64
	s_clause 0x3
	global_load_b64 v[68:69], v48, s[4:5] scale_offset
	global_load_b64 v[70:71], v50, s[4:5] scale_offset
	;; [unrolled: 1-line block ×4, first 2 shown]
	s_wait_loadcnt 0xe
	scratch_store_b128 off, v[76:79], off offset:80
	s_clause 0x1
	global_load_b64 v[76:77], v56, s[4:5] scale_offset
	global_load_b64 v[78:79], v58, s[4:5] scale_offset
	s_wait_loadcnt 0xe
	scratch_store_b128 off, v[80:83], off offset:96
	s_wait_loadcnt 0xc
	scratch_store_b128 off, v[84:87], off offset:112
	s_wait_loadcnt 0xa
	scratch_store_b128 off, v[88:91], off offset:128
	s_wait_loadcnt 0x8
	scratch_store_b128 off, v[60:63], off offset:144
	s_wait_loadcnt 0x6
	scratch_store_b128 off, v[64:67], off offset:160
	s_wait_loadcnt 0x4
	scratch_store_b128 off, v[68:71], off offset:176
	s_wait_loadcnt 0x2
	scratch_store_b128 off, v[72:75], off offset:192
	s_wait_loadcnt 0x0
	scratch_store_b128 off, v[76:79], off offset:208
	s_cbranch_scc1 .LBB27_120
; %bb.4:
	v_cmp_eq_u32_e64 s0, 0, v0
	s_wait_xcnt 0x0
	s_and_saveexec_b32 s1, s0
; %bb.5:
	v_mov_b32_e32 v1, 0
	ds_store_b32 v1, v1 offset:448
; %bb.6:
	s_or_b32 exec_lo, exec_lo, s1
	s_wait_storecnt_dscnt 0x0
	s_barrier_signal -1
	s_barrier_wait -1
	scratch_load_b64 v[60:61], v0, off scale_offset
	s_mov_b32 s8, exec_lo
	s_wait_loadcnt 0x0
	v_cmpx_eq_f64_e32 0, v[60:61]
	s_cbranch_execz .LBB27_10
; %bb.7:
	v_mov_b32_e32 v1, 0
	s_mov_b32 s9, 0
	ds_load_b32 v3, v1 offset:448
	s_wait_dscnt 0x0
	v_readfirstlane_b32 s1, v3
	v_add_nc_u32_e32 v3, 1, v0
	s_cmp_eq_u32 s1, 0
	s_delay_alu instid0(VALU_DEP_1) | instskip(SKIP_1) | instid1(SALU_CYCLE_1)
	v_cmp_gt_i32_e32 vcc_lo, s1, v3
	s_cselect_b32 s10, -1, 0
	s_or_b32 s10, s10, vcc_lo
	s_delay_alu instid0(SALU_CYCLE_1)
	s_and_b32 exec_lo, exec_lo, s10
	s_cbranch_execz .LBB27_10
; %bb.8:
	v_mov_b32_e32 v9, s1
.LBB27_9:                               ; =>This Inner Loop Header: Depth=1
	ds_cmpstore_rtn_b32 v9, v1, v3, v9 offset:448
	s_wait_dscnt 0x0
	v_cmp_ne_u32_e32 vcc_lo, 0, v9
	v_cmp_le_i32_e64 s1, v9, v3
	s_and_b32 s1, vcc_lo, s1
	s_delay_alu instid0(SALU_CYCLE_1) | instskip(NEXT) | instid1(SALU_CYCLE_1)
	s_and_b32 s1, exec_lo, s1
	s_or_b32 s9, s1, s9
	s_delay_alu instid0(SALU_CYCLE_1)
	s_and_not1_b32 exec_lo, exec_lo, s9
	s_cbranch_execnz .LBB27_9
.LBB27_10:
	s_or_b32 exec_lo, exec_lo, s8
	v_mov_b32_e32 v1, 0
	s_barrier_signal -1
	s_barrier_wait -1
	ds_load_b32 v3, v1 offset:448
	s_and_saveexec_b32 s1, s0
	s_cbranch_execz .LBB27_12
; %bb.11:
	s_lshl_b64 s[8:9], s[16:17], 2
	s_delay_alu instid0(SALU_CYCLE_1)
	s_add_nc_u64 s[8:9], s[6:7], s[8:9]
	s_wait_dscnt 0x0
	global_store_b32 v1, v3, s[8:9]
.LBB27_12:
	s_wait_xcnt 0x0
	s_or_b32 exec_lo, exec_lo, s1
	s_wait_dscnt 0x0
	v_cmp_ne_u32_e32 vcc_lo, 0, v3
	s_mov_b32 s1, 0
	s_cbranch_vccnz .LBB27_120
; %bb.13:
	v_lshl_add_u32 v3, v0, 3, 0
	v_add_nc_u32_e32 v1, 0xe0, v2
	scratch_load_b64 v[60:61], v3, off
	s_wait_loadcnt 0x0
	v_div_scale_f64 v[62:63], null, v[60:61], v[60:61], 1.0
	v_div_scale_f64 v[68:69], vcc_lo, 1.0, v[60:61], 1.0
	s_delay_alu instid0(VALU_DEP_2) | instskip(SKIP_1) | instid1(TRANS32_DEP_1)
	v_rcp_f64_e32 v[64:65], v[62:63]
	v_nop
	v_fma_f64 v[66:67], -v[62:63], v[64:65], 1.0
	s_delay_alu instid0(VALU_DEP_1) | instskip(NEXT) | instid1(VALU_DEP_1)
	v_fmac_f64_e32 v[64:65], v[64:65], v[66:67]
	v_fma_f64 v[66:67], -v[62:63], v[64:65], 1.0
	s_delay_alu instid0(VALU_DEP_1) | instskip(NEXT) | instid1(VALU_DEP_1)
	v_fmac_f64_e32 v[64:65], v[64:65], v[66:67]
	v_mul_f64_e32 v[66:67], v[68:69], v[64:65]
	s_delay_alu instid0(VALU_DEP_1) | instskip(NEXT) | instid1(VALU_DEP_1)
	v_fma_f64 v[62:63], -v[62:63], v[66:67], v[68:69]
	v_div_fmas_f64 v[62:63], v[62:63], v[64:65], v[66:67]
	s_delay_alu instid0(VALU_DEP_1)
	v_div_fixup_f64 v[60:61], v[62:63], v[60:61], 1.0
	scratch_store_b64 v3, v[60:61], off
	scratch_load_b64 v[62:63], off, off offset:8
	s_wait_xcnt 0x1
	v_xor_b32_e32 v61, 0x80000000, v61
	s_wait_loadcnt 0x0
	ds_store_2addr_b64 v2, v[60:61], v[62:63] offset1:28
	s_wait_storecnt_dscnt 0x0
	s_barrier_signal -1
	s_barrier_wait -1
	s_wait_xcnt 0x0
	s_and_saveexec_b32 s1, s0
	s_cbranch_execz .LBB27_15
; %bb.14:
	scratch_load_b64 v[60:61], v3, off
	ds_load_b64 v[62:63], v1
	s_wait_loadcnt_dscnt 0x0
	v_fma_f64 v[60:61], v[60:61], v[62:63], 0
	v_mov_b32_e32 v9, 0
	ds_load_b64 v[64:65], v9 offset:8
	s_wait_dscnt 0x0
	v_mul_f64_e32 v[60:61], v[60:61], v[64:65]
	scratch_store_b64 off, v[60:61], off offset:8
.LBB27_15:
	s_wait_xcnt 0x0
	s_or_b32 exec_lo, exec_lo, s1
	s_wait_storecnt 0x0
	s_barrier_signal -1
	s_barrier_wait -1
	scratch_load_b64 v[60:61], off, off offset:16
	s_mov_b32 s1, exec_lo
	s_wait_loadcnt 0x0
	ds_store_b64 v1, v[60:61]
	s_wait_dscnt 0x0
	s_barrier_signal -1
	s_barrier_wait -1
	v_cmpx_gt_u32_e32 2, v0
	s_cbranch_execz .LBB27_19
; %bb.16:
	scratch_load_b64 v[60:61], v3, off
	ds_load_b64 v[62:63], v1
	s_wait_loadcnt_dscnt 0x0
	v_fma_f64 v[60:61], v[60:61], v[62:63], 0
	s_and_saveexec_b32 s8, s0
	s_cbranch_execz .LBB27_18
; %bb.17:
	scratch_load_b64 v[62:63], off, off offset:8
	v_mov_b32_e32 v3, 0
	ds_load_b64 v[64:65], v3 offset:232
	s_wait_loadcnt_dscnt 0x0
	v_fmac_f64_e32 v[60:61], v[62:63], v[64:65]
.LBB27_18:
	s_or_b32 exec_lo, exec_lo, s8
	v_mov_b32_e32 v3, 0
	ds_load_b64 v[62:63], v3 offset:16
	s_wait_dscnt 0x0
	v_mul_f64_e32 v[60:61], v[60:61], v[62:63]
	scratch_store_b64 off, v[60:61], off offset:16
.LBB27_19:
	s_wait_xcnt 0x0
	s_or_b32 exec_lo, exec_lo, s1
	s_wait_storecnt 0x0
	s_barrier_signal -1
	s_barrier_wait -1
	scratch_load_b64 v[60:61], off, off offset:24
	v_add_nc_u32_e32 v3, -1, v0
	s_mov_b32 s0, exec_lo
	s_wait_loadcnt 0x0
	ds_store_b64 v1, v[60:61]
	s_wait_dscnt 0x0
	s_barrier_signal -1
	s_barrier_wait -1
	v_cmpx_gt_u32_e32 3, v0
	s_cbranch_execz .LBB27_23
; %bb.20:
	v_mov_b64_e32 v[60:61], 0
	v_dual_add_nc_u32 v9, -1, v0 :: v_dual_mov_b32 v13, v2
	v_add_nc_u32_e32 v11, 0xe0, v2
	s_mov_b32 s1, 0
.LBB27_21:                              ; =>This Inner Loop Header: Depth=1
	scratch_load_b64 v[62:63], v13, off
	ds_load_b64 v[64:65], v11
	v_dual_add_nc_u32 v9, 1, v9 :: v_dual_add_nc_u32 v11, 8, v11
	s_wait_xcnt 0x0
	v_add_nc_u32_e32 v13, 8, v13
	s_delay_alu instid0(VALU_DEP_2)
	v_cmp_lt_u32_e32 vcc_lo, 1, v9
	s_or_b32 s1, vcc_lo, s1
	s_wait_loadcnt_dscnt 0x0
	v_fmac_f64_e32 v[60:61], v[62:63], v[64:65]
	s_and_not1_b32 exec_lo, exec_lo, s1
	s_cbranch_execnz .LBB27_21
; %bb.22:
	s_or_b32 exec_lo, exec_lo, s1
	v_mov_b32_e32 v9, 0
	ds_load_b64 v[62:63], v9 offset:24
	s_wait_dscnt 0x0
	v_mul_f64_e32 v[60:61], v[60:61], v[62:63]
	scratch_store_b64 off, v[60:61], off offset:24
.LBB27_23:
	s_wait_xcnt 0x0
	s_or_b32 exec_lo, exec_lo, s0
	s_wait_storecnt 0x0
	s_barrier_signal -1
	s_barrier_wait -1
	scratch_load_b64 v[60:61], off, off offset:32
	s_mov_b32 s0, exec_lo
	s_wait_loadcnt 0x0
	ds_store_b64 v1, v[60:61]
	s_wait_dscnt 0x0
	s_barrier_signal -1
	s_barrier_wait -1
	v_cmpx_gt_u32_e32 4, v0
	s_cbranch_execz .LBB27_27
; %bb.24:
	v_mov_b64_e32 v[60:61], 0
	v_dual_add_nc_u32 v9, -1, v0 :: v_dual_mov_b32 v13, v2
	v_add_nc_u32_e32 v11, 0xe0, v2
	s_mov_b32 s1, 0
.LBB27_25:                              ; =>This Inner Loop Header: Depth=1
	scratch_load_b64 v[62:63], v13, off
	ds_load_b64 v[64:65], v11
	v_dual_add_nc_u32 v9, 1, v9 :: v_dual_add_nc_u32 v11, 8, v11
	s_wait_xcnt 0x0
	v_add_nc_u32_e32 v13, 8, v13
	s_delay_alu instid0(VALU_DEP_2)
	v_cmp_lt_u32_e32 vcc_lo, 2, v9
	s_or_b32 s1, vcc_lo, s1
	s_wait_loadcnt_dscnt 0x0
	v_fmac_f64_e32 v[60:61], v[62:63], v[64:65]
	s_and_not1_b32 exec_lo, exec_lo, s1
	s_cbranch_execnz .LBB27_25
; %bb.26:
	s_or_b32 exec_lo, exec_lo, s1
	v_mov_b32_e32 v9, 0
	ds_load_b64 v[62:63], v9 offset:32
	s_wait_dscnt 0x0
	v_mul_f64_e32 v[60:61], v[60:61], v[62:63]
	scratch_store_b64 off, v[60:61], off offset:32
.LBB27_27:
	s_wait_xcnt 0x0
	s_or_b32 exec_lo, exec_lo, s0
	s_wait_storecnt 0x0
	s_barrier_signal -1
	s_barrier_wait -1
	scratch_load_b64 v[60:61], off, off offset:40
	;; [unrolled: 40-line block ×20, first 2 shown]
	s_mov_b32 s0, exec_lo
	s_wait_loadcnt 0x0
	ds_store_b64 v1, v[60:61]
	s_wait_dscnt 0x0
	s_barrier_signal -1
	s_barrier_wait -1
	v_cmpx_gt_u32_e32 23, v0
	s_cbranch_execz .LBB27_103
; %bb.100:
	v_mov_b64_e32 v[60:61], 0
	v_dual_add_nc_u32 v9, -1, v0 :: v_dual_mov_b32 v13, v2
	v_add_nc_u32_e32 v11, 0xe0, v2
	s_mov_b32 s1, 0
.LBB27_101:                             ; =>This Inner Loop Header: Depth=1
	scratch_load_b64 v[62:63], v13, off
	ds_load_b64 v[64:65], v11
	v_dual_add_nc_u32 v9, 1, v9 :: v_dual_add_nc_u32 v11, 8, v11
	s_wait_xcnt 0x0
	v_add_nc_u32_e32 v13, 8, v13
	s_delay_alu instid0(VALU_DEP_2)
	v_cmp_lt_u32_e32 vcc_lo, 21, v9
	s_or_b32 s1, vcc_lo, s1
	s_wait_loadcnt_dscnt 0x0
	v_fmac_f64_e32 v[60:61], v[62:63], v[64:65]
	s_and_not1_b32 exec_lo, exec_lo, s1
	s_cbranch_execnz .LBB27_101
; %bb.102:
	s_or_b32 exec_lo, exec_lo, s1
	v_mov_b32_e32 v9, 0
	ds_load_b64 v[62:63], v9 offset:184
	s_wait_dscnt 0x0
	v_mul_f64_e32 v[60:61], v[60:61], v[62:63]
	scratch_store_b64 off, v[60:61], off offset:184
.LBB27_103:
	s_wait_xcnt 0x0
	s_or_b32 exec_lo, exec_lo, s0
	s_wait_storecnt 0x0
	s_barrier_signal -1
	s_barrier_wait -1
	scratch_load_b64 v[60:61], off, off offset:192
	s_mov_b32 s0, exec_lo
	s_wait_loadcnt 0x0
	ds_store_b64 v1, v[60:61]
	s_wait_dscnt 0x0
	s_barrier_signal -1
	s_barrier_wait -1
	v_cmpx_gt_u32_e32 24, v0
	s_cbranch_execz .LBB27_107
; %bb.104:
	v_mov_b64_e32 v[60:61], 0
	v_dual_add_nc_u32 v9, -1, v0 :: v_dual_mov_b32 v13, v2
	v_add_nc_u32_e32 v11, 0xe0, v2
	s_mov_b32 s1, 0
.LBB27_105:                             ; =>This Inner Loop Header: Depth=1
	scratch_load_b64 v[62:63], v13, off
	ds_load_b64 v[64:65], v11
	v_dual_add_nc_u32 v9, 1, v9 :: v_dual_add_nc_u32 v11, 8, v11
	s_wait_xcnt 0x0
	v_add_nc_u32_e32 v13, 8, v13
	s_delay_alu instid0(VALU_DEP_2)
	v_cmp_lt_u32_e32 vcc_lo, 22, v9
	s_or_b32 s1, vcc_lo, s1
	s_wait_loadcnt_dscnt 0x0
	v_fmac_f64_e32 v[60:61], v[62:63], v[64:65]
	s_and_not1_b32 exec_lo, exec_lo, s1
	s_cbranch_execnz .LBB27_105
; %bb.106:
	s_or_b32 exec_lo, exec_lo, s1
	v_mov_b32_e32 v9, 0
	ds_load_b64 v[62:63], v9 offset:192
	s_wait_dscnt 0x0
	v_mul_f64_e32 v[60:61], v[60:61], v[62:63]
	scratch_store_b64 off, v[60:61], off offset:192
.LBB27_107:
	s_wait_xcnt 0x0
	s_or_b32 exec_lo, exec_lo, s0
	s_wait_storecnt 0x0
	s_barrier_signal -1
	s_barrier_wait -1
	scratch_load_b64 v[60:61], off, off offset:200
	;; [unrolled: 40-line block ×4, first 2 shown]
	s_mov_b32 s0, exec_lo
	s_wait_loadcnt 0x0
	ds_store_b64 v1, v[60:61]
	s_wait_dscnt 0x0
	s_barrier_signal -1
	s_barrier_wait -1
	v_cmpx_ne_u32_e32 27, v0
	s_cbranch_execz .LBB27_119
; %bb.116:
	v_mov_b64_e32 v[60:61], 0
	s_mov_b32 s1, 0
.LBB27_117:                             ; =>This Inner Loop Header: Depth=1
	scratch_load_b64 v[62:63], v2, off
	ds_load_b64 v[64:65], v1
	v_dual_add_nc_u32 v3, 1, v3 :: v_dual_add_nc_u32 v1, 8, v1
	s_wait_xcnt 0x0
	v_add_nc_u32_e32 v2, 8, v2
	s_delay_alu instid0(VALU_DEP_2)
	v_cmp_lt_u32_e32 vcc_lo, 25, v3
	s_or_b32 s1, vcc_lo, s1
	s_wait_loadcnt_dscnt 0x0
	v_fmac_f64_e32 v[60:61], v[62:63], v[64:65]
	s_and_not1_b32 exec_lo, exec_lo, s1
	s_cbranch_execnz .LBB27_117
; %bb.118:
	s_or_b32 exec_lo, exec_lo, s1
	v_mov_b32_e32 v1, 0
	ds_load_b64 v[2:3], v1 offset:216
	s_wait_dscnt 0x0
	v_mul_f64_e32 v[2:3], v[60:61], v[2:3]
	scratch_store_b64 off, v[2:3], off offset:216
.LBB27_119:
	s_wait_xcnt 0x0
	s_or_b32 exec_lo, exec_lo, s0
	s_mov_b32 s1, -1
	s_wait_storecnt 0x0
	s_barrier_signal -1
	s_barrier_wait -1
.LBB27_120:
	s_and_b32 vcc_lo, exec_lo, s1
	s_cbranch_vccz .LBB27_122
; %bb.121:
	v_mov_b32_e32 v1, 0
	s_lshl_b64 s[0:1], s[16:17], 2
	s_delay_alu instid0(SALU_CYCLE_1)
	s_add_nc_u64 s[0:1], s[6:7], s[0:1]
	global_load_b32 v1, v1, s[0:1]
	s_wait_loadcnt 0x0
	v_cmp_ne_u32_e32 vcc_lo, 0, v1
	s_cbranch_vccz .LBB27_123
.LBB27_122:
	s_sendmsg sendmsg(MSG_DEALLOC_VGPRS)
	s_endpgm
.LBB27_123:
	s_wait_xcnt 0x0
	v_lshl_add_u32 v1, v0, 3, 0xe0
	s_mov_b32 s0, exec_lo
	v_cmpx_eq_u32_e32 27, v0
	s_cbranch_execz .LBB27_125
; %bb.124:
	scratch_load_b64 v[2:3], off, off offset:208
	v_mov_b64_e32 v[60:61], 0
	scratch_store_b64 off, v[60:61], off offset:208
	s_wait_loadcnt 0x0
	ds_store_b64 v1, v[2:3]
.LBB27_125:
	s_wait_xcnt 0x0
	s_or_b32 exec_lo, exec_lo, s0
	s_wait_storecnt_dscnt 0x0
	s_barrier_signal -1
	s_barrier_wait -1
	scratch_load_b128 v[60:63], off, off offset:208
	v_mov_b32_e32 v2, 0
	s_mov_b32 s0, exec_lo
	ds_load_b64 v[64:65], v2 offset:440
	s_wait_loadcnt_dscnt 0x0
	v_fma_f64 v[62:63], v[62:63], v[64:65], 0
	s_delay_alu instid0(VALU_DEP_1)
	v_add_f64_e64 v[60:61], v[60:61], -v[62:63]
	scratch_store_b64 off, v[60:61], off offset:208
	s_wait_xcnt 0x0
	v_cmpx_lt_u32_e32 25, v0
	s_cbranch_execz .LBB27_127
; %bb.126:
	scratch_load_b64 v[60:61], off, off offset:200
	v_mov_b64_e32 v[62:63], 0
	scratch_store_b64 off, v[62:63], off offset:200
	s_wait_loadcnt 0x0
	ds_store_b64 v1, v[60:61]
.LBB27_127:
	s_wait_xcnt 0x0
	s_or_b32 exec_lo, exec_lo, s0
	s_wait_storecnt_dscnt 0x0
	s_barrier_signal -1
	s_barrier_wait -1
	s_clause 0x1
	scratch_load_b128 v[60:63], off, off offset:200
	scratch_load_b64 v[68:69], off, off offset:216
	ds_load_b128 v[64:67], v2 offset:432
	s_mov_b32 s0, exec_lo
	s_wait_loadcnt_dscnt 0x100
	v_fma_f64 v[2:3], v[62:63], v[64:65], 0
	s_wait_loadcnt 0x0
	s_delay_alu instid0(VALU_DEP_1) | instskip(NEXT) | instid1(VALU_DEP_1)
	v_fmac_f64_e32 v[2:3], v[68:69], v[66:67]
	v_add_f64_e64 v[2:3], v[60:61], -v[2:3]
	scratch_store_b64 off, v[2:3], off offset:200
	s_wait_xcnt 0x0
	v_cmpx_lt_u32_e32 24, v0
	s_cbranch_execz .LBB27_129
; %bb.128:
	scratch_load_b64 v[2:3], off, off offset:192
	v_mov_b64_e32 v[60:61], 0
	scratch_store_b64 off, v[60:61], off offset:192
	s_wait_loadcnt 0x0
	ds_store_b64 v1, v[2:3]
.LBB27_129:
	s_wait_xcnt 0x0
	s_or_b32 exec_lo, exec_lo, s0
	s_wait_storecnt_dscnt 0x0
	s_barrier_signal -1
	s_barrier_wait -1
	s_clause 0x1
	scratch_load_b128 v[60:63], off, off offset:192
	scratch_load_b128 v[64:67], off, off offset:208
	v_mov_b32_e32 v2, 0
	ds_load_2addr_b64 v[68:71], v2 offset0:53 offset1:54
	ds_load_b64 v[72:73], v2 offset:440
	s_mov_b32 s0, exec_lo
	s_wait_loadcnt_dscnt 0x101
	v_fma_f64 v[62:63], v[62:63], v[68:69], 0
	s_wait_loadcnt 0x0
	s_delay_alu instid0(VALU_DEP_1) | instskip(SKIP_1) | instid1(VALU_DEP_1)
	v_fmac_f64_e32 v[62:63], v[64:65], v[70:71]
	s_wait_dscnt 0x0
	v_fmac_f64_e32 v[62:63], v[66:67], v[72:73]
	s_delay_alu instid0(VALU_DEP_1)
	v_add_f64_e64 v[60:61], v[60:61], -v[62:63]
	scratch_store_b64 off, v[60:61], off offset:192
	s_wait_xcnt 0x0
	v_cmpx_lt_u32_e32 23, v0
	s_cbranch_execz .LBB27_131
; %bb.130:
	scratch_load_b64 v[60:61], off, off offset:184
	v_mov_b64_e32 v[62:63], 0
	scratch_store_b64 off, v[62:63], off offset:184
	s_wait_loadcnt 0x0
	ds_store_b64 v1, v[60:61]
.LBB27_131:
	s_wait_xcnt 0x0
	s_or_b32 exec_lo, exec_lo, s0
	s_wait_storecnt_dscnt 0x0
	s_barrier_signal -1
	s_barrier_wait -1
	s_clause 0x2
	scratch_load_b128 v[60:63], off, off offset:184
	scratch_load_b128 v[64:67], off, off offset:200
	scratch_load_b64 v[76:77], off, off offset:216
	ds_load_b128 v[68:71], v2 offset:416
	ds_load_b128 v[72:75], v2 offset:432
	s_mov_b32 s0, exec_lo
	s_wait_loadcnt_dscnt 0x201
	v_fma_f64 v[2:3], v[62:63], v[68:69], 0
	s_wait_loadcnt 0x1
	s_delay_alu instid0(VALU_DEP_1) | instskip(SKIP_1) | instid1(VALU_DEP_1)
	v_fmac_f64_e32 v[2:3], v[64:65], v[70:71]
	s_wait_dscnt 0x0
	v_fmac_f64_e32 v[2:3], v[66:67], v[72:73]
	s_wait_loadcnt 0x0
	s_delay_alu instid0(VALU_DEP_1) | instskip(NEXT) | instid1(VALU_DEP_1)
	v_fmac_f64_e32 v[2:3], v[76:77], v[74:75]
	v_add_f64_e64 v[2:3], v[60:61], -v[2:3]
	scratch_store_b64 off, v[2:3], off offset:184
	s_wait_xcnt 0x0
	v_cmpx_lt_u32_e32 22, v0
	s_cbranch_execz .LBB27_133
; %bb.132:
	scratch_load_b64 v[2:3], off, off offset:176
	v_mov_b64_e32 v[60:61], 0
	scratch_store_b64 off, v[60:61], off offset:176
	s_wait_loadcnt 0x0
	ds_store_b64 v1, v[2:3]
.LBB27_133:
	s_wait_xcnt 0x0
	s_or_b32 exec_lo, exec_lo, s0
	s_wait_storecnt_dscnt 0x0
	s_barrier_signal -1
	s_barrier_wait -1
	s_clause 0x2
	scratch_load_b128 v[60:63], off, off offset:176
	scratch_load_b128 v[64:67], off, off offset:192
	;; [unrolled: 1-line block ×3, first 2 shown]
	v_mov_b32_e32 v2, 0
	ds_load_2addr_b64 v[72:75], v2 offset0:51 offset1:52
	ds_load_2addr_b64 v[76:79], v2 offset0:53 offset1:54
	s_mov_b32 s0, exec_lo
	s_wait_loadcnt_dscnt 0x201
	v_fma_f64 v[62:63], v[62:63], v[72:73], 0
	s_wait_loadcnt 0x1
	s_delay_alu instid0(VALU_DEP_1) | instskip(SKIP_4) | instid1(VALU_DEP_1)
	v_fmac_f64_e32 v[62:63], v[64:65], v[74:75]
	ds_load_b64 v[64:65], v2 offset:440
	s_wait_dscnt 0x1
	v_fmac_f64_e32 v[62:63], v[66:67], v[76:77]
	s_wait_loadcnt 0x0
	v_fmac_f64_e32 v[62:63], v[68:69], v[78:79]
	s_wait_dscnt 0x0
	s_delay_alu instid0(VALU_DEP_1) | instskip(NEXT) | instid1(VALU_DEP_1)
	v_fmac_f64_e32 v[62:63], v[70:71], v[64:65]
	v_add_f64_e64 v[60:61], v[60:61], -v[62:63]
	scratch_store_b64 off, v[60:61], off offset:176
	s_wait_xcnt 0x0
	v_cmpx_lt_u32_e32 21, v0
	s_cbranch_execz .LBB27_135
; %bb.134:
	scratch_load_b64 v[60:61], off, off offset:168
	v_mov_b64_e32 v[62:63], 0
	scratch_store_b64 off, v[62:63], off offset:168
	s_wait_loadcnt 0x0
	ds_store_b64 v1, v[60:61]
.LBB27_135:
	s_wait_xcnt 0x0
	s_or_b32 exec_lo, exec_lo, s0
	s_wait_storecnt_dscnt 0x0
	s_barrier_signal -1
	s_barrier_wait -1
	s_clause 0x3
	scratch_load_b128 v[60:63], off, off offset:168
	scratch_load_b128 v[64:67], off, off offset:184
	;; [unrolled: 1-line block ×3, first 2 shown]
	scratch_load_b64 v[80:81], off, off offset:216
	ds_load_b128 v[72:75], v2 offset:400
	ds_load_b128 v[76:79], v2 offset:416
	s_mov_b32 s0, exec_lo
	s_wait_loadcnt_dscnt 0x301
	v_fma_f64 v[72:73], v[62:63], v[72:73], 0
	s_wait_loadcnt 0x2
	s_delay_alu instid0(VALU_DEP_1) | instskip(SKIP_4) | instid1(VALU_DEP_1)
	v_fmac_f64_e32 v[72:73], v[64:65], v[74:75]
	ds_load_b128 v[62:65], v2 offset:432
	s_wait_dscnt 0x1
	v_fmac_f64_e32 v[72:73], v[66:67], v[76:77]
	s_wait_loadcnt 0x1
	v_fmac_f64_e32 v[72:73], v[68:69], v[78:79]
	s_wait_dscnt 0x0
	s_delay_alu instid0(VALU_DEP_1) | instskip(SKIP_1) | instid1(VALU_DEP_1)
	v_fmac_f64_e32 v[72:73], v[70:71], v[62:63]
	s_wait_loadcnt 0x0
	v_fmac_f64_e32 v[72:73], v[80:81], v[64:65]
	s_delay_alu instid0(VALU_DEP_1)
	v_add_f64_e64 v[2:3], v[60:61], -v[72:73]
	scratch_store_b64 off, v[2:3], off offset:168
	s_wait_xcnt 0x0
	v_cmpx_lt_u32_e32 20, v0
	s_cbranch_execz .LBB27_137
; %bb.136:
	scratch_load_b64 v[2:3], off, off offset:160
	v_mov_b64_e32 v[60:61], 0
	scratch_store_b64 off, v[60:61], off offset:160
	s_wait_loadcnt 0x0
	ds_store_b64 v1, v[2:3]
.LBB27_137:
	s_wait_xcnt 0x0
	s_or_b32 exec_lo, exec_lo, s0
	s_wait_storecnt_dscnt 0x0
	s_barrier_signal -1
	s_barrier_wait -1
	s_clause 0x3
	scratch_load_b128 v[60:63], off, off offset:160
	scratch_load_b128 v[64:67], off, off offset:176
	;; [unrolled: 1-line block ×4, first 2 shown]
	v_mov_b32_e32 v2, 0
	ds_load_2addr_b64 v[76:79], v2 offset0:49 offset1:50
	ds_load_2addr_b64 v[80:83], v2 offset0:51 offset1:52
	s_mov_b32 s0, exec_lo
	s_wait_loadcnt_dscnt 0x301
	v_fma_f64 v[76:77], v[62:63], v[76:77], 0
	s_wait_loadcnt 0x2
	s_delay_alu instid0(VALU_DEP_1) | instskip(SKIP_1) | instid1(VALU_DEP_1)
	v_fmac_f64_e32 v[76:77], v[64:65], v[78:79]
	s_wait_dscnt 0x0
	v_fmac_f64_e32 v[76:77], v[66:67], v[80:81]
	ds_load_2addr_b64 v[62:65], v2 offset0:53 offset1:54
	ds_load_b64 v[66:67], v2 offset:440
	s_wait_loadcnt 0x1
	v_fmac_f64_e32 v[76:77], v[68:69], v[82:83]
	s_wait_dscnt 0x1
	s_delay_alu instid0(VALU_DEP_1) | instskip(SKIP_1) | instid1(VALU_DEP_1)
	v_fmac_f64_e32 v[76:77], v[70:71], v[62:63]
	s_wait_loadcnt 0x0
	v_fmac_f64_e32 v[76:77], v[72:73], v[64:65]
	s_wait_dscnt 0x0
	s_delay_alu instid0(VALU_DEP_1) | instskip(NEXT) | instid1(VALU_DEP_1)
	v_fmac_f64_e32 v[76:77], v[74:75], v[66:67]
	v_add_f64_e64 v[60:61], v[60:61], -v[76:77]
	scratch_store_b64 off, v[60:61], off offset:160
	s_wait_xcnt 0x0
	v_cmpx_lt_u32_e32 19, v0
	s_cbranch_execz .LBB27_139
; %bb.138:
	scratch_load_b64 v[60:61], off, off offset:152
	v_mov_b64_e32 v[62:63], 0
	scratch_store_b64 off, v[62:63], off offset:152
	s_wait_loadcnt 0x0
	ds_store_b64 v1, v[60:61]
.LBB27_139:
	s_wait_xcnt 0x0
	s_or_b32 exec_lo, exec_lo, s0
	s_wait_storecnt_dscnt 0x0
	s_barrier_signal -1
	s_barrier_wait -1
	s_clause 0x4
	scratch_load_b128 v[60:63], off, off offset:152
	scratch_load_b128 v[64:67], off, off offset:168
	;; [unrolled: 1-line block ×4, first 2 shown]
	scratch_load_b64 v[84:85], off, off offset:216
	ds_load_b128 v[76:79], v2 offset:384
	ds_load_b128 v[80:83], v2 offset:400
	s_mov_b32 s0, exec_lo
	s_wait_loadcnt_dscnt 0x401
	v_fma_f64 v[76:77], v[62:63], v[76:77], 0
	s_wait_loadcnt 0x3
	s_delay_alu instid0(VALU_DEP_1) | instskip(SKIP_1) | instid1(VALU_DEP_1)
	v_fmac_f64_e32 v[76:77], v[64:65], v[78:79]
	s_wait_dscnt 0x0
	v_fmac_f64_e32 v[76:77], v[66:67], v[80:81]
	s_wait_loadcnt 0x2
	s_delay_alu instid0(VALU_DEP_1)
	v_fmac_f64_e32 v[76:77], v[68:69], v[82:83]
	ds_load_b128 v[62:65], v2 offset:416
	ds_load_b128 v[66:69], v2 offset:432
	s_wait_dscnt 0x1
	v_fmac_f64_e32 v[76:77], v[70:71], v[62:63]
	s_wait_loadcnt 0x1
	s_delay_alu instid0(VALU_DEP_1) | instskip(SKIP_1) | instid1(VALU_DEP_1)
	v_fmac_f64_e32 v[76:77], v[72:73], v[64:65]
	s_wait_dscnt 0x0
	v_fmac_f64_e32 v[76:77], v[74:75], v[66:67]
	s_wait_loadcnt 0x0
	s_delay_alu instid0(VALU_DEP_1) | instskip(NEXT) | instid1(VALU_DEP_1)
	v_fmac_f64_e32 v[76:77], v[84:85], v[68:69]
	v_add_f64_e64 v[2:3], v[60:61], -v[76:77]
	scratch_store_b64 off, v[2:3], off offset:152
	s_wait_xcnt 0x0
	v_cmpx_lt_u32_e32 18, v0
	s_cbranch_execz .LBB27_141
; %bb.140:
	scratch_load_b64 v[2:3], off, off offset:144
	v_mov_b64_e32 v[60:61], 0
	scratch_store_b64 off, v[60:61], off offset:144
	s_wait_loadcnt 0x0
	ds_store_b64 v1, v[2:3]
.LBB27_141:
	s_wait_xcnt 0x0
	s_or_b32 exec_lo, exec_lo, s0
	s_wait_storecnt_dscnt 0x0
	s_barrier_signal -1
	s_barrier_wait -1
	s_clause 0x4
	scratch_load_b128 v[60:63], off, off offset:144
	scratch_load_b128 v[64:67], off, off offset:160
	scratch_load_b128 v[68:71], off, off offset:176
	scratch_load_b128 v[72:75], off, off offset:192
	scratch_load_b128 v[76:79], off, off offset:208
	v_mov_b32_e32 v2, 0
	ds_load_2addr_b64 v[80:83], v2 offset0:47 offset1:48
	ds_load_2addr_b64 v[84:87], v2 offset0:49 offset1:50
	s_mov_b32 s0, exec_lo
	s_wait_loadcnt_dscnt 0x401
	v_fma_f64 v[80:81], v[62:63], v[80:81], 0
	s_wait_loadcnt 0x3
	s_delay_alu instid0(VALU_DEP_1) | instskip(SKIP_1) | instid1(VALU_DEP_1)
	v_fmac_f64_e32 v[80:81], v[64:65], v[82:83]
	s_wait_dscnt 0x0
	v_fmac_f64_e32 v[80:81], v[66:67], v[84:85]
	s_wait_loadcnt 0x2
	s_delay_alu instid0(VALU_DEP_1)
	v_fmac_f64_e32 v[80:81], v[68:69], v[86:87]
	ds_load_2addr_b64 v[62:65], v2 offset0:51 offset1:52
	ds_load_2addr_b64 v[66:69], v2 offset0:53 offset1:54
	s_wait_dscnt 0x1
	v_fmac_f64_e32 v[80:81], v[70:71], v[62:63]
	ds_load_b64 v[62:63], v2 offset:440
	s_wait_loadcnt 0x1
	v_fmac_f64_e32 v[80:81], v[72:73], v[64:65]
	s_wait_dscnt 0x1
	s_delay_alu instid0(VALU_DEP_1) | instskip(SKIP_1) | instid1(VALU_DEP_1)
	v_fmac_f64_e32 v[80:81], v[74:75], v[66:67]
	s_wait_loadcnt 0x0
	v_fmac_f64_e32 v[80:81], v[76:77], v[68:69]
	s_wait_dscnt 0x0
	s_delay_alu instid0(VALU_DEP_1) | instskip(NEXT) | instid1(VALU_DEP_1)
	v_fmac_f64_e32 v[80:81], v[78:79], v[62:63]
	v_add_f64_e64 v[60:61], v[60:61], -v[80:81]
	scratch_store_b64 off, v[60:61], off offset:144
	s_wait_xcnt 0x0
	v_cmpx_lt_u32_e32 17, v0
	s_cbranch_execz .LBB27_143
; %bb.142:
	scratch_load_b64 v[60:61], off, off offset:136
	v_mov_b64_e32 v[62:63], 0
	scratch_store_b64 off, v[62:63], off offset:136
	s_wait_loadcnt 0x0
	ds_store_b64 v1, v[60:61]
.LBB27_143:
	s_wait_xcnt 0x0
	s_or_b32 exec_lo, exec_lo, s0
	s_wait_storecnt_dscnt 0x0
	s_barrier_signal -1
	s_barrier_wait -1
	s_clause 0x5
	scratch_load_b128 v[60:63], off, off offset:136
	scratch_load_b128 v[64:67], off, off offset:152
	;; [unrolled: 1-line block ×5, first 2 shown]
	scratch_load_b64 v[88:89], off, off offset:216
	ds_load_b128 v[80:83], v2 offset:368
	ds_load_b128 v[84:87], v2 offset:384
	s_mov_b32 s0, exec_lo
	s_wait_loadcnt_dscnt 0x501
	v_fma_f64 v[80:81], v[62:63], v[80:81], 0
	s_wait_loadcnt 0x4
	s_delay_alu instid0(VALU_DEP_1) | instskip(SKIP_1) | instid1(VALU_DEP_1)
	v_fmac_f64_e32 v[80:81], v[64:65], v[82:83]
	s_wait_dscnt 0x0
	v_fmac_f64_e32 v[80:81], v[66:67], v[84:85]
	s_wait_loadcnt 0x3
	s_delay_alu instid0(VALU_DEP_1)
	v_fmac_f64_e32 v[80:81], v[68:69], v[86:87]
	ds_load_b128 v[62:65], v2 offset:400
	ds_load_b128 v[66:69], v2 offset:416
	s_wait_dscnt 0x1
	v_fmac_f64_e32 v[80:81], v[70:71], v[62:63]
	s_wait_loadcnt 0x2
	s_delay_alu instid0(VALU_DEP_1) | instskip(SKIP_4) | instid1(VALU_DEP_1)
	v_fmac_f64_e32 v[80:81], v[72:73], v[64:65]
	ds_load_b128 v[62:65], v2 offset:432
	s_wait_dscnt 0x1
	v_fmac_f64_e32 v[80:81], v[74:75], v[66:67]
	s_wait_loadcnt 0x1
	v_fmac_f64_e32 v[80:81], v[76:77], v[68:69]
	s_wait_dscnt 0x0
	s_delay_alu instid0(VALU_DEP_1) | instskip(SKIP_1) | instid1(VALU_DEP_1)
	v_fmac_f64_e32 v[80:81], v[78:79], v[62:63]
	s_wait_loadcnt 0x0
	v_fmac_f64_e32 v[80:81], v[88:89], v[64:65]
	s_delay_alu instid0(VALU_DEP_1)
	v_add_f64_e64 v[2:3], v[60:61], -v[80:81]
	scratch_store_b64 off, v[2:3], off offset:136
	s_wait_xcnt 0x0
	v_cmpx_lt_u32_e32 16, v0
	s_cbranch_execz .LBB27_145
; %bb.144:
	scratch_load_b64 v[2:3], off, off offset:128
	v_mov_b64_e32 v[60:61], 0
	scratch_store_b64 off, v[60:61], off offset:128
	s_wait_loadcnt 0x0
	ds_store_b64 v1, v[2:3]
.LBB27_145:
	s_wait_xcnt 0x0
	s_or_b32 exec_lo, exec_lo, s0
	s_wait_storecnt_dscnt 0x0
	s_barrier_signal -1
	s_barrier_wait -1
	s_clause 0x5
	scratch_load_b128 v[60:63], off, off offset:128
	scratch_load_b128 v[64:67], off, off offset:144
	scratch_load_b128 v[68:71], off, off offset:160
	scratch_load_b128 v[72:75], off, off offset:176
	scratch_load_b128 v[76:79], off, off offset:192
	scratch_load_b128 v[80:83], off, off offset:208
	v_mov_b32_e32 v2, 0
	ds_load_2addr_b64 v[84:87], v2 offset0:45 offset1:46
	ds_load_2addr_b64 v[88:91], v2 offset0:47 offset1:48
	s_mov_b32 s0, exec_lo
	s_wait_loadcnt_dscnt 0x501
	v_fma_f64 v[84:85], v[62:63], v[84:85], 0
	s_wait_loadcnt 0x4
	s_delay_alu instid0(VALU_DEP_1) | instskip(SKIP_1) | instid1(VALU_DEP_1)
	v_fmac_f64_e32 v[84:85], v[64:65], v[86:87]
	s_wait_dscnt 0x0
	v_fmac_f64_e32 v[84:85], v[66:67], v[88:89]
	s_wait_loadcnt 0x3
	s_delay_alu instid0(VALU_DEP_1)
	v_fmac_f64_e32 v[84:85], v[68:69], v[90:91]
	ds_load_2addr_b64 v[62:65], v2 offset0:49 offset1:50
	ds_load_2addr_b64 v[66:69], v2 offset0:51 offset1:52
	s_wait_dscnt 0x1
	v_fmac_f64_e32 v[84:85], v[70:71], v[62:63]
	s_wait_loadcnt 0x2
	s_delay_alu instid0(VALU_DEP_1) | instskip(SKIP_1) | instid1(VALU_DEP_1)
	v_fmac_f64_e32 v[84:85], v[72:73], v[64:65]
	s_wait_dscnt 0x0
	v_fmac_f64_e32 v[84:85], v[74:75], v[66:67]
	ds_load_2addr_b64 v[62:65], v2 offset0:53 offset1:54
	ds_load_b64 v[66:67], v2 offset:440
	s_wait_loadcnt 0x1
	v_fmac_f64_e32 v[84:85], v[76:77], v[68:69]
	s_wait_dscnt 0x1
	s_delay_alu instid0(VALU_DEP_1) | instskip(SKIP_1) | instid1(VALU_DEP_1)
	v_fmac_f64_e32 v[84:85], v[78:79], v[62:63]
	s_wait_loadcnt 0x0
	v_fmac_f64_e32 v[84:85], v[80:81], v[64:65]
	s_wait_dscnt 0x0
	s_delay_alu instid0(VALU_DEP_1) | instskip(NEXT) | instid1(VALU_DEP_1)
	v_fmac_f64_e32 v[84:85], v[82:83], v[66:67]
	v_add_f64_e64 v[60:61], v[60:61], -v[84:85]
	scratch_store_b64 off, v[60:61], off offset:128
	s_wait_xcnt 0x0
	v_cmpx_lt_u32_e32 15, v0
	s_cbranch_execz .LBB27_147
; %bb.146:
	scratch_load_b64 v[60:61], off, off offset:120
	v_mov_b64_e32 v[62:63], 0
	scratch_store_b64 off, v[62:63], off offset:120
	s_wait_loadcnt 0x0
	ds_store_b64 v1, v[60:61]
.LBB27_147:
	s_wait_xcnt 0x0
	s_or_b32 exec_lo, exec_lo, s0
	s_wait_storecnt_dscnt 0x0
	s_barrier_signal -1
	s_barrier_wait -1
	s_clause 0x5
	scratch_load_b128 v[60:63], off, off offset:120
	scratch_load_b128 v[64:67], off, off offset:136
	;; [unrolled: 1-line block ×6, first 2 shown]
	ds_load_b128 v[84:87], v2 offset:352
	ds_load_b128 v[88:91], v2 offset:368
	s_mov_b32 s0, exec_lo
	s_wait_loadcnt_dscnt 0x501
	v_fma_f64 v[84:85], v[62:63], v[84:85], 0
	s_wait_loadcnt 0x4
	s_delay_alu instid0(VALU_DEP_1) | instskip(SKIP_4) | instid1(VALU_DEP_1)
	v_fmac_f64_e32 v[84:85], v[64:65], v[86:87]
	scratch_load_b64 v[86:87], off, off offset:216
	s_wait_dscnt 0x0
	v_fmac_f64_e32 v[84:85], v[66:67], v[88:89]
	s_wait_loadcnt 0x4
	v_fmac_f64_e32 v[84:85], v[68:69], v[90:91]
	ds_load_b128 v[62:65], v2 offset:384
	ds_load_b128 v[66:69], v2 offset:400
	s_wait_dscnt 0x1
	v_fmac_f64_e32 v[84:85], v[70:71], v[62:63]
	s_wait_loadcnt 0x3
	s_delay_alu instid0(VALU_DEP_1) | instskip(SKIP_1) | instid1(VALU_DEP_1)
	v_fmac_f64_e32 v[84:85], v[72:73], v[64:65]
	s_wait_dscnt 0x0
	v_fmac_f64_e32 v[84:85], v[74:75], v[66:67]
	s_wait_loadcnt 0x2
	s_delay_alu instid0(VALU_DEP_1)
	v_fmac_f64_e32 v[84:85], v[76:77], v[68:69]
	ds_load_b128 v[62:65], v2 offset:416
	ds_load_b128 v[66:69], v2 offset:432
	s_wait_dscnt 0x1
	v_fmac_f64_e32 v[84:85], v[78:79], v[62:63]
	s_wait_loadcnt 0x1
	s_delay_alu instid0(VALU_DEP_1) | instskip(SKIP_1) | instid1(VALU_DEP_1)
	v_fmac_f64_e32 v[84:85], v[80:81], v[64:65]
	s_wait_dscnt 0x0
	v_fmac_f64_e32 v[84:85], v[82:83], v[66:67]
	s_wait_loadcnt 0x0
	s_delay_alu instid0(VALU_DEP_1) | instskip(NEXT) | instid1(VALU_DEP_1)
	v_fmac_f64_e32 v[84:85], v[86:87], v[68:69]
	v_add_f64_e64 v[2:3], v[60:61], -v[84:85]
	scratch_store_b64 off, v[2:3], off offset:120
	s_wait_xcnt 0x0
	v_cmpx_lt_u32_e32 14, v0
	s_cbranch_execz .LBB27_149
; %bb.148:
	scratch_load_b64 v[2:3], off, off offset:112
	v_mov_b64_e32 v[60:61], 0
	scratch_store_b64 off, v[60:61], off offset:112
	s_wait_loadcnt 0x0
	ds_store_b64 v1, v[2:3]
.LBB27_149:
	s_wait_xcnt 0x0
	s_or_b32 exec_lo, exec_lo, s0
	s_wait_storecnt_dscnt 0x0
	s_barrier_signal -1
	s_barrier_wait -1
	s_clause 0x5
	scratch_load_b128 v[60:63], off, off offset:112
	scratch_load_b128 v[64:67], off, off offset:128
	;; [unrolled: 1-line block ×6, first 2 shown]
	v_mov_b32_e32 v2, 0
	ds_load_2addr_b64 v[84:87], v2 offset0:43 offset1:44
	ds_load_2addr_b64 v[88:91], v2 offset0:45 offset1:46
	s_mov_b32 s0, exec_lo
	s_wait_loadcnt_dscnt 0x501
	v_fma_f64 v[92:93], v[62:63], v[84:85], 0
	s_wait_loadcnt 0x4
	s_delay_alu instid0(VALU_DEP_1) | instskip(SKIP_4) | instid1(VALU_DEP_1)
	v_fmac_f64_e32 v[92:93], v[64:65], v[86:87]
	scratch_load_b128 v[62:65], off, off offset:208
	s_wait_dscnt 0x0
	v_fmac_f64_e32 v[92:93], v[66:67], v[88:89]
	s_wait_loadcnt 0x4
	v_fmac_f64_e32 v[92:93], v[68:69], v[90:91]
	ds_load_2addr_b64 v[66:69], v2 offset0:47 offset1:48
	ds_load_2addr_b64 v[84:87], v2 offset0:49 offset1:50
	s_wait_dscnt 0x1
	v_fmac_f64_e32 v[92:93], v[70:71], v[66:67]
	s_wait_loadcnt 0x3
	s_delay_alu instid0(VALU_DEP_1)
	v_fmac_f64_e32 v[92:93], v[72:73], v[68:69]
	ds_load_2addr_b64 v[66:69], v2 offset0:51 offset1:52
	ds_load_2addr_b64 v[70:73], v2 offset0:53 offset1:54
	s_wait_dscnt 0x2
	v_fmac_f64_e32 v[92:93], v[74:75], v[84:85]
	s_wait_loadcnt 0x2
	s_delay_alu instid0(VALU_DEP_1) | instskip(SKIP_1) | instid1(VALU_DEP_1)
	v_fmac_f64_e32 v[92:93], v[76:77], v[86:87]
	s_wait_dscnt 0x1
	v_fmac_f64_e32 v[92:93], v[78:79], v[66:67]
	s_wait_loadcnt 0x1
	s_delay_alu instid0(VALU_DEP_1) | instskip(SKIP_1) | instid1(VALU_DEP_1)
	v_fmac_f64_e32 v[92:93], v[80:81], v[68:69]
	s_wait_dscnt 0x0
	v_fmac_f64_e32 v[92:93], v[82:83], v[70:71]
	s_wait_loadcnt 0x0
	s_delay_alu instid0(VALU_DEP_1) | instskip(SKIP_3) | instid1(VALU_DEP_1)
	v_fmac_f64_e32 v[92:93], v[62:63], v[72:73]
	ds_load_b64 v[62:63], v2 offset:440
	s_wait_dscnt 0x0
	v_fmac_f64_e32 v[92:93], v[64:65], v[62:63]
	v_add_f64_e64 v[60:61], v[60:61], -v[92:93]
	scratch_store_b64 off, v[60:61], off offset:112
	s_wait_xcnt 0x0
	v_cmpx_lt_u32_e32 13, v0
	s_cbranch_execz .LBB27_151
; %bb.150:
	scratch_load_b64 v[60:61], off, off offset:104
	v_mov_b64_e32 v[62:63], 0
	scratch_store_b64 off, v[62:63], off offset:104
	s_wait_loadcnt 0x0
	ds_store_b64 v1, v[60:61]
.LBB27_151:
	s_wait_xcnt 0x0
	s_or_b32 exec_lo, exec_lo, s0
	s_wait_storecnt_dscnt 0x0
	s_barrier_signal -1
	s_barrier_wait -1
	s_clause 0x5
	scratch_load_b128 v[60:63], off, off offset:104
	scratch_load_b128 v[64:67], off, off offset:120
	;; [unrolled: 1-line block ×6, first 2 shown]
	ds_load_b128 v[84:87], v2 offset:336
	ds_load_b128 v[88:91], v2 offset:352
	s_mov_b32 s0, exec_lo
	s_wait_loadcnt_dscnt 0x501
	v_fma_f64 v[92:93], v[62:63], v[84:85], 0
	s_wait_loadcnt 0x4
	s_delay_alu instid0(VALU_DEP_1)
	v_fmac_f64_e32 v[92:93], v[64:65], v[86:87]
	scratch_load_b128 v[62:65], off, off offset:200
	s_wait_dscnt 0x0
	v_fmac_f64_e32 v[92:93], v[66:67], v[88:89]
	scratch_load_b64 v[88:89], off, off offset:216
	s_wait_loadcnt 0x5
	v_fmac_f64_e32 v[92:93], v[68:69], v[90:91]
	ds_load_b128 v[66:69], v2 offset:368
	ds_load_b128 v[84:87], v2 offset:384
	s_wait_dscnt 0x1
	v_fmac_f64_e32 v[92:93], v[70:71], v[66:67]
	s_wait_loadcnt 0x4
	s_delay_alu instid0(VALU_DEP_1)
	v_fmac_f64_e32 v[92:93], v[72:73], v[68:69]
	ds_load_b128 v[66:69], v2 offset:400
	ds_load_b128 v[70:73], v2 offset:416
	s_wait_dscnt 0x2
	v_fmac_f64_e32 v[92:93], v[74:75], v[84:85]
	s_wait_loadcnt 0x3
	s_delay_alu instid0(VALU_DEP_1) | instskip(SKIP_1) | instid1(VALU_DEP_1)
	v_fmac_f64_e32 v[92:93], v[76:77], v[86:87]
	s_wait_dscnt 0x1
	v_fmac_f64_e32 v[92:93], v[78:79], v[66:67]
	s_wait_loadcnt 0x2
	s_delay_alu instid0(VALU_DEP_1) | instskip(SKIP_4) | instid1(VALU_DEP_1)
	v_fmac_f64_e32 v[92:93], v[80:81], v[68:69]
	ds_load_b128 v[66:69], v2 offset:432
	s_wait_dscnt 0x1
	v_fmac_f64_e32 v[92:93], v[82:83], v[70:71]
	s_wait_loadcnt 0x1
	v_fmac_f64_e32 v[92:93], v[62:63], v[72:73]
	s_wait_dscnt 0x0
	s_delay_alu instid0(VALU_DEP_1) | instskip(SKIP_1) | instid1(VALU_DEP_1)
	v_fmac_f64_e32 v[92:93], v[64:65], v[66:67]
	s_wait_loadcnt 0x0
	v_fmac_f64_e32 v[92:93], v[88:89], v[68:69]
	s_delay_alu instid0(VALU_DEP_1)
	v_add_f64_e64 v[2:3], v[60:61], -v[92:93]
	scratch_store_b64 off, v[2:3], off offset:104
	s_wait_xcnt 0x0
	v_cmpx_lt_u32_e32 12, v0
	s_cbranch_execz .LBB27_153
; %bb.152:
	scratch_load_b64 v[2:3], off, off offset:96
	v_mov_b64_e32 v[60:61], 0
	scratch_store_b64 off, v[60:61], off offset:96
	s_wait_loadcnt 0x0
	ds_store_b64 v1, v[2:3]
.LBB27_153:
	s_wait_xcnt 0x0
	s_or_b32 exec_lo, exec_lo, s0
	s_wait_storecnt_dscnt 0x0
	s_barrier_signal -1
	s_barrier_wait -1
	s_clause 0x5
	scratch_load_b128 v[60:63], off, off offset:96
	scratch_load_b128 v[64:67], off, off offset:112
	;; [unrolled: 1-line block ×6, first 2 shown]
	v_mov_b32_e32 v2, 0
	ds_load_2addr_b64 v[84:87], v2 offset0:41 offset1:42
	ds_load_2addr_b64 v[88:91], v2 offset0:43 offset1:44
	s_mov_b32 s0, exec_lo
	s_wait_loadcnt_dscnt 0x501
	v_fma_f64 v[92:93], v[62:63], v[84:85], 0
	s_wait_loadcnt 0x4
	s_delay_alu instid0(VALU_DEP_1) | instskip(SKIP_4) | instid1(VALU_DEP_1)
	v_fmac_f64_e32 v[92:93], v[64:65], v[86:87]
	scratch_load_b128 v[62:65], off, off offset:192
	s_wait_dscnt 0x0
	v_fmac_f64_e32 v[92:93], v[66:67], v[88:89]
	s_wait_loadcnt 0x4
	v_fmac_f64_e32 v[92:93], v[68:69], v[90:91]
	scratch_load_b128 v[66:69], off, off offset:208
	ds_load_2addr_b64 v[84:87], v2 offset0:45 offset1:46
	ds_load_2addr_b64 v[88:91], v2 offset0:47 offset1:48
	s_wait_dscnt 0x1
	v_fmac_f64_e32 v[92:93], v[70:71], v[84:85]
	s_wait_loadcnt 0x4
	s_delay_alu instid0(VALU_DEP_1) | instskip(SKIP_1) | instid1(VALU_DEP_1)
	v_fmac_f64_e32 v[92:93], v[72:73], v[86:87]
	s_wait_dscnt 0x0
	v_fmac_f64_e32 v[92:93], v[74:75], v[88:89]
	s_wait_loadcnt 0x3
	s_delay_alu instid0(VALU_DEP_1)
	v_fmac_f64_e32 v[92:93], v[76:77], v[90:91]
	ds_load_2addr_b64 v[70:73], v2 offset0:49 offset1:50
	ds_load_2addr_b64 v[74:77], v2 offset0:51 offset1:52
	s_wait_dscnt 0x1
	v_fmac_f64_e32 v[92:93], v[78:79], v[70:71]
	s_wait_loadcnt 0x2
	s_delay_alu instid0(VALU_DEP_1) | instskip(SKIP_1) | instid1(VALU_DEP_1)
	v_fmac_f64_e32 v[92:93], v[80:81], v[72:73]
	s_wait_dscnt 0x0
	v_fmac_f64_e32 v[92:93], v[82:83], v[74:75]
	s_wait_loadcnt 0x1
	s_delay_alu instid0(VALU_DEP_1)
	v_fmac_f64_e32 v[92:93], v[62:63], v[76:77]
	ds_load_2addr_b64 v[70:73], v2 offset0:53 offset1:54
	ds_load_b64 v[62:63], v2 offset:440
	s_wait_dscnt 0x1
	v_fmac_f64_e32 v[92:93], v[64:65], v[70:71]
	s_wait_loadcnt 0x0
	s_delay_alu instid0(VALU_DEP_1) | instskip(SKIP_1) | instid1(VALU_DEP_1)
	v_fmac_f64_e32 v[92:93], v[66:67], v[72:73]
	s_wait_dscnt 0x0
	v_fmac_f64_e32 v[92:93], v[68:69], v[62:63]
	s_delay_alu instid0(VALU_DEP_1)
	v_add_f64_e64 v[60:61], v[60:61], -v[92:93]
	scratch_store_b64 off, v[60:61], off offset:96
	s_wait_xcnt 0x0
	v_cmpx_lt_u32_e32 11, v0
	s_cbranch_execz .LBB27_155
; %bb.154:
	scratch_load_b64 v[60:61], off, off offset:88
	v_mov_b64_e32 v[62:63], 0
	scratch_store_b64 off, v[62:63], off offset:88
	s_wait_loadcnt 0x0
	ds_store_b64 v1, v[60:61]
.LBB27_155:
	s_wait_xcnt 0x0
	s_or_b32 exec_lo, exec_lo, s0
	s_wait_storecnt_dscnt 0x0
	s_barrier_signal -1
	s_barrier_wait -1
	s_clause 0x5
	scratch_load_b128 v[60:63], off, off offset:88
	scratch_load_b128 v[64:67], off, off offset:104
	;; [unrolled: 1-line block ×6, first 2 shown]
	ds_load_b128 v[84:87], v2 offset:320
	ds_load_b128 v[88:91], v2 offset:336
	s_mov_b32 s0, exec_lo
	s_wait_loadcnt_dscnt 0x501
	v_fma_f64 v[92:93], v[62:63], v[84:85], 0
	s_wait_loadcnt 0x4
	s_delay_alu instid0(VALU_DEP_1) | instskip(SKIP_4) | instid1(VALU_DEP_1)
	v_fmac_f64_e32 v[92:93], v[64:65], v[86:87]
	scratch_load_b128 v[62:65], off, off offset:184
	s_wait_dscnt 0x0
	v_fmac_f64_e32 v[92:93], v[66:67], v[88:89]
	s_wait_loadcnt 0x4
	v_fmac_f64_e32 v[92:93], v[68:69], v[90:91]
	scratch_load_b128 v[66:69], off, off offset:200
	ds_load_b128 v[84:87], v2 offset:352
	ds_load_b128 v[88:91], v2 offset:368
	s_wait_dscnt 0x1
	v_fmac_f64_e32 v[92:93], v[70:71], v[84:85]
	scratch_load_b64 v[84:85], off, off offset:216
	s_wait_loadcnt 0x5
	v_fmac_f64_e32 v[92:93], v[72:73], v[86:87]
	s_wait_dscnt 0x0
	s_delay_alu instid0(VALU_DEP_1) | instskip(SKIP_1) | instid1(VALU_DEP_1)
	v_fmac_f64_e32 v[92:93], v[74:75], v[88:89]
	s_wait_loadcnt 0x4
	v_fmac_f64_e32 v[92:93], v[76:77], v[90:91]
	ds_load_b128 v[70:73], v2 offset:384
	ds_load_b128 v[74:77], v2 offset:400
	s_wait_dscnt 0x1
	v_fmac_f64_e32 v[92:93], v[78:79], v[70:71]
	s_wait_loadcnt 0x3
	s_delay_alu instid0(VALU_DEP_1) | instskip(SKIP_1) | instid1(VALU_DEP_1)
	v_fmac_f64_e32 v[92:93], v[80:81], v[72:73]
	s_wait_dscnt 0x0
	v_fmac_f64_e32 v[92:93], v[82:83], v[74:75]
	s_wait_loadcnt 0x2
	s_delay_alu instid0(VALU_DEP_1)
	v_fmac_f64_e32 v[92:93], v[62:63], v[76:77]
	ds_load_b128 v[70:73], v2 offset:416
	ds_load_b128 v[74:77], v2 offset:432
	s_wait_dscnt 0x1
	v_fmac_f64_e32 v[92:93], v[64:65], v[70:71]
	s_wait_loadcnt 0x1
	s_delay_alu instid0(VALU_DEP_1) | instskip(SKIP_1) | instid1(VALU_DEP_1)
	v_fmac_f64_e32 v[92:93], v[66:67], v[72:73]
	s_wait_dscnt 0x0
	v_fmac_f64_e32 v[92:93], v[68:69], v[74:75]
	s_wait_loadcnt 0x0
	s_delay_alu instid0(VALU_DEP_1) | instskip(NEXT) | instid1(VALU_DEP_1)
	v_fmac_f64_e32 v[92:93], v[84:85], v[76:77]
	v_add_f64_e64 v[2:3], v[60:61], -v[92:93]
	scratch_store_b64 off, v[2:3], off offset:88
	s_wait_xcnt 0x0
	v_cmpx_lt_u32_e32 10, v0
	s_cbranch_execz .LBB27_157
; %bb.156:
	scratch_load_b64 v[2:3], off, off offset:80
	v_mov_b64_e32 v[60:61], 0
	scratch_store_b64 off, v[60:61], off offset:80
	s_wait_loadcnt 0x0
	ds_store_b64 v1, v[2:3]
.LBB27_157:
	s_wait_xcnt 0x0
	s_or_b32 exec_lo, exec_lo, s0
	s_wait_storecnt_dscnt 0x0
	s_barrier_signal -1
	s_barrier_wait -1
	s_clause 0x5
	scratch_load_b128 v[60:63], off, off offset:80
	scratch_load_b128 v[64:67], off, off offset:96
	;; [unrolled: 1-line block ×6, first 2 shown]
	v_mov_b32_e32 v2, 0
	ds_load_2addr_b64 v[84:87], v2 offset0:39 offset1:40
	ds_load_2addr_b64 v[88:91], v2 offset0:41 offset1:42
	s_mov_b32 s0, exec_lo
	s_wait_loadcnt_dscnt 0x501
	v_fma_f64 v[92:93], v[62:63], v[84:85], 0
	s_wait_loadcnt 0x4
	s_delay_alu instid0(VALU_DEP_1) | instskip(SKIP_4) | instid1(VALU_DEP_1)
	v_fmac_f64_e32 v[92:93], v[64:65], v[86:87]
	scratch_load_b128 v[62:65], off, off offset:176
	s_wait_dscnt 0x0
	v_fmac_f64_e32 v[92:93], v[66:67], v[88:89]
	s_wait_loadcnt 0x4
	v_fmac_f64_e32 v[92:93], v[68:69], v[90:91]
	scratch_load_b128 v[66:69], off, off offset:192
	ds_load_2addr_b64 v[84:87], v2 offset0:43 offset1:44
	ds_load_2addr_b64 v[88:91], v2 offset0:45 offset1:46
	s_wait_dscnt 0x1
	v_fmac_f64_e32 v[92:93], v[70:71], v[84:85]
	s_wait_loadcnt 0x4
	s_delay_alu instid0(VALU_DEP_1) | instskip(SKIP_4) | instid1(VALU_DEP_1)
	v_fmac_f64_e32 v[92:93], v[72:73], v[86:87]
	scratch_load_b128 v[70:73], off, off offset:208
	s_wait_dscnt 0x0
	v_fmac_f64_e32 v[92:93], v[74:75], v[88:89]
	s_wait_loadcnt 0x4
	v_fmac_f64_e32 v[92:93], v[76:77], v[90:91]
	ds_load_2addr_b64 v[74:77], v2 offset0:47 offset1:48
	ds_load_2addr_b64 v[84:87], v2 offset0:49 offset1:50
	s_wait_dscnt 0x1
	v_fmac_f64_e32 v[92:93], v[78:79], v[74:75]
	s_wait_loadcnt 0x3
	s_delay_alu instid0(VALU_DEP_1)
	v_fmac_f64_e32 v[92:93], v[80:81], v[76:77]
	ds_load_2addr_b64 v[74:77], v2 offset0:51 offset1:52
	ds_load_2addr_b64 v[78:81], v2 offset0:53 offset1:54
	s_wait_dscnt 0x2
	v_fmac_f64_e32 v[92:93], v[82:83], v[84:85]
	s_wait_loadcnt 0x2
	s_delay_alu instid0(VALU_DEP_1) | instskip(SKIP_4) | instid1(VALU_DEP_1)
	v_fmac_f64_e32 v[92:93], v[62:63], v[86:87]
	ds_load_b64 v[62:63], v2 offset:440
	s_wait_dscnt 0x2
	v_fmac_f64_e32 v[92:93], v[64:65], v[74:75]
	s_wait_loadcnt 0x1
	v_fmac_f64_e32 v[92:93], v[66:67], v[76:77]
	s_wait_dscnt 0x1
	s_delay_alu instid0(VALU_DEP_1) | instskip(SKIP_1) | instid1(VALU_DEP_1)
	v_fmac_f64_e32 v[92:93], v[68:69], v[78:79]
	s_wait_loadcnt 0x0
	v_fmac_f64_e32 v[92:93], v[70:71], v[80:81]
	s_wait_dscnt 0x0
	s_delay_alu instid0(VALU_DEP_1) | instskip(NEXT) | instid1(VALU_DEP_1)
	v_fmac_f64_e32 v[92:93], v[72:73], v[62:63]
	v_add_f64_e64 v[60:61], v[60:61], -v[92:93]
	scratch_store_b64 off, v[60:61], off offset:80
	s_wait_xcnt 0x0
	v_cmpx_lt_u32_e32 9, v0
	s_cbranch_execz .LBB27_159
; %bb.158:
	scratch_load_b64 v[60:61], off, off offset:72
	v_mov_b64_e32 v[62:63], 0
	scratch_store_b64 off, v[62:63], off offset:72
	s_wait_loadcnt 0x0
	ds_store_b64 v1, v[60:61]
.LBB27_159:
	s_wait_xcnt 0x0
	s_or_b32 exec_lo, exec_lo, s0
	s_wait_storecnt_dscnt 0x0
	s_barrier_signal -1
	s_barrier_wait -1
	s_clause 0x5
	scratch_load_b128 v[60:63], off, off offset:72
	scratch_load_b128 v[64:67], off, off offset:88
	scratch_load_b128 v[68:71], off, off offset:104
	scratch_load_b128 v[72:75], off, off offset:120
	scratch_load_b128 v[76:79], off, off offset:136
	scratch_load_b128 v[80:83], off, off offset:152
	ds_load_b128 v[84:87], v2 offset:304
	ds_load_b128 v[88:91], v2 offset:320
	s_mov_b32 s0, exec_lo
	s_wait_loadcnt_dscnt 0x501
	v_fma_f64 v[92:93], v[62:63], v[84:85], 0
	s_wait_loadcnt 0x4
	s_delay_alu instid0(VALU_DEP_1) | instskip(SKIP_4) | instid1(VALU_DEP_1)
	v_fmac_f64_e32 v[92:93], v[64:65], v[86:87]
	scratch_load_b128 v[62:65], off, off offset:168
	s_wait_dscnt 0x0
	v_fmac_f64_e32 v[92:93], v[66:67], v[88:89]
	s_wait_loadcnt 0x4
	v_fmac_f64_e32 v[92:93], v[68:69], v[90:91]
	scratch_load_b128 v[66:69], off, off offset:184
	ds_load_b128 v[84:87], v2 offset:336
	ds_load_b128 v[88:91], v2 offset:352
	s_wait_dscnt 0x1
	v_fmac_f64_e32 v[92:93], v[70:71], v[84:85]
	s_wait_loadcnt 0x4
	s_delay_alu instid0(VALU_DEP_1)
	v_fmac_f64_e32 v[92:93], v[72:73], v[86:87]
	scratch_load_b128 v[70:73], off, off offset:200
	s_wait_dscnt 0x0
	v_fmac_f64_e32 v[92:93], v[74:75], v[88:89]
	scratch_load_b64 v[88:89], off, off offset:216
	s_wait_loadcnt 0x5
	v_fmac_f64_e32 v[92:93], v[76:77], v[90:91]
	ds_load_b128 v[74:77], v2 offset:368
	ds_load_b128 v[84:87], v2 offset:384
	s_wait_dscnt 0x1
	v_fmac_f64_e32 v[92:93], v[78:79], v[74:75]
	s_wait_loadcnt 0x4
	s_delay_alu instid0(VALU_DEP_1)
	v_fmac_f64_e32 v[92:93], v[80:81], v[76:77]
	ds_load_b128 v[74:77], v2 offset:400
	ds_load_b128 v[78:81], v2 offset:416
	s_wait_dscnt 0x2
	v_fmac_f64_e32 v[92:93], v[82:83], v[84:85]
	s_wait_loadcnt 0x3
	s_delay_alu instid0(VALU_DEP_1) | instskip(SKIP_1) | instid1(VALU_DEP_1)
	v_fmac_f64_e32 v[92:93], v[62:63], v[86:87]
	s_wait_dscnt 0x1
	v_fmac_f64_e32 v[92:93], v[64:65], v[74:75]
	ds_load_b128 v[62:65], v2 offset:432
	s_wait_loadcnt 0x2
	v_fmac_f64_e32 v[92:93], v[66:67], v[76:77]
	s_wait_dscnt 0x1
	s_delay_alu instid0(VALU_DEP_1) | instskip(SKIP_1) | instid1(VALU_DEP_1)
	v_fmac_f64_e32 v[92:93], v[68:69], v[78:79]
	s_wait_loadcnt 0x1
	v_fmac_f64_e32 v[92:93], v[70:71], v[80:81]
	s_wait_dscnt 0x0
	s_delay_alu instid0(VALU_DEP_1) | instskip(SKIP_1) | instid1(VALU_DEP_1)
	v_fmac_f64_e32 v[92:93], v[72:73], v[62:63]
	s_wait_loadcnt 0x0
	v_fmac_f64_e32 v[92:93], v[88:89], v[64:65]
	s_delay_alu instid0(VALU_DEP_1)
	v_add_f64_e64 v[2:3], v[60:61], -v[92:93]
	scratch_store_b64 off, v[2:3], off offset:72
	s_wait_xcnt 0x0
	v_cmpx_lt_u32_e32 8, v0
	s_cbranch_execz .LBB27_161
; %bb.160:
	scratch_load_b64 v[2:3], off, off offset:64
	v_mov_b64_e32 v[60:61], 0
	scratch_store_b64 off, v[60:61], off offset:64
	s_wait_loadcnt 0x0
	ds_store_b64 v1, v[2:3]
.LBB27_161:
	s_wait_xcnt 0x0
	s_or_b32 exec_lo, exec_lo, s0
	s_wait_storecnt_dscnt 0x0
	s_barrier_signal -1
	s_barrier_wait -1
	s_clause 0x5
	scratch_load_b128 v[60:63], off, off offset:64
	scratch_load_b128 v[64:67], off, off offset:80
	;; [unrolled: 1-line block ×6, first 2 shown]
	v_mov_b32_e32 v2, 0
	ds_load_2addr_b64 v[84:87], v2 offset0:37 offset1:38
	ds_load_2addr_b64 v[88:91], v2 offset0:39 offset1:40
	s_mov_b32 s0, exec_lo
	s_wait_loadcnt_dscnt 0x501
	v_fma_f64 v[92:93], v[62:63], v[84:85], 0
	s_wait_loadcnt 0x4
	s_delay_alu instid0(VALU_DEP_1) | instskip(SKIP_4) | instid1(VALU_DEP_1)
	v_fmac_f64_e32 v[92:93], v[64:65], v[86:87]
	scratch_load_b128 v[62:65], off, off offset:160
	s_wait_dscnt 0x0
	v_fmac_f64_e32 v[92:93], v[66:67], v[88:89]
	s_wait_loadcnt 0x4
	v_fmac_f64_e32 v[92:93], v[68:69], v[90:91]
	scratch_load_b128 v[66:69], off, off offset:176
	ds_load_2addr_b64 v[84:87], v2 offset0:41 offset1:42
	ds_load_2addr_b64 v[88:91], v2 offset0:43 offset1:44
	s_wait_dscnt 0x1
	v_fmac_f64_e32 v[92:93], v[70:71], v[84:85]
	s_wait_loadcnt 0x4
	s_delay_alu instid0(VALU_DEP_1) | instskip(SKIP_4) | instid1(VALU_DEP_1)
	v_fmac_f64_e32 v[92:93], v[72:73], v[86:87]
	scratch_load_b128 v[70:73], off, off offset:192
	s_wait_dscnt 0x0
	v_fmac_f64_e32 v[92:93], v[74:75], v[88:89]
	s_wait_loadcnt 0x4
	v_fmac_f64_e32 v[92:93], v[76:77], v[90:91]
	scratch_load_b128 v[74:77], off, off offset:208
	ds_load_2addr_b64 v[84:87], v2 offset0:45 offset1:46
	ds_load_2addr_b64 v[88:91], v2 offset0:47 offset1:48
	s_wait_dscnt 0x1
	v_fmac_f64_e32 v[92:93], v[78:79], v[84:85]
	s_wait_loadcnt 0x4
	s_delay_alu instid0(VALU_DEP_1) | instskip(SKIP_1) | instid1(VALU_DEP_1)
	v_fmac_f64_e32 v[92:93], v[80:81], v[86:87]
	s_wait_dscnt 0x0
	v_fmac_f64_e32 v[92:93], v[82:83], v[88:89]
	ds_load_2addr_b64 v[78:81], v2 offset0:49 offset1:50
	ds_load_2addr_b64 v[82:85], v2 offset0:51 offset1:52
	s_wait_loadcnt 0x3
	v_fmac_f64_e32 v[92:93], v[62:63], v[90:91]
	s_wait_dscnt 0x1
	s_delay_alu instid0(VALU_DEP_1) | instskip(SKIP_1) | instid1(VALU_DEP_1)
	v_fmac_f64_e32 v[92:93], v[64:65], v[78:79]
	s_wait_loadcnt 0x2
	v_fmac_f64_e32 v[92:93], v[66:67], v[80:81]
	ds_load_2addr_b64 v[62:65], v2 offset0:53 offset1:54
	ds_load_b64 v[66:67], v2 offset:440
	s_wait_dscnt 0x2
	v_fmac_f64_e32 v[92:93], v[68:69], v[82:83]
	s_wait_loadcnt 0x1
	s_delay_alu instid0(VALU_DEP_1) | instskip(SKIP_1) | instid1(VALU_DEP_1)
	v_fmac_f64_e32 v[92:93], v[70:71], v[84:85]
	s_wait_dscnt 0x1
	v_fmac_f64_e32 v[92:93], v[72:73], v[62:63]
	s_wait_loadcnt 0x0
	s_delay_alu instid0(VALU_DEP_1) | instskip(SKIP_1) | instid1(VALU_DEP_1)
	v_fmac_f64_e32 v[92:93], v[74:75], v[64:65]
	s_wait_dscnt 0x0
	v_fmac_f64_e32 v[92:93], v[76:77], v[66:67]
	s_delay_alu instid0(VALU_DEP_1)
	v_add_f64_e64 v[60:61], v[60:61], -v[92:93]
	scratch_store_b64 off, v[60:61], off offset:64
	s_wait_xcnt 0x0
	v_cmpx_lt_u32_e32 7, v0
	s_cbranch_execz .LBB27_163
; %bb.162:
	scratch_load_b64 v[60:61], off, off offset:56
	v_mov_b64_e32 v[62:63], 0
	scratch_store_b64 off, v[62:63], off offset:56
	s_wait_loadcnt 0x0
	ds_store_b64 v1, v[60:61]
.LBB27_163:
	s_wait_xcnt 0x0
	s_or_b32 exec_lo, exec_lo, s0
	s_wait_storecnt_dscnt 0x0
	s_barrier_signal -1
	s_barrier_wait -1
	s_clause 0x5
	scratch_load_b128 v[60:63], off, off offset:56
	scratch_load_b128 v[64:67], off, off offset:72
	;; [unrolled: 1-line block ×6, first 2 shown]
	ds_load_b128 v[84:87], v2 offset:288
	ds_load_b128 v[88:91], v2 offset:304
	s_mov_b32 s0, exec_lo
	s_wait_loadcnt_dscnt 0x501
	v_fma_f64 v[92:93], v[62:63], v[84:85], 0
	s_wait_loadcnt 0x4
	s_delay_alu instid0(VALU_DEP_1) | instskip(SKIP_4) | instid1(VALU_DEP_1)
	v_fmac_f64_e32 v[92:93], v[64:65], v[86:87]
	scratch_load_b128 v[62:65], off, off offset:152
	s_wait_dscnt 0x0
	v_fmac_f64_e32 v[92:93], v[66:67], v[88:89]
	s_wait_loadcnt 0x4
	v_fmac_f64_e32 v[92:93], v[68:69], v[90:91]
	scratch_load_b128 v[66:69], off, off offset:168
	ds_load_b128 v[84:87], v2 offset:320
	ds_load_b128 v[88:91], v2 offset:336
	s_wait_dscnt 0x1
	v_fmac_f64_e32 v[92:93], v[70:71], v[84:85]
	s_wait_loadcnt 0x4
	s_delay_alu instid0(VALU_DEP_1) | instskip(SKIP_4) | instid1(VALU_DEP_1)
	v_fmac_f64_e32 v[92:93], v[72:73], v[86:87]
	scratch_load_b128 v[70:73], off, off offset:184
	s_wait_dscnt 0x0
	v_fmac_f64_e32 v[92:93], v[74:75], v[88:89]
	s_wait_loadcnt 0x4
	v_fmac_f64_e32 v[92:93], v[76:77], v[90:91]
	scratch_load_b128 v[74:77], off, off offset:200
	ds_load_b128 v[84:87], v2 offset:352
	ds_load_b128 v[88:91], v2 offset:368
	s_wait_dscnt 0x1
	v_fmac_f64_e32 v[92:93], v[78:79], v[84:85]
	s_wait_loadcnt 0x4
	s_delay_alu instid0(VALU_DEP_1)
	v_fmac_f64_e32 v[92:93], v[80:81], v[86:87]
	scratch_load_b64 v[86:87], off, off offset:216
	s_wait_dscnt 0x0
	v_fmac_f64_e32 v[92:93], v[82:83], v[88:89]
	ds_load_b128 v[78:81], v2 offset:384
	ds_load_b128 v[82:85], v2 offset:400
	s_wait_loadcnt 0x4
	v_fmac_f64_e32 v[92:93], v[62:63], v[90:91]
	s_wait_dscnt 0x1
	s_delay_alu instid0(VALU_DEP_1) | instskip(SKIP_1) | instid1(VALU_DEP_1)
	v_fmac_f64_e32 v[92:93], v[64:65], v[78:79]
	s_wait_loadcnt 0x3
	v_fmac_f64_e32 v[92:93], v[66:67], v[80:81]
	s_wait_dscnt 0x0
	s_delay_alu instid0(VALU_DEP_1)
	v_fmac_f64_e32 v[92:93], v[68:69], v[82:83]
	ds_load_b128 v[62:65], v2 offset:416
	ds_load_b128 v[66:69], v2 offset:432
	s_wait_loadcnt 0x2
	v_fmac_f64_e32 v[92:93], v[70:71], v[84:85]
	s_wait_dscnt 0x1
	s_delay_alu instid0(VALU_DEP_1) | instskip(SKIP_1) | instid1(VALU_DEP_1)
	v_fmac_f64_e32 v[92:93], v[72:73], v[62:63]
	s_wait_loadcnt 0x1
	v_fmac_f64_e32 v[92:93], v[74:75], v[64:65]
	s_wait_dscnt 0x0
	s_delay_alu instid0(VALU_DEP_1) | instskip(SKIP_1) | instid1(VALU_DEP_1)
	v_fmac_f64_e32 v[92:93], v[76:77], v[66:67]
	s_wait_loadcnt 0x0
	v_fmac_f64_e32 v[92:93], v[86:87], v[68:69]
	s_delay_alu instid0(VALU_DEP_1)
	v_add_f64_e64 v[2:3], v[60:61], -v[92:93]
	scratch_store_b64 off, v[2:3], off offset:56
	s_wait_xcnt 0x0
	v_cmpx_lt_u32_e32 6, v0
	s_cbranch_execz .LBB27_165
; %bb.164:
	scratch_load_b64 v[2:3], off, off offset:48
	v_mov_b64_e32 v[60:61], 0
	scratch_store_b64 off, v[60:61], off offset:48
	s_wait_loadcnt 0x0
	ds_store_b64 v1, v[2:3]
.LBB27_165:
	s_wait_xcnt 0x0
	s_or_b32 exec_lo, exec_lo, s0
	s_wait_storecnt_dscnt 0x0
	s_barrier_signal -1
	s_barrier_wait -1
	s_clause 0x5
	scratch_load_b128 v[60:63], off, off offset:48
	scratch_load_b128 v[64:67], off, off offset:64
	;; [unrolled: 1-line block ×6, first 2 shown]
	v_mov_b32_e32 v2, 0
	ds_load_2addr_b64 v[84:87], v2 offset0:35 offset1:36
	ds_load_2addr_b64 v[88:91], v2 offset0:37 offset1:38
	s_mov_b32 s0, exec_lo
	s_wait_loadcnt_dscnt 0x501
	v_fma_f64 v[92:93], v[62:63], v[84:85], 0
	s_wait_loadcnt 0x4
	s_delay_alu instid0(VALU_DEP_1) | instskip(SKIP_4) | instid1(VALU_DEP_1)
	v_fmac_f64_e32 v[92:93], v[64:65], v[86:87]
	scratch_load_b128 v[62:65], off, off offset:144
	s_wait_dscnt 0x0
	v_fmac_f64_e32 v[92:93], v[66:67], v[88:89]
	s_wait_loadcnt 0x4
	v_fmac_f64_e32 v[92:93], v[68:69], v[90:91]
	scratch_load_b128 v[66:69], off, off offset:160
	ds_load_2addr_b64 v[84:87], v2 offset0:39 offset1:40
	ds_load_2addr_b64 v[88:91], v2 offset0:41 offset1:42
	s_wait_dscnt 0x1
	v_fmac_f64_e32 v[92:93], v[70:71], v[84:85]
	s_wait_loadcnt 0x4
	s_delay_alu instid0(VALU_DEP_1) | instskip(SKIP_4) | instid1(VALU_DEP_1)
	v_fmac_f64_e32 v[92:93], v[72:73], v[86:87]
	scratch_load_b128 v[70:73], off, off offset:176
	s_wait_dscnt 0x0
	v_fmac_f64_e32 v[92:93], v[74:75], v[88:89]
	s_wait_loadcnt 0x4
	v_fmac_f64_e32 v[92:93], v[76:77], v[90:91]
	scratch_load_b128 v[74:77], off, off offset:192
	ds_load_2addr_b64 v[84:87], v2 offset0:43 offset1:44
	ds_load_2addr_b64 v[88:91], v2 offset0:45 offset1:46
	s_wait_dscnt 0x1
	v_fmac_f64_e32 v[92:93], v[78:79], v[84:85]
	s_wait_loadcnt 0x4
	s_delay_alu instid0(VALU_DEP_1)
	v_fmac_f64_e32 v[92:93], v[80:81], v[86:87]
	scratch_load_b128 v[78:81], off, off offset:208
	s_wait_dscnt 0x0
	v_fmac_f64_e32 v[92:93], v[82:83], v[88:89]
	ds_load_2addr_b64 v[82:85], v2 offset0:47 offset1:48
	ds_load_2addr_b64 v[86:89], v2 offset0:49 offset1:50
	s_wait_loadcnt 0x4
	v_fmac_f64_e32 v[92:93], v[62:63], v[90:91]
	s_wait_dscnt 0x1
	s_delay_alu instid0(VALU_DEP_1) | instskip(SKIP_1) | instid1(VALU_DEP_1)
	v_fmac_f64_e32 v[92:93], v[64:65], v[82:83]
	s_wait_loadcnt 0x3
	v_fmac_f64_e32 v[92:93], v[66:67], v[84:85]
	s_wait_dscnt 0x0
	s_delay_alu instid0(VALU_DEP_1)
	v_fmac_f64_e32 v[92:93], v[68:69], v[86:87]
	ds_load_2addr_b64 v[62:65], v2 offset0:51 offset1:52
	ds_load_2addr_b64 v[66:69], v2 offset0:53 offset1:54
	s_wait_loadcnt 0x2
	v_fmac_f64_e32 v[92:93], v[70:71], v[88:89]
	s_wait_dscnt 0x1
	s_delay_alu instid0(VALU_DEP_1) | instskip(SKIP_4) | instid1(VALU_DEP_1)
	v_fmac_f64_e32 v[92:93], v[72:73], v[62:63]
	ds_load_b64 v[62:63], v2 offset:440
	s_wait_loadcnt 0x1
	v_fmac_f64_e32 v[92:93], v[74:75], v[64:65]
	s_wait_dscnt 0x1
	v_fmac_f64_e32 v[92:93], v[76:77], v[66:67]
	s_wait_loadcnt 0x0
	s_delay_alu instid0(VALU_DEP_1) | instskip(SKIP_1) | instid1(VALU_DEP_1)
	v_fmac_f64_e32 v[92:93], v[78:79], v[68:69]
	s_wait_dscnt 0x0
	v_fmac_f64_e32 v[92:93], v[80:81], v[62:63]
	s_delay_alu instid0(VALU_DEP_1)
	v_add_f64_e64 v[60:61], v[60:61], -v[92:93]
	scratch_store_b64 off, v[60:61], off offset:48
	s_wait_xcnt 0x0
	v_cmpx_lt_u32_e32 5, v0
	s_cbranch_execz .LBB27_167
; %bb.166:
	scratch_load_b64 v[60:61], off, off offset:40
	v_mov_b64_e32 v[62:63], 0
	scratch_store_b64 off, v[62:63], off offset:40
	s_wait_loadcnt 0x0
	ds_store_b64 v1, v[60:61]
.LBB27_167:
	s_wait_xcnt 0x0
	s_or_b32 exec_lo, exec_lo, s0
	s_wait_storecnt_dscnt 0x0
	s_barrier_signal -1
	s_barrier_wait -1
	s_clause 0x5
	scratch_load_b128 v[60:63], off, off offset:40
	scratch_load_b128 v[64:67], off, off offset:56
	;; [unrolled: 1-line block ×6, first 2 shown]
	ds_load_b128 v[84:87], v2 offset:272
	ds_load_b128 v[88:91], v2 offset:288
	scratch_load_b128 v[92:95], off, off offset:136
	s_mov_b32 s0, exec_lo
	s_wait_loadcnt_dscnt 0x601
	v_fma_f64 v[96:97], v[62:63], v[84:85], 0
	s_wait_loadcnt 0x5
	s_delay_alu instid0(VALU_DEP_1) | instskip(SKIP_4) | instid1(VALU_DEP_1)
	v_fmac_f64_e32 v[96:97], v[64:65], v[86:87]
	scratch_load_b128 v[62:65], off, off offset:152
	s_wait_dscnt 0x0
	v_fmac_f64_e32 v[96:97], v[66:67], v[88:89]
	s_wait_loadcnt 0x5
	v_fmac_f64_e32 v[96:97], v[68:69], v[90:91]
	ds_load_b128 v[66:69], v2 offset:304
	ds_load_b128 v[84:87], v2 offset:320
	s_wait_dscnt 0x1
	v_fmac_f64_e32 v[96:97], v[70:71], v[66:67]
	s_wait_loadcnt 0x4
	s_delay_alu instid0(VALU_DEP_1)
	v_fmac_f64_e32 v[96:97], v[72:73], v[68:69]
	s_clause 0x1
	scratch_load_b128 v[66:69], off, off offset:168
	scratch_load_b128 v[70:73], off, off offset:184
	s_wait_dscnt 0x0
	v_fmac_f64_e32 v[96:97], v[74:75], v[84:85]
	s_wait_loadcnt 0x5
	s_delay_alu instid0(VALU_DEP_1)
	v_fmac_f64_e32 v[96:97], v[76:77], v[86:87]
	ds_load_b128 v[74:77], v2 offset:336
	ds_load_b128 v[84:87], v2 offset:352
	s_wait_dscnt 0x1
	v_fmac_f64_e32 v[96:97], v[78:79], v[74:75]
	s_wait_loadcnt 0x4
	s_delay_alu instid0(VALU_DEP_1) | instskip(SKIP_4) | instid1(VALU_DEP_1)
	v_fmac_f64_e32 v[96:97], v[80:81], v[76:77]
	scratch_load_b128 v[74:77], off, off offset:200
	s_wait_dscnt 0x0
	v_fmac_f64_e32 v[96:97], v[82:83], v[84:85]
	s_wait_loadcnt 0x4
	v_fmac_f64_e32 v[96:97], v[92:93], v[86:87]
	scratch_load_b64 v[86:87], off, off offset:216
	ds_load_b128 v[78:81], v2 offset:368
	ds_load_b128 v[82:85], v2 offset:384
	s_wait_dscnt 0x1
	v_fmac_f64_e32 v[96:97], v[94:95], v[78:79]
	s_wait_loadcnt 0x4
	s_delay_alu instid0(VALU_DEP_1) | instskip(SKIP_1) | instid1(VALU_DEP_1)
	v_fmac_f64_e32 v[96:97], v[62:63], v[80:81]
	s_wait_dscnt 0x0
	v_fmac_f64_e32 v[96:97], v[64:65], v[82:83]
	ds_load_b128 v[62:65], v2 offset:400
	ds_load_b128 v[78:81], v2 offset:416
	s_wait_loadcnt 0x3
	v_fmac_f64_e32 v[96:97], v[66:67], v[84:85]
	s_wait_dscnt 0x1
	s_delay_alu instid0(VALU_DEP_1) | instskip(SKIP_1) | instid1(VALU_DEP_1)
	v_fmac_f64_e32 v[96:97], v[68:69], v[62:63]
	s_wait_loadcnt 0x2
	v_fmac_f64_e32 v[96:97], v[70:71], v[64:65]
	ds_load_b128 v[62:65], v2 offset:432
	s_wait_dscnt 0x1
	v_fmac_f64_e32 v[96:97], v[72:73], v[78:79]
	s_wait_loadcnt 0x1
	s_delay_alu instid0(VALU_DEP_1) | instskip(SKIP_1) | instid1(VALU_DEP_1)
	v_fmac_f64_e32 v[96:97], v[74:75], v[80:81]
	s_wait_dscnt 0x0
	v_fmac_f64_e32 v[96:97], v[76:77], v[62:63]
	s_wait_loadcnt 0x0
	s_delay_alu instid0(VALU_DEP_1) | instskip(NEXT) | instid1(VALU_DEP_1)
	v_fmac_f64_e32 v[96:97], v[86:87], v[64:65]
	v_add_f64_e64 v[2:3], v[60:61], -v[96:97]
	scratch_store_b64 off, v[2:3], off offset:40
	s_wait_xcnt 0x0
	v_cmpx_lt_u32_e32 4, v0
	s_cbranch_execz .LBB27_169
; %bb.168:
	scratch_load_b64 v[2:3], off, off offset:32
	v_mov_b64_e32 v[60:61], 0
	scratch_store_b64 off, v[60:61], off offset:32
	s_wait_loadcnt 0x0
	ds_store_b64 v1, v[2:3]
.LBB27_169:
	s_wait_xcnt 0x0
	s_or_b32 exec_lo, exec_lo, s0
	s_wait_storecnt_dscnt 0x0
	s_barrier_signal -1
	s_barrier_wait -1
	s_clause 0x5
	scratch_load_b128 v[60:63], off, off offset:32
	scratch_load_b128 v[64:67], off, off offset:48
	;; [unrolled: 1-line block ×6, first 2 shown]
	v_mov_b32_e32 v2, 0
	ds_load_2addr_b64 v[84:87], v2 offset0:33 offset1:34
	ds_load_2addr_b64 v[88:91], v2 offset0:35 offset1:36
	scratch_load_b128 v[92:95], off, off offset:128
	s_mov_b32 s0, exec_lo
	s_wait_loadcnt_dscnt 0x601
	v_fma_f64 v[96:97], v[62:63], v[84:85], 0
	s_wait_loadcnt 0x5
	s_delay_alu instid0(VALU_DEP_1) | instskip(SKIP_4) | instid1(VALU_DEP_1)
	v_fmac_f64_e32 v[96:97], v[64:65], v[86:87]
	scratch_load_b128 v[62:65], off, off offset:144
	s_wait_dscnt 0x0
	v_fmac_f64_e32 v[96:97], v[66:67], v[88:89]
	s_wait_loadcnt 0x5
	v_fmac_f64_e32 v[96:97], v[68:69], v[90:91]
	ds_load_2addr_b64 v[66:69], v2 offset0:37 offset1:38
	ds_load_2addr_b64 v[84:87], v2 offset0:39 offset1:40
	s_wait_dscnt 0x1
	v_fmac_f64_e32 v[96:97], v[70:71], v[66:67]
	s_wait_loadcnt 0x4
	s_delay_alu instid0(VALU_DEP_1)
	v_fmac_f64_e32 v[96:97], v[72:73], v[68:69]
	s_clause 0x1
	scratch_load_b128 v[66:69], off, off offset:160
	scratch_load_b128 v[70:73], off, off offset:176
	s_wait_dscnt 0x0
	v_fmac_f64_e32 v[96:97], v[74:75], v[84:85]
	s_wait_loadcnt 0x5
	s_delay_alu instid0(VALU_DEP_1)
	v_fmac_f64_e32 v[96:97], v[76:77], v[86:87]
	ds_load_2addr_b64 v[74:77], v2 offset0:41 offset1:42
	ds_load_2addr_b64 v[84:87], v2 offset0:43 offset1:44
	s_wait_dscnt 0x1
	v_fmac_f64_e32 v[96:97], v[78:79], v[74:75]
	s_wait_loadcnt 0x4
	s_delay_alu instid0(VALU_DEP_1)
	v_fmac_f64_e32 v[96:97], v[80:81], v[76:77]
	s_clause 0x1
	scratch_load_b128 v[74:77], off, off offset:192
	scratch_load_b128 v[78:81], off, off offset:208
	s_wait_dscnt 0x0
	v_fmac_f64_e32 v[96:97], v[82:83], v[84:85]
	s_wait_loadcnt 0x5
	s_delay_alu instid0(VALU_DEP_1)
	v_fmac_f64_e32 v[96:97], v[92:93], v[86:87]
	ds_load_2addr_b64 v[82:85], v2 offset0:45 offset1:46
	ds_load_2addr_b64 v[86:89], v2 offset0:47 offset1:48
	s_wait_dscnt 0x1
	v_fmac_f64_e32 v[96:97], v[94:95], v[82:83]
	s_wait_loadcnt 0x4
	s_delay_alu instid0(VALU_DEP_1) | instskip(SKIP_1) | instid1(VALU_DEP_1)
	v_fmac_f64_e32 v[96:97], v[62:63], v[84:85]
	s_wait_dscnt 0x0
	v_fmac_f64_e32 v[96:97], v[64:65], v[86:87]
	ds_load_2addr_b64 v[62:65], v2 offset0:49 offset1:50
	ds_load_2addr_b64 v[82:85], v2 offset0:51 offset1:52
	s_wait_loadcnt 0x3
	v_fmac_f64_e32 v[96:97], v[66:67], v[88:89]
	s_wait_dscnt 0x1
	s_delay_alu instid0(VALU_DEP_1) | instskip(SKIP_1) | instid1(VALU_DEP_1)
	v_fmac_f64_e32 v[96:97], v[68:69], v[62:63]
	s_wait_loadcnt 0x2
	v_fmac_f64_e32 v[96:97], v[70:71], v[64:65]
	ds_load_2addr_b64 v[62:65], v2 offset0:53 offset1:54
	ds_load_b64 v[66:67], v2 offset:440
	s_wait_dscnt 0x2
	v_fmac_f64_e32 v[96:97], v[72:73], v[82:83]
	s_wait_loadcnt 0x1
	s_delay_alu instid0(VALU_DEP_1) | instskip(SKIP_1) | instid1(VALU_DEP_1)
	v_fmac_f64_e32 v[96:97], v[74:75], v[84:85]
	s_wait_dscnt 0x1
	v_fmac_f64_e32 v[96:97], v[76:77], v[62:63]
	s_wait_loadcnt 0x0
	s_delay_alu instid0(VALU_DEP_1) | instskip(SKIP_1) | instid1(VALU_DEP_1)
	v_fmac_f64_e32 v[96:97], v[78:79], v[64:65]
	s_wait_dscnt 0x0
	v_fmac_f64_e32 v[96:97], v[80:81], v[66:67]
	s_delay_alu instid0(VALU_DEP_1)
	v_add_f64_e64 v[60:61], v[60:61], -v[96:97]
	scratch_store_b64 off, v[60:61], off offset:32
	s_wait_xcnt 0x0
	v_cmpx_lt_u32_e32 3, v0
	s_cbranch_execz .LBB27_171
; %bb.170:
	scratch_load_b64 v[60:61], off, off offset:24
	v_mov_b64_e32 v[62:63], 0
	scratch_store_b64 off, v[62:63], off offset:24
	s_wait_loadcnt 0x0
	ds_store_b64 v1, v[60:61]
.LBB27_171:
	s_wait_xcnt 0x0
	s_or_b32 exec_lo, exec_lo, s0
	s_wait_storecnt_dscnt 0x0
	s_barrier_signal -1
	s_barrier_wait -1
	s_clause 0x5
	scratch_load_b128 v[60:63], off, off offset:24
	scratch_load_b128 v[64:67], off, off offset:40
	;; [unrolled: 1-line block ×6, first 2 shown]
	ds_load_b128 v[84:87], v2 offset:256
	ds_load_b128 v[88:91], v2 offset:272
	scratch_load_b128 v[92:95], off, off offset:120
	s_mov_b32 s0, exec_lo
	s_wait_loadcnt_dscnt 0x601
	v_fma_f64 v[96:97], v[62:63], v[84:85], 0
	s_wait_loadcnt 0x5
	s_delay_alu instid0(VALU_DEP_1) | instskip(SKIP_4) | instid1(VALU_DEP_1)
	v_fmac_f64_e32 v[96:97], v[64:65], v[86:87]
	scratch_load_b128 v[62:65], off, off offset:136
	s_wait_dscnt 0x0
	v_fmac_f64_e32 v[96:97], v[66:67], v[88:89]
	s_wait_loadcnt 0x5
	v_fmac_f64_e32 v[96:97], v[68:69], v[90:91]
	ds_load_b128 v[66:69], v2 offset:288
	ds_load_b128 v[84:87], v2 offset:304
	s_wait_dscnt 0x1
	v_fmac_f64_e32 v[96:97], v[70:71], v[66:67]
	s_wait_loadcnt 0x4
	s_delay_alu instid0(VALU_DEP_1)
	v_fmac_f64_e32 v[96:97], v[72:73], v[68:69]
	s_clause 0x1
	scratch_load_b128 v[66:69], off, off offset:152
	scratch_load_b128 v[70:73], off, off offset:168
	s_wait_dscnt 0x0
	v_fmac_f64_e32 v[96:97], v[74:75], v[84:85]
	s_wait_loadcnt 0x5
	s_delay_alu instid0(VALU_DEP_1)
	v_fmac_f64_e32 v[96:97], v[76:77], v[86:87]
	ds_load_b128 v[74:77], v2 offset:320
	ds_load_b128 v[84:87], v2 offset:336
	s_wait_dscnt 0x1
	v_fmac_f64_e32 v[96:97], v[78:79], v[74:75]
	s_wait_loadcnt 0x4
	s_delay_alu instid0(VALU_DEP_1)
	v_fmac_f64_e32 v[96:97], v[80:81], v[76:77]
	s_clause 0x1
	scratch_load_b128 v[74:77], off, off offset:184
	scratch_load_b128 v[78:81], off, off offset:200
	s_wait_dscnt 0x0
	v_fmac_f64_e32 v[96:97], v[82:83], v[84:85]
	s_wait_loadcnt 0x5
	s_delay_alu instid0(VALU_DEP_1)
	v_fmac_f64_e32 v[96:97], v[92:93], v[86:87]
	ds_load_b128 v[82:85], v2 offset:352
	ds_load_b128 v[86:89], v2 offset:368
	scratch_load_b64 v[90:91], off, off offset:216
	s_wait_dscnt 0x1
	v_fmac_f64_e32 v[96:97], v[94:95], v[82:83]
	s_wait_loadcnt 0x5
	s_delay_alu instid0(VALU_DEP_1) | instskip(SKIP_1) | instid1(VALU_DEP_1)
	v_fmac_f64_e32 v[96:97], v[62:63], v[84:85]
	s_wait_dscnt 0x0
	v_fmac_f64_e32 v[96:97], v[64:65], v[86:87]
	ds_load_b128 v[62:65], v2 offset:384
	ds_load_b128 v[82:85], v2 offset:400
	s_wait_loadcnt 0x4
	v_fmac_f64_e32 v[96:97], v[66:67], v[88:89]
	s_wait_dscnt 0x1
	s_delay_alu instid0(VALU_DEP_1) | instskip(SKIP_1) | instid1(VALU_DEP_1)
	v_fmac_f64_e32 v[96:97], v[68:69], v[62:63]
	s_wait_loadcnt 0x3
	v_fmac_f64_e32 v[96:97], v[70:71], v[64:65]
	ds_load_b128 v[62:65], v2 offset:416
	ds_load_b128 v[66:69], v2 offset:432
	s_wait_dscnt 0x2
	v_fmac_f64_e32 v[96:97], v[72:73], v[82:83]
	s_wait_loadcnt 0x2
	s_delay_alu instid0(VALU_DEP_1) | instskip(SKIP_1) | instid1(VALU_DEP_1)
	v_fmac_f64_e32 v[96:97], v[74:75], v[84:85]
	s_wait_dscnt 0x1
	v_fmac_f64_e32 v[96:97], v[76:77], v[62:63]
	s_wait_loadcnt 0x1
	s_delay_alu instid0(VALU_DEP_1) | instskip(SKIP_1) | instid1(VALU_DEP_1)
	v_fmac_f64_e32 v[96:97], v[78:79], v[64:65]
	s_wait_dscnt 0x0
	v_fmac_f64_e32 v[96:97], v[80:81], v[66:67]
	s_wait_loadcnt 0x0
	s_delay_alu instid0(VALU_DEP_1) | instskip(NEXT) | instid1(VALU_DEP_1)
	v_fmac_f64_e32 v[96:97], v[90:91], v[68:69]
	v_add_f64_e64 v[2:3], v[60:61], -v[96:97]
	scratch_store_b64 off, v[2:3], off offset:24
	s_wait_xcnt 0x0
	v_cmpx_lt_u32_e32 2, v0
	s_cbranch_execz .LBB27_173
; %bb.172:
	scratch_load_b64 v[2:3], off, off offset:16
	v_mov_b64_e32 v[60:61], 0
	scratch_store_b64 off, v[60:61], off offset:16
	s_wait_loadcnt 0x0
	ds_store_b64 v1, v[2:3]
.LBB27_173:
	s_wait_xcnt 0x0
	s_or_b32 exec_lo, exec_lo, s0
	s_wait_storecnt_dscnt 0x0
	s_barrier_signal -1
	s_barrier_wait -1
	s_clause 0x5
	scratch_load_b128 v[60:63], off, off offset:16
	scratch_load_b128 v[64:67], off, off offset:32
	;; [unrolled: 1-line block ×6, first 2 shown]
	v_mov_b32_e32 v2, 0
	ds_load_2addr_b64 v[84:87], v2 offset0:31 offset1:32
	ds_load_2addr_b64 v[88:91], v2 offset0:33 offset1:34
	scratch_load_b128 v[92:95], off, off offset:112
	s_mov_b32 s0, exec_lo
	s_wait_loadcnt_dscnt 0x601
	v_fma_f64 v[96:97], v[62:63], v[84:85], 0
	s_wait_loadcnt 0x5
	s_delay_alu instid0(VALU_DEP_1) | instskip(SKIP_4) | instid1(VALU_DEP_1)
	v_fmac_f64_e32 v[96:97], v[64:65], v[86:87]
	scratch_load_b128 v[62:65], off, off offset:128
	s_wait_dscnt 0x0
	v_fmac_f64_e32 v[96:97], v[66:67], v[88:89]
	s_wait_loadcnt 0x5
	v_fmac_f64_e32 v[96:97], v[68:69], v[90:91]
	ds_load_2addr_b64 v[66:69], v2 offset0:35 offset1:36
	ds_load_2addr_b64 v[84:87], v2 offset0:37 offset1:38
	s_wait_dscnt 0x1
	v_fmac_f64_e32 v[96:97], v[70:71], v[66:67]
	s_wait_loadcnt 0x4
	s_delay_alu instid0(VALU_DEP_1)
	v_fmac_f64_e32 v[96:97], v[72:73], v[68:69]
	s_clause 0x1
	scratch_load_b128 v[66:69], off, off offset:144
	scratch_load_b128 v[70:73], off, off offset:160
	s_wait_dscnt 0x0
	v_fmac_f64_e32 v[96:97], v[74:75], v[84:85]
	s_wait_loadcnt 0x5
	s_delay_alu instid0(VALU_DEP_1)
	v_fmac_f64_e32 v[96:97], v[76:77], v[86:87]
	ds_load_2addr_b64 v[74:77], v2 offset0:39 offset1:40
	ds_load_2addr_b64 v[84:87], v2 offset0:41 offset1:42
	s_wait_dscnt 0x1
	v_fmac_f64_e32 v[96:97], v[78:79], v[74:75]
	s_wait_loadcnt 0x4
	s_delay_alu instid0(VALU_DEP_1)
	v_fmac_f64_e32 v[96:97], v[80:81], v[76:77]
	s_clause 0x1
	scratch_load_b128 v[74:77], off, off offset:176
	scratch_load_b128 v[78:81], off, off offset:192
	s_wait_dscnt 0x0
	v_fmac_f64_e32 v[96:97], v[82:83], v[84:85]
	s_wait_loadcnt 0x5
	s_delay_alu instid0(VALU_DEP_1)
	v_fmac_f64_e32 v[96:97], v[92:93], v[86:87]
	ds_load_2addr_b64 v[82:85], v2 offset0:43 offset1:44
	ds_load_2addr_b64 v[86:89], v2 offset0:45 offset1:46
	s_wait_dscnt 0x1
	v_fmac_f64_e32 v[96:97], v[94:95], v[82:83]
	s_wait_loadcnt 0x4
	s_delay_alu instid0(VALU_DEP_1) | instskip(SKIP_4) | instid1(VALU_DEP_1)
	v_fmac_f64_e32 v[96:97], v[62:63], v[84:85]
	scratch_load_b128 v[82:85], off, off offset:208
	s_wait_dscnt 0x0
	v_fmac_f64_e32 v[96:97], v[64:65], v[86:87]
	s_wait_loadcnt 0x4
	v_fmac_f64_e32 v[96:97], v[66:67], v[88:89]
	ds_load_2addr_b64 v[62:65], v2 offset0:47 offset1:48
	ds_load_2addr_b64 v[86:89], v2 offset0:49 offset1:50
	s_wait_dscnt 0x1
	v_fmac_f64_e32 v[96:97], v[68:69], v[62:63]
	s_wait_loadcnt 0x3
	s_delay_alu instid0(VALU_DEP_1)
	v_fmac_f64_e32 v[96:97], v[70:71], v[64:65]
	ds_load_2addr_b64 v[62:65], v2 offset0:51 offset1:52
	ds_load_2addr_b64 v[66:69], v2 offset0:53 offset1:54
	s_wait_dscnt 0x2
	v_fmac_f64_e32 v[96:97], v[72:73], v[86:87]
	s_wait_loadcnt 0x2
	s_delay_alu instid0(VALU_DEP_1) | instskip(SKIP_1) | instid1(VALU_DEP_1)
	v_fmac_f64_e32 v[96:97], v[74:75], v[88:89]
	s_wait_dscnt 0x1
	v_fmac_f64_e32 v[96:97], v[76:77], v[62:63]
	ds_load_b64 v[62:63], v2 offset:440
	s_wait_loadcnt 0x1
	v_fmac_f64_e32 v[96:97], v[78:79], v[64:65]
	s_wait_dscnt 0x1
	s_delay_alu instid0(VALU_DEP_1) | instskip(SKIP_1) | instid1(VALU_DEP_1)
	v_fmac_f64_e32 v[96:97], v[80:81], v[66:67]
	s_wait_loadcnt 0x0
	v_fmac_f64_e32 v[96:97], v[82:83], v[68:69]
	s_wait_dscnt 0x0
	s_delay_alu instid0(VALU_DEP_1) | instskip(NEXT) | instid1(VALU_DEP_1)
	v_fmac_f64_e32 v[96:97], v[84:85], v[62:63]
	v_add_f64_e64 v[60:61], v[60:61], -v[96:97]
	scratch_store_b64 off, v[60:61], off offset:16
	s_wait_xcnt 0x0
	v_cmpx_lt_u32_e32 1, v0
	s_cbranch_execz .LBB27_175
; %bb.174:
	scratch_load_b64 v[60:61], off, off offset:8
	v_mov_b64_e32 v[62:63], 0
	scratch_store_b64 off, v[62:63], off offset:8
	s_wait_loadcnt 0x0
	ds_store_b64 v1, v[60:61]
.LBB27_175:
	s_wait_xcnt 0x0
	s_or_b32 exec_lo, exec_lo, s0
	s_wait_storecnt_dscnt 0x0
	s_barrier_signal -1
	s_barrier_wait -1
	s_clause 0x5
	scratch_load_b128 v[60:63], off, off offset:8
	scratch_load_b128 v[64:67], off, off offset:24
	;; [unrolled: 1-line block ×6, first 2 shown]
	ds_load_b128 v[84:87], v2 offset:240
	ds_load_b128 v[88:91], v2 offset:256
	scratch_load_b128 v[92:95], off, off offset:104
	v_dual_ashrrev_i32 v9, 31, v8 :: v_dual_ashrrev_i32 v15, 31, v14
	v_dual_ashrrev_i32 v13, 31, v12 :: v_dual_ashrrev_i32 v19, 31, v18
	;; [unrolled: 1-line block ×12, first 2 shown]
	v_ashrrev_i32_e32 v57, 31, v56
	s_mov_b32 s0, exec_lo
	v_ashrrev_i32_e32 v11, 31, v10
	s_wait_loadcnt_dscnt 0x601
	v_fma_f64 v[96:97], v[62:63], v[84:85], 0
	s_wait_loadcnt 0x5
	s_delay_alu instid0(VALU_DEP_1) | instskip(SKIP_4) | instid1(VALU_DEP_1)
	v_fmac_f64_e32 v[96:97], v[64:65], v[86:87]
	scratch_load_b128 v[62:65], off, off offset:120
	s_wait_dscnt 0x0
	v_fmac_f64_e32 v[96:97], v[66:67], v[88:89]
	s_wait_loadcnt 0x5
	v_fmac_f64_e32 v[96:97], v[68:69], v[90:91]
	ds_load_b128 v[66:69], v2 offset:272
	ds_load_b128 v[84:87], v2 offset:288
	scratch_load_b128 v[88:91], off, off offset:136
	s_wait_dscnt 0x1
	v_fmac_f64_e32 v[96:97], v[70:71], v[66:67]
	s_wait_loadcnt 0x5
	s_delay_alu instid0(VALU_DEP_1) | instskip(SKIP_4) | instid1(VALU_DEP_1)
	v_fmac_f64_e32 v[96:97], v[72:73], v[68:69]
	scratch_load_b128 v[66:69], off, off offset:152
	s_wait_dscnt 0x0
	v_fmac_f64_e32 v[96:97], v[74:75], v[84:85]
	s_wait_loadcnt 0x5
	v_fmac_f64_e32 v[96:97], v[76:77], v[86:87]
	ds_load_b128 v[70:73], v2 offset:304
	ds_load_b128 v[74:77], v2 offset:320
	s_wait_dscnt 0x1
	v_fmac_f64_e32 v[96:97], v[78:79], v[70:71]
	s_wait_loadcnt 0x4
	s_delay_alu instid0(VALU_DEP_1) | instskip(SKIP_4) | instid1(VALU_DEP_1)
	v_fmac_f64_e32 v[96:97], v[80:81], v[72:73]
	scratch_load_b128 v[70:73], off, off offset:168
	s_wait_dscnt 0x0
	v_fmac_f64_e32 v[96:97], v[82:83], v[74:75]
	s_wait_loadcnt 0x4
	v_fmac_f64_e32 v[96:97], v[92:93], v[76:77]
	scratch_load_b128 v[74:77], off, off offset:184
	ds_load_b128 v[78:81], v2 offset:336
	ds_load_b128 v[82:85], v2 offset:352
	scratch_load_b64 v[86:87], off, off offset:216
	s_wait_dscnt 0x1
	v_fmac_f64_e32 v[96:97], v[94:95], v[78:79]
	s_wait_loadcnt 0x5
	s_delay_alu instid0(VALU_DEP_1) | instskip(SKIP_4) | instid1(VALU_DEP_1)
	v_fmac_f64_e32 v[96:97], v[62:63], v[80:81]
	scratch_load_b128 v[78:81], off, off offset:200
	s_wait_dscnt 0x0
	v_fmac_f64_e32 v[96:97], v[64:65], v[82:83]
	s_wait_loadcnt 0x5
	v_fmac_f64_e32 v[96:97], v[88:89], v[84:85]
	ds_load_b128 v[62:65], v2 offset:368
	ds_load_b128 v[82:85], v2 offset:384
	s_wait_dscnt 0x1
	v_fmac_f64_e32 v[96:97], v[90:91], v[62:63]
	s_wait_loadcnt 0x4
	s_delay_alu instid0(VALU_DEP_1) | instskip(SKIP_1) | instid1(VALU_DEP_1)
	v_fmac_f64_e32 v[96:97], v[66:67], v[64:65]
	s_wait_dscnt 0x0
	v_fmac_f64_e32 v[96:97], v[68:69], v[82:83]
	ds_load_b128 v[62:65], v2 offset:400
	ds_load_b128 v[66:69], v2 offset:416
	s_wait_loadcnt 0x3
	v_fmac_f64_e32 v[96:97], v[70:71], v[84:85]
	s_wait_dscnt 0x1
	s_delay_alu instid0(VALU_DEP_1) | instskip(SKIP_1) | instid1(VALU_DEP_1)
	v_fmac_f64_e32 v[96:97], v[72:73], v[62:63]
	s_wait_loadcnt 0x2
	v_fmac_f64_e32 v[96:97], v[74:75], v[64:65]
	ds_load_b128 v[62:65], v2 offset:432
	s_wait_dscnt 0x1
	v_fmac_f64_e32 v[96:97], v[76:77], v[66:67]
	s_wait_loadcnt 0x0
	s_delay_alu instid0(VALU_DEP_1) | instskip(SKIP_1) | instid1(VALU_DEP_1)
	v_fmac_f64_e32 v[96:97], v[78:79], v[68:69]
	s_wait_dscnt 0x0
	v_fmac_f64_e32 v[96:97], v[80:81], v[62:63]
	s_delay_alu instid0(VALU_DEP_1) | instskip(NEXT) | instid1(VALU_DEP_1)
	v_fmac_f64_e32 v[96:97], v[86:87], v[64:65]
	v_add_f64_e64 v[2:3], v[60:61], -v[96:97]
	scratch_store_b64 off, v[2:3], off offset:8
	s_wait_xcnt 0x0
	v_cmpx_ne_u32_e32 0, v0
	s_cbranch_execz .LBB27_177
; %bb.176:
	scratch_load_b64 v[2:3], off, off
	v_mov_b64_e32 v[60:61], 0
	scratch_store_b64 off, v[60:61], off
	s_wait_loadcnt 0x0
	ds_store_b64 v1, v[2:3]
.LBB27_177:
	s_wait_xcnt 0x0
	s_or_b32 exec_lo, exec_lo, s0
	s_wait_storecnt_dscnt 0x0
	s_barrier_signal -1
	s_barrier_wait -1
	s_clause 0x5
	scratch_load_b128 v[62:65], off, off
	scratch_load_b128 v[0:3], off, off offset:16
	scratch_load_b128 v[66:69], off, off offset:32
	;; [unrolled: 1-line block ×5, first 2 shown]
	v_mov_b32_e32 v60, 0
	scratch_load_b128 v[86:89], off, off offset:96
	s_and_b32 vcc_lo, exec_lo, s18
	ds_load_2addr_b64 v[82:85], v60 offset0:29 offset1:30
	s_wait_loadcnt_dscnt 0x600
	v_fma_f64 v[90:91], v[64:65], v[82:83], 0
	s_wait_loadcnt 0x5
	s_delay_alu instid0(VALU_DEP_1)
	v_fmac_f64_e32 v[90:91], v[0:1], v[84:85]
	ds_load_2addr_b64 v[82:85], v60 offset0:31 offset1:32
	s_wait_dscnt 0x0
	v_fmac_f64_e32 v[90:91], v[2:3], v[82:83]
	scratch_load_b128 v[0:3], off, off offset:112
	s_wait_loadcnt 0x5
	v_fmac_f64_e32 v[90:91], v[66:67], v[84:85]
	ds_load_2addr_b64 v[64:67], v60 offset0:33 offset1:34
	scratch_load_b128 v[82:85], off, off offset:128
	s_wait_dscnt 0x0
	v_fmac_f64_e32 v[90:91], v[68:69], v[64:65]
	s_wait_loadcnt 0x5
	s_delay_alu instid0(VALU_DEP_1)
	v_fmac_f64_e32 v[90:91], v[70:71], v[66:67]
	ds_load_2addr_b64 v[64:67], v60 offset0:35 offset1:36
	scratch_load_b128 v[68:71], off, off offset:144
	s_wait_dscnt 0x0
	v_fmac_f64_e32 v[90:91], v[72:73], v[64:65]
	s_wait_loadcnt 0x5
	s_delay_alu instid0(VALU_DEP_1)
	;; [unrolled: 7-line block ×4, first 2 shown]
	v_fmac_f64_e32 v[90:91], v[86:87], v[66:67]
	ds_load_2addr_b64 v[64:67], v60 offset0:41 offset1:42
	s_wait_dscnt 0x0
	v_fmac_f64_e32 v[90:91], v[88:89], v[64:65]
	scratch_load_b128 v[86:89], off, off offset:192
	s_wait_loadcnt 0x5
	v_fmac_f64_e32 v[90:91], v[0:1], v[66:67]
	ds_load_2addr_b64 v[64:67], v60 offset0:43 offset1:44
	s_wait_dscnt 0x0
	v_fmac_f64_e32 v[90:91], v[2:3], v[64:65]
	scratch_load_b128 v[0:3], off, off offset:208
	s_wait_loadcnt 0x5
	v_fmac_f64_e32 v[90:91], v[82:83], v[66:67]
	ds_load_2addr_b64 v[64:67], v60 offset0:45 offset1:46
	s_wait_dscnt 0x0
	v_fmac_f64_e32 v[90:91], v[84:85], v[64:65]
	s_wait_loadcnt 0x4
	s_delay_alu instid0(VALU_DEP_1) | instskip(SKIP_4) | instid1(VALU_DEP_1)
	v_fmac_f64_e32 v[90:91], v[68:69], v[66:67]
	ds_load_2addr_b64 v[64:67], v60 offset0:47 offset1:48
	s_wait_dscnt 0x0
	v_fmac_f64_e32 v[90:91], v[70:71], v[64:65]
	s_wait_loadcnt 0x3
	v_fmac_f64_e32 v[90:91], v[72:73], v[66:67]
	ds_load_2addr_b64 v[64:67], v60 offset0:49 offset1:50
	s_wait_dscnt 0x0
	v_fmac_f64_e32 v[90:91], v[74:75], v[64:65]
	s_wait_loadcnt 0x2
	s_delay_alu instid0(VALU_DEP_1) | instskip(SKIP_4) | instid1(VALU_DEP_1)
	v_fmac_f64_e32 v[90:91], v[76:77], v[66:67]
	ds_load_2addr_b64 v[64:67], v60 offset0:51 offset1:52
	s_wait_dscnt 0x0
	v_fmac_f64_e32 v[90:91], v[78:79], v[64:65]
	s_wait_loadcnt 0x1
	v_fmac_f64_e32 v[90:91], v[86:87], v[66:67]
	ds_load_2addr_b64 v[64:67], v60 offset0:53 offset1:54
	s_wait_dscnt 0x0
	v_fmac_f64_e32 v[90:91], v[88:89], v[64:65]
	ds_load_b64 v[64:65], v60 offset:440
	s_wait_loadcnt 0x0
	v_fmac_f64_e32 v[90:91], v[0:1], v[66:67]
	s_wait_dscnt 0x0
	s_delay_alu instid0(VALU_DEP_1) | instskip(NEXT) | instid1(VALU_DEP_1)
	v_fmac_f64_e32 v[90:91], v[2:3], v[64:65]
	v_add_f64_e64 v[62:63], v[62:63], -v[90:91]
	scratch_store_b64 off, v[62:63], off
	s_cbranch_vccz .LBB27_232
; %bb.178:
	global_load_b32 v2, v60, s[2:3] offset:104
	s_wait_loadcnt 0x0
	v_cmp_ne_u32_e32 vcc_lo, 27, v2
	s_cbranch_vccz .LBB27_180
; %bb.179:
	v_lshlrev_b32_e32 v2, 3, v2
	s_wait_xcnt 0x0
	s_delay_alu instid0(VALU_DEP_1)
	v_mov_b32_e32 v60, v2
	scratch_load_b64 v[2:3], v60, off offset:-8
	s_wait_loadcnt 0x0
	scratch_store_b64 off, v[2:3], off offset:208
	scratch_store_b64 v60, v[0:1], off offset:-8
.LBB27_180:
	s_wait_xcnt 0x0
	v_mov_b32_e32 v0, 0
	global_load_b32 v1, v0, s[2:3] offset:100
	s_wait_loadcnt 0x0
	v_cmp_eq_u32_e32 vcc_lo, 26, v1
	s_cbranch_vccnz .LBB27_182
; %bb.181:
	v_lshlrev_b32_e32 v1, 3, v1
	scratch_load_b64 v[2:3], v1, off offset:-8
	scratch_load_b64 v[60:61], off, off offset:200
	s_wait_loadcnt 0x1
	scratch_store_b64 off, v[2:3], off offset:200
	s_wait_loadcnt 0x0
	scratch_store_b64 v1, v[60:61], off offset:-8
.LBB27_182:
	global_load_b32 v0, v0, s[2:3] offset:96
	s_wait_loadcnt 0x0
	v_cmp_eq_u32_e32 vcc_lo, 25, v0
	s_cbranch_vccnz .LBB27_184
; %bb.183:
	s_wait_xcnt 0x0
	v_lshlrev_b32_e32 v0, 3, v0
	s_delay_alu instid0(VALU_DEP_1)
	v_mov_b32_e32 v60, v0
	scratch_load_b64 v[0:1], v60, off offset:-8
	scratch_load_b64 v[2:3], off, off offset:192
	s_wait_loadcnt 0x1
	scratch_store_b64 off, v[0:1], off offset:192
	s_wait_loadcnt 0x0
	scratch_store_b64 v60, v[2:3], off offset:-8
.LBB27_184:
	s_wait_xcnt 0x0
	v_mov_b32_e32 v0, 0
	global_load_b32 v1, v0, s[2:3] offset:92
	s_wait_loadcnt 0x0
	v_cmp_eq_u32_e32 vcc_lo, 24, v1
	s_cbranch_vccnz .LBB27_186
; %bb.185:
	v_lshlrev_b32_e32 v1, 3, v1
	scratch_load_b64 v[2:3], v1, off offset:-8
	scratch_load_b64 v[60:61], off, off offset:184
	s_wait_loadcnt 0x1
	scratch_store_b64 off, v[2:3], off offset:184
	s_wait_loadcnt 0x0
	scratch_store_b64 v1, v[60:61], off offset:-8
.LBB27_186:
	global_load_b32 v0, v0, s[2:3] offset:88
	s_wait_loadcnt 0x0
	v_cmp_eq_u32_e32 vcc_lo, 23, v0
	s_cbranch_vccnz .LBB27_188
; %bb.187:
	s_wait_xcnt 0x0
	v_lshlrev_b32_e32 v0, 3, v0
	s_delay_alu instid0(VALU_DEP_1)
	v_mov_b32_e32 v60, v0
	scratch_load_b64 v[0:1], v60, off offset:-8
	scratch_load_b64 v[2:3], off, off offset:176
	s_wait_loadcnt 0x1
	scratch_store_b64 off, v[0:1], off offset:176
	s_wait_loadcnt 0x0
	scratch_store_b64 v60, v[2:3], off offset:-8
.LBB27_188:
	;; [unrolled: 31-line block ×12, first 2 shown]
	s_wait_xcnt 0x0
	v_mov_b32_e32 v0, 0
	global_load_b32 v1, v0, s[2:3] offset:4
	s_wait_loadcnt 0x0
	v_cmp_eq_u32_e32 vcc_lo, 2, v1
	s_cbranch_vccnz .LBB27_230
; %bb.229:
	v_lshlrev_b32_e32 v1, 3, v1
	scratch_load_b64 v[2:3], v1, off offset:-8
	scratch_load_b64 v[60:61], off, off offset:8
	s_wait_loadcnt 0x1
	scratch_store_b64 off, v[2:3], off offset:8
	s_wait_loadcnt 0x0
	scratch_store_b64 v1, v[60:61], off offset:-8
.LBB27_230:
	global_load_b32 v0, v0, s[2:3]
	scratch_load_b64 v[62:63], off, off
	s_wait_loadcnt 0x1
	v_cmp_eq_u32_e32 vcc_lo, 1, v0
	s_cbranch_vccnz .LBB27_232
; %bb.231:
	s_wait_xcnt 0x1
	v_lshlrev_b32_e32 v0, 3, v0
	s_delay_alu instid0(VALU_DEP_1)
	v_mov_b32_e32 v2, v0
	scratch_load_b64 v[0:1], v2, off offset:-8
	s_wait_loadcnt 0x0
	scratch_store_b64 off, v[0:1], off
	scratch_store_b64 v2, v[62:63], off offset:-8
	scratch_load_b64 v[62:63], off, off
.LBB27_232:
	v_lshl_add_u64 v[64:65], v[10:11], 3, s[4:5]
	v_lshl_add_u64 v[60:61], v[12:13], 3, s[4:5]
	s_wait_xcnt 0x1
	v_lshl_add_u64 v[0:1], v[14:15], 3, s[4:5]
	v_lshl_add_u64 v[2:3], v[16:17], 3, s[4:5]
	;; [unrolled: 1-line block ×18, first 2 shown]
	s_clause 0x7
	scratch_load_b128 v[50:53], off, off offset:8
	scratch_load_b128 v[54:57], off, off offset:24
	;; [unrolled: 1-line block ×8, first 2 shown]
	v_lshl_add_u64 v[66:67], v[8:9], 3, s[4:5]
	s_wait_loadcnt 0x8
	global_store_b64 v[4:5], v[62:63], off
	v_lshl_add_u64 v[8:9], v[18:19], 3, s[4:5]
	v_lshl_add_u64 v[18:19], v[28:29], 3, s[4:5]
	;; [unrolled: 1-line block ×5, first 2 shown]
	scratch_load_b128 v[92:95], off, off offset:136
	s_wait_loadcnt 0x8
	s_clause 0x1
	global_store_b64 v[6:7], v[50:51], off
	global_store_b64 v[66:67], v[52:53], off
	s_wait_loadcnt 0x7
	s_clause 0x1
	global_store_b64 v[64:65], v[54:55], off
	global_store_b64 v[60:61], v[56:57], off
	s_clause 0x4
	scratch_load_b128 v[4:7], off, off offset:152
	scratch_load_b128 v[50:53], off, off offset:168
	;; [unrolled: 1-line block ×4, first 2 shown]
	scratch_load_b64 v[58:59], off, off offset:216
	s_wait_loadcnt 0xb
	s_clause 0x1
	global_store_b64 v[0:1], v[68:69], off
	global_store_b64 v[2:3], v[70:71], off
	s_wait_loadcnt 0xa
	s_clause 0x1
	global_store_b64 v[8:9], v[72:73], off
	global_store_b64 v[10:11], v[74:75], off
	;; [unrolled: 4-line block ×11, first 2 shown]
	s_wait_loadcnt 0x0
	global_store_b64 v[48:49], v[58:59], off
	s_sendmsg sendmsg(MSG_DEALLOC_VGPRS)
	s_endpgm
	.section	.rodata,"a",@progbits
	.p2align	6, 0x0
	.amdhsa_kernel _ZN9rocsolver6v33100L18getri_kernel_smallILi28EdPdEEvT1_iilPiilS4_bb
		.amdhsa_group_segment_fixed_size 456
		.amdhsa_private_segment_fixed_size 240
		.amdhsa_kernarg_size 60
		.amdhsa_user_sgpr_count 2
		.amdhsa_user_sgpr_dispatch_ptr 0
		.amdhsa_user_sgpr_queue_ptr 0
		.amdhsa_user_sgpr_kernarg_segment_ptr 1
		.amdhsa_user_sgpr_dispatch_id 0
		.amdhsa_user_sgpr_kernarg_preload_length 0
		.amdhsa_user_sgpr_kernarg_preload_offset 0
		.amdhsa_user_sgpr_private_segment_size 0
		.amdhsa_wavefront_size32 1
		.amdhsa_uses_dynamic_stack 0
		.amdhsa_enable_private_segment 1
		.amdhsa_system_sgpr_workgroup_id_x 1
		.amdhsa_system_sgpr_workgroup_id_y 0
		.amdhsa_system_sgpr_workgroup_id_z 0
		.amdhsa_system_sgpr_workgroup_info 0
		.amdhsa_system_vgpr_workitem_id 0
		.amdhsa_next_free_vgpr 98
		.amdhsa_next_free_sgpr 19
		.amdhsa_named_barrier_count 0
		.amdhsa_reserve_vcc 1
		.amdhsa_float_round_mode_32 0
		.amdhsa_float_round_mode_16_64 0
		.amdhsa_float_denorm_mode_32 3
		.amdhsa_float_denorm_mode_16_64 3
		.amdhsa_fp16_overflow 0
		.amdhsa_memory_ordered 1
		.amdhsa_forward_progress 1
		.amdhsa_inst_pref_size 164
		.amdhsa_round_robin_scheduling 0
		.amdhsa_exception_fp_ieee_invalid_op 0
		.amdhsa_exception_fp_denorm_src 0
		.amdhsa_exception_fp_ieee_div_zero 0
		.amdhsa_exception_fp_ieee_overflow 0
		.amdhsa_exception_fp_ieee_underflow 0
		.amdhsa_exception_fp_ieee_inexact 0
		.amdhsa_exception_int_div_zero 0
	.end_amdhsa_kernel
	.section	.text._ZN9rocsolver6v33100L18getri_kernel_smallILi28EdPdEEvT1_iilPiilS4_bb,"axG",@progbits,_ZN9rocsolver6v33100L18getri_kernel_smallILi28EdPdEEvT1_iilPiilS4_bb,comdat
.Lfunc_end27:
	.size	_ZN9rocsolver6v33100L18getri_kernel_smallILi28EdPdEEvT1_iilPiilS4_bb, .Lfunc_end27-_ZN9rocsolver6v33100L18getri_kernel_smallILi28EdPdEEvT1_iilPiilS4_bb
                                        ; -- End function
	.set _ZN9rocsolver6v33100L18getri_kernel_smallILi28EdPdEEvT1_iilPiilS4_bb.num_vgpr, 98
	.set _ZN9rocsolver6v33100L18getri_kernel_smallILi28EdPdEEvT1_iilPiilS4_bb.num_agpr, 0
	.set _ZN9rocsolver6v33100L18getri_kernel_smallILi28EdPdEEvT1_iilPiilS4_bb.numbered_sgpr, 19
	.set _ZN9rocsolver6v33100L18getri_kernel_smallILi28EdPdEEvT1_iilPiilS4_bb.num_named_barrier, 0
	.set _ZN9rocsolver6v33100L18getri_kernel_smallILi28EdPdEEvT1_iilPiilS4_bb.private_seg_size, 240
	.set _ZN9rocsolver6v33100L18getri_kernel_smallILi28EdPdEEvT1_iilPiilS4_bb.uses_vcc, 1
	.set _ZN9rocsolver6v33100L18getri_kernel_smallILi28EdPdEEvT1_iilPiilS4_bb.uses_flat_scratch, 1
	.set _ZN9rocsolver6v33100L18getri_kernel_smallILi28EdPdEEvT1_iilPiilS4_bb.has_dyn_sized_stack, 0
	.set _ZN9rocsolver6v33100L18getri_kernel_smallILi28EdPdEEvT1_iilPiilS4_bb.has_recursion, 0
	.set _ZN9rocsolver6v33100L18getri_kernel_smallILi28EdPdEEvT1_iilPiilS4_bb.has_indirect_call, 0
	.section	.AMDGPU.csdata,"",@progbits
; Kernel info:
; codeLenInByte = 20908
; TotalNumSgprs: 21
; NumVgprs: 98
; ScratchSize: 240
; MemoryBound: 0
; FloatMode: 240
; IeeeMode: 1
; LDSByteSize: 456 bytes/workgroup (compile time only)
; SGPRBlocks: 0
; VGPRBlocks: 6
; NumSGPRsForWavesPerEU: 21
; NumVGPRsForWavesPerEU: 98
; NamedBarCnt: 0
; Occupancy: 9
; WaveLimiterHint : 1
; COMPUTE_PGM_RSRC2:SCRATCH_EN: 1
; COMPUTE_PGM_RSRC2:USER_SGPR: 2
; COMPUTE_PGM_RSRC2:TRAP_HANDLER: 0
; COMPUTE_PGM_RSRC2:TGID_X_EN: 1
; COMPUTE_PGM_RSRC2:TGID_Y_EN: 0
; COMPUTE_PGM_RSRC2:TGID_Z_EN: 0
; COMPUTE_PGM_RSRC2:TIDIG_COMP_CNT: 0
	.section	.text._ZN9rocsolver6v33100L18getri_kernel_smallILi29EdPdEEvT1_iilPiilS4_bb,"axG",@progbits,_ZN9rocsolver6v33100L18getri_kernel_smallILi29EdPdEEvT1_iilPiilS4_bb,comdat
	.globl	_ZN9rocsolver6v33100L18getri_kernel_smallILi29EdPdEEvT1_iilPiilS4_bb ; -- Begin function _ZN9rocsolver6v33100L18getri_kernel_smallILi29EdPdEEvT1_iilPiilS4_bb
	.p2align	8
	.type	_ZN9rocsolver6v33100L18getri_kernel_smallILi29EdPdEEvT1_iilPiilS4_bb,@function
_ZN9rocsolver6v33100L18getri_kernel_smallILi29EdPdEEvT1_iilPiilS4_bb: ; @_ZN9rocsolver6v33100L18getri_kernel_smallILi29EdPdEEvT1_iilPiilS4_bb
; %bb.0:
	s_mov_b32 s2, exec_lo
	v_cmpx_gt_u32_e32 29, v0
	s_cbranch_execz .LBB28_126
; %bb.1:
	s_clause 0x2
	s_load_b32 s2, s[0:1], 0x38
	s_load_b128 s[12:15], s[0:1], 0x10
	s_load_b128 s[4:7], s[0:1], 0x28
	s_getreg_b32 s9, hwreg(HW_REG_IB_STS2, 6, 4)
	s_wait_kmcnt 0x0
	s_bitcmp1_b32 s2, 8
	s_cselect_b32 s18, -1, 0
	s_bfe_u32 s3, ttmp6, 0x4000c
	s_and_b32 s8, ttmp6, 15
	s_add_co_i32 s3, s3, 1
	s_delay_alu instid0(SALU_CYCLE_1) | instskip(NEXT) | instid1(SALU_CYCLE_1)
	s_mul_i32 s3, ttmp9, s3
	s_add_co_i32 s8, s8, s3
	s_cmp_eq_u32 s9, 0
	s_cselect_b32 s16, ttmp9, s8
	s_bfe_u32 s2, s2, 0x10008
	s_ashr_i32 s17, s16, 31
	s_cmp_eq_u32 s2, 0
                                        ; implicit-def: $sgpr2_sgpr3
	s_cbranch_scc1 .LBB28_3
; %bb.2:
	s_load_b32 s2, s[0:1], 0x20
	s_mul_u64 s[4:5], s[4:5], s[16:17]
	s_delay_alu instid0(SALU_CYCLE_1) | instskip(NEXT) | instid1(SALU_CYCLE_1)
	s_lshl_b64 s[4:5], s[4:5], 2
	s_add_nc_u64 s[4:5], s[14:15], s[4:5]
	s_wait_kmcnt 0x0
	s_ashr_i32 s3, s2, 31
	s_delay_alu instid0(SALU_CYCLE_1) | instskip(NEXT) | instid1(SALU_CYCLE_1)
	s_lshl_b64 s[2:3], s[2:3], 2
	s_add_nc_u64 s[2:3], s[4:5], s[2:3]
.LBB28_3:
	s_clause 0x1
	s_load_b128 s[8:11], s[0:1], 0x0
	s_load_b32 s14, s[0:1], 0x38
	s_wait_xcnt 0x0
	s_mul_u64 s[0:1], s[12:13], s[16:17]
	v_lshlrev_b32_e32 v2, 3, v0
	s_lshl_b64 s[0:1], s[0:1], 3
	v_mov_b32_e32 v3, 0
	s_wait_kmcnt 0x0
	v_add3_u32 v8, s11, s11, v0
	s_ashr_i32 s5, s10, 31
	s_mov_b32 s4, s10
	s_add_nc_u64 s[0:1], s[8:9], s[0:1]
	s_lshl_b64 s[4:5], s[4:5], 3
	v_add_nc_u32_e32 v10, s11, v8
	s_add_nc_u64 s[4:5], s[0:1], s[4:5]
	s_ashr_i32 s1, s11, 31
	s_mov_b32 s0, s11
	s_bitcmp0_b32 s14, 0
	v_add_nc_u32_e32 v12, s11, v10
	v_add_nc_u64_e32 v[6:7], s[4:5], v[2:3]
	s_delay_alu instid0(VALU_DEP_2) | instskip(NEXT) | instid1(VALU_DEP_2)
	v_add_nc_u32_e32 v14, s11, v12
	v_lshl_add_u64 v[4:5], s[0:1], 3, v[6:7]
	s_mov_b32 s1, -1
	s_delay_alu instid0(VALU_DEP_2)
	v_add_nc_u32_e32 v16, s11, v14
	s_clause 0x5
	global_load_b64 v[56:57], v0, s[4:5] scale_offset
	global_load_b64 v[58:59], v[4:5], off
	global_load_b64 v[60:61], v8, s[4:5] scale_offset
	global_load_b64 v[62:63], v10, s[4:5] scale_offset
	;; [unrolled: 1-line block ×4, first 2 shown]
	v_add_nc_u32_e32 v18, s11, v16
	s_delay_alu instid0(VALU_DEP_1) | instskip(NEXT) | instid1(VALU_DEP_1)
	v_add_nc_u32_e32 v20, s11, v18
	v_add_nc_u32_e32 v22, s11, v20
	s_delay_alu instid0(VALU_DEP_1) | instskip(NEXT) | instid1(VALU_DEP_1)
	v_add_nc_u32_e32 v24, s11, v22
	v_add_nc_u32_e32 v26, s11, v24
	s_delay_alu instid0(VALU_DEP_1)
	v_add_nc_u32_e32 v28, s11, v26
	s_clause 0x3
	global_load_b64 v[68:69], v16, s[4:5] scale_offset
	global_load_b64 v[70:71], v18, s[4:5] scale_offset
	;; [unrolled: 1-line block ×4, first 2 shown]
	v_add_nc_u32_e32 v30, s11, v28
	s_delay_alu instid0(VALU_DEP_1) | instskip(NEXT) | instid1(VALU_DEP_1)
	v_add_nc_u32_e32 v32, s11, v30
	v_add_nc_u32_e32 v34, s11, v32
	s_delay_alu instid0(VALU_DEP_1)
	v_add_nc_u32_e32 v36, s11, v34
	s_clause 0x3
	global_load_b64 v[76:77], v24, s[4:5] scale_offset
	global_load_b64 v[78:79], v26, s[4:5] scale_offset
	;; [unrolled: 1-line block ×4, first 2 shown]
	v_add_nc_u32_e32 v38, s11, v36
	s_delay_alu instid0(VALU_DEP_1)
	v_add_nc_u32_e32 v40, s11, v38
	s_clause 0x3
	global_load_b64 v[84:85], v32, s[4:5] scale_offset
	global_load_b64 v[86:87], v34, s[4:5] scale_offset
	global_load_b64 v[88:89], v36, s[4:5] scale_offset
	global_load_b64 v[90:91], v38, s[4:5] scale_offset
	v_add_nc_u32_e32 v42, s11, v40
	s_delay_alu instid0(VALU_DEP_1) | instskip(NEXT) | instid1(VALU_DEP_1)
	v_add_nc_u32_e32 v44, s11, v42
	v_add_nc_u32_e32 v46, s11, v44
	s_delay_alu instid0(VALU_DEP_1) | instskip(NEXT) | instid1(VALU_DEP_1)
	v_add_nc_u32_e32 v48, s11, v46
	;; [unrolled: 3-line block ×3, first 2 shown]
	v_add_nc_u32_e32 v54, s11, v52
	s_wait_loadcnt 0x10
	scratch_store_b128 off, v[56:59], off
	s_wait_xcnt 0x0
	v_add_nc_u32_e32 v56, s11, v54
	s_wait_loadcnt 0xe
	scratch_store_b128 off, v[60:63], off offset:16
	s_wait_loadcnt 0xc
	scratch_store_b128 off, v[64:67], off offset:32
	s_clause 0x3
	global_load_b64 v[62:63], v40, s[4:5] scale_offset
	global_load_b64 v[64:65], v42, s[4:5] scale_offset
	;; [unrolled: 1-line block ×4, first 2 shown]
	s_wait_loadcnt 0xe
	scratch_store_b128 off, v[68:71], off offset:48
	s_wait_loadcnt 0xc
	scratch_store_b128 off, v[72:75], off offset:64
	v_add_nc_u32_e32 v58, s11, v56
	s_delay_alu instid0(VALU_DEP_1)
	v_add_nc_u32_e32 v60, s11, v58
	s_clause 0x3
	global_load_b64 v[66:67], v48, s[4:5] scale_offset
	global_load_b64 v[68:69], v50, s[4:5] scale_offset
	;; [unrolled: 1-line block ×4, first 2 shown]
	s_wait_loadcnt 0xe
	scratch_store_b128 off, v[76:79], off offset:80
	s_wait_loadcnt 0xc
	scratch_store_b128 off, v[80:83], off offset:96
	s_clause 0x2
	global_load_b64 v[74:75], v56, s[4:5] scale_offset
	global_load_b64 v[76:77], v58, s[4:5] scale_offset
	;; [unrolled: 1-line block ×3, first 2 shown]
	s_wait_loadcnt 0xd
	scratch_store_b128 off, v[84:87], off offset:112
	s_wait_loadcnt 0xb
	scratch_store_b128 off, v[88:91], off offset:128
	;; [unrolled: 2-line block ×7, first 2 shown]
	s_wait_loadcnt 0x0
	scratch_store_b64 off, v[78:79], off offset:224
	s_cbranch_scc1 .LBB28_124
; %bb.4:
	v_cmp_eq_u32_e64 s0, 0, v0
	s_wait_xcnt 0x0
	s_and_saveexec_b32 s1, s0
; %bb.5:
	v_mov_b32_e32 v1, 0
	ds_store_b32 v1, v1 offset:232
; %bb.6:
	s_or_b32 exec_lo, exec_lo, s1
	s_wait_storecnt_dscnt 0x0
	s_barrier_signal -1
	s_barrier_wait -1
	scratch_load_b64 v[62:63], v0, off scale_offset
	s_mov_b32 s8, exec_lo
	s_wait_loadcnt 0x0
	v_cmpx_eq_f64_e32 0, v[62:63]
	s_cbranch_execz .LBB28_10
; %bb.7:
	v_mov_b32_e32 v1, 0
	s_mov_b32 s9, 0
	ds_load_b32 v3, v1 offset:232
	s_wait_dscnt 0x0
	v_readfirstlane_b32 s1, v3
	v_add_nc_u32_e32 v3, 1, v0
	s_cmp_eq_u32 s1, 0
	s_delay_alu instid0(VALU_DEP_1) | instskip(SKIP_1) | instid1(SALU_CYCLE_1)
	v_cmp_gt_i32_e32 vcc_lo, s1, v3
	s_cselect_b32 s10, -1, 0
	s_or_b32 s10, s10, vcc_lo
	s_delay_alu instid0(SALU_CYCLE_1)
	s_and_b32 exec_lo, exec_lo, s10
	s_cbranch_execz .LBB28_10
; %bb.8:
	v_mov_b32_e32 v9, s1
.LBB28_9:                               ; =>This Inner Loop Header: Depth=1
	ds_cmpstore_rtn_b32 v9, v1, v3, v9 offset:232
	s_wait_dscnt 0x0
	v_cmp_ne_u32_e32 vcc_lo, 0, v9
	v_cmp_le_i32_e64 s1, v9, v3
	s_and_b32 s1, vcc_lo, s1
	s_delay_alu instid0(SALU_CYCLE_1) | instskip(NEXT) | instid1(SALU_CYCLE_1)
	s_and_b32 s1, exec_lo, s1
	s_or_b32 s9, s1, s9
	s_delay_alu instid0(SALU_CYCLE_1)
	s_and_not1_b32 exec_lo, exec_lo, s9
	s_cbranch_execnz .LBB28_9
.LBB28_10:
	s_or_b32 exec_lo, exec_lo, s8
	v_mov_b32_e32 v1, 0
	s_barrier_signal -1
	s_barrier_wait -1
	ds_load_b32 v3, v1 offset:232
	s_and_saveexec_b32 s1, s0
	s_cbranch_execz .LBB28_12
; %bb.11:
	s_lshl_b64 s[8:9], s[16:17], 2
	s_delay_alu instid0(SALU_CYCLE_1)
	s_add_nc_u64 s[8:9], s[6:7], s[8:9]
	s_wait_dscnt 0x0
	global_store_b32 v1, v3, s[8:9]
.LBB28_12:
	s_wait_xcnt 0x0
	s_or_b32 exec_lo, exec_lo, s1
	s_wait_dscnt 0x0
	v_cmp_ne_u32_e32 vcc_lo, 0, v3
	s_mov_b32 s1, 0
	s_cbranch_vccnz .LBB28_124
; %bb.13:
	v_lshl_add_u32 v3, v0, 3, 0
	v_add_nc_u32_e32 v1, 0xf0, v2
	scratch_load_b64 v[62:63], v3, off
	s_wait_loadcnt 0x0
	v_div_scale_f64 v[64:65], null, v[62:63], v[62:63], 1.0
	v_div_scale_f64 v[70:71], vcc_lo, 1.0, v[62:63], 1.0
	s_delay_alu instid0(VALU_DEP_2) | instskip(SKIP_1) | instid1(TRANS32_DEP_1)
	v_rcp_f64_e32 v[66:67], v[64:65]
	v_nop
	v_fma_f64 v[68:69], -v[64:65], v[66:67], 1.0
	s_delay_alu instid0(VALU_DEP_1) | instskip(NEXT) | instid1(VALU_DEP_1)
	v_fmac_f64_e32 v[66:67], v[66:67], v[68:69]
	v_fma_f64 v[68:69], -v[64:65], v[66:67], 1.0
	s_delay_alu instid0(VALU_DEP_1) | instskip(NEXT) | instid1(VALU_DEP_1)
	v_fmac_f64_e32 v[66:67], v[66:67], v[68:69]
	v_mul_f64_e32 v[68:69], v[70:71], v[66:67]
	s_delay_alu instid0(VALU_DEP_1) | instskip(NEXT) | instid1(VALU_DEP_1)
	v_fma_f64 v[64:65], -v[64:65], v[68:69], v[70:71]
	v_div_fmas_f64 v[64:65], v[64:65], v[66:67], v[68:69]
	s_delay_alu instid0(VALU_DEP_1)
	v_div_fixup_f64 v[62:63], v[64:65], v[62:63], 1.0
	scratch_store_b64 v3, v[62:63], off
	scratch_load_b64 v[64:65], off, off offset:8
	s_wait_xcnt 0x1
	v_xor_b32_e32 v63, 0x80000000, v63
	s_wait_loadcnt 0x0
	ds_store_2addr_b64 v2, v[62:63], v[64:65] offset1:30
	s_wait_storecnt_dscnt 0x0
	s_barrier_signal -1
	s_barrier_wait -1
	s_wait_xcnt 0x0
	s_and_saveexec_b32 s1, s0
	s_cbranch_execz .LBB28_15
; %bb.14:
	scratch_load_b64 v[62:63], v3, off
	ds_load_b64 v[64:65], v1
	s_wait_loadcnt_dscnt 0x0
	v_fma_f64 v[62:63], v[62:63], v[64:65], 0
	v_mov_b32_e32 v9, 0
	ds_load_b64 v[66:67], v9 offset:8
	s_wait_dscnt 0x0
	v_mul_f64_e32 v[62:63], v[62:63], v[66:67]
	scratch_store_b64 off, v[62:63], off offset:8
.LBB28_15:
	s_wait_xcnt 0x0
	s_or_b32 exec_lo, exec_lo, s1
	s_wait_storecnt 0x0
	s_barrier_signal -1
	s_barrier_wait -1
	scratch_load_b64 v[62:63], off, off offset:16
	s_mov_b32 s1, exec_lo
	s_wait_loadcnt 0x0
	ds_store_b64 v1, v[62:63]
	s_wait_dscnt 0x0
	s_barrier_signal -1
	s_barrier_wait -1
	v_cmpx_gt_u32_e32 2, v0
	s_cbranch_execz .LBB28_19
; %bb.16:
	scratch_load_b64 v[62:63], v3, off
	ds_load_b64 v[64:65], v1
	s_wait_loadcnt_dscnt 0x0
	v_fma_f64 v[62:63], v[62:63], v[64:65], 0
	s_and_saveexec_b32 s8, s0
	s_cbranch_execz .LBB28_18
; %bb.17:
	scratch_load_b64 v[64:65], off, off offset:8
	v_mov_b32_e32 v3, 0
	ds_load_b64 v[66:67], v3 offset:248
	s_wait_loadcnt_dscnt 0x0
	v_fmac_f64_e32 v[62:63], v[64:65], v[66:67]
.LBB28_18:
	s_or_b32 exec_lo, exec_lo, s8
	v_mov_b32_e32 v3, 0
	ds_load_b64 v[64:65], v3 offset:16
	s_wait_dscnt 0x0
	v_mul_f64_e32 v[62:63], v[62:63], v[64:65]
	scratch_store_b64 off, v[62:63], off offset:16
.LBB28_19:
	s_wait_xcnt 0x0
	s_or_b32 exec_lo, exec_lo, s1
	s_wait_storecnt 0x0
	s_barrier_signal -1
	s_barrier_wait -1
	scratch_load_b64 v[62:63], off, off offset:24
	v_add_nc_u32_e32 v3, -1, v0
	s_mov_b32 s0, exec_lo
	s_wait_loadcnt 0x0
	ds_store_b64 v1, v[62:63]
	s_wait_dscnt 0x0
	s_barrier_signal -1
	s_barrier_wait -1
	v_cmpx_gt_u32_e32 3, v0
	s_cbranch_execz .LBB28_23
; %bb.20:
	v_mov_b64_e32 v[62:63], 0
	v_dual_add_nc_u32 v9, -1, v0 :: v_dual_mov_b32 v13, v2
	v_add_nc_u32_e32 v11, 0xf0, v2
	s_mov_b32 s1, 0
.LBB28_21:                              ; =>This Inner Loop Header: Depth=1
	scratch_load_b64 v[64:65], v13, off
	ds_load_b64 v[66:67], v11
	v_dual_add_nc_u32 v9, 1, v9 :: v_dual_add_nc_u32 v11, 8, v11
	s_wait_xcnt 0x0
	v_add_nc_u32_e32 v13, 8, v13
	s_delay_alu instid0(VALU_DEP_2)
	v_cmp_lt_u32_e32 vcc_lo, 1, v9
	s_or_b32 s1, vcc_lo, s1
	s_wait_loadcnt_dscnt 0x0
	v_fmac_f64_e32 v[62:63], v[64:65], v[66:67]
	s_and_not1_b32 exec_lo, exec_lo, s1
	s_cbranch_execnz .LBB28_21
; %bb.22:
	s_or_b32 exec_lo, exec_lo, s1
	v_mov_b32_e32 v9, 0
	ds_load_b64 v[64:65], v9 offset:24
	s_wait_dscnt 0x0
	v_mul_f64_e32 v[62:63], v[62:63], v[64:65]
	scratch_store_b64 off, v[62:63], off offset:24
.LBB28_23:
	s_wait_xcnt 0x0
	s_or_b32 exec_lo, exec_lo, s0
	s_wait_storecnt 0x0
	s_barrier_signal -1
	s_barrier_wait -1
	scratch_load_b64 v[62:63], off, off offset:32
	s_mov_b32 s0, exec_lo
	s_wait_loadcnt 0x0
	ds_store_b64 v1, v[62:63]
	s_wait_dscnt 0x0
	s_barrier_signal -1
	s_barrier_wait -1
	v_cmpx_gt_u32_e32 4, v0
	s_cbranch_execz .LBB28_27
; %bb.24:
	v_mov_b64_e32 v[62:63], 0
	v_dual_add_nc_u32 v9, -1, v0 :: v_dual_mov_b32 v13, v2
	v_add_nc_u32_e32 v11, 0xf0, v2
	s_mov_b32 s1, 0
.LBB28_25:                              ; =>This Inner Loop Header: Depth=1
	scratch_load_b64 v[64:65], v13, off
	ds_load_b64 v[66:67], v11
	v_dual_add_nc_u32 v9, 1, v9 :: v_dual_add_nc_u32 v11, 8, v11
	s_wait_xcnt 0x0
	v_add_nc_u32_e32 v13, 8, v13
	s_delay_alu instid0(VALU_DEP_2)
	v_cmp_lt_u32_e32 vcc_lo, 2, v9
	s_or_b32 s1, vcc_lo, s1
	s_wait_loadcnt_dscnt 0x0
	v_fmac_f64_e32 v[62:63], v[64:65], v[66:67]
	s_and_not1_b32 exec_lo, exec_lo, s1
	s_cbranch_execnz .LBB28_25
; %bb.26:
	s_or_b32 exec_lo, exec_lo, s1
	v_mov_b32_e32 v9, 0
	ds_load_b64 v[64:65], v9 offset:32
	s_wait_dscnt 0x0
	v_mul_f64_e32 v[62:63], v[62:63], v[64:65]
	scratch_store_b64 off, v[62:63], off offset:32
.LBB28_27:
	s_wait_xcnt 0x0
	s_or_b32 exec_lo, exec_lo, s0
	s_wait_storecnt 0x0
	s_barrier_signal -1
	s_barrier_wait -1
	scratch_load_b64 v[62:63], off, off offset:40
	;; [unrolled: 40-line block ×20, first 2 shown]
	s_mov_b32 s0, exec_lo
	s_wait_loadcnt 0x0
	ds_store_b64 v1, v[62:63]
	s_wait_dscnt 0x0
	s_barrier_signal -1
	s_barrier_wait -1
	v_cmpx_gt_u32_e32 23, v0
	s_cbranch_execz .LBB28_103
; %bb.100:
	v_mov_b64_e32 v[62:63], 0
	v_dual_add_nc_u32 v9, -1, v0 :: v_dual_mov_b32 v13, v2
	v_add_nc_u32_e32 v11, 0xf0, v2
	s_mov_b32 s1, 0
.LBB28_101:                             ; =>This Inner Loop Header: Depth=1
	scratch_load_b64 v[64:65], v13, off
	ds_load_b64 v[66:67], v11
	v_dual_add_nc_u32 v9, 1, v9 :: v_dual_add_nc_u32 v11, 8, v11
	s_wait_xcnt 0x0
	v_add_nc_u32_e32 v13, 8, v13
	s_delay_alu instid0(VALU_DEP_2)
	v_cmp_lt_u32_e32 vcc_lo, 21, v9
	s_or_b32 s1, vcc_lo, s1
	s_wait_loadcnt_dscnt 0x0
	v_fmac_f64_e32 v[62:63], v[64:65], v[66:67]
	s_and_not1_b32 exec_lo, exec_lo, s1
	s_cbranch_execnz .LBB28_101
; %bb.102:
	s_or_b32 exec_lo, exec_lo, s1
	v_mov_b32_e32 v9, 0
	ds_load_b64 v[64:65], v9 offset:184
	s_wait_dscnt 0x0
	v_mul_f64_e32 v[62:63], v[62:63], v[64:65]
	scratch_store_b64 off, v[62:63], off offset:184
.LBB28_103:
	s_wait_xcnt 0x0
	s_or_b32 exec_lo, exec_lo, s0
	s_wait_storecnt 0x0
	s_barrier_signal -1
	s_barrier_wait -1
	scratch_load_b64 v[62:63], off, off offset:192
	s_mov_b32 s0, exec_lo
	s_wait_loadcnt 0x0
	ds_store_b64 v1, v[62:63]
	s_wait_dscnt 0x0
	s_barrier_signal -1
	s_barrier_wait -1
	v_cmpx_gt_u32_e32 24, v0
	s_cbranch_execz .LBB28_107
; %bb.104:
	v_mov_b64_e32 v[62:63], 0
	v_dual_add_nc_u32 v9, -1, v0 :: v_dual_mov_b32 v13, v2
	v_add_nc_u32_e32 v11, 0xf0, v2
	s_mov_b32 s1, 0
.LBB28_105:                             ; =>This Inner Loop Header: Depth=1
	scratch_load_b64 v[64:65], v13, off
	ds_load_b64 v[66:67], v11
	v_dual_add_nc_u32 v9, 1, v9 :: v_dual_add_nc_u32 v11, 8, v11
	s_wait_xcnt 0x0
	v_add_nc_u32_e32 v13, 8, v13
	s_delay_alu instid0(VALU_DEP_2)
	v_cmp_lt_u32_e32 vcc_lo, 22, v9
	s_or_b32 s1, vcc_lo, s1
	s_wait_loadcnt_dscnt 0x0
	v_fmac_f64_e32 v[62:63], v[64:65], v[66:67]
	s_and_not1_b32 exec_lo, exec_lo, s1
	s_cbranch_execnz .LBB28_105
; %bb.106:
	s_or_b32 exec_lo, exec_lo, s1
	v_mov_b32_e32 v9, 0
	ds_load_b64 v[64:65], v9 offset:192
	s_wait_dscnt 0x0
	v_mul_f64_e32 v[62:63], v[62:63], v[64:65]
	scratch_store_b64 off, v[62:63], off offset:192
.LBB28_107:
	s_wait_xcnt 0x0
	s_or_b32 exec_lo, exec_lo, s0
	s_wait_storecnt 0x0
	s_barrier_signal -1
	s_barrier_wait -1
	scratch_load_b64 v[62:63], off, off offset:200
	s_mov_b32 s0, exec_lo
	s_wait_loadcnt 0x0
	ds_store_b64 v1, v[62:63]
	s_wait_dscnt 0x0
	s_barrier_signal -1
	s_barrier_wait -1
	v_cmpx_gt_u32_e32 25, v0
	s_cbranch_execz .LBB28_111
; %bb.108:
	v_mov_b64_e32 v[62:63], 0
	v_dual_add_nc_u32 v9, -1, v0 :: v_dual_mov_b32 v13, v2
	v_add_nc_u32_e32 v11, 0xf0, v2
	s_mov_b32 s1, 0
.LBB28_109:                             ; =>This Inner Loop Header: Depth=1
	scratch_load_b64 v[64:65], v13, off
	ds_load_b64 v[66:67], v11
	v_dual_add_nc_u32 v9, 1, v9 :: v_dual_add_nc_u32 v11, 8, v11
	s_wait_xcnt 0x0
	v_add_nc_u32_e32 v13, 8, v13
	s_delay_alu instid0(VALU_DEP_2)
	v_cmp_lt_u32_e32 vcc_lo, 23, v9
	s_or_b32 s1, vcc_lo, s1
	s_wait_loadcnt_dscnt 0x0
	v_fmac_f64_e32 v[62:63], v[64:65], v[66:67]
	s_and_not1_b32 exec_lo, exec_lo, s1
	s_cbranch_execnz .LBB28_109
; %bb.110:
	s_or_b32 exec_lo, exec_lo, s1
	v_mov_b32_e32 v9, 0
	ds_load_b64 v[64:65], v9 offset:200
	s_wait_dscnt 0x0
	v_mul_f64_e32 v[62:63], v[62:63], v[64:65]
	scratch_store_b64 off, v[62:63], off offset:200
.LBB28_111:
	s_wait_xcnt 0x0
	s_or_b32 exec_lo, exec_lo, s0
	s_wait_storecnt 0x0
	s_barrier_signal -1
	s_barrier_wait -1
	scratch_load_b64 v[62:63], off, off offset:208
	s_mov_b32 s0, exec_lo
	s_wait_loadcnt 0x0
	ds_store_b64 v1, v[62:63]
	s_wait_dscnt 0x0
	s_barrier_signal -1
	s_barrier_wait -1
	v_cmpx_gt_u32_e32 26, v0
	s_cbranch_execz .LBB28_115
; %bb.112:
	v_mov_b64_e32 v[62:63], 0
	v_dual_add_nc_u32 v9, -1, v0 :: v_dual_mov_b32 v13, v2
	v_add_nc_u32_e32 v11, 0xf0, v2
	s_mov_b32 s1, 0
.LBB28_113:                             ; =>This Inner Loop Header: Depth=1
	scratch_load_b64 v[64:65], v13, off
	ds_load_b64 v[66:67], v11
	v_dual_add_nc_u32 v9, 1, v9 :: v_dual_add_nc_u32 v11, 8, v11
	s_wait_xcnt 0x0
	v_add_nc_u32_e32 v13, 8, v13
	s_delay_alu instid0(VALU_DEP_2)
	v_cmp_lt_u32_e32 vcc_lo, 24, v9
	s_or_b32 s1, vcc_lo, s1
	s_wait_loadcnt_dscnt 0x0
	v_fmac_f64_e32 v[62:63], v[64:65], v[66:67]
	s_and_not1_b32 exec_lo, exec_lo, s1
	s_cbranch_execnz .LBB28_113
; %bb.114:
	s_or_b32 exec_lo, exec_lo, s1
	v_mov_b32_e32 v9, 0
	ds_load_b64 v[64:65], v9 offset:208
	s_wait_dscnt 0x0
	v_mul_f64_e32 v[62:63], v[62:63], v[64:65]
	scratch_store_b64 off, v[62:63], off offset:208
.LBB28_115:
	s_wait_xcnt 0x0
	s_or_b32 exec_lo, exec_lo, s0
	s_wait_storecnt 0x0
	s_barrier_signal -1
	s_barrier_wait -1
	scratch_load_b64 v[62:63], off, off offset:216
	s_mov_b32 s0, exec_lo
	s_wait_loadcnt 0x0
	ds_store_b64 v1, v[62:63]
	s_wait_dscnt 0x0
	s_barrier_signal -1
	s_barrier_wait -1
	v_cmpx_gt_u32_e32 27, v0
	s_cbranch_execz .LBB28_119
; %bb.116:
	v_mov_b64_e32 v[62:63], 0
	v_dual_add_nc_u32 v9, -1, v0 :: v_dual_mov_b32 v13, v2
	v_add_nc_u32_e32 v11, 0xf0, v2
	s_mov_b32 s1, 0
.LBB28_117:                             ; =>This Inner Loop Header: Depth=1
	scratch_load_b64 v[64:65], v13, off
	ds_load_b64 v[66:67], v11
	v_dual_add_nc_u32 v9, 1, v9 :: v_dual_add_nc_u32 v11, 8, v11
	s_wait_xcnt 0x0
	v_add_nc_u32_e32 v13, 8, v13
	s_delay_alu instid0(VALU_DEP_2)
	v_cmp_lt_u32_e32 vcc_lo, 25, v9
	s_or_b32 s1, vcc_lo, s1
	s_wait_loadcnt_dscnt 0x0
	v_fmac_f64_e32 v[62:63], v[64:65], v[66:67]
	s_and_not1_b32 exec_lo, exec_lo, s1
	s_cbranch_execnz .LBB28_117
; %bb.118:
	s_or_b32 exec_lo, exec_lo, s1
	v_mov_b32_e32 v9, 0
	ds_load_b64 v[64:65], v9 offset:216
	s_wait_dscnt 0x0
	v_mul_f64_e32 v[62:63], v[62:63], v[64:65]
	scratch_store_b64 off, v[62:63], off offset:216
.LBB28_119:
	s_wait_xcnt 0x0
	s_or_b32 exec_lo, exec_lo, s0
	s_wait_storecnt 0x0
	s_barrier_signal -1
	s_barrier_wait -1
	scratch_load_b64 v[62:63], off, off offset:224
	s_mov_b32 s0, exec_lo
	s_wait_loadcnt 0x0
	ds_store_b64 v1, v[62:63]
	s_wait_dscnt 0x0
	s_barrier_signal -1
	s_barrier_wait -1
	v_cmpx_ne_u32_e32 28, v0
	s_cbranch_execz .LBB28_123
; %bb.120:
	v_mov_b64_e32 v[62:63], 0
	s_mov_b32 s1, 0
.LBB28_121:                             ; =>This Inner Loop Header: Depth=1
	scratch_load_b64 v[64:65], v2, off
	ds_load_b64 v[66:67], v1
	v_dual_add_nc_u32 v3, 1, v3 :: v_dual_add_nc_u32 v1, 8, v1
	s_wait_xcnt 0x0
	v_add_nc_u32_e32 v2, 8, v2
	s_delay_alu instid0(VALU_DEP_2)
	v_cmp_lt_u32_e32 vcc_lo, 26, v3
	s_or_b32 s1, vcc_lo, s1
	s_wait_loadcnt_dscnt 0x0
	v_fmac_f64_e32 v[62:63], v[64:65], v[66:67]
	s_and_not1_b32 exec_lo, exec_lo, s1
	s_cbranch_execnz .LBB28_121
; %bb.122:
	s_or_b32 exec_lo, exec_lo, s1
	v_mov_b32_e32 v1, 0
	ds_load_b64 v[2:3], v1 offset:224
	s_wait_dscnt 0x0
	v_mul_f64_e32 v[2:3], v[62:63], v[2:3]
	scratch_store_b64 off, v[2:3], off offset:224
.LBB28_123:
	s_wait_xcnt 0x0
	s_or_b32 exec_lo, exec_lo, s0
	s_mov_b32 s1, -1
	s_wait_storecnt 0x0
	s_barrier_signal -1
	s_barrier_wait -1
.LBB28_124:
	s_and_b32 vcc_lo, exec_lo, s1
	s_cbranch_vccz .LBB28_126
; %bb.125:
	v_mov_b32_e32 v1, 0
	s_lshl_b64 s[0:1], s[16:17], 2
	s_delay_alu instid0(SALU_CYCLE_1)
	s_add_nc_u64 s[0:1], s[6:7], s[0:1]
	global_load_b32 v1, v1, s[0:1]
	s_wait_loadcnt 0x0
	v_cmp_ne_u32_e32 vcc_lo, 0, v1
	s_cbranch_vccz .LBB28_127
.LBB28_126:
	s_sendmsg sendmsg(MSG_DEALLOC_VGPRS)
	s_endpgm
.LBB28_127:
	s_wait_xcnt 0x0
	v_lshl_add_u32 v1, v0, 3, 0xf0
	s_mov_b32 s0, exec_lo
	v_cmpx_eq_u32_e32 28, v0
	s_cbranch_execz .LBB28_129
; %bb.128:
	scratch_load_b64 v[2:3], off, off offset:216
	v_mov_b64_e32 v[62:63], 0
	scratch_store_b64 off, v[62:63], off offset:216
	s_wait_loadcnt 0x0
	ds_store_b64 v1, v[2:3]
.LBB28_129:
	s_wait_xcnt 0x0
	s_or_b32 exec_lo, exec_lo, s0
	s_wait_storecnt_dscnt 0x0
	s_barrier_signal -1
	s_barrier_wait -1
	scratch_load_b128 v[62:65], off, off offset:216
	v_mov_b32_e32 v2, 0
	s_mov_b32 s0, exec_lo
	ds_load_b64 v[66:67], v2 offset:464
	s_wait_loadcnt_dscnt 0x0
	v_fma_f64 v[64:65], v[64:65], v[66:67], 0
	s_delay_alu instid0(VALU_DEP_1)
	v_add_f64_e64 v[62:63], v[62:63], -v[64:65]
	scratch_store_b64 off, v[62:63], off offset:216
	s_wait_xcnt 0x0
	v_cmpx_lt_u32_e32 26, v0
	s_cbranch_execz .LBB28_131
; %bb.130:
	scratch_load_b64 v[62:63], off, off offset:208
	v_mov_b64_e32 v[64:65], 0
	scratch_store_b64 off, v[64:65], off offset:208
	s_wait_loadcnt 0x0
	ds_store_b64 v1, v[62:63]
.LBB28_131:
	s_wait_xcnt 0x0
	s_or_b32 exec_lo, exec_lo, s0
	s_wait_storecnt_dscnt 0x0
	s_barrier_signal -1
	s_barrier_wait -1
	s_clause 0x1
	scratch_load_b128 v[62:65], off, off offset:208
	scratch_load_b64 v[70:71], off, off offset:224
	ds_load_2addr_b64 v[66:69], v2 offset0:57 offset1:58
	s_mov_b32 s0, exec_lo
	s_wait_loadcnt_dscnt 0x100
	v_fma_f64 v[2:3], v[64:65], v[66:67], 0
	s_wait_loadcnt 0x0
	s_delay_alu instid0(VALU_DEP_1) | instskip(NEXT) | instid1(VALU_DEP_1)
	v_fmac_f64_e32 v[2:3], v[70:71], v[68:69]
	v_add_f64_e64 v[2:3], v[62:63], -v[2:3]
	scratch_store_b64 off, v[2:3], off offset:208
	s_wait_xcnt 0x0
	v_cmpx_lt_u32_e32 25, v0
	s_cbranch_execz .LBB28_133
; %bb.132:
	scratch_load_b64 v[2:3], off, off offset:200
	v_mov_b64_e32 v[62:63], 0
	scratch_store_b64 off, v[62:63], off offset:200
	s_wait_loadcnt 0x0
	ds_store_b64 v1, v[2:3]
.LBB28_133:
	s_wait_xcnt 0x0
	s_or_b32 exec_lo, exec_lo, s0
	s_wait_storecnt_dscnt 0x0
	s_barrier_signal -1
	s_barrier_wait -1
	s_clause 0x1
	scratch_load_b128 v[62:65], off, off offset:200
	scratch_load_b128 v[66:69], off, off offset:216
	v_mov_b32_e32 v2, 0
	ds_load_b128 v[70:73], v2 offset:448
	ds_load_b64 v[74:75], v2 offset:464
	s_mov_b32 s0, exec_lo
	s_wait_loadcnt_dscnt 0x101
	v_fma_f64 v[64:65], v[64:65], v[70:71], 0
	s_wait_loadcnt 0x0
	s_delay_alu instid0(VALU_DEP_1) | instskip(SKIP_1) | instid1(VALU_DEP_1)
	v_fmac_f64_e32 v[64:65], v[66:67], v[72:73]
	s_wait_dscnt 0x0
	v_fmac_f64_e32 v[64:65], v[68:69], v[74:75]
	s_delay_alu instid0(VALU_DEP_1)
	v_add_f64_e64 v[62:63], v[62:63], -v[64:65]
	scratch_store_b64 off, v[62:63], off offset:200
	s_wait_xcnt 0x0
	v_cmpx_lt_u32_e32 24, v0
	s_cbranch_execz .LBB28_135
; %bb.134:
	scratch_load_b64 v[62:63], off, off offset:192
	v_mov_b64_e32 v[64:65], 0
	scratch_store_b64 off, v[64:65], off offset:192
	s_wait_loadcnt 0x0
	ds_store_b64 v1, v[62:63]
.LBB28_135:
	s_wait_xcnt 0x0
	s_or_b32 exec_lo, exec_lo, s0
	s_wait_storecnt_dscnt 0x0
	s_barrier_signal -1
	s_barrier_wait -1
	s_clause 0x2
	scratch_load_b128 v[62:65], off, off offset:192
	scratch_load_b128 v[66:69], off, off offset:208
	scratch_load_b64 v[78:79], off, off offset:224
	ds_load_2addr_b64 v[70:73], v2 offset0:55 offset1:56
	ds_load_2addr_b64 v[74:77], v2 offset0:57 offset1:58
	s_mov_b32 s0, exec_lo
	s_wait_loadcnt_dscnt 0x201
	v_fma_f64 v[2:3], v[64:65], v[70:71], 0
	s_wait_loadcnt 0x1
	s_delay_alu instid0(VALU_DEP_1) | instskip(SKIP_1) | instid1(VALU_DEP_1)
	v_fmac_f64_e32 v[2:3], v[66:67], v[72:73]
	s_wait_dscnt 0x0
	v_fmac_f64_e32 v[2:3], v[68:69], v[74:75]
	s_wait_loadcnt 0x0
	s_delay_alu instid0(VALU_DEP_1) | instskip(NEXT) | instid1(VALU_DEP_1)
	v_fmac_f64_e32 v[2:3], v[78:79], v[76:77]
	v_add_f64_e64 v[2:3], v[62:63], -v[2:3]
	scratch_store_b64 off, v[2:3], off offset:192
	s_wait_xcnt 0x0
	v_cmpx_lt_u32_e32 23, v0
	s_cbranch_execz .LBB28_137
; %bb.136:
	scratch_load_b64 v[2:3], off, off offset:184
	v_mov_b64_e32 v[62:63], 0
	scratch_store_b64 off, v[62:63], off offset:184
	s_wait_loadcnt 0x0
	ds_store_b64 v1, v[2:3]
.LBB28_137:
	s_wait_xcnt 0x0
	s_or_b32 exec_lo, exec_lo, s0
	s_wait_storecnt_dscnt 0x0
	s_barrier_signal -1
	s_barrier_wait -1
	s_clause 0x2
	scratch_load_b128 v[62:65], off, off offset:184
	scratch_load_b128 v[66:69], off, off offset:200
	;; [unrolled: 1-line block ×3, first 2 shown]
	v_mov_b32_e32 v2, 0
	ds_load_b128 v[74:77], v2 offset:432
	ds_load_b128 v[78:81], v2 offset:448
	s_mov_b32 s0, exec_lo
	s_wait_loadcnt_dscnt 0x201
	v_fma_f64 v[64:65], v[64:65], v[74:75], 0
	s_wait_loadcnt 0x1
	s_delay_alu instid0(VALU_DEP_1) | instskip(SKIP_4) | instid1(VALU_DEP_1)
	v_fmac_f64_e32 v[64:65], v[66:67], v[76:77]
	ds_load_b64 v[66:67], v2 offset:464
	s_wait_dscnt 0x1
	v_fmac_f64_e32 v[64:65], v[68:69], v[78:79]
	s_wait_loadcnt 0x0
	v_fmac_f64_e32 v[64:65], v[70:71], v[80:81]
	s_wait_dscnt 0x0
	s_delay_alu instid0(VALU_DEP_1) | instskip(NEXT) | instid1(VALU_DEP_1)
	v_fmac_f64_e32 v[64:65], v[72:73], v[66:67]
	v_add_f64_e64 v[62:63], v[62:63], -v[64:65]
	scratch_store_b64 off, v[62:63], off offset:184
	s_wait_xcnt 0x0
	v_cmpx_lt_u32_e32 22, v0
	s_cbranch_execz .LBB28_139
; %bb.138:
	scratch_load_b64 v[62:63], off, off offset:176
	v_mov_b64_e32 v[64:65], 0
	scratch_store_b64 off, v[64:65], off offset:176
	s_wait_loadcnt 0x0
	ds_store_b64 v1, v[62:63]
.LBB28_139:
	s_wait_xcnt 0x0
	s_or_b32 exec_lo, exec_lo, s0
	s_wait_storecnt_dscnt 0x0
	s_barrier_signal -1
	s_barrier_wait -1
	s_clause 0x3
	scratch_load_b128 v[62:65], off, off offset:176
	scratch_load_b128 v[66:69], off, off offset:192
	;; [unrolled: 1-line block ×3, first 2 shown]
	scratch_load_b64 v[82:83], off, off offset:224
	ds_load_2addr_b64 v[74:77], v2 offset0:53 offset1:54
	ds_load_2addr_b64 v[78:81], v2 offset0:55 offset1:56
	s_mov_b32 s0, exec_lo
	s_wait_loadcnt_dscnt 0x301
	v_fma_f64 v[74:75], v[64:65], v[74:75], 0
	s_wait_loadcnt 0x2
	s_delay_alu instid0(VALU_DEP_1) | instskip(SKIP_4) | instid1(VALU_DEP_1)
	v_fmac_f64_e32 v[74:75], v[66:67], v[76:77]
	ds_load_2addr_b64 v[64:67], v2 offset0:57 offset1:58
	s_wait_dscnt 0x1
	v_fmac_f64_e32 v[74:75], v[68:69], v[78:79]
	s_wait_loadcnt 0x1
	v_fmac_f64_e32 v[74:75], v[70:71], v[80:81]
	s_wait_dscnt 0x0
	s_delay_alu instid0(VALU_DEP_1) | instskip(SKIP_1) | instid1(VALU_DEP_1)
	v_fmac_f64_e32 v[74:75], v[72:73], v[64:65]
	s_wait_loadcnt 0x0
	v_fmac_f64_e32 v[74:75], v[82:83], v[66:67]
	s_delay_alu instid0(VALU_DEP_1)
	v_add_f64_e64 v[2:3], v[62:63], -v[74:75]
	scratch_store_b64 off, v[2:3], off offset:176
	s_wait_xcnt 0x0
	v_cmpx_lt_u32_e32 21, v0
	s_cbranch_execz .LBB28_141
; %bb.140:
	scratch_load_b64 v[2:3], off, off offset:168
	v_mov_b64_e32 v[62:63], 0
	scratch_store_b64 off, v[62:63], off offset:168
	s_wait_loadcnt 0x0
	ds_store_b64 v1, v[2:3]
.LBB28_141:
	s_wait_xcnt 0x0
	s_or_b32 exec_lo, exec_lo, s0
	s_wait_storecnt_dscnt 0x0
	s_barrier_signal -1
	s_barrier_wait -1
	s_clause 0x3
	scratch_load_b128 v[62:65], off, off offset:168
	scratch_load_b128 v[66:69], off, off offset:184
	scratch_load_b128 v[70:73], off, off offset:200
	scratch_load_b128 v[74:77], off, off offset:216
	v_mov_b32_e32 v2, 0
	ds_load_b128 v[78:81], v2 offset:416
	ds_load_b128 v[82:85], v2 offset:432
	s_mov_b32 s0, exec_lo
	s_wait_loadcnt_dscnt 0x301
	v_fma_f64 v[78:79], v[64:65], v[78:79], 0
	s_wait_loadcnt 0x2
	s_delay_alu instid0(VALU_DEP_1) | instskip(SKIP_1) | instid1(VALU_DEP_1)
	v_fmac_f64_e32 v[78:79], v[66:67], v[80:81]
	s_wait_dscnt 0x0
	v_fmac_f64_e32 v[78:79], v[68:69], v[82:83]
	ds_load_b128 v[64:67], v2 offset:448
	ds_load_b64 v[68:69], v2 offset:464
	s_wait_loadcnt 0x1
	v_fmac_f64_e32 v[78:79], v[70:71], v[84:85]
	s_wait_dscnt 0x1
	s_delay_alu instid0(VALU_DEP_1) | instskip(SKIP_1) | instid1(VALU_DEP_1)
	v_fmac_f64_e32 v[78:79], v[72:73], v[64:65]
	s_wait_loadcnt 0x0
	v_fmac_f64_e32 v[78:79], v[74:75], v[66:67]
	s_wait_dscnt 0x0
	s_delay_alu instid0(VALU_DEP_1) | instskip(NEXT) | instid1(VALU_DEP_1)
	v_fmac_f64_e32 v[78:79], v[76:77], v[68:69]
	v_add_f64_e64 v[62:63], v[62:63], -v[78:79]
	scratch_store_b64 off, v[62:63], off offset:168
	s_wait_xcnt 0x0
	v_cmpx_lt_u32_e32 20, v0
	s_cbranch_execz .LBB28_143
; %bb.142:
	scratch_load_b64 v[62:63], off, off offset:160
	v_mov_b64_e32 v[64:65], 0
	scratch_store_b64 off, v[64:65], off offset:160
	s_wait_loadcnt 0x0
	ds_store_b64 v1, v[62:63]
.LBB28_143:
	s_wait_xcnt 0x0
	s_or_b32 exec_lo, exec_lo, s0
	s_wait_storecnt_dscnt 0x0
	s_barrier_signal -1
	s_barrier_wait -1
	s_clause 0x4
	scratch_load_b128 v[62:65], off, off offset:160
	scratch_load_b128 v[66:69], off, off offset:176
	;; [unrolled: 1-line block ×4, first 2 shown]
	scratch_load_b64 v[86:87], off, off offset:224
	ds_load_2addr_b64 v[78:81], v2 offset0:51 offset1:52
	ds_load_2addr_b64 v[82:85], v2 offset0:53 offset1:54
	s_mov_b32 s0, exec_lo
	s_wait_loadcnt_dscnt 0x401
	v_fma_f64 v[78:79], v[64:65], v[78:79], 0
	s_wait_loadcnt 0x3
	s_delay_alu instid0(VALU_DEP_1) | instskip(SKIP_1) | instid1(VALU_DEP_1)
	v_fmac_f64_e32 v[78:79], v[66:67], v[80:81]
	s_wait_dscnt 0x0
	v_fmac_f64_e32 v[78:79], v[68:69], v[82:83]
	s_wait_loadcnt 0x2
	s_delay_alu instid0(VALU_DEP_1)
	v_fmac_f64_e32 v[78:79], v[70:71], v[84:85]
	ds_load_2addr_b64 v[64:67], v2 offset0:55 offset1:56
	ds_load_2addr_b64 v[68:71], v2 offset0:57 offset1:58
	s_wait_dscnt 0x1
	v_fmac_f64_e32 v[78:79], v[72:73], v[64:65]
	s_wait_loadcnt 0x1
	s_delay_alu instid0(VALU_DEP_1) | instskip(SKIP_1) | instid1(VALU_DEP_1)
	v_fmac_f64_e32 v[78:79], v[74:75], v[66:67]
	s_wait_dscnt 0x0
	v_fmac_f64_e32 v[78:79], v[76:77], v[68:69]
	s_wait_loadcnt 0x0
	s_delay_alu instid0(VALU_DEP_1) | instskip(NEXT) | instid1(VALU_DEP_1)
	v_fmac_f64_e32 v[78:79], v[86:87], v[70:71]
	v_add_f64_e64 v[2:3], v[62:63], -v[78:79]
	scratch_store_b64 off, v[2:3], off offset:160
	s_wait_xcnt 0x0
	v_cmpx_lt_u32_e32 19, v0
	s_cbranch_execz .LBB28_145
; %bb.144:
	scratch_load_b64 v[2:3], off, off offset:152
	v_mov_b64_e32 v[62:63], 0
	scratch_store_b64 off, v[62:63], off offset:152
	s_wait_loadcnt 0x0
	ds_store_b64 v1, v[2:3]
.LBB28_145:
	s_wait_xcnt 0x0
	s_or_b32 exec_lo, exec_lo, s0
	s_wait_storecnt_dscnt 0x0
	s_barrier_signal -1
	s_barrier_wait -1
	s_clause 0x4
	scratch_load_b128 v[62:65], off, off offset:152
	scratch_load_b128 v[66:69], off, off offset:168
	;; [unrolled: 1-line block ×5, first 2 shown]
	v_mov_b32_e32 v2, 0
	ds_load_b128 v[82:85], v2 offset:400
	ds_load_b128 v[86:89], v2 offset:416
	s_mov_b32 s0, exec_lo
	s_wait_loadcnt_dscnt 0x401
	v_fma_f64 v[82:83], v[64:65], v[82:83], 0
	s_wait_loadcnt 0x3
	s_delay_alu instid0(VALU_DEP_1) | instskip(SKIP_1) | instid1(VALU_DEP_1)
	v_fmac_f64_e32 v[82:83], v[66:67], v[84:85]
	s_wait_dscnt 0x0
	v_fmac_f64_e32 v[82:83], v[68:69], v[86:87]
	s_wait_loadcnt 0x2
	s_delay_alu instid0(VALU_DEP_1)
	v_fmac_f64_e32 v[82:83], v[70:71], v[88:89]
	ds_load_b128 v[64:67], v2 offset:432
	ds_load_b128 v[68:71], v2 offset:448
	s_wait_dscnt 0x1
	v_fmac_f64_e32 v[82:83], v[72:73], v[64:65]
	ds_load_b64 v[64:65], v2 offset:464
	s_wait_loadcnt 0x1
	v_fmac_f64_e32 v[82:83], v[74:75], v[66:67]
	s_wait_dscnt 0x1
	s_delay_alu instid0(VALU_DEP_1) | instskip(SKIP_1) | instid1(VALU_DEP_1)
	v_fmac_f64_e32 v[82:83], v[76:77], v[68:69]
	s_wait_loadcnt 0x0
	v_fmac_f64_e32 v[82:83], v[78:79], v[70:71]
	s_wait_dscnt 0x0
	s_delay_alu instid0(VALU_DEP_1) | instskip(NEXT) | instid1(VALU_DEP_1)
	v_fmac_f64_e32 v[82:83], v[80:81], v[64:65]
	v_add_f64_e64 v[62:63], v[62:63], -v[82:83]
	scratch_store_b64 off, v[62:63], off offset:152
	s_wait_xcnt 0x0
	v_cmpx_lt_u32_e32 18, v0
	s_cbranch_execz .LBB28_147
; %bb.146:
	scratch_load_b64 v[62:63], off, off offset:144
	v_mov_b64_e32 v[64:65], 0
	scratch_store_b64 off, v[64:65], off offset:144
	s_wait_loadcnt 0x0
	ds_store_b64 v1, v[62:63]
.LBB28_147:
	s_wait_xcnt 0x0
	s_or_b32 exec_lo, exec_lo, s0
	s_wait_storecnt_dscnt 0x0
	s_barrier_signal -1
	s_barrier_wait -1
	s_clause 0x5
	scratch_load_b128 v[62:65], off, off offset:144
	scratch_load_b128 v[66:69], off, off offset:160
	;; [unrolled: 1-line block ×5, first 2 shown]
	scratch_load_b64 v[90:91], off, off offset:224
	ds_load_2addr_b64 v[82:85], v2 offset0:49 offset1:50
	ds_load_2addr_b64 v[86:89], v2 offset0:51 offset1:52
	s_mov_b32 s0, exec_lo
	s_wait_loadcnt_dscnt 0x501
	v_fma_f64 v[82:83], v[64:65], v[82:83], 0
	s_wait_loadcnt 0x4
	s_delay_alu instid0(VALU_DEP_1) | instskip(SKIP_1) | instid1(VALU_DEP_1)
	v_fmac_f64_e32 v[82:83], v[66:67], v[84:85]
	s_wait_dscnt 0x0
	v_fmac_f64_e32 v[82:83], v[68:69], v[86:87]
	s_wait_loadcnt 0x3
	s_delay_alu instid0(VALU_DEP_1)
	v_fmac_f64_e32 v[82:83], v[70:71], v[88:89]
	ds_load_2addr_b64 v[64:67], v2 offset0:53 offset1:54
	ds_load_2addr_b64 v[68:71], v2 offset0:55 offset1:56
	s_wait_dscnt 0x1
	v_fmac_f64_e32 v[82:83], v[72:73], v[64:65]
	s_wait_loadcnt 0x2
	s_delay_alu instid0(VALU_DEP_1) | instskip(SKIP_4) | instid1(VALU_DEP_1)
	v_fmac_f64_e32 v[82:83], v[74:75], v[66:67]
	ds_load_2addr_b64 v[64:67], v2 offset0:57 offset1:58
	s_wait_dscnt 0x1
	v_fmac_f64_e32 v[82:83], v[76:77], v[68:69]
	s_wait_loadcnt 0x1
	v_fmac_f64_e32 v[82:83], v[78:79], v[70:71]
	s_wait_dscnt 0x0
	s_delay_alu instid0(VALU_DEP_1) | instskip(SKIP_1) | instid1(VALU_DEP_1)
	v_fmac_f64_e32 v[82:83], v[80:81], v[64:65]
	s_wait_loadcnt 0x0
	v_fmac_f64_e32 v[82:83], v[90:91], v[66:67]
	s_delay_alu instid0(VALU_DEP_1)
	v_add_f64_e64 v[2:3], v[62:63], -v[82:83]
	scratch_store_b64 off, v[2:3], off offset:144
	s_wait_xcnt 0x0
	v_cmpx_lt_u32_e32 17, v0
	s_cbranch_execz .LBB28_149
; %bb.148:
	scratch_load_b64 v[2:3], off, off offset:136
	v_mov_b64_e32 v[62:63], 0
	scratch_store_b64 off, v[62:63], off offset:136
	s_wait_loadcnt 0x0
	ds_store_b64 v1, v[2:3]
.LBB28_149:
	s_wait_xcnt 0x0
	s_or_b32 exec_lo, exec_lo, s0
	s_wait_storecnt_dscnt 0x0
	s_barrier_signal -1
	s_barrier_wait -1
	s_clause 0x5
	scratch_load_b128 v[62:65], off, off offset:136
	scratch_load_b128 v[66:69], off, off offset:152
	;; [unrolled: 1-line block ×6, first 2 shown]
	v_mov_b32_e32 v2, 0
	ds_load_b128 v[86:89], v2 offset:384
	ds_load_b128 v[90:93], v2 offset:400
	s_mov_b32 s0, exec_lo
	s_wait_loadcnt_dscnt 0x501
	v_fma_f64 v[86:87], v[64:65], v[86:87], 0
	s_wait_loadcnt 0x4
	s_delay_alu instid0(VALU_DEP_1) | instskip(SKIP_1) | instid1(VALU_DEP_1)
	v_fmac_f64_e32 v[86:87], v[66:67], v[88:89]
	s_wait_dscnt 0x0
	v_fmac_f64_e32 v[86:87], v[68:69], v[90:91]
	s_wait_loadcnt 0x3
	s_delay_alu instid0(VALU_DEP_1)
	v_fmac_f64_e32 v[86:87], v[70:71], v[92:93]
	ds_load_b128 v[64:67], v2 offset:416
	ds_load_b128 v[68:71], v2 offset:432
	s_wait_dscnt 0x1
	v_fmac_f64_e32 v[86:87], v[72:73], v[64:65]
	s_wait_loadcnt 0x2
	s_delay_alu instid0(VALU_DEP_1) | instskip(SKIP_1) | instid1(VALU_DEP_1)
	v_fmac_f64_e32 v[86:87], v[74:75], v[66:67]
	s_wait_dscnt 0x0
	v_fmac_f64_e32 v[86:87], v[76:77], v[68:69]
	ds_load_b128 v[64:67], v2 offset:448
	ds_load_b64 v[68:69], v2 offset:464
	s_wait_loadcnt 0x1
	v_fmac_f64_e32 v[86:87], v[78:79], v[70:71]
	s_wait_dscnt 0x1
	s_delay_alu instid0(VALU_DEP_1) | instskip(SKIP_1) | instid1(VALU_DEP_1)
	v_fmac_f64_e32 v[86:87], v[80:81], v[64:65]
	s_wait_loadcnt 0x0
	v_fmac_f64_e32 v[86:87], v[82:83], v[66:67]
	s_wait_dscnt 0x0
	s_delay_alu instid0(VALU_DEP_1) | instskip(NEXT) | instid1(VALU_DEP_1)
	v_fmac_f64_e32 v[86:87], v[84:85], v[68:69]
	v_add_f64_e64 v[62:63], v[62:63], -v[86:87]
	scratch_store_b64 off, v[62:63], off offset:136
	s_wait_xcnt 0x0
	v_cmpx_lt_u32_e32 16, v0
	s_cbranch_execz .LBB28_151
; %bb.150:
	scratch_load_b64 v[62:63], off, off offset:128
	v_mov_b64_e32 v[64:65], 0
	scratch_store_b64 off, v[64:65], off offset:128
	s_wait_loadcnt 0x0
	ds_store_b64 v1, v[62:63]
.LBB28_151:
	s_wait_xcnt 0x0
	s_or_b32 exec_lo, exec_lo, s0
	s_wait_storecnt_dscnt 0x0
	s_barrier_signal -1
	s_barrier_wait -1
	s_clause 0x5
	scratch_load_b128 v[62:65], off, off offset:128
	scratch_load_b128 v[66:69], off, off offset:144
	;; [unrolled: 1-line block ×6, first 2 shown]
	ds_load_2addr_b64 v[86:89], v2 offset0:47 offset1:48
	ds_load_2addr_b64 v[90:93], v2 offset0:49 offset1:50
	s_mov_b32 s0, exec_lo
	s_wait_loadcnt_dscnt 0x501
	v_fma_f64 v[86:87], v[64:65], v[86:87], 0
	s_wait_loadcnt 0x4
	s_delay_alu instid0(VALU_DEP_1) | instskip(SKIP_4) | instid1(VALU_DEP_1)
	v_fmac_f64_e32 v[86:87], v[66:67], v[88:89]
	scratch_load_b64 v[88:89], off, off offset:224
	s_wait_dscnt 0x0
	v_fmac_f64_e32 v[86:87], v[68:69], v[90:91]
	s_wait_loadcnt 0x4
	v_fmac_f64_e32 v[86:87], v[70:71], v[92:93]
	ds_load_2addr_b64 v[64:67], v2 offset0:51 offset1:52
	ds_load_2addr_b64 v[68:71], v2 offset0:53 offset1:54
	s_wait_dscnt 0x1
	v_fmac_f64_e32 v[86:87], v[72:73], v[64:65]
	s_wait_loadcnt 0x3
	s_delay_alu instid0(VALU_DEP_1) | instskip(SKIP_1) | instid1(VALU_DEP_1)
	v_fmac_f64_e32 v[86:87], v[74:75], v[66:67]
	s_wait_dscnt 0x0
	v_fmac_f64_e32 v[86:87], v[76:77], v[68:69]
	s_wait_loadcnt 0x2
	s_delay_alu instid0(VALU_DEP_1)
	v_fmac_f64_e32 v[86:87], v[78:79], v[70:71]
	ds_load_2addr_b64 v[64:67], v2 offset0:55 offset1:56
	ds_load_2addr_b64 v[68:71], v2 offset0:57 offset1:58
	s_wait_dscnt 0x1
	v_fmac_f64_e32 v[86:87], v[80:81], v[64:65]
	s_wait_loadcnt 0x1
	s_delay_alu instid0(VALU_DEP_1) | instskip(SKIP_1) | instid1(VALU_DEP_1)
	v_fmac_f64_e32 v[86:87], v[82:83], v[66:67]
	s_wait_dscnt 0x0
	v_fmac_f64_e32 v[86:87], v[84:85], v[68:69]
	s_wait_loadcnt 0x0
	s_delay_alu instid0(VALU_DEP_1) | instskip(NEXT) | instid1(VALU_DEP_1)
	v_fmac_f64_e32 v[86:87], v[88:89], v[70:71]
	v_add_f64_e64 v[2:3], v[62:63], -v[86:87]
	scratch_store_b64 off, v[2:3], off offset:128
	s_wait_xcnt 0x0
	v_cmpx_lt_u32_e32 15, v0
	s_cbranch_execz .LBB28_153
; %bb.152:
	scratch_load_b64 v[2:3], off, off offset:120
	v_mov_b64_e32 v[62:63], 0
	scratch_store_b64 off, v[62:63], off offset:120
	s_wait_loadcnt 0x0
	ds_store_b64 v1, v[2:3]
.LBB28_153:
	s_wait_xcnt 0x0
	s_or_b32 exec_lo, exec_lo, s0
	s_wait_storecnt_dscnt 0x0
	s_barrier_signal -1
	s_barrier_wait -1
	s_clause 0x5
	scratch_load_b128 v[62:65], off, off offset:120
	scratch_load_b128 v[66:69], off, off offset:136
	;; [unrolled: 1-line block ×6, first 2 shown]
	v_mov_b32_e32 v2, 0
	ds_load_b128 v[86:89], v2 offset:368
	ds_load_b128 v[90:93], v2 offset:384
	s_mov_b32 s0, exec_lo
	s_wait_loadcnt_dscnt 0x501
	v_fma_f64 v[94:95], v[64:65], v[86:87], 0
	s_wait_loadcnt 0x4
	s_delay_alu instid0(VALU_DEP_1) | instskip(SKIP_4) | instid1(VALU_DEP_1)
	v_fmac_f64_e32 v[94:95], v[66:67], v[88:89]
	scratch_load_b128 v[64:67], off, off offset:216
	s_wait_dscnt 0x0
	v_fmac_f64_e32 v[94:95], v[68:69], v[90:91]
	s_wait_loadcnt 0x4
	v_fmac_f64_e32 v[94:95], v[70:71], v[92:93]
	ds_load_b128 v[68:71], v2 offset:400
	ds_load_b128 v[86:89], v2 offset:416
	s_wait_dscnt 0x1
	v_fmac_f64_e32 v[94:95], v[72:73], v[68:69]
	s_wait_loadcnt 0x3
	s_delay_alu instid0(VALU_DEP_1)
	v_fmac_f64_e32 v[94:95], v[74:75], v[70:71]
	ds_load_b128 v[68:71], v2 offset:432
	ds_load_b128 v[72:75], v2 offset:448
	s_wait_dscnt 0x2
	v_fmac_f64_e32 v[94:95], v[76:77], v[86:87]
	s_wait_loadcnt 0x2
	s_delay_alu instid0(VALU_DEP_1) | instskip(SKIP_1) | instid1(VALU_DEP_1)
	v_fmac_f64_e32 v[94:95], v[78:79], v[88:89]
	s_wait_dscnt 0x1
	v_fmac_f64_e32 v[94:95], v[80:81], v[68:69]
	s_wait_loadcnt 0x1
	s_delay_alu instid0(VALU_DEP_1) | instskip(SKIP_1) | instid1(VALU_DEP_1)
	v_fmac_f64_e32 v[94:95], v[82:83], v[70:71]
	s_wait_dscnt 0x0
	v_fmac_f64_e32 v[94:95], v[84:85], v[72:73]
	s_wait_loadcnt 0x0
	s_delay_alu instid0(VALU_DEP_1) | instskip(SKIP_3) | instid1(VALU_DEP_1)
	v_fmac_f64_e32 v[94:95], v[64:65], v[74:75]
	ds_load_b64 v[64:65], v2 offset:464
	s_wait_dscnt 0x0
	v_fmac_f64_e32 v[94:95], v[66:67], v[64:65]
	v_add_f64_e64 v[62:63], v[62:63], -v[94:95]
	scratch_store_b64 off, v[62:63], off offset:120
	s_wait_xcnt 0x0
	v_cmpx_lt_u32_e32 14, v0
	s_cbranch_execz .LBB28_155
; %bb.154:
	scratch_load_b64 v[62:63], off, off offset:112
	v_mov_b64_e32 v[64:65], 0
	scratch_store_b64 off, v[64:65], off offset:112
	s_wait_loadcnt 0x0
	ds_store_b64 v1, v[62:63]
.LBB28_155:
	s_wait_xcnt 0x0
	s_or_b32 exec_lo, exec_lo, s0
	s_wait_storecnt_dscnt 0x0
	s_barrier_signal -1
	s_barrier_wait -1
	s_clause 0x5
	scratch_load_b128 v[62:65], off, off offset:112
	scratch_load_b128 v[66:69], off, off offset:128
	;; [unrolled: 1-line block ×6, first 2 shown]
	ds_load_2addr_b64 v[86:89], v2 offset0:45 offset1:46
	ds_load_2addr_b64 v[90:93], v2 offset0:47 offset1:48
	s_mov_b32 s0, exec_lo
	s_wait_loadcnt_dscnt 0x501
	v_fma_f64 v[94:95], v[64:65], v[86:87], 0
	s_wait_loadcnt 0x4
	s_delay_alu instid0(VALU_DEP_1)
	v_fmac_f64_e32 v[94:95], v[66:67], v[88:89]
	scratch_load_b128 v[64:67], off, off offset:208
	s_wait_dscnt 0x0
	v_fmac_f64_e32 v[94:95], v[68:69], v[90:91]
	scratch_load_b64 v[90:91], off, off offset:224
	s_wait_loadcnt 0x5
	v_fmac_f64_e32 v[94:95], v[70:71], v[92:93]
	ds_load_2addr_b64 v[68:71], v2 offset0:49 offset1:50
	ds_load_2addr_b64 v[86:89], v2 offset0:51 offset1:52
	s_wait_dscnt 0x1
	v_fmac_f64_e32 v[94:95], v[72:73], v[68:69]
	s_wait_loadcnt 0x4
	s_delay_alu instid0(VALU_DEP_1)
	v_fmac_f64_e32 v[94:95], v[74:75], v[70:71]
	ds_load_2addr_b64 v[68:71], v2 offset0:53 offset1:54
	ds_load_2addr_b64 v[72:75], v2 offset0:55 offset1:56
	s_wait_dscnt 0x2
	v_fmac_f64_e32 v[94:95], v[76:77], v[86:87]
	s_wait_loadcnt 0x3
	s_delay_alu instid0(VALU_DEP_1) | instskip(SKIP_1) | instid1(VALU_DEP_1)
	v_fmac_f64_e32 v[94:95], v[78:79], v[88:89]
	s_wait_dscnt 0x1
	v_fmac_f64_e32 v[94:95], v[80:81], v[68:69]
	s_wait_loadcnt 0x2
	s_delay_alu instid0(VALU_DEP_1) | instskip(SKIP_4) | instid1(VALU_DEP_1)
	v_fmac_f64_e32 v[94:95], v[82:83], v[70:71]
	ds_load_2addr_b64 v[68:71], v2 offset0:57 offset1:58
	s_wait_dscnt 0x1
	v_fmac_f64_e32 v[94:95], v[84:85], v[72:73]
	s_wait_loadcnt 0x1
	v_fmac_f64_e32 v[94:95], v[64:65], v[74:75]
	s_wait_dscnt 0x0
	s_delay_alu instid0(VALU_DEP_1) | instskip(SKIP_1) | instid1(VALU_DEP_1)
	v_fmac_f64_e32 v[94:95], v[66:67], v[68:69]
	s_wait_loadcnt 0x0
	v_fmac_f64_e32 v[94:95], v[90:91], v[70:71]
	s_delay_alu instid0(VALU_DEP_1)
	v_add_f64_e64 v[2:3], v[62:63], -v[94:95]
	scratch_store_b64 off, v[2:3], off offset:112
	s_wait_xcnt 0x0
	v_cmpx_lt_u32_e32 13, v0
	s_cbranch_execz .LBB28_157
; %bb.156:
	scratch_load_b64 v[2:3], off, off offset:104
	v_mov_b64_e32 v[62:63], 0
	scratch_store_b64 off, v[62:63], off offset:104
	s_wait_loadcnt 0x0
	ds_store_b64 v1, v[2:3]
.LBB28_157:
	s_wait_xcnt 0x0
	s_or_b32 exec_lo, exec_lo, s0
	s_wait_storecnt_dscnt 0x0
	s_barrier_signal -1
	s_barrier_wait -1
	s_clause 0x5
	scratch_load_b128 v[62:65], off, off offset:104
	scratch_load_b128 v[66:69], off, off offset:120
	scratch_load_b128 v[70:73], off, off offset:136
	scratch_load_b128 v[74:77], off, off offset:152
	scratch_load_b128 v[78:81], off, off offset:168
	scratch_load_b128 v[82:85], off, off offset:184
	v_mov_b32_e32 v2, 0
	ds_load_b128 v[86:89], v2 offset:352
	ds_load_b128 v[90:93], v2 offset:368
	s_mov_b32 s0, exec_lo
	s_wait_loadcnt_dscnt 0x501
	v_fma_f64 v[94:95], v[64:65], v[86:87], 0
	s_wait_loadcnt 0x4
	s_delay_alu instid0(VALU_DEP_1) | instskip(SKIP_4) | instid1(VALU_DEP_1)
	v_fmac_f64_e32 v[94:95], v[66:67], v[88:89]
	scratch_load_b128 v[64:67], off, off offset:200
	s_wait_dscnt 0x0
	v_fmac_f64_e32 v[94:95], v[68:69], v[90:91]
	s_wait_loadcnt 0x4
	v_fmac_f64_e32 v[94:95], v[70:71], v[92:93]
	scratch_load_b128 v[68:71], off, off offset:216
	ds_load_b128 v[86:89], v2 offset:384
	ds_load_b128 v[90:93], v2 offset:400
	s_wait_dscnt 0x1
	v_fmac_f64_e32 v[94:95], v[72:73], v[86:87]
	s_wait_loadcnt 0x4
	s_delay_alu instid0(VALU_DEP_1) | instskip(SKIP_1) | instid1(VALU_DEP_1)
	v_fmac_f64_e32 v[94:95], v[74:75], v[88:89]
	s_wait_dscnt 0x0
	v_fmac_f64_e32 v[94:95], v[76:77], v[90:91]
	s_wait_loadcnt 0x3
	s_delay_alu instid0(VALU_DEP_1)
	v_fmac_f64_e32 v[94:95], v[78:79], v[92:93]
	ds_load_b128 v[72:75], v2 offset:416
	ds_load_b128 v[76:79], v2 offset:432
	s_wait_dscnt 0x1
	v_fmac_f64_e32 v[94:95], v[80:81], v[72:73]
	s_wait_loadcnt 0x2
	s_delay_alu instid0(VALU_DEP_1) | instskip(SKIP_1) | instid1(VALU_DEP_1)
	v_fmac_f64_e32 v[94:95], v[82:83], v[74:75]
	s_wait_dscnt 0x0
	v_fmac_f64_e32 v[94:95], v[84:85], v[76:77]
	s_wait_loadcnt 0x1
	s_delay_alu instid0(VALU_DEP_1)
	v_fmac_f64_e32 v[94:95], v[64:65], v[78:79]
	ds_load_b128 v[72:75], v2 offset:448
	ds_load_b64 v[64:65], v2 offset:464
	s_wait_dscnt 0x1
	v_fmac_f64_e32 v[94:95], v[66:67], v[72:73]
	s_wait_loadcnt 0x0
	s_delay_alu instid0(VALU_DEP_1) | instskip(SKIP_1) | instid1(VALU_DEP_1)
	v_fmac_f64_e32 v[94:95], v[68:69], v[74:75]
	s_wait_dscnt 0x0
	v_fmac_f64_e32 v[94:95], v[70:71], v[64:65]
	s_delay_alu instid0(VALU_DEP_1)
	v_add_f64_e64 v[62:63], v[62:63], -v[94:95]
	scratch_store_b64 off, v[62:63], off offset:104
	s_wait_xcnt 0x0
	v_cmpx_lt_u32_e32 12, v0
	s_cbranch_execz .LBB28_159
; %bb.158:
	scratch_load_b64 v[62:63], off, off offset:96
	v_mov_b64_e32 v[64:65], 0
	scratch_store_b64 off, v[64:65], off offset:96
	s_wait_loadcnt 0x0
	ds_store_b64 v1, v[62:63]
.LBB28_159:
	s_wait_xcnt 0x0
	s_or_b32 exec_lo, exec_lo, s0
	s_wait_storecnt_dscnt 0x0
	s_barrier_signal -1
	s_barrier_wait -1
	s_clause 0x5
	scratch_load_b128 v[62:65], off, off offset:96
	scratch_load_b128 v[66:69], off, off offset:112
	;; [unrolled: 1-line block ×6, first 2 shown]
	ds_load_2addr_b64 v[86:89], v2 offset0:43 offset1:44
	ds_load_2addr_b64 v[90:93], v2 offset0:45 offset1:46
	s_mov_b32 s0, exec_lo
	s_wait_loadcnt_dscnt 0x501
	v_fma_f64 v[94:95], v[64:65], v[86:87], 0
	s_wait_loadcnt 0x4
	s_delay_alu instid0(VALU_DEP_1) | instskip(SKIP_4) | instid1(VALU_DEP_1)
	v_fmac_f64_e32 v[94:95], v[66:67], v[88:89]
	scratch_load_b128 v[64:67], off, off offset:192
	s_wait_dscnt 0x0
	v_fmac_f64_e32 v[94:95], v[68:69], v[90:91]
	s_wait_loadcnt 0x4
	v_fmac_f64_e32 v[94:95], v[70:71], v[92:93]
	scratch_load_b128 v[68:71], off, off offset:208
	ds_load_2addr_b64 v[86:89], v2 offset0:47 offset1:48
	ds_load_2addr_b64 v[90:93], v2 offset0:49 offset1:50
	s_wait_dscnt 0x1
	v_fmac_f64_e32 v[94:95], v[72:73], v[86:87]
	scratch_load_b64 v[86:87], off, off offset:224
	s_wait_loadcnt 0x5
	v_fmac_f64_e32 v[94:95], v[74:75], v[88:89]
	s_wait_dscnt 0x0
	s_delay_alu instid0(VALU_DEP_1) | instskip(SKIP_1) | instid1(VALU_DEP_1)
	v_fmac_f64_e32 v[94:95], v[76:77], v[90:91]
	s_wait_loadcnt 0x4
	v_fmac_f64_e32 v[94:95], v[78:79], v[92:93]
	ds_load_2addr_b64 v[72:75], v2 offset0:51 offset1:52
	ds_load_2addr_b64 v[76:79], v2 offset0:53 offset1:54
	s_wait_dscnt 0x1
	v_fmac_f64_e32 v[94:95], v[80:81], v[72:73]
	s_wait_loadcnt 0x3
	s_delay_alu instid0(VALU_DEP_1) | instskip(SKIP_1) | instid1(VALU_DEP_1)
	v_fmac_f64_e32 v[94:95], v[82:83], v[74:75]
	s_wait_dscnt 0x0
	v_fmac_f64_e32 v[94:95], v[84:85], v[76:77]
	s_wait_loadcnt 0x2
	s_delay_alu instid0(VALU_DEP_1)
	v_fmac_f64_e32 v[94:95], v[64:65], v[78:79]
	ds_load_2addr_b64 v[72:75], v2 offset0:55 offset1:56
	ds_load_2addr_b64 v[76:79], v2 offset0:57 offset1:58
	s_wait_dscnt 0x1
	v_fmac_f64_e32 v[94:95], v[66:67], v[72:73]
	s_wait_loadcnt 0x1
	s_delay_alu instid0(VALU_DEP_1) | instskip(SKIP_1) | instid1(VALU_DEP_1)
	v_fmac_f64_e32 v[94:95], v[68:69], v[74:75]
	s_wait_dscnt 0x0
	v_fmac_f64_e32 v[94:95], v[70:71], v[76:77]
	s_wait_loadcnt 0x0
	s_delay_alu instid0(VALU_DEP_1) | instskip(NEXT) | instid1(VALU_DEP_1)
	v_fmac_f64_e32 v[94:95], v[86:87], v[78:79]
	v_add_f64_e64 v[2:3], v[62:63], -v[94:95]
	scratch_store_b64 off, v[2:3], off offset:96
	s_wait_xcnt 0x0
	v_cmpx_lt_u32_e32 11, v0
	s_cbranch_execz .LBB28_161
; %bb.160:
	scratch_load_b64 v[2:3], off, off offset:88
	v_mov_b64_e32 v[62:63], 0
	scratch_store_b64 off, v[62:63], off offset:88
	s_wait_loadcnt 0x0
	ds_store_b64 v1, v[2:3]
.LBB28_161:
	s_wait_xcnt 0x0
	s_or_b32 exec_lo, exec_lo, s0
	s_wait_storecnt_dscnt 0x0
	s_barrier_signal -1
	s_barrier_wait -1
	s_clause 0x5
	scratch_load_b128 v[62:65], off, off offset:88
	scratch_load_b128 v[66:69], off, off offset:104
	;; [unrolled: 1-line block ×6, first 2 shown]
	v_mov_b32_e32 v2, 0
	ds_load_b128 v[86:89], v2 offset:336
	ds_load_b128 v[90:93], v2 offset:352
	s_mov_b32 s0, exec_lo
	s_wait_loadcnt_dscnt 0x501
	v_fma_f64 v[94:95], v[64:65], v[86:87], 0
	s_wait_loadcnt 0x4
	s_delay_alu instid0(VALU_DEP_1) | instskip(SKIP_4) | instid1(VALU_DEP_1)
	v_fmac_f64_e32 v[94:95], v[66:67], v[88:89]
	scratch_load_b128 v[64:67], off, off offset:184
	s_wait_dscnt 0x0
	v_fmac_f64_e32 v[94:95], v[68:69], v[90:91]
	s_wait_loadcnt 0x4
	v_fmac_f64_e32 v[94:95], v[70:71], v[92:93]
	scratch_load_b128 v[68:71], off, off offset:200
	ds_load_b128 v[86:89], v2 offset:368
	ds_load_b128 v[90:93], v2 offset:384
	s_wait_dscnt 0x1
	v_fmac_f64_e32 v[94:95], v[72:73], v[86:87]
	s_wait_loadcnt 0x4
	s_delay_alu instid0(VALU_DEP_1) | instskip(SKIP_4) | instid1(VALU_DEP_1)
	v_fmac_f64_e32 v[94:95], v[74:75], v[88:89]
	scratch_load_b128 v[72:75], off, off offset:216
	s_wait_dscnt 0x0
	v_fmac_f64_e32 v[94:95], v[76:77], v[90:91]
	s_wait_loadcnt 0x4
	v_fmac_f64_e32 v[94:95], v[78:79], v[92:93]
	ds_load_b128 v[76:79], v2 offset:400
	ds_load_b128 v[86:89], v2 offset:416
	s_wait_dscnt 0x1
	v_fmac_f64_e32 v[94:95], v[80:81], v[76:77]
	s_wait_loadcnt 0x3
	s_delay_alu instid0(VALU_DEP_1)
	v_fmac_f64_e32 v[94:95], v[82:83], v[78:79]
	ds_load_b128 v[76:79], v2 offset:432
	ds_load_b128 v[80:83], v2 offset:448
	s_wait_dscnt 0x2
	v_fmac_f64_e32 v[94:95], v[84:85], v[86:87]
	s_wait_loadcnt 0x2
	s_delay_alu instid0(VALU_DEP_1) | instskip(SKIP_4) | instid1(VALU_DEP_1)
	v_fmac_f64_e32 v[94:95], v[64:65], v[88:89]
	ds_load_b64 v[64:65], v2 offset:464
	s_wait_dscnt 0x2
	v_fmac_f64_e32 v[94:95], v[66:67], v[76:77]
	s_wait_loadcnt 0x1
	v_fmac_f64_e32 v[94:95], v[68:69], v[78:79]
	s_wait_dscnt 0x1
	s_delay_alu instid0(VALU_DEP_1) | instskip(SKIP_1) | instid1(VALU_DEP_1)
	v_fmac_f64_e32 v[94:95], v[70:71], v[80:81]
	s_wait_loadcnt 0x0
	v_fmac_f64_e32 v[94:95], v[72:73], v[82:83]
	s_wait_dscnt 0x0
	s_delay_alu instid0(VALU_DEP_1) | instskip(NEXT) | instid1(VALU_DEP_1)
	v_fmac_f64_e32 v[94:95], v[74:75], v[64:65]
	v_add_f64_e64 v[62:63], v[62:63], -v[94:95]
	scratch_store_b64 off, v[62:63], off offset:88
	s_wait_xcnt 0x0
	v_cmpx_lt_u32_e32 10, v0
	s_cbranch_execz .LBB28_163
; %bb.162:
	scratch_load_b64 v[62:63], off, off offset:80
	v_mov_b64_e32 v[64:65], 0
	scratch_store_b64 off, v[64:65], off offset:80
	s_wait_loadcnt 0x0
	ds_store_b64 v1, v[62:63]
.LBB28_163:
	s_wait_xcnt 0x0
	s_or_b32 exec_lo, exec_lo, s0
	s_wait_storecnt_dscnt 0x0
	s_barrier_signal -1
	s_barrier_wait -1
	s_clause 0x5
	scratch_load_b128 v[62:65], off, off offset:80
	scratch_load_b128 v[66:69], off, off offset:96
	;; [unrolled: 1-line block ×6, first 2 shown]
	ds_load_2addr_b64 v[86:89], v2 offset0:41 offset1:42
	ds_load_2addr_b64 v[90:93], v2 offset0:43 offset1:44
	s_mov_b32 s0, exec_lo
	s_wait_loadcnt_dscnt 0x501
	v_fma_f64 v[94:95], v[64:65], v[86:87], 0
	s_wait_loadcnt 0x4
	s_delay_alu instid0(VALU_DEP_1) | instskip(SKIP_4) | instid1(VALU_DEP_1)
	v_fmac_f64_e32 v[94:95], v[66:67], v[88:89]
	scratch_load_b128 v[64:67], off, off offset:176
	s_wait_dscnt 0x0
	v_fmac_f64_e32 v[94:95], v[68:69], v[90:91]
	s_wait_loadcnt 0x4
	v_fmac_f64_e32 v[94:95], v[70:71], v[92:93]
	scratch_load_b128 v[68:71], off, off offset:192
	ds_load_2addr_b64 v[86:89], v2 offset0:45 offset1:46
	ds_load_2addr_b64 v[90:93], v2 offset0:47 offset1:48
	s_wait_dscnt 0x1
	v_fmac_f64_e32 v[94:95], v[72:73], v[86:87]
	s_wait_loadcnt 0x4
	s_delay_alu instid0(VALU_DEP_1)
	v_fmac_f64_e32 v[94:95], v[74:75], v[88:89]
	scratch_load_b128 v[72:75], off, off offset:208
	s_wait_dscnt 0x0
	v_fmac_f64_e32 v[94:95], v[76:77], v[90:91]
	scratch_load_b64 v[90:91], off, off offset:224
	s_wait_loadcnt 0x5
	v_fmac_f64_e32 v[94:95], v[78:79], v[92:93]
	ds_load_2addr_b64 v[76:79], v2 offset0:49 offset1:50
	ds_load_2addr_b64 v[86:89], v2 offset0:51 offset1:52
	s_wait_dscnt 0x1
	v_fmac_f64_e32 v[94:95], v[80:81], v[76:77]
	s_wait_loadcnt 0x4
	s_delay_alu instid0(VALU_DEP_1)
	v_fmac_f64_e32 v[94:95], v[82:83], v[78:79]
	ds_load_2addr_b64 v[76:79], v2 offset0:53 offset1:54
	ds_load_2addr_b64 v[80:83], v2 offset0:55 offset1:56
	s_wait_dscnt 0x2
	v_fmac_f64_e32 v[94:95], v[84:85], v[86:87]
	s_wait_loadcnt 0x3
	s_delay_alu instid0(VALU_DEP_1) | instskip(SKIP_1) | instid1(VALU_DEP_1)
	v_fmac_f64_e32 v[94:95], v[64:65], v[88:89]
	s_wait_dscnt 0x1
	v_fmac_f64_e32 v[94:95], v[66:67], v[76:77]
	ds_load_2addr_b64 v[64:67], v2 offset0:57 offset1:58
	s_wait_loadcnt 0x2
	v_fmac_f64_e32 v[94:95], v[68:69], v[78:79]
	s_wait_dscnt 0x1
	s_delay_alu instid0(VALU_DEP_1) | instskip(SKIP_1) | instid1(VALU_DEP_1)
	v_fmac_f64_e32 v[94:95], v[70:71], v[80:81]
	s_wait_loadcnt 0x1
	v_fmac_f64_e32 v[94:95], v[72:73], v[82:83]
	s_wait_dscnt 0x0
	s_delay_alu instid0(VALU_DEP_1) | instskip(SKIP_1) | instid1(VALU_DEP_1)
	v_fmac_f64_e32 v[94:95], v[74:75], v[64:65]
	s_wait_loadcnt 0x0
	v_fmac_f64_e32 v[94:95], v[90:91], v[66:67]
	s_delay_alu instid0(VALU_DEP_1)
	v_add_f64_e64 v[2:3], v[62:63], -v[94:95]
	scratch_store_b64 off, v[2:3], off offset:80
	s_wait_xcnt 0x0
	v_cmpx_lt_u32_e32 9, v0
	s_cbranch_execz .LBB28_165
; %bb.164:
	scratch_load_b64 v[2:3], off, off offset:72
	v_mov_b64_e32 v[62:63], 0
	scratch_store_b64 off, v[62:63], off offset:72
	s_wait_loadcnt 0x0
	ds_store_b64 v1, v[2:3]
.LBB28_165:
	s_wait_xcnt 0x0
	s_or_b32 exec_lo, exec_lo, s0
	s_wait_storecnt_dscnt 0x0
	s_barrier_signal -1
	s_barrier_wait -1
	s_clause 0x5
	scratch_load_b128 v[62:65], off, off offset:72
	scratch_load_b128 v[66:69], off, off offset:88
	;; [unrolled: 1-line block ×6, first 2 shown]
	v_mov_b32_e32 v2, 0
	ds_load_b128 v[86:89], v2 offset:320
	ds_load_b128 v[90:93], v2 offset:336
	s_mov_b32 s0, exec_lo
	s_wait_loadcnt_dscnt 0x501
	v_fma_f64 v[94:95], v[64:65], v[86:87], 0
	s_wait_loadcnt 0x4
	s_delay_alu instid0(VALU_DEP_1) | instskip(SKIP_4) | instid1(VALU_DEP_1)
	v_fmac_f64_e32 v[94:95], v[66:67], v[88:89]
	scratch_load_b128 v[64:67], off, off offset:168
	s_wait_dscnt 0x0
	v_fmac_f64_e32 v[94:95], v[68:69], v[90:91]
	s_wait_loadcnt 0x4
	v_fmac_f64_e32 v[94:95], v[70:71], v[92:93]
	scratch_load_b128 v[68:71], off, off offset:184
	ds_load_b128 v[86:89], v2 offset:352
	ds_load_b128 v[90:93], v2 offset:368
	s_wait_dscnt 0x1
	v_fmac_f64_e32 v[94:95], v[72:73], v[86:87]
	s_wait_loadcnt 0x4
	s_delay_alu instid0(VALU_DEP_1) | instskip(SKIP_4) | instid1(VALU_DEP_1)
	v_fmac_f64_e32 v[94:95], v[74:75], v[88:89]
	scratch_load_b128 v[72:75], off, off offset:200
	s_wait_dscnt 0x0
	v_fmac_f64_e32 v[94:95], v[76:77], v[90:91]
	s_wait_loadcnt 0x4
	v_fmac_f64_e32 v[94:95], v[78:79], v[92:93]
	scratch_load_b128 v[76:79], off, off offset:216
	ds_load_b128 v[86:89], v2 offset:384
	ds_load_b128 v[90:93], v2 offset:400
	s_wait_dscnt 0x1
	v_fmac_f64_e32 v[94:95], v[80:81], v[86:87]
	s_wait_loadcnt 0x4
	s_delay_alu instid0(VALU_DEP_1) | instskip(SKIP_1) | instid1(VALU_DEP_1)
	v_fmac_f64_e32 v[94:95], v[82:83], v[88:89]
	s_wait_dscnt 0x0
	v_fmac_f64_e32 v[94:95], v[84:85], v[90:91]
	ds_load_b128 v[80:83], v2 offset:416
	ds_load_b128 v[84:87], v2 offset:432
	s_wait_loadcnt 0x3
	v_fmac_f64_e32 v[94:95], v[64:65], v[92:93]
	s_wait_dscnt 0x1
	s_delay_alu instid0(VALU_DEP_1) | instskip(SKIP_1) | instid1(VALU_DEP_1)
	v_fmac_f64_e32 v[94:95], v[66:67], v[80:81]
	s_wait_loadcnt 0x2
	v_fmac_f64_e32 v[94:95], v[68:69], v[82:83]
	ds_load_b128 v[64:67], v2 offset:448
	ds_load_b64 v[68:69], v2 offset:464
	s_wait_dscnt 0x2
	v_fmac_f64_e32 v[94:95], v[70:71], v[84:85]
	s_wait_loadcnt 0x1
	s_delay_alu instid0(VALU_DEP_1) | instskip(SKIP_1) | instid1(VALU_DEP_1)
	v_fmac_f64_e32 v[94:95], v[72:73], v[86:87]
	s_wait_dscnt 0x1
	v_fmac_f64_e32 v[94:95], v[74:75], v[64:65]
	s_wait_loadcnt 0x0
	s_delay_alu instid0(VALU_DEP_1) | instskip(SKIP_1) | instid1(VALU_DEP_1)
	v_fmac_f64_e32 v[94:95], v[76:77], v[66:67]
	s_wait_dscnt 0x0
	v_fmac_f64_e32 v[94:95], v[78:79], v[68:69]
	s_delay_alu instid0(VALU_DEP_1)
	v_add_f64_e64 v[62:63], v[62:63], -v[94:95]
	scratch_store_b64 off, v[62:63], off offset:72
	s_wait_xcnt 0x0
	v_cmpx_lt_u32_e32 8, v0
	s_cbranch_execz .LBB28_167
; %bb.166:
	scratch_load_b64 v[62:63], off, off offset:64
	v_mov_b64_e32 v[64:65], 0
	scratch_store_b64 off, v[64:65], off offset:64
	s_wait_loadcnt 0x0
	ds_store_b64 v1, v[62:63]
.LBB28_167:
	s_wait_xcnt 0x0
	s_or_b32 exec_lo, exec_lo, s0
	s_wait_storecnt_dscnt 0x0
	s_barrier_signal -1
	s_barrier_wait -1
	s_clause 0x5
	scratch_load_b128 v[62:65], off, off offset:64
	scratch_load_b128 v[66:69], off, off offset:80
	;; [unrolled: 1-line block ×6, first 2 shown]
	ds_load_2addr_b64 v[86:89], v2 offset0:39 offset1:40
	ds_load_2addr_b64 v[90:93], v2 offset0:41 offset1:42
	s_mov_b32 s0, exec_lo
	s_wait_loadcnt_dscnt 0x501
	v_fma_f64 v[94:95], v[64:65], v[86:87], 0
	s_wait_loadcnt 0x4
	s_delay_alu instid0(VALU_DEP_1) | instskip(SKIP_4) | instid1(VALU_DEP_1)
	v_fmac_f64_e32 v[94:95], v[66:67], v[88:89]
	scratch_load_b128 v[64:67], off, off offset:160
	s_wait_dscnt 0x0
	v_fmac_f64_e32 v[94:95], v[68:69], v[90:91]
	s_wait_loadcnt 0x4
	v_fmac_f64_e32 v[94:95], v[70:71], v[92:93]
	scratch_load_b128 v[68:71], off, off offset:176
	ds_load_2addr_b64 v[86:89], v2 offset0:43 offset1:44
	ds_load_2addr_b64 v[90:93], v2 offset0:45 offset1:46
	s_wait_dscnt 0x1
	v_fmac_f64_e32 v[94:95], v[72:73], v[86:87]
	s_wait_loadcnt 0x4
	s_delay_alu instid0(VALU_DEP_1) | instskip(SKIP_4) | instid1(VALU_DEP_1)
	v_fmac_f64_e32 v[94:95], v[74:75], v[88:89]
	scratch_load_b128 v[72:75], off, off offset:192
	s_wait_dscnt 0x0
	v_fmac_f64_e32 v[94:95], v[76:77], v[90:91]
	s_wait_loadcnt 0x4
	v_fmac_f64_e32 v[94:95], v[78:79], v[92:93]
	scratch_load_b128 v[76:79], off, off offset:208
	ds_load_2addr_b64 v[86:89], v2 offset0:47 offset1:48
	ds_load_2addr_b64 v[90:93], v2 offset0:49 offset1:50
	s_wait_dscnt 0x1
	v_fmac_f64_e32 v[94:95], v[80:81], v[86:87]
	s_wait_loadcnt 0x4
	s_delay_alu instid0(VALU_DEP_1)
	v_fmac_f64_e32 v[94:95], v[82:83], v[88:89]
	scratch_load_b64 v[88:89], off, off offset:224
	s_wait_dscnt 0x0
	v_fmac_f64_e32 v[94:95], v[84:85], v[90:91]
	ds_load_2addr_b64 v[80:83], v2 offset0:51 offset1:52
	ds_load_2addr_b64 v[84:87], v2 offset0:53 offset1:54
	s_wait_loadcnt 0x4
	v_fmac_f64_e32 v[94:95], v[64:65], v[92:93]
	s_wait_dscnt 0x1
	s_delay_alu instid0(VALU_DEP_1) | instskip(SKIP_1) | instid1(VALU_DEP_1)
	v_fmac_f64_e32 v[94:95], v[66:67], v[80:81]
	s_wait_loadcnt 0x3
	v_fmac_f64_e32 v[94:95], v[68:69], v[82:83]
	s_wait_dscnt 0x0
	s_delay_alu instid0(VALU_DEP_1)
	v_fmac_f64_e32 v[94:95], v[70:71], v[84:85]
	ds_load_2addr_b64 v[64:67], v2 offset0:55 offset1:56
	ds_load_2addr_b64 v[68:71], v2 offset0:57 offset1:58
	s_wait_loadcnt 0x2
	v_fmac_f64_e32 v[94:95], v[72:73], v[86:87]
	s_wait_dscnt 0x1
	s_delay_alu instid0(VALU_DEP_1) | instskip(SKIP_1) | instid1(VALU_DEP_1)
	v_fmac_f64_e32 v[94:95], v[74:75], v[64:65]
	s_wait_loadcnt 0x1
	v_fmac_f64_e32 v[94:95], v[76:77], v[66:67]
	s_wait_dscnt 0x0
	s_delay_alu instid0(VALU_DEP_1) | instskip(SKIP_1) | instid1(VALU_DEP_1)
	v_fmac_f64_e32 v[94:95], v[78:79], v[68:69]
	s_wait_loadcnt 0x0
	v_fmac_f64_e32 v[94:95], v[88:89], v[70:71]
	s_delay_alu instid0(VALU_DEP_1)
	v_add_f64_e64 v[2:3], v[62:63], -v[94:95]
	scratch_store_b64 off, v[2:3], off offset:64
	s_wait_xcnt 0x0
	v_cmpx_lt_u32_e32 7, v0
	s_cbranch_execz .LBB28_169
; %bb.168:
	scratch_load_b64 v[2:3], off, off offset:56
	v_mov_b64_e32 v[62:63], 0
	scratch_store_b64 off, v[62:63], off offset:56
	s_wait_loadcnt 0x0
	ds_store_b64 v1, v[2:3]
.LBB28_169:
	s_wait_xcnt 0x0
	s_or_b32 exec_lo, exec_lo, s0
	s_wait_storecnt_dscnt 0x0
	s_barrier_signal -1
	s_barrier_wait -1
	s_clause 0x5
	scratch_load_b128 v[62:65], off, off offset:56
	scratch_load_b128 v[66:69], off, off offset:72
	;; [unrolled: 1-line block ×6, first 2 shown]
	v_mov_b32_e32 v2, 0
	ds_load_b128 v[86:89], v2 offset:304
	ds_load_b128 v[90:93], v2 offset:320
	s_mov_b32 s0, exec_lo
	s_wait_loadcnt_dscnt 0x501
	v_fma_f64 v[94:95], v[64:65], v[86:87], 0
	s_wait_loadcnt 0x4
	s_delay_alu instid0(VALU_DEP_1) | instskip(SKIP_4) | instid1(VALU_DEP_1)
	v_fmac_f64_e32 v[94:95], v[66:67], v[88:89]
	scratch_load_b128 v[64:67], off, off offset:152
	s_wait_dscnt 0x0
	v_fmac_f64_e32 v[94:95], v[68:69], v[90:91]
	s_wait_loadcnt 0x4
	v_fmac_f64_e32 v[94:95], v[70:71], v[92:93]
	scratch_load_b128 v[68:71], off, off offset:168
	ds_load_b128 v[86:89], v2 offset:336
	ds_load_b128 v[90:93], v2 offset:352
	s_wait_dscnt 0x1
	v_fmac_f64_e32 v[94:95], v[72:73], v[86:87]
	s_wait_loadcnt 0x4
	s_delay_alu instid0(VALU_DEP_1) | instskip(SKIP_4) | instid1(VALU_DEP_1)
	v_fmac_f64_e32 v[94:95], v[74:75], v[88:89]
	scratch_load_b128 v[72:75], off, off offset:184
	s_wait_dscnt 0x0
	v_fmac_f64_e32 v[94:95], v[76:77], v[90:91]
	s_wait_loadcnt 0x4
	v_fmac_f64_e32 v[94:95], v[78:79], v[92:93]
	scratch_load_b128 v[76:79], off, off offset:200
	ds_load_b128 v[86:89], v2 offset:368
	ds_load_b128 v[90:93], v2 offset:384
	s_wait_dscnt 0x1
	v_fmac_f64_e32 v[94:95], v[80:81], v[86:87]
	s_wait_loadcnt 0x4
	s_delay_alu instid0(VALU_DEP_1)
	v_fmac_f64_e32 v[94:95], v[82:83], v[88:89]
	scratch_load_b128 v[80:83], off, off offset:216
	s_wait_dscnt 0x0
	v_fmac_f64_e32 v[94:95], v[84:85], v[90:91]
	ds_load_b128 v[84:87], v2 offset:400
	ds_load_b128 v[88:91], v2 offset:416
	s_wait_loadcnt 0x4
	v_fmac_f64_e32 v[94:95], v[64:65], v[92:93]
	s_wait_dscnt 0x1
	s_delay_alu instid0(VALU_DEP_1) | instskip(SKIP_1) | instid1(VALU_DEP_1)
	v_fmac_f64_e32 v[94:95], v[66:67], v[84:85]
	s_wait_loadcnt 0x3
	v_fmac_f64_e32 v[94:95], v[68:69], v[86:87]
	s_wait_dscnt 0x0
	s_delay_alu instid0(VALU_DEP_1)
	v_fmac_f64_e32 v[94:95], v[70:71], v[88:89]
	ds_load_b128 v[64:67], v2 offset:432
	ds_load_b128 v[68:71], v2 offset:448
	s_wait_loadcnt 0x2
	v_fmac_f64_e32 v[94:95], v[72:73], v[90:91]
	s_wait_dscnt 0x1
	s_delay_alu instid0(VALU_DEP_1) | instskip(SKIP_4) | instid1(VALU_DEP_1)
	v_fmac_f64_e32 v[94:95], v[74:75], v[64:65]
	ds_load_b64 v[64:65], v2 offset:464
	s_wait_loadcnt 0x1
	v_fmac_f64_e32 v[94:95], v[76:77], v[66:67]
	s_wait_dscnt 0x1
	v_fmac_f64_e32 v[94:95], v[78:79], v[68:69]
	s_wait_loadcnt 0x0
	s_delay_alu instid0(VALU_DEP_1) | instskip(SKIP_1) | instid1(VALU_DEP_1)
	v_fmac_f64_e32 v[94:95], v[80:81], v[70:71]
	s_wait_dscnt 0x0
	v_fmac_f64_e32 v[94:95], v[82:83], v[64:65]
	s_delay_alu instid0(VALU_DEP_1)
	v_add_f64_e64 v[62:63], v[62:63], -v[94:95]
	scratch_store_b64 off, v[62:63], off offset:56
	s_wait_xcnt 0x0
	v_cmpx_lt_u32_e32 6, v0
	s_cbranch_execz .LBB28_171
; %bb.170:
	scratch_load_b64 v[62:63], off, off offset:48
	v_mov_b64_e32 v[64:65], 0
	scratch_store_b64 off, v[64:65], off offset:48
	s_wait_loadcnt 0x0
	ds_store_b64 v1, v[62:63]
.LBB28_171:
	s_wait_xcnt 0x0
	s_or_b32 exec_lo, exec_lo, s0
	s_wait_storecnt_dscnt 0x0
	s_barrier_signal -1
	s_barrier_wait -1
	s_clause 0x5
	scratch_load_b128 v[62:65], off, off offset:48
	scratch_load_b128 v[66:69], off, off offset:64
	scratch_load_b128 v[70:73], off, off offset:80
	scratch_load_b128 v[74:77], off, off offset:96
	scratch_load_b128 v[78:81], off, off offset:112
	scratch_load_b128 v[82:85], off, off offset:128
	ds_load_2addr_b64 v[86:89], v2 offset0:37 offset1:38
	ds_load_2addr_b64 v[90:93], v2 offset0:39 offset1:40
	scratch_load_b128 v[94:97], off, off offset:144
	s_mov_b32 s0, exec_lo
	s_wait_loadcnt_dscnt 0x601
	v_fma_f64 v[98:99], v[64:65], v[86:87], 0
	s_wait_loadcnt 0x5
	s_delay_alu instid0(VALU_DEP_1) | instskip(SKIP_4) | instid1(VALU_DEP_1)
	v_fmac_f64_e32 v[98:99], v[66:67], v[88:89]
	scratch_load_b128 v[64:67], off, off offset:160
	s_wait_dscnt 0x0
	v_fmac_f64_e32 v[98:99], v[68:69], v[90:91]
	s_wait_loadcnt 0x5
	v_fmac_f64_e32 v[98:99], v[70:71], v[92:93]
	ds_load_2addr_b64 v[68:71], v2 offset0:41 offset1:42
	ds_load_2addr_b64 v[86:89], v2 offset0:43 offset1:44
	s_wait_dscnt 0x1
	v_fmac_f64_e32 v[98:99], v[72:73], v[68:69]
	s_wait_loadcnt 0x4
	s_delay_alu instid0(VALU_DEP_1)
	v_fmac_f64_e32 v[98:99], v[74:75], v[70:71]
	s_clause 0x1
	scratch_load_b128 v[68:71], off, off offset:176
	scratch_load_b128 v[72:75], off, off offset:192
	s_wait_dscnt 0x0
	v_fmac_f64_e32 v[98:99], v[76:77], v[86:87]
	s_wait_loadcnt 0x5
	s_delay_alu instid0(VALU_DEP_1)
	v_fmac_f64_e32 v[98:99], v[78:79], v[88:89]
	ds_load_2addr_b64 v[76:79], v2 offset0:45 offset1:46
	ds_load_2addr_b64 v[86:89], v2 offset0:47 offset1:48
	s_wait_dscnt 0x1
	v_fmac_f64_e32 v[98:99], v[80:81], v[76:77]
	s_wait_loadcnt 0x4
	s_delay_alu instid0(VALU_DEP_1) | instskip(SKIP_4) | instid1(VALU_DEP_1)
	v_fmac_f64_e32 v[98:99], v[82:83], v[78:79]
	scratch_load_b128 v[76:79], off, off offset:208
	s_wait_dscnt 0x0
	v_fmac_f64_e32 v[98:99], v[84:85], v[86:87]
	s_wait_loadcnt 0x4
	v_fmac_f64_e32 v[98:99], v[94:95], v[88:89]
	scratch_load_b64 v[88:89], off, off offset:224
	ds_load_2addr_b64 v[80:83], v2 offset0:49 offset1:50
	ds_load_2addr_b64 v[84:87], v2 offset0:51 offset1:52
	s_wait_dscnt 0x1
	v_fmac_f64_e32 v[98:99], v[96:97], v[80:81]
	s_wait_loadcnt 0x4
	s_delay_alu instid0(VALU_DEP_1) | instskip(SKIP_1) | instid1(VALU_DEP_1)
	v_fmac_f64_e32 v[98:99], v[64:65], v[82:83]
	s_wait_dscnt 0x0
	v_fmac_f64_e32 v[98:99], v[66:67], v[84:85]
	ds_load_2addr_b64 v[64:67], v2 offset0:53 offset1:54
	ds_load_2addr_b64 v[80:83], v2 offset0:55 offset1:56
	s_wait_loadcnt 0x3
	v_fmac_f64_e32 v[98:99], v[68:69], v[86:87]
	s_wait_dscnt 0x1
	s_delay_alu instid0(VALU_DEP_1) | instskip(SKIP_1) | instid1(VALU_DEP_1)
	v_fmac_f64_e32 v[98:99], v[70:71], v[64:65]
	s_wait_loadcnt 0x2
	v_fmac_f64_e32 v[98:99], v[72:73], v[66:67]
	ds_load_2addr_b64 v[64:67], v2 offset0:57 offset1:58
	s_wait_dscnt 0x1
	v_fmac_f64_e32 v[98:99], v[74:75], v[80:81]
	s_wait_loadcnt 0x1
	s_delay_alu instid0(VALU_DEP_1) | instskip(SKIP_1) | instid1(VALU_DEP_1)
	v_fmac_f64_e32 v[98:99], v[76:77], v[82:83]
	s_wait_dscnt 0x0
	v_fmac_f64_e32 v[98:99], v[78:79], v[64:65]
	s_wait_loadcnt 0x0
	s_delay_alu instid0(VALU_DEP_1) | instskip(NEXT) | instid1(VALU_DEP_1)
	v_fmac_f64_e32 v[98:99], v[88:89], v[66:67]
	v_add_f64_e64 v[2:3], v[62:63], -v[98:99]
	scratch_store_b64 off, v[2:3], off offset:48
	s_wait_xcnt 0x0
	v_cmpx_lt_u32_e32 5, v0
	s_cbranch_execz .LBB28_173
; %bb.172:
	scratch_load_b64 v[2:3], off, off offset:40
	v_mov_b64_e32 v[62:63], 0
	scratch_store_b64 off, v[62:63], off offset:40
	s_wait_loadcnt 0x0
	ds_store_b64 v1, v[2:3]
.LBB28_173:
	s_wait_xcnt 0x0
	s_or_b32 exec_lo, exec_lo, s0
	s_wait_storecnt_dscnt 0x0
	s_barrier_signal -1
	s_barrier_wait -1
	s_clause 0x5
	scratch_load_b128 v[62:65], off, off offset:40
	scratch_load_b128 v[66:69], off, off offset:56
	scratch_load_b128 v[70:73], off, off offset:72
	scratch_load_b128 v[74:77], off, off offset:88
	scratch_load_b128 v[78:81], off, off offset:104
	scratch_load_b128 v[82:85], off, off offset:120
	v_mov_b32_e32 v2, 0
	ds_load_b128 v[86:89], v2 offset:288
	ds_load_b128 v[90:93], v2 offset:304
	scratch_load_b128 v[94:97], off, off offset:136
	s_mov_b32 s0, exec_lo
	s_wait_loadcnt_dscnt 0x601
	v_fma_f64 v[98:99], v[64:65], v[86:87], 0
	s_wait_loadcnt 0x5
	s_delay_alu instid0(VALU_DEP_1) | instskip(SKIP_4) | instid1(VALU_DEP_1)
	v_fmac_f64_e32 v[98:99], v[66:67], v[88:89]
	scratch_load_b128 v[64:67], off, off offset:152
	s_wait_dscnt 0x0
	v_fmac_f64_e32 v[98:99], v[68:69], v[90:91]
	s_wait_loadcnt 0x5
	v_fmac_f64_e32 v[98:99], v[70:71], v[92:93]
	ds_load_b128 v[68:71], v2 offset:320
	ds_load_b128 v[86:89], v2 offset:336
	s_wait_dscnt 0x1
	v_fmac_f64_e32 v[98:99], v[72:73], v[68:69]
	s_wait_loadcnt 0x4
	s_delay_alu instid0(VALU_DEP_1)
	v_fmac_f64_e32 v[98:99], v[74:75], v[70:71]
	s_clause 0x1
	scratch_load_b128 v[68:71], off, off offset:168
	scratch_load_b128 v[72:75], off, off offset:184
	s_wait_dscnt 0x0
	v_fmac_f64_e32 v[98:99], v[76:77], v[86:87]
	s_wait_loadcnt 0x5
	s_delay_alu instid0(VALU_DEP_1)
	v_fmac_f64_e32 v[98:99], v[78:79], v[88:89]
	ds_load_b128 v[76:79], v2 offset:352
	ds_load_b128 v[86:89], v2 offset:368
	s_wait_dscnt 0x1
	v_fmac_f64_e32 v[98:99], v[80:81], v[76:77]
	s_wait_loadcnt 0x4
	s_delay_alu instid0(VALU_DEP_1)
	v_fmac_f64_e32 v[98:99], v[82:83], v[78:79]
	s_clause 0x1
	scratch_load_b128 v[76:79], off, off offset:200
	scratch_load_b128 v[80:83], off, off offset:216
	s_wait_dscnt 0x0
	v_fmac_f64_e32 v[98:99], v[84:85], v[86:87]
	s_wait_loadcnt 0x5
	s_delay_alu instid0(VALU_DEP_1)
	v_fmac_f64_e32 v[98:99], v[94:95], v[88:89]
	ds_load_b128 v[84:87], v2 offset:384
	ds_load_b128 v[88:91], v2 offset:400
	s_wait_dscnt 0x1
	v_fmac_f64_e32 v[98:99], v[96:97], v[84:85]
	s_wait_loadcnt 0x4
	s_delay_alu instid0(VALU_DEP_1) | instskip(SKIP_1) | instid1(VALU_DEP_1)
	v_fmac_f64_e32 v[98:99], v[64:65], v[86:87]
	s_wait_dscnt 0x0
	v_fmac_f64_e32 v[98:99], v[66:67], v[88:89]
	ds_load_b128 v[64:67], v2 offset:416
	ds_load_b128 v[84:87], v2 offset:432
	s_wait_loadcnt 0x3
	v_fmac_f64_e32 v[98:99], v[68:69], v[90:91]
	s_wait_dscnt 0x1
	s_delay_alu instid0(VALU_DEP_1) | instskip(SKIP_1) | instid1(VALU_DEP_1)
	v_fmac_f64_e32 v[98:99], v[70:71], v[64:65]
	s_wait_loadcnt 0x2
	v_fmac_f64_e32 v[98:99], v[72:73], v[66:67]
	ds_load_b128 v[64:67], v2 offset:448
	ds_load_b64 v[68:69], v2 offset:464
	s_wait_dscnt 0x2
	v_fmac_f64_e32 v[98:99], v[74:75], v[84:85]
	s_wait_loadcnt 0x1
	s_delay_alu instid0(VALU_DEP_1) | instskip(SKIP_1) | instid1(VALU_DEP_1)
	v_fmac_f64_e32 v[98:99], v[76:77], v[86:87]
	s_wait_dscnt 0x1
	v_fmac_f64_e32 v[98:99], v[78:79], v[64:65]
	s_wait_loadcnt 0x0
	s_delay_alu instid0(VALU_DEP_1) | instskip(SKIP_1) | instid1(VALU_DEP_1)
	v_fmac_f64_e32 v[98:99], v[80:81], v[66:67]
	s_wait_dscnt 0x0
	v_fmac_f64_e32 v[98:99], v[82:83], v[68:69]
	s_delay_alu instid0(VALU_DEP_1)
	v_add_f64_e64 v[62:63], v[62:63], -v[98:99]
	scratch_store_b64 off, v[62:63], off offset:40
	s_wait_xcnt 0x0
	v_cmpx_lt_u32_e32 4, v0
	s_cbranch_execz .LBB28_175
; %bb.174:
	scratch_load_b64 v[62:63], off, off offset:32
	v_mov_b64_e32 v[64:65], 0
	scratch_store_b64 off, v[64:65], off offset:32
	s_wait_loadcnt 0x0
	ds_store_b64 v1, v[62:63]
.LBB28_175:
	s_wait_xcnt 0x0
	s_or_b32 exec_lo, exec_lo, s0
	s_wait_storecnt_dscnt 0x0
	s_barrier_signal -1
	s_barrier_wait -1
	s_clause 0x5
	scratch_load_b128 v[62:65], off, off offset:32
	scratch_load_b128 v[66:69], off, off offset:48
	;; [unrolled: 1-line block ×6, first 2 shown]
	ds_load_2addr_b64 v[86:89], v2 offset0:35 offset1:36
	ds_load_2addr_b64 v[90:93], v2 offset0:37 offset1:38
	scratch_load_b128 v[94:97], off, off offset:128
	s_mov_b32 s0, exec_lo
	s_wait_loadcnt_dscnt 0x601
	v_fma_f64 v[98:99], v[64:65], v[86:87], 0
	s_wait_loadcnt 0x5
	s_delay_alu instid0(VALU_DEP_1) | instskip(SKIP_4) | instid1(VALU_DEP_1)
	v_fmac_f64_e32 v[98:99], v[66:67], v[88:89]
	scratch_load_b128 v[64:67], off, off offset:144
	s_wait_dscnt 0x0
	v_fmac_f64_e32 v[98:99], v[68:69], v[90:91]
	s_wait_loadcnt 0x5
	v_fmac_f64_e32 v[98:99], v[70:71], v[92:93]
	ds_load_2addr_b64 v[68:71], v2 offset0:39 offset1:40
	ds_load_2addr_b64 v[86:89], v2 offset0:41 offset1:42
	s_wait_dscnt 0x1
	v_fmac_f64_e32 v[98:99], v[72:73], v[68:69]
	s_wait_loadcnt 0x4
	s_delay_alu instid0(VALU_DEP_1)
	v_fmac_f64_e32 v[98:99], v[74:75], v[70:71]
	s_clause 0x1
	scratch_load_b128 v[68:71], off, off offset:160
	scratch_load_b128 v[72:75], off, off offset:176
	s_wait_dscnt 0x0
	v_fmac_f64_e32 v[98:99], v[76:77], v[86:87]
	s_wait_loadcnt 0x5
	s_delay_alu instid0(VALU_DEP_1)
	v_fmac_f64_e32 v[98:99], v[78:79], v[88:89]
	ds_load_2addr_b64 v[76:79], v2 offset0:43 offset1:44
	ds_load_2addr_b64 v[86:89], v2 offset0:45 offset1:46
	s_wait_dscnt 0x1
	v_fmac_f64_e32 v[98:99], v[80:81], v[76:77]
	s_wait_loadcnt 0x4
	s_delay_alu instid0(VALU_DEP_1)
	v_fmac_f64_e32 v[98:99], v[82:83], v[78:79]
	s_clause 0x1
	scratch_load_b128 v[76:79], off, off offset:192
	scratch_load_b128 v[80:83], off, off offset:208
	s_wait_dscnt 0x0
	v_fmac_f64_e32 v[98:99], v[84:85], v[86:87]
	s_wait_loadcnt 0x5
	s_delay_alu instid0(VALU_DEP_1)
	v_fmac_f64_e32 v[98:99], v[94:95], v[88:89]
	ds_load_2addr_b64 v[84:87], v2 offset0:47 offset1:48
	ds_load_2addr_b64 v[88:91], v2 offset0:49 offset1:50
	scratch_load_b64 v[92:93], off, off offset:224
	s_wait_dscnt 0x1
	v_fmac_f64_e32 v[98:99], v[96:97], v[84:85]
	s_wait_loadcnt 0x5
	s_delay_alu instid0(VALU_DEP_1) | instskip(SKIP_1) | instid1(VALU_DEP_1)
	v_fmac_f64_e32 v[98:99], v[64:65], v[86:87]
	s_wait_dscnt 0x0
	v_fmac_f64_e32 v[98:99], v[66:67], v[88:89]
	ds_load_2addr_b64 v[64:67], v2 offset0:51 offset1:52
	ds_load_2addr_b64 v[84:87], v2 offset0:53 offset1:54
	s_wait_loadcnt 0x4
	v_fmac_f64_e32 v[98:99], v[68:69], v[90:91]
	s_wait_dscnt 0x1
	s_delay_alu instid0(VALU_DEP_1) | instskip(SKIP_1) | instid1(VALU_DEP_1)
	v_fmac_f64_e32 v[98:99], v[70:71], v[64:65]
	s_wait_loadcnt 0x3
	v_fmac_f64_e32 v[98:99], v[72:73], v[66:67]
	ds_load_2addr_b64 v[64:67], v2 offset0:55 offset1:56
	ds_load_2addr_b64 v[68:71], v2 offset0:57 offset1:58
	s_wait_dscnt 0x2
	v_fmac_f64_e32 v[98:99], v[74:75], v[84:85]
	s_wait_loadcnt 0x2
	s_delay_alu instid0(VALU_DEP_1) | instskip(SKIP_1) | instid1(VALU_DEP_1)
	v_fmac_f64_e32 v[98:99], v[76:77], v[86:87]
	s_wait_dscnt 0x1
	v_fmac_f64_e32 v[98:99], v[78:79], v[64:65]
	s_wait_loadcnt 0x1
	s_delay_alu instid0(VALU_DEP_1) | instskip(SKIP_1) | instid1(VALU_DEP_1)
	v_fmac_f64_e32 v[98:99], v[80:81], v[66:67]
	s_wait_dscnt 0x0
	v_fmac_f64_e32 v[98:99], v[82:83], v[68:69]
	s_wait_loadcnt 0x0
	s_delay_alu instid0(VALU_DEP_1) | instskip(NEXT) | instid1(VALU_DEP_1)
	v_fmac_f64_e32 v[98:99], v[92:93], v[70:71]
	v_add_f64_e64 v[2:3], v[62:63], -v[98:99]
	scratch_store_b64 off, v[2:3], off offset:32
	s_wait_xcnt 0x0
	v_cmpx_lt_u32_e32 3, v0
	s_cbranch_execz .LBB28_177
; %bb.176:
	scratch_load_b64 v[2:3], off, off offset:24
	v_mov_b64_e32 v[62:63], 0
	scratch_store_b64 off, v[62:63], off offset:24
	s_wait_loadcnt 0x0
	ds_store_b64 v1, v[2:3]
.LBB28_177:
	s_wait_xcnt 0x0
	s_or_b32 exec_lo, exec_lo, s0
	s_wait_storecnt_dscnt 0x0
	s_barrier_signal -1
	s_barrier_wait -1
	s_clause 0x5
	scratch_load_b128 v[62:65], off, off offset:24
	scratch_load_b128 v[66:69], off, off offset:40
	;; [unrolled: 1-line block ×6, first 2 shown]
	v_mov_b32_e32 v2, 0
	ds_load_b128 v[86:89], v2 offset:272
	ds_load_b128 v[90:93], v2 offset:288
	scratch_load_b128 v[94:97], off, off offset:120
	s_mov_b32 s0, exec_lo
	s_wait_loadcnt_dscnt 0x601
	v_fma_f64 v[98:99], v[64:65], v[86:87], 0
	s_wait_loadcnt 0x5
	s_delay_alu instid0(VALU_DEP_1) | instskip(SKIP_4) | instid1(VALU_DEP_1)
	v_fmac_f64_e32 v[98:99], v[66:67], v[88:89]
	scratch_load_b128 v[64:67], off, off offset:136
	s_wait_dscnt 0x0
	v_fmac_f64_e32 v[98:99], v[68:69], v[90:91]
	s_wait_loadcnt 0x5
	v_fmac_f64_e32 v[98:99], v[70:71], v[92:93]
	ds_load_b128 v[68:71], v2 offset:304
	ds_load_b128 v[86:89], v2 offset:320
	s_wait_dscnt 0x1
	v_fmac_f64_e32 v[98:99], v[72:73], v[68:69]
	s_wait_loadcnt 0x4
	s_delay_alu instid0(VALU_DEP_1)
	v_fmac_f64_e32 v[98:99], v[74:75], v[70:71]
	s_clause 0x1
	scratch_load_b128 v[68:71], off, off offset:152
	scratch_load_b128 v[72:75], off, off offset:168
	s_wait_dscnt 0x0
	v_fmac_f64_e32 v[98:99], v[76:77], v[86:87]
	s_wait_loadcnt 0x5
	s_delay_alu instid0(VALU_DEP_1)
	v_fmac_f64_e32 v[98:99], v[78:79], v[88:89]
	ds_load_b128 v[76:79], v2 offset:336
	ds_load_b128 v[86:89], v2 offset:352
	s_wait_dscnt 0x1
	v_fmac_f64_e32 v[98:99], v[80:81], v[76:77]
	s_wait_loadcnt 0x4
	s_delay_alu instid0(VALU_DEP_1)
	v_fmac_f64_e32 v[98:99], v[82:83], v[78:79]
	s_clause 0x1
	scratch_load_b128 v[76:79], off, off offset:184
	scratch_load_b128 v[80:83], off, off offset:200
	s_wait_dscnt 0x0
	v_fmac_f64_e32 v[98:99], v[84:85], v[86:87]
	s_wait_loadcnt 0x5
	s_delay_alu instid0(VALU_DEP_1)
	v_fmac_f64_e32 v[98:99], v[94:95], v[88:89]
	ds_load_b128 v[84:87], v2 offset:368
	ds_load_b128 v[88:91], v2 offset:384
	s_wait_dscnt 0x1
	v_fmac_f64_e32 v[98:99], v[96:97], v[84:85]
	s_wait_loadcnt 0x4
	s_delay_alu instid0(VALU_DEP_1) | instskip(SKIP_4) | instid1(VALU_DEP_1)
	v_fmac_f64_e32 v[98:99], v[64:65], v[86:87]
	scratch_load_b128 v[84:87], off, off offset:216
	s_wait_dscnt 0x0
	v_fmac_f64_e32 v[98:99], v[66:67], v[88:89]
	s_wait_loadcnt 0x4
	v_fmac_f64_e32 v[98:99], v[68:69], v[90:91]
	ds_load_b128 v[64:67], v2 offset:400
	ds_load_b128 v[88:91], v2 offset:416
	s_wait_dscnt 0x1
	v_fmac_f64_e32 v[98:99], v[70:71], v[64:65]
	s_wait_loadcnt 0x3
	s_delay_alu instid0(VALU_DEP_1)
	v_fmac_f64_e32 v[98:99], v[72:73], v[66:67]
	ds_load_b128 v[64:67], v2 offset:432
	ds_load_b128 v[68:71], v2 offset:448
	s_wait_dscnt 0x2
	v_fmac_f64_e32 v[98:99], v[74:75], v[88:89]
	s_wait_loadcnt 0x2
	s_delay_alu instid0(VALU_DEP_1) | instskip(SKIP_1) | instid1(VALU_DEP_1)
	v_fmac_f64_e32 v[98:99], v[76:77], v[90:91]
	s_wait_dscnt 0x1
	v_fmac_f64_e32 v[98:99], v[78:79], v[64:65]
	ds_load_b64 v[64:65], v2 offset:464
	s_wait_loadcnt 0x1
	v_fmac_f64_e32 v[98:99], v[80:81], v[66:67]
	s_wait_dscnt 0x1
	s_delay_alu instid0(VALU_DEP_1) | instskip(SKIP_1) | instid1(VALU_DEP_1)
	v_fmac_f64_e32 v[98:99], v[82:83], v[68:69]
	s_wait_loadcnt 0x0
	v_fmac_f64_e32 v[98:99], v[84:85], v[70:71]
	s_wait_dscnt 0x0
	s_delay_alu instid0(VALU_DEP_1) | instskip(NEXT) | instid1(VALU_DEP_1)
	v_fmac_f64_e32 v[98:99], v[86:87], v[64:65]
	v_add_f64_e64 v[62:63], v[62:63], -v[98:99]
	scratch_store_b64 off, v[62:63], off offset:24
	s_wait_xcnt 0x0
	v_cmpx_lt_u32_e32 2, v0
	s_cbranch_execz .LBB28_179
; %bb.178:
	scratch_load_b64 v[62:63], off, off offset:16
	v_mov_b64_e32 v[64:65], 0
	scratch_store_b64 off, v[64:65], off offset:16
	s_wait_loadcnt 0x0
	ds_store_b64 v1, v[62:63]
.LBB28_179:
	s_wait_xcnt 0x0
	s_or_b32 exec_lo, exec_lo, s0
	s_wait_storecnt_dscnt 0x0
	s_barrier_signal -1
	s_barrier_wait -1
	s_clause 0x5
	scratch_load_b128 v[62:65], off, off offset:16
	scratch_load_b128 v[66:69], off, off offset:32
	;; [unrolled: 1-line block ×6, first 2 shown]
	ds_load_2addr_b64 v[86:89], v2 offset0:33 offset1:34
	ds_load_2addr_b64 v[90:93], v2 offset0:35 offset1:36
	scratch_load_b128 v[94:97], off, off offset:112
	s_mov_b32 s0, exec_lo
	s_wait_loadcnt_dscnt 0x601
	v_fma_f64 v[98:99], v[64:65], v[86:87], 0
	s_wait_loadcnt 0x5
	s_delay_alu instid0(VALU_DEP_1) | instskip(SKIP_4) | instid1(VALU_DEP_1)
	v_fmac_f64_e32 v[98:99], v[66:67], v[88:89]
	scratch_load_b128 v[64:67], off, off offset:128
	s_wait_dscnt 0x0
	v_fmac_f64_e32 v[98:99], v[68:69], v[90:91]
	s_wait_loadcnt 0x5
	v_fmac_f64_e32 v[98:99], v[70:71], v[92:93]
	ds_load_2addr_b64 v[68:71], v2 offset0:37 offset1:38
	ds_load_2addr_b64 v[86:89], v2 offset0:39 offset1:40
	scratch_load_b128 v[90:93], off, off offset:144
	s_wait_dscnt 0x1
	v_fmac_f64_e32 v[98:99], v[72:73], v[68:69]
	s_wait_loadcnt 0x5
	s_delay_alu instid0(VALU_DEP_1) | instskip(SKIP_4) | instid1(VALU_DEP_1)
	v_fmac_f64_e32 v[98:99], v[74:75], v[70:71]
	scratch_load_b128 v[68:71], off, off offset:160
	s_wait_dscnt 0x0
	v_fmac_f64_e32 v[98:99], v[76:77], v[86:87]
	s_wait_loadcnt 0x5
	v_fmac_f64_e32 v[98:99], v[78:79], v[88:89]
	ds_load_2addr_b64 v[72:75], v2 offset0:41 offset1:42
	ds_load_2addr_b64 v[76:79], v2 offset0:43 offset1:44
	s_wait_dscnt 0x1
	v_fmac_f64_e32 v[98:99], v[80:81], v[72:73]
	s_wait_loadcnt 0x4
	s_delay_alu instid0(VALU_DEP_1) | instskip(SKIP_4) | instid1(VALU_DEP_1)
	v_fmac_f64_e32 v[98:99], v[82:83], v[74:75]
	scratch_load_b128 v[72:75], off, off offset:176
	s_wait_dscnt 0x0
	v_fmac_f64_e32 v[98:99], v[84:85], v[76:77]
	s_wait_loadcnt 0x4
	v_fmac_f64_e32 v[98:99], v[94:95], v[78:79]
	scratch_load_b128 v[76:79], off, off offset:192
	ds_load_2addr_b64 v[80:83], v2 offset0:45 offset1:46
	ds_load_2addr_b64 v[84:87], v2 offset0:47 offset1:48
	scratch_load_b64 v[88:89], off, off offset:224
	s_wait_dscnt 0x1
	v_fmac_f64_e32 v[98:99], v[96:97], v[80:81]
	s_wait_loadcnt 0x5
	s_delay_alu instid0(VALU_DEP_1) | instskip(SKIP_4) | instid1(VALU_DEP_1)
	v_fmac_f64_e32 v[98:99], v[64:65], v[82:83]
	scratch_load_b128 v[80:83], off, off offset:208
	s_wait_dscnt 0x0
	v_fmac_f64_e32 v[98:99], v[66:67], v[84:85]
	s_wait_loadcnt 0x5
	v_fmac_f64_e32 v[98:99], v[90:91], v[86:87]
	ds_load_2addr_b64 v[64:67], v2 offset0:49 offset1:50
	ds_load_2addr_b64 v[84:87], v2 offset0:51 offset1:52
	s_wait_dscnt 0x1
	v_fmac_f64_e32 v[98:99], v[92:93], v[64:65]
	s_wait_loadcnt 0x4
	s_delay_alu instid0(VALU_DEP_1) | instskip(SKIP_1) | instid1(VALU_DEP_1)
	v_fmac_f64_e32 v[98:99], v[68:69], v[66:67]
	s_wait_dscnt 0x0
	v_fmac_f64_e32 v[98:99], v[70:71], v[84:85]
	ds_load_2addr_b64 v[64:67], v2 offset0:53 offset1:54
	ds_load_2addr_b64 v[68:71], v2 offset0:55 offset1:56
	s_wait_loadcnt 0x3
	v_fmac_f64_e32 v[98:99], v[72:73], v[86:87]
	s_wait_dscnt 0x1
	s_delay_alu instid0(VALU_DEP_1) | instskip(SKIP_1) | instid1(VALU_DEP_1)
	v_fmac_f64_e32 v[98:99], v[74:75], v[64:65]
	s_wait_loadcnt 0x2
	v_fmac_f64_e32 v[98:99], v[76:77], v[66:67]
	ds_load_2addr_b64 v[64:67], v2 offset0:57 offset1:58
	s_wait_dscnt 0x1
	v_fmac_f64_e32 v[98:99], v[78:79], v[68:69]
	s_wait_loadcnt 0x0
	s_delay_alu instid0(VALU_DEP_1) | instskip(SKIP_1) | instid1(VALU_DEP_1)
	v_fmac_f64_e32 v[98:99], v[80:81], v[70:71]
	s_wait_dscnt 0x0
	v_fmac_f64_e32 v[98:99], v[82:83], v[64:65]
	s_delay_alu instid0(VALU_DEP_1) | instskip(NEXT) | instid1(VALU_DEP_1)
	v_fmac_f64_e32 v[98:99], v[88:89], v[66:67]
	v_add_f64_e64 v[2:3], v[62:63], -v[98:99]
	scratch_store_b64 off, v[2:3], off offset:16
	s_wait_xcnt 0x0
	v_cmpx_lt_u32_e32 1, v0
	s_cbranch_execz .LBB28_181
; %bb.180:
	scratch_load_b64 v[2:3], off, off offset:8
	v_mov_b64_e32 v[62:63], 0
	scratch_store_b64 off, v[62:63], off offset:8
	s_wait_loadcnt 0x0
	ds_store_b64 v1, v[2:3]
.LBB28_181:
	s_wait_xcnt 0x0
	s_or_b32 exec_lo, exec_lo, s0
	s_wait_storecnt_dscnt 0x0
	s_barrier_signal -1
	s_barrier_wait -1
	s_clause 0x4
	scratch_load_b128 v[64:67], off, off offset:8
	scratch_load_b128 v[68:71], off, off offset:24
	;; [unrolled: 1-line block ×5, first 2 shown]
	v_mov_b32_e32 v62, 0
	ds_load_b128 v[84:87], v62 offset:256
	ds_load_b128 v[88:91], v62 offset:272
	scratch_load_b128 v[92:95], off, off offset:88
	v_dual_ashrrev_i32 v9, 31, v8 :: v_dual_ashrrev_i32 v11, 31, v10
	v_dual_ashrrev_i32 v13, 31, v12 :: v_dual_ashrrev_i32 v15, 31, v14
	;; [unrolled: 1-line block ×13, first 2 shown]
	v_ashrrev_i32_e32 v61, 31, v60
	s_mov_b32 s0, exec_lo
	s_wait_loadcnt_dscnt 0x501
	v_fma_f64 v[2:3], v[66:67], v[84:85], 0
	s_wait_loadcnt 0x4
	s_delay_alu instid0(VALU_DEP_1) | instskip(SKIP_4) | instid1(VALU_DEP_1)
	v_fmac_f64_e32 v[2:3], v[68:69], v[86:87]
	scratch_load_b128 v[66:69], off, off offset:104
	s_wait_dscnt 0x0
	v_fmac_f64_e32 v[2:3], v[70:71], v[88:89]
	s_wait_loadcnt 0x4
	v_fmac_f64_e32 v[2:3], v[72:73], v[90:91]
	ds_load_b128 v[70:73], v62 offset:288
	ds_load_b128 v[84:87], v62 offset:304
	scratch_load_b128 v[88:91], off, off offset:120
	s_wait_dscnt 0x1
	v_fmac_f64_e32 v[2:3], v[74:75], v[70:71]
	s_wait_loadcnt 0x4
	s_delay_alu instid0(VALU_DEP_1) | instskip(SKIP_4) | instid1(VALU_DEP_1)
	v_fmac_f64_e32 v[2:3], v[76:77], v[72:73]
	scratch_load_b128 v[70:73], off, off offset:136
	s_wait_dscnt 0x0
	v_fmac_f64_e32 v[2:3], v[78:79], v[84:85]
	s_wait_loadcnt 0x4
	v_fmac_f64_e32 v[2:3], v[80:81], v[86:87]
	ds_load_b128 v[74:77], v62 offset:320
	ds_load_b128 v[78:81], v62 offset:336
	s_wait_dscnt 0x1
	v_fmac_f64_e32 v[2:3], v[82:83], v[74:75]
	scratch_load_b128 v[82:85], off, off offset:152
	s_wait_loadcnt 0x4
	v_fmac_f64_e32 v[2:3], v[92:93], v[76:77]
	scratch_load_b128 v[74:77], off, off offset:168
	s_wait_dscnt 0x0
	v_fmac_f64_e32 v[2:3], v[94:95], v[78:79]
	s_wait_loadcnt 0x4
	s_delay_alu instid0(VALU_DEP_1)
	v_fmac_f64_e32 v[2:3], v[66:67], v[80:81]
	ds_load_b128 v[78:81], v62 offset:352
	ds_load_b128 v[92:95], v62 offset:368
	s_wait_dscnt 0x1
	v_fmac_f64_e32 v[2:3], v[68:69], v[78:79]
	scratch_load_b128 v[66:69], off, off offset:184
	s_wait_loadcnt 0x4
	v_fmac_f64_e32 v[2:3], v[88:89], v[80:81]
	scratch_load_b128 v[78:81], off, off offset:200
	s_wait_dscnt 0x0
	v_fmac_f64_e32 v[2:3], v[90:91], v[92:93]
	ds_load_b128 v[86:89], v62 offset:384
	ds_load_b128 v[90:93], v62 offset:400
	s_wait_loadcnt 0x4
	v_fmac_f64_e32 v[2:3], v[70:71], v[94:95]
	s_wait_dscnt 0x1
	s_delay_alu instid0(VALU_DEP_1) | instskip(SKIP_4) | instid1(VALU_DEP_1)
	v_fmac_f64_e32 v[2:3], v[72:73], v[86:87]
	scratch_load_b128 v[70:73], off, off offset:216
	s_wait_loadcnt 0x4
	v_fmac_f64_e32 v[2:3], v[82:83], v[88:89]
	s_wait_dscnt 0x0
	v_fmac_f64_e32 v[2:3], v[84:85], v[90:91]
	ds_load_b128 v[82:85], v62 offset:416
	ds_load_b128 v[86:89], v62 offset:432
	s_wait_loadcnt 0x3
	v_fmac_f64_e32 v[2:3], v[74:75], v[92:93]
	s_wait_dscnt 0x1
	s_delay_alu instid0(VALU_DEP_1) | instskip(SKIP_1) | instid1(VALU_DEP_1)
	v_fmac_f64_e32 v[2:3], v[76:77], v[82:83]
	s_wait_loadcnt 0x2
	v_fmac_f64_e32 v[2:3], v[66:67], v[84:85]
	s_wait_dscnt 0x0
	s_delay_alu instid0(VALU_DEP_1)
	v_fmac_f64_e32 v[2:3], v[68:69], v[86:87]
	ds_load_b128 v[66:69], v62 offset:448
	ds_load_b64 v[74:75], v62 offset:464
	s_wait_loadcnt 0x1
	v_fmac_f64_e32 v[2:3], v[78:79], v[88:89]
	s_wait_dscnt 0x1
	s_delay_alu instid0(VALU_DEP_1) | instskip(SKIP_1) | instid1(VALU_DEP_1)
	v_fmac_f64_e32 v[2:3], v[80:81], v[66:67]
	s_wait_loadcnt 0x0
	v_fmac_f64_e32 v[2:3], v[70:71], v[68:69]
	s_wait_dscnt 0x0
	s_delay_alu instid0(VALU_DEP_1) | instskip(NEXT) | instid1(VALU_DEP_1)
	v_fmac_f64_e32 v[2:3], v[72:73], v[74:75]
	v_add_f64_e64 v[2:3], v[64:65], -v[2:3]
	scratch_store_b64 off, v[2:3], off offset:8
	s_wait_xcnt 0x0
	v_cmpx_ne_u32_e32 0, v0
	s_cbranch_execz .LBB28_183
; %bb.182:
	scratch_load_b64 v[2:3], off, off
	v_mov_b64_e32 v[64:65], 0
	scratch_store_b64 off, v[64:65], off
	s_wait_loadcnt 0x0
	ds_store_b64 v1, v[2:3]
.LBB28_183:
	s_wait_xcnt 0x0
	s_or_b32 exec_lo, exec_lo, s0
	s_wait_storecnt_dscnt 0x0
	s_barrier_signal -1
	s_barrier_wait -1
	s_clause 0x5
	scratch_load_b128 v[64:67], off, off
	scratch_load_b128 v[0:3], off, off offset:16
	scratch_load_b128 v[68:71], off, off offset:32
	;; [unrolled: 1-line block ×5, first 2 shown]
	ds_load_2addr_b64 v[84:87], v62 offset0:31 offset1:32
	scratch_load_b128 v[88:91], off, off offset:96
	s_and_b32 vcc_lo, exec_lo, s18
	s_wait_loadcnt_dscnt 0x600
	v_fma_f64 v[92:93], v[66:67], v[84:85], 0
	s_wait_loadcnt 0x5
	s_delay_alu instid0(VALU_DEP_1)
	v_fmac_f64_e32 v[92:93], v[0:1], v[86:87]
	ds_load_2addr_b64 v[84:87], v62 offset0:33 offset1:34
	s_wait_dscnt 0x0
	v_fmac_f64_e32 v[92:93], v[2:3], v[84:85]
	scratch_load_b128 v[0:3], off, off offset:112
	s_wait_loadcnt 0x5
	v_fmac_f64_e32 v[92:93], v[68:69], v[86:87]
	ds_load_2addr_b64 v[66:69], v62 offset0:35 offset1:36
	scratch_load_b128 v[84:87], off, off offset:128
	s_wait_dscnt 0x0
	v_fmac_f64_e32 v[92:93], v[70:71], v[66:67]
	s_wait_loadcnt 0x5
	s_delay_alu instid0(VALU_DEP_1)
	v_fmac_f64_e32 v[92:93], v[72:73], v[68:69]
	ds_load_2addr_b64 v[66:69], v62 offset0:37 offset1:38
	scratch_load_b128 v[70:73], off, off offset:144
	s_wait_dscnt 0x0
	v_fmac_f64_e32 v[92:93], v[74:75], v[66:67]
	s_wait_loadcnt 0x5
	s_delay_alu instid0(VALU_DEP_1)
	;; [unrolled: 7-line block ×3, first 2 shown]
	v_fmac_f64_e32 v[92:93], v[80:81], v[68:69]
	ds_load_2addr_b64 v[66:69], v62 offset0:41 offset1:42
	scratch_load_b128 v[78:81], off, off offset:176
	s_wait_dscnt 0x0
	v_fmac_f64_e32 v[92:93], v[82:83], v[66:67]
	scratch_load_b64 v[82:83], off, off offset:224
	s_wait_loadcnt 0x6
	v_fmac_f64_e32 v[92:93], v[88:89], v[68:69]
	ds_load_2addr_b64 v[66:69], v62 offset0:43 offset1:44
	s_wait_dscnt 0x0
	v_fmac_f64_e32 v[92:93], v[90:91], v[66:67]
	scratch_load_b128 v[88:91], off, off offset:192
	s_wait_loadcnt 0x6
	v_fmac_f64_e32 v[92:93], v[0:1], v[68:69]
	ds_load_2addr_b64 v[66:69], v62 offset0:45 offset1:46
	s_wait_dscnt 0x0
	v_fmac_f64_e32 v[92:93], v[2:3], v[66:67]
	scratch_load_b128 v[0:3], off, off offset:208
	s_wait_loadcnt 0x6
	v_fmac_f64_e32 v[92:93], v[84:85], v[68:69]
	ds_load_2addr_b64 v[66:69], v62 offset0:47 offset1:48
	s_wait_dscnt 0x0
	v_fmac_f64_e32 v[92:93], v[86:87], v[66:67]
	s_wait_loadcnt 0x5
	s_delay_alu instid0(VALU_DEP_1) | instskip(SKIP_4) | instid1(VALU_DEP_1)
	v_fmac_f64_e32 v[92:93], v[70:71], v[68:69]
	ds_load_2addr_b64 v[66:69], v62 offset0:49 offset1:50
	s_wait_dscnt 0x0
	v_fmac_f64_e32 v[92:93], v[72:73], v[66:67]
	s_wait_loadcnt 0x4
	v_fmac_f64_e32 v[92:93], v[74:75], v[68:69]
	ds_load_2addr_b64 v[66:69], v62 offset0:51 offset1:52
	s_wait_dscnt 0x0
	v_fmac_f64_e32 v[92:93], v[76:77], v[66:67]
	s_wait_loadcnt 0x3
	s_delay_alu instid0(VALU_DEP_1) | instskip(SKIP_4) | instid1(VALU_DEP_1)
	v_fmac_f64_e32 v[92:93], v[78:79], v[68:69]
	ds_load_2addr_b64 v[66:69], v62 offset0:53 offset1:54
	s_wait_dscnt 0x0
	v_fmac_f64_e32 v[92:93], v[80:81], v[66:67]
	s_wait_loadcnt 0x1
	v_fmac_f64_e32 v[92:93], v[88:89], v[68:69]
	ds_load_2addr_b64 v[66:69], v62 offset0:55 offset1:56
	s_wait_dscnt 0x0
	v_fmac_f64_e32 v[92:93], v[90:91], v[66:67]
	s_wait_loadcnt 0x0
	s_delay_alu instid0(VALU_DEP_1) | instskip(SKIP_3) | instid1(VALU_DEP_1)
	v_fmac_f64_e32 v[92:93], v[0:1], v[68:69]
	ds_load_2addr_b64 v[66:69], v62 offset0:57 offset1:58
	s_wait_dscnt 0x0
	v_fmac_f64_e32 v[92:93], v[2:3], v[66:67]
	v_fmac_f64_e32 v[92:93], v[82:83], v[68:69]
	s_delay_alu instid0(VALU_DEP_1)
	v_add_f64_e64 v[70:71], v[64:65], -v[92:93]
	scratch_store_b64 off, v[70:71], off
	s_cbranch_vccz .LBB28_240
; %bb.184:
	v_mov_b32_e32 v0, 0
	global_load_b32 v1, v0, s[2:3] offset:108
	s_wait_loadcnt 0x0
	v_cmp_ne_u32_e32 vcc_lo, 28, v1
	s_cbranch_vccz .LBB28_186
; %bb.185:
	v_lshlrev_b32_e32 v1, 3, v1
	scratch_load_b64 v[62:63], v1, off offset:-8
	s_wait_loadcnt 0x0
	scratch_store_b64 off, v[62:63], off offset:216
	scratch_store_b64 v1, v[2:3], off offset:-8
.LBB28_186:
	global_load_b32 v0, v0, s[2:3] offset:104
	s_wait_loadcnt 0x0
	v_cmp_eq_u32_e32 vcc_lo, 27, v0
	s_cbranch_vccnz .LBB28_188
; %bb.187:
	s_wait_xcnt 0x0
	v_lshlrev_b32_e32 v0, 3, v0
	s_delay_alu instid0(VALU_DEP_1)
	v_mov_b32_e32 v62, v0
	scratch_load_b64 v[0:1], v62, off offset:-8
	scratch_load_b64 v[2:3], off, off offset:208
	s_wait_loadcnt 0x1
	scratch_store_b64 off, v[0:1], off offset:208
	s_wait_loadcnt 0x0
	scratch_store_b64 v62, v[2:3], off offset:-8
.LBB28_188:
	s_wait_xcnt 0x0
	v_mov_b32_e32 v0, 0
	global_load_b32 v1, v0, s[2:3] offset:100
	s_wait_loadcnt 0x0
	v_cmp_eq_u32_e32 vcc_lo, 26, v1
	s_cbranch_vccnz .LBB28_190
; %bb.189:
	v_lshlrev_b32_e32 v1, 3, v1
	scratch_load_b64 v[2:3], v1, off offset:-8
	scratch_load_b64 v[62:63], off, off offset:200
	s_wait_loadcnt 0x1
	scratch_store_b64 off, v[2:3], off offset:200
	s_wait_loadcnt 0x0
	scratch_store_b64 v1, v[62:63], off offset:-8
.LBB28_190:
	global_load_b32 v0, v0, s[2:3] offset:96
	s_wait_loadcnt 0x0
	v_cmp_eq_u32_e32 vcc_lo, 25, v0
	s_cbranch_vccnz .LBB28_192
; %bb.191:
	s_wait_xcnt 0x0
	v_lshlrev_b32_e32 v0, 3, v0
	s_delay_alu instid0(VALU_DEP_1)
	v_mov_b32_e32 v62, v0
	scratch_load_b64 v[0:1], v62, off offset:-8
	scratch_load_b64 v[2:3], off, off offset:192
	s_wait_loadcnt 0x1
	scratch_store_b64 off, v[0:1], off offset:192
	s_wait_loadcnt 0x0
	scratch_store_b64 v62, v[2:3], off offset:-8
.LBB28_192:
	s_wait_xcnt 0x0
	v_mov_b32_e32 v0, 0
	global_load_b32 v1, v0, s[2:3] offset:92
	s_wait_loadcnt 0x0
	v_cmp_eq_u32_e32 vcc_lo, 24, v1
	s_cbranch_vccnz .LBB28_194
; %bb.193:
	v_lshlrev_b32_e32 v1, 3, v1
	scratch_load_b64 v[2:3], v1, off offset:-8
	scratch_load_b64 v[62:63], off, off offset:184
	s_wait_loadcnt 0x1
	scratch_store_b64 off, v[2:3], off offset:184
	s_wait_loadcnt 0x0
	scratch_store_b64 v1, v[62:63], off offset:-8
.LBB28_194:
	;; [unrolled: 31-line block ×13, first 2 shown]
	global_load_b32 v0, v0, s[2:3]
	scratch_load_b64 v[70:71], off, off
	s_wait_loadcnt 0x1
	v_cmp_eq_u32_e32 vcc_lo, 1, v0
	s_cbranch_vccnz .LBB28_240
; %bb.239:
	s_wait_xcnt 0x1
	v_lshlrev_b32_e32 v0, 3, v0
	s_delay_alu instid0(VALU_DEP_1)
	v_mov_b32_e32 v2, v0
	scratch_load_b64 v[0:1], v2, off offset:-8
	s_wait_loadcnt 0x0
	scratch_store_b64 off, v[0:1], off
	scratch_store_b64 v2, v[70:71], off offset:-8
	scratch_load_b64 v[70:71], off, off
.LBB28_240:
	v_lshl_add_u64 v[72:73], v[8:9], 3, s[4:5]
	v_lshl_add_u64 v[66:67], v[10:11], 3, s[4:5]
	;; [unrolled: 1-line block ×25, first 2 shown]
	s_wait_xcnt 0x1
	v_lshl_add_u64 v[0:1], v[58:59], 3, s[4:5]
	s_clause 0x6
	scratch_load_b128 v[48:51], off, off offset:8
	scratch_load_b128 v[52:55], off, off offset:24
	;; [unrolled: 1-line block ×7, first 2 shown]
	s_wait_loadcnt 0x7
	global_store_b64 v[6:7], v[70:71], off
	s_clause 0x1
	scratch_load_b128 v[90:93], off, off offset:120
	scratch_load_b128 v[94:97], off, off offset:136
	v_lshl_add_u64 v[2:3], v[60:61], 3, s[4:5]
	s_wait_loadcnt 0x8
	s_clause 0x1
	global_store_b64 v[4:5], v[48:49], off
	global_store_b64 v[72:73], v[50:51], off
	s_clause 0x1
	scratch_load_b128 v[4:7], off, off offset:152
	scratch_load_b128 v[48:51], off, off offset:168
	s_wait_loadcnt 0x9
	s_clause 0x1
	global_store_b64 v[66:67], v[52:53], off
	global_store_b64 v[68:69], v[54:55], off
	s_clause 0x1
	scratch_load_b128 v[52:55], off, off offset:184
	scratch_load_b128 v[66:69], off, off offset:200
	s_wait_loadcnt 0xa
	s_clause 0x1
	global_store_b64 v[62:63], v[56:57], off
	global_store_b64 v[64:65], v[58:59], off
	scratch_load_b128 v[56:59], off, off offset:216
	s_wait_loadcnt 0xa
	s_clause 0x1
	global_store_b64 v[8:9], v[74:75], off
	global_store_b64 v[10:11], v[76:77], off
	s_wait_loadcnt 0x9
	s_clause 0x1
	global_store_b64 v[12:13], v[78:79], off
	global_store_b64 v[14:15], v[80:81], off
	;; [unrolled: 4-line block ×11, first 2 shown]
	s_sendmsg sendmsg(MSG_DEALLOC_VGPRS)
	s_endpgm
	.section	.rodata,"a",@progbits
	.p2align	6, 0x0
	.amdhsa_kernel _ZN9rocsolver6v33100L18getri_kernel_smallILi29EdPdEEvT1_iilPiilS4_bb
		.amdhsa_group_segment_fixed_size 472
		.amdhsa_private_segment_fixed_size 240
		.amdhsa_kernarg_size 60
		.amdhsa_user_sgpr_count 2
		.amdhsa_user_sgpr_dispatch_ptr 0
		.amdhsa_user_sgpr_queue_ptr 0
		.amdhsa_user_sgpr_kernarg_segment_ptr 1
		.amdhsa_user_sgpr_dispatch_id 0
		.amdhsa_user_sgpr_kernarg_preload_length 0
		.amdhsa_user_sgpr_kernarg_preload_offset 0
		.amdhsa_user_sgpr_private_segment_size 0
		.amdhsa_wavefront_size32 1
		.amdhsa_uses_dynamic_stack 0
		.amdhsa_enable_private_segment 1
		.amdhsa_system_sgpr_workgroup_id_x 1
		.amdhsa_system_sgpr_workgroup_id_y 0
		.amdhsa_system_sgpr_workgroup_id_z 0
		.amdhsa_system_sgpr_workgroup_info 0
		.amdhsa_system_vgpr_workitem_id 0
		.amdhsa_next_free_vgpr 100
		.amdhsa_next_free_sgpr 19
		.amdhsa_named_barrier_count 0
		.amdhsa_reserve_vcc 1
		.amdhsa_float_round_mode_32 0
		.amdhsa_float_round_mode_16_64 0
		.amdhsa_float_denorm_mode_32 3
		.amdhsa_float_denorm_mode_16_64 3
		.amdhsa_fp16_overflow 0
		.amdhsa_memory_ordered 1
		.amdhsa_forward_progress 1
		.amdhsa_inst_pref_size 172
		.amdhsa_round_robin_scheduling 0
		.amdhsa_exception_fp_ieee_invalid_op 0
		.amdhsa_exception_fp_denorm_src 0
		.amdhsa_exception_fp_ieee_div_zero 0
		.amdhsa_exception_fp_ieee_overflow 0
		.amdhsa_exception_fp_ieee_underflow 0
		.amdhsa_exception_fp_ieee_inexact 0
		.amdhsa_exception_int_div_zero 0
	.end_amdhsa_kernel
	.section	.text._ZN9rocsolver6v33100L18getri_kernel_smallILi29EdPdEEvT1_iilPiilS4_bb,"axG",@progbits,_ZN9rocsolver6v33100L18getri_kernel_smallILi29EdPdEEvT1_iilPiilS4_bb,comdat
.Lfunc_end28:
	.size	_ZN9rocsolver6v33100L18getri_kernel_smallILi29EdPdEEvT1_iilPiilS4_bb, .Lfunc_end28-_ZN9rocsolver6v33100L18getri_kernel_smallILi29EdPdEEvT1_iilPiilS4_bb
                                        ; -- End function
	.set _ZN9rocsolver6v33100L18getri_kernel_smallILi29EdPdEEvT1_iilPiilS4_bb.num_vgpr, 100
	.set _ZN9rocsolver6v33100L18getri_kernel_smallILi29EdPdEEvT1_iilPiilS4_bb.num_agpr, 0
	.set _ZN9rocsolver6v33100L18getri_kernel_smallILi29EdPdEEvT1_iilPiilS4_bb.numbered_sgpr, 19
	.set _ZN9rocsolver6v33100L18getri_kernel_smallILi29EdPdEEvT1_iilPiilS4_bb.num_named_barrier, 0
	.set _ZN9rocsolver6v33100L18getri_kernel_smallILi29EdPdEEvT1_iilPiilS4_bb.private_seg_size, 240
	.set _ZN9rocsolver6v33100L18getri_kernel_smallILi29EdPdEEvT1_iilPiilS4_bb.uses_vcc, 1
	.set _ZN9rocsolver6v33100L18getri_kernel_smallILi29EdPdEEvT1_iilPiilS4_bb.uses_flat_scratch, 1
	.set _ZN9rocsolver6v33100L18getri_kernel_smallILi29EdPdEEvT1_iilPiilS4_bb.has_dyn_sized_stack, 0
	.set _ZN9rocsolver6v33100L18getri_kernel_smallILi29EdPdEEvT1_iilPiilS4_bb.has_recursion, 0
	.set _ZN9rocsolver6v33100L18getri_kernel_smallILi29EdPdEEvT1_iilPiilS4_bb.has_indirect_call, 0
	.section	.AMDGPU.csdata,"",@progbits
; Kernel info:
; codeLenInByte = 21920
; TotalNumSgprs: 21
; NumVgprs: 100
; ScratchSize: 240
; MemoryBound: 0
; FloatMode: 240
; IeeeMode: 1
; LDSByteSize: 472 bytes/workgroup (compile time only)
; SGPRBlocks: 0
; VGPRBlocks: 6
; NumSGPRsForWavesPerEU: 21
; NumVGPRsForWavesPerEU: 100
; NamedBarCnt: 0
; Occupancy: 9
; WaveLimiterHint : 1
; COMPUTE_PGM_RSRC2:SCRATCH_EN: 1
; COMPUTE_PGM_RSRC2:USER_SGPR: 2
; COMPUTE_PGM_RSRC2:TRAP_HANDLER: 0
; COMPUTE_PGM_RSRC2:TGID_X_EN: 1
; COMPUTE_PGM_RSRC2:TGID_Y_EN: 0
; COMPUTE_PGM_RSRC2:TGID_Z_EN: 0
; COMPUTE_PGM_RSRC2:TIDIG_COMP_CNT: 0
	.section	.text._ZN9rocsolver6v33100L18getri_kernel_smallILi30EdPdEEvT1_iilPiilS4_bb,"axG",@progbits,_ZN9rocsolver6v33100L18getri_kernel_smallILi30EdPdEEvT1_iilPiilS4_bb,comdat
	.globl	_ZN9rocsolver6v33100L18getri_kernel_smallILi30EdPdEEvT1_iilPiilS4_bb ; -- Begin function _ZN9rocsolver6v33100L18getri_kernel_smallILi30EdPdEEvT1_iilPiilS4_bb
	.p2align	8
	.type	_ZN9rocsolver6v33100L18getri_kernel_smallILi30EdPdEEvT1_iilPiilS4_bb,@function
_ZN9rocsolver6v33100L18getri_kernel_smallILi30EdPdEEvT1_iilPiilS4_bb: ; @_ZN9rocsolver6v33100L18getri_kernel_smallILi30EdPdEEvT1_iilPiilS4_bb
; %bb.0:
	s_mov_b32 s2, exec_lo
	v_cmpx_gt_u32_e32 30, v0
	s_cbranch_execz .LBB29_130
; %bb.1:
	s_clause 0x2
	s_load_b32 s2, s[0:1], 0x38
	s_load_b128 s[12:15], s[0:1], 0x10
	s_load_b128 s[4:7], s[0:1], 0x28
	s_getreg_b32 s9, hwreg(HW_REG_IB_STS2, 6, 4)
	s_wait_kmcnt 0x0
	s_bitcmp1_b32 s2, 8
	s_cselect_b32 s18, -1, 0
	s_bfe_u32 s3, ttmp6, 0x4000c
	s_and_b32 s8, ttmp6, 15
	s_add_co_i32 s3, s3, 1
	s_delay_alu instid0(SALU_CYCLE_1) | instskip(NEXT) | instid1(SALU_CYCLE_1)
	s_mul_i32 s3, ttmp9, s3
	s_add_co_i32 s8, s8, s3
	s_cmp_eq_u32 s9, 0
	s_cselect_b32 s16, ttmp9, s8
	s_bfe_u32 s2, s2, 0x10008
	s_ashr_i32 s17, s16, 31
	s_cmp_eq_u32 s2, 0
                                        ; implicit-def: $sgpr2_sgpr3
	s_cbranch_scc1 .LBB29_3
; %bb.2:
	s_load_b32 s2, s[0:1], 0x20
	s_mul_u64 s[4:5], s[4:5], s[16:17]
	s_delay_alu instid0(SALU_CYCLE_1) | instskip(NEXT) | instid1(SALU_CYCLE_1)
	s_lshl_b64 s[4:5], s[4:5], 2
	s_add_nc_u64 s[4:5], s[14:15], s[4:5]
	s_wait_kmcnt 0x0
	s_ashr_i32 s3, s2, 31
	s_delay_alu instid0(SALU_CYCLE_1) | instskip(NEXT) | instid1(SALU_CYCLE_1)
	s_lshl_b64 s[2:3], s[2:3], 2
	s_add_nc_u64 s[2:3], s[4:5], s[2:3]
.LBB29_3:
	s_clause 0x1
	s_load_b128 s[8:11], s[0:1], 0x0
	s_load_b32 s14, s[0:1], 0x38
	s_wait_xcnt 0x0
	s_mul_u64 s[0:1], s[12:13], s[16:17]
	v_lshlrev_b32_e32 v2, 3, v0
	s_lshl_b64 s[0:1], s[0:1], 3
	v_mov_b32_e32 v3, 0
	s_wait_kmcnt 0x0
	v_add3_u32 v8, s11, s11, v0
	s_ashr_i32 s5, s10, 31
	s_mov_b32 s4, s10
	s_add_nc_u64 s[0:1], s[8:9], s[0:1]
	s_lshl_b64 s[4:5], s[4:5], 3
	v_add_nc_u32_e32 v10, s11, v8
	s_add_nc_u64 s[4:5], s[0:1], s[4:5]
	s_ashr_i32 s1, s11, 31
	s_mov_b32 s0, s11
	s_bitcmp0_b32 s14, 0
	v_add_nc_u32_e32 v12, s11, v10
	v_add_nc_u64_e32 v[4:5], s[4:5], v[2:3]
	s_delay_alu instid0(VALU_DEP_2) | instskip(NEXT) | instid1(VALU_DEP_2)
	v_add_nc_u32_e32 v14, s11, v12
	v_lshl_add_u64 v[6:7], s[0:1], 3, v[4:5]
	s_mov_b32 s1, -1
	s_delay_alu instid0(VALU_DEP_2)
	v_add_nc_u32_e32 v16, s11, v14
	s_clause 0x5
	global_load_b64 v[58:59], v0, s[4:5] scale_offset
	global_load_b64 v[60:61], v[6:7], off
	global_load_b64 v[62:63], v8, s[4:5] scale_offset
	global_load_b64 v[64:65], v10, s[4:5] scale_offset
	;; [unrolled: 1-line block ×4, first 2 shown]
	v_add_nc_u32_e32 v18, s11, v16
	s_delay_alu instid0(VALU_DEP_1) | instskip(NEXT) | instid1(VALU_DEP_1)
	v_add_nc_u32_e32 v20, s11, v18
	v_add_nc_u32_e32 v22, s11, v20
	s_delay_alu instid0(VALU_DEP_1) | instskip(NEXT) | instid1(VALU_DEP_1)
	v_add_nc_u32_e32 v24, s11, v22
	v_add_nc_u32_e32 v26, s11, v24
	s_delay_alu instid0(VALU_DEP_1)
	v_add_nc_u32_e32 v28, s11, v26
	s_clause 0x5
	global_load_b64 v[70:71], v16, s[4:5] scale_offset
	global_load_b64 v[72:73], v18, s[4:5] scale_offset
	;; [unrolled: 1-line block ×6, first 2 shown]
	v_add_nc_u32_e32 v30, s11, v28
	s_delay_alu instid0(VALU_DEP_1) | instskip(NEXT) | instid1(VALU_DEP_1)
	v_add_nc_u32_e32 v32, s11, v30
	v_add_nc_u32_e32 v34, s11, v32
	s_delay_alu instid0(VALU_DEP_1) | instskip(NEXT) | instid1(VALU_DEP_1)
	v_add_nc_u32_e32 v36, s11, v34
	v_add_nc_u32_e32 v38, s11, v36
	s_delay_alu instid0(VALU_DEP_1)
	v_add_nc_u32_e32 v40, s11, v38
	s_clause 0x3
	global_load_b64 v[82:83], v28, s[4:5] scale_offset
	global_load_b64 v[84:85], v30, s[4:5] scale_offset
	global_load_b64 v[86:87], v32, s[4:5] scale_offset
	global_load_b64 v[88:89], v34, s[4:5] scale_offset
	v_add_nc_u32_e32 v42, s11, v40
	s_delay_alu instid0(VALU_DEP_1) | instskip(NEXT) | instid1(VALU_DEP_1)
	v_add_nc_u32_e32 v44, s11, v42
	v_add_nc_u32_e32 v46, s11, v44
	s_delay_alu instid0(VALU_DEP_1) | instskip(NEXT) | instid1(VALU_DEP_1)
	v_add_nc_u32_e32 v48, s11, v46
	;; [unrolled: 3-line block ×3, first 2 shown]
	v_add_nc_u32_e32 v54, s11, v52
	s_delay_alu instid0(VALU_DEP_1)
	v_add_nc_u32_e32 v56, s11, v54
	s_wait_loadcnt 0xe
	scratch_store_b128 off, v[58:61], off
	s_wait_xcnt 0x0
	v_add_nc_u32_e32 v58, s11, v56
	s_clause 0x1
	global_load_b64 v[90:91], v36, s[4:5] scale_offset
	global_load_b64 v[92:93], v38, s[4:5] scale_offset
	s_wait_loadcnt 0xe
	scratch_store_b128 off, v[62:65], off offset:16
	s_wait_loadcnt 0xc
	scratch_store_b128 off, v[66:69], off offset:32
	s_clause 0x3
	global_load_b64 v[64:65], v40, s[4:5] scale_offset
	global_load_b64 v[66:67], v42, s[4:5] scale_offset
	;; [unrolled: 1-line block ×4, first 2 shown]
	v_add_nc_u32_e32 v60, s11, v58
	s_delay_alu instid0(VALU_DEP_1)
	v_add_nc_u32_e32 v62, s11, v60
	s_wait_loadcnt 0xe
	scratch_store_b128 off, v[70:73], off offset:48
	s_wait_loadcnt 0xc
	scratch_store_b128 off, v[74:77], off offset:64
	;; [unrolled: 2-line block ×3, first 2 shown]
	s_clause 0x3
	global_load_b64 v[68:69], v48, s[4:5] scale_offset
	global_load_b64 v[70:71], v50, s[4:5] scale_offset
	global_load_b64 v[72:73], v52, s[4:5] scale_offset
	global_load_b64 v[74:75], v54, s[4:5] scale_offset
	s_wait_loadcnt 0xc
	scratch_store_b128 off, v[82:85], off offset:96
	s_clause 0x1
	global_load_b64 v[76:77], v56, s[4:5] scale_offset
	global_load_b64 v[78:79], v58, s[4:5] scale_offset
	s_wait_loadcnt 0xc
	scratch_store_b128 off, v[86:89], off offset:112
	s_clause 0x1
	global_load_b64 v[80:81], v60, s[4:5] scale_offset
	global_load_b64 v[82:83], v62, s[4:5] scale_offset
	s_wait_loadcnt 0xc
	scratch_store_b128 off, v[90:93], off offset:128
	s_wait_loadcnt 0xa
	scratch_store_b128 off, v[64:67], off offset:144
	;; [unrolled: 2-line block ×7, first 2 shown]
	s_cbranch_scc1 .LBB29_128
; %bb.4:
	v_cmp_eq_u32_e64 s0, 0, v0
	s_wait_xcnt 0x0
	s_and_saveexec_b32 s1, s0
; %bb.5:
	v_mov_b32_e32 v1, 0
	ds_store_b32 v1, v1 offset:480
; %bb.6:
	s_or_b32 exec_lo, exec_lo, s1
	s_wait_storecnt_dscnt 0x0
	s_barrier_signal -1
	s_barrier_wait -1
	scratch_load_b64 v[64:65], v0, off scale_offset
	s_mov_b32 s8, exec_lo
	s_wait_loadcnt 0x0
	v_cmpx_eq_f64_e32 0, v[64:65]
	s_cbranch_execz .LBB29_10
; %bb.7:
	v_mov_b32_e32 v1, 0
	s_mov_b32 s9, 0
	ds_load_b32 v3, v1 offset:480
	s_wait_dscnt 0x0
	v_readfirstlane_b32 s1, v3
	v_add_nc_u32_e32 v3, 1, v0
	s_cmp_eq_u32 s1, 0
	s_delay_alu instid0(VALU_DEP_1) | instskip(SKIP_1) | instid1(SALU_CYCLE_1)
	v_cmp_gt_i32_e32 vcc_lo, s1, v3
	s_cselect_b32 s10, -1, 0
	s_or_b32 s10, s10, vcc_lo
	s_delay_alu instid0(SALU_CYCLE_1)
	s_and_b32 exec_lo, exec_lo, s10
	s_cbranch_execz .LBB29_10
; %bb.8:
	v_mov_b32_e32 v9, s1
.LBB29_9:                               ; =>This Inner Loop Header: Depth=1
	ds_cmpstore_rtn_b32 v9, v1, v3, v9 offset:480
	s_wait_dscnt 0x0
	v_cmp_ne_u32_e32 vcc_lo, 0, v9
	v_cmp_le_i32_e64 s1, v9, v3
	s_and_b32 s1, vcc_lo, s1
	s_delay_alu instid0(SALU_CYCLE_1) | instskip(NEXT) | instid1(SALU_CYCLE_1)
	s_and_b32 s1, exec_lo, s1
	s_or_b32 s9, s1, s9
	s_delay_alu instid0(SALU_CYCLE_1)
	s_and_not1_b32 exec_lo, exec_lo, s9
	s_cbranch_execnz .LBB29_9
.LBB29_10:
	s_or_b32 exec_lo, exec_lo, s8
	v_mov_b32_e32 v1, 0
	s_barrier_signal -1
	s_barrier_wait -1
	ds_load_b32 v3, v1 offset:480
	s_and_saveexec_b32 s1, s0
	s_cbranch_execz .LBB29_12
; %bb.11:
	s_lshl_b64 s[8:9], s[16:17], 2
	s_delay_alu instid0(SALU_CYCLE_1)
	s_add_nc_u64 s[8:9], s[6:7], s[8:9]
	s_wait_dscnt 0x0
	global_store_b32 v1, v3, s[8:9]
.LBB29_12:
	s_wait_xcnt 0x0
	s_or_b32 exec_lo, exec_lo, s1
	s_wait_dscnt 0x0
	v_cmp_ne_u32_e32 vcc_lo, 0, v3
	s_mov_b32 s1, 0
	s_cbranch_vccnz .LBB29_128
; %bb.13:
	v_lshl_add_u32 v3, v0, 3, 0
	v_add_nc_u32_e32 v1, 0xf0, v2
	scratch_load_b64 v[64:65], v3, off
	s_wait_loadcnt 0x0
	v_div_scale_f64 v[66:67], null, v[64:65], v[64:65], 1.0
	v_div_scale_f64 v[72:73], vcc_lo, 1.0, v[64:65], 1.0
	s_delay_alu instid0(VALU_DEP_2) | instskip(SKIP_1) | instid1(TRANS32_DEP_1)
	v_rcp_f64_e32 v[68:69], v[66:67]
	v_nop
	v_fma_f64 v[70:71], -v[66:67], v[68:69], 1.0
	s_delay_alu instid0(VALU_DEP_1) | instskip(NEXT) | instid1(VALU_DEP_1)
	v_fmac_f64_e32 v[68:69], v[68:69], v[70:71]
	v_fma_f64 v[70:71], -v[66:67], v[68:69], 1.0
	s_delay_alu instid0(VALU_DEP_1) | instskip(NEXT) | instid1(VALU_DEP_1)
	v_fmac_f64_e32 v[68:69], v[68:69], v[70:71]
	v_mul_f64_e32 v[70:71], v[72:73], v[68:69]
	s_delay_alu instid0(VALU_DEP_1) | instskip(NEXT) | instid1(VALU_DEP_1)
	v_fma_f64 v[66:67], -v[66:67], v[70:71], v[72:73]
	v_div_fmas_f64 v[66:67], v[66:67], v[68:69], v[70:71]
	s_delay_alu instid0(VALU_DEP_1)
	v_div_fixup_f64 v[64:65], v[66:67], v[64:65], 1.0
	scratch_store_b64 v3, v[64:65], off
	scratch_load_b64 v[66:67], off, off offset:8
	s_wait_xcnt 0x1
	v_xor_b32_e32 v65, 0x80000000, v65
	s_wait_loadcnt 0x0
	ds_store_2addr_b64 v2, v[64:65], v[66:67] offset1:30
	s_wait_storecnt_dscnt 0x0
	s_barrier_signal -1
	s_barrier_wait -1
	s_wait_xcnt 0x0
	s_and_saveexec_b32 s1, s0
	s_cbranch_execz .LBB29_15
; %bb.14:
	scratch_load_b64 v[64:65], v3, off
	ds_load_b64 v[66:67], v1
	s_wait_loadcnt_dscnt 0x0
	v_fma_f64 v[64:65], v[64:65], v[66:67], 0
	v_mov_b32_e32 v9, 0
	ds_load_b64 v[68:69], v9 offset:8
	s_wait_dscnt 0x0
	v_mul_f64_e32 v[64:65], v[64:65], v[68:69]
	scratch_store_b64 off, v[64:65], off offset:8
.LBB29_15:
	s_wait_xcnt 0x0
	s_or_b32 exec_lo, exec_lo, s1
	s_wait_storecnt 0x0
	s_barrier_signal -1
	s_barrier_wait -1
	scratch_load_b64 v[64:65], off, off offset:16
	s_mov_b32 s1, exec_lo
	s_wait_loadcnt 0x0
	ds_store_b64 v1, v[64:65]
	s_wait_dscnt 0x0
	s_barrier_signal -1
	s_barrier_wait -1
	v_cmpx_gt_u32_e32 2, v0
	s_cbranch_execz .LBB29_19
; %bb.16:
	scratch_load_b64 v[64:65], v3, off
	ds_load_b64 v[66:67], v1
	s_wait_loadcnt_dscnt 0x0
	v_fma_f64 v[64:65], v[64:65], v[66:67], 0
	s_and_saveexec_b32 s8, s0
	s_cbranch_execz .LBB29_18
; %bb.17:
	scratch_load_b64 v[66:67], off, off offset:8
	v_mov_b32_e32 v3, 0
	ds_load_b64 v[68:69], v3 offset:248
	s_wait_loadcnt_dscnt 0x0
	v_fmac_f64_e32 v[64:65], v[66:67], v[68:69]
.LBB29_18:
	s_or_b32 exec_lo, exec_lo, s8
	v_mov_b32_e32 v3, 0
	ds_load_b64 v[66:67], v3 offset:16
	s_wait_dscnt 0x0
	v_mul_f64_e32 v[64:65], v[64:65], v[66:67]
	scratch_store_b64 off, v[64:65], off offset:16
.LBB29_19:
	s_wait_xcnt 0x0
	s_or_b32 exec_lo, exec_lo, s1
	s_wait_storecnt 0x0
	s_barrier_signal -1
	s_barrier_wait -1
	scratch_load_b64 v[64:65], off, off offset:24
	v_add_nc_u32_e32 v3, -1, v0
	s_mov_b32 s0, exec_lo
	s_wait_loadcnt 0x0
	ds_store_b64 v1, v[64:65]
	s_wait_dscnt 0x0
	s_barrier_signal -1
	s_barrier_wait -1
	v_cmpx_gt_u32_e32 3, v0
	s_cbranch_execz .LBB29_23
; %bb.20:
	v_mov_b64_e32 v[64:65], 0
	v_dual_add_nc_u32 v9, -1, v0 :: v_dual_mov_b32 v13, v2
	v_add_nc_u32_e32 v11, 0xf0, v2
	s_mov_b32 s1, 0
.LBB29_21:                              ; =>This Inner Loop Header: Depth=1
	scratch_load_b64 v[66:67], v13, off
	ds_load_b64 v[68:69], v11
	v_dual_add_nc_u32 v9, 1, v9 :: v_dual_add_nc_u32 v11, 8, v11
	s_wait_xcnt 0x0
	v_add_nc_u32_e32 v13, 8, v13
	s_delay_alu instid0(VALU_DEP_2)
	v_cmp_lt_u32_e32 vcc_lo, 1, v9
	s_or_b32 s1, vcc_lo, s1
	s_wait_loadcnt_dscnt 0x0
	v_fmac_f64_e32 v[64:65], v[66:67], v[68:69]
	s_and_not1_b32 exec_lo, exec_lo, s1
	s_cbranch_execnz .LBB29_21
; %bb.22:
	s_or_b32 exec_lo, exec_lo, s1
	v_mov_b32_e32 v9, 0
	ds_load_b64 v[66:67], v9 offset:24
	s_wait_dscnt 0x0
	v_mul_f64_e32 v[64:65], v[64:65], v[66:67]
	scratch_store_b64 off, v[64:65], off offset:24
.LBB29_23:
	s_wait_xcnt 0x0
	s_or_b32 exec_lo, exec_lo, s0
	s_wait_storecnt 0x0
	s_barrier_signal -1
	s_barrier_wait -1
	scratch_load_b64 v[64:65], off, off offset:32
	s_mov_b32 s0, exec_lo
	s_wait_loadcnt 0x0
	ds_store_b64 v1, v[64:65]
	s_wait_dscnt 0x0
	s_barrier_signal -1
	s_barrier_wait -1
	v_cmpx_gt_u32_e32 4, v0
	s_cbranch_execz .LBB29_27
; %bb.24:
	v_mov_b64_e32 v[64:65], 0
	v_dual_add_nc_u32 v9, -1, v0 :: v_dual_mov_b32 v13, v2
	v_add_nc_u32_e32 v11, 0xf0, v2
	s_mov_b32 s1, 0
.LBB29_25:                              ; =>This Inner Loop Header: Depth=1
	scratch_load_b64 v[66:67], v13, off
	ds_load_b64 v[68:69], v11
	v_dual_add_nc_u32 v9, 1, v9 :: v_dual_add_nc_u32 v11, 8, v11
	s_wait_xcnt 0x0
	v_add_nc_u32_e32 v13, 8, v13
	s_delay_alu instid0(VALU_DEP_2)
	v_cmp_lt_u32_e32 vcc_lo, 2, v9
	s_or_b32 s1, vcc_lo, s1
	s_wait_loadcnt_dscnt 0x0
	v_fmac_f64_e32 v[64:65], v[66:67], v[68:69]
	s_and_not1_b32 exec_lo, exec_lo, s1
	s_cbranch_execnz .LBB29_25
; %bb.26:
	s_or_b32 exec_lo, exec_lo, s1
	v_mov_b32_e32 v9, 0
	ds_load_b64 v[66:67], v9 offset:32
	s_wait_dscnt 0x0
	v_mul_f64_e32 v[64:65], v[64:65], v[66:67]
	scratch_store_b64 off, v[64:65], off offset:32
.LBB29_27:
	s_wait_xcnt 0x0
	s_or_b32 exec_lo, exec_lo, s0
	s_wait_storecnt 0x0
	s_barrier_signal -1
	s_barrier_wait -1
	scratch_load_b64 v[64:65], off, off offset:40
	;; [unrolled: 40-line block ×20, first 2 shown]
	s_mov_b32 s0, exec_lo
	s_wait_loadcnt 0x0
	ds_store_b64 v1, v[64:65]
	s_wait_dscnt 0x0
	s_barrier_signal -1
	s_barrier_wait -1
	v_cmpx_gt_u32_e32 23, v0
	s_cbranch_execz .LBB29_103
; %bb.100:
	v_mov_b64_e32 v[64:65], 0
	v_dual_add_nc_u32 v9, -1, v0 :: v_dual_mov_b32 v13, v2
	v_add_nc_u32_e32 v11, 0xf0, v2
	s_mov_b32 s1, 0
.LBB29_101:                             ; =>This Inner Loop Header: Depth=1
	scratch_load_b64 v[66:67], v13, off
	ds_load_b64 v[68:69], v11
	v_dual_add_nc_u32 v9, 1, v9 :: v_dual_add_nc_u32 v11, 8, v11
	s_wait_xcnt 0x0
	v_add_nc_u32_e32 v13, 8, v13
	s_delay_alu instid0(VALU_DEP_2)
	v_cmp_lt_u32_e32 vcc_lo, 21, v9
	s_or_b32 s1, vcc_lo, s1
	s_wait_loadcnt_dscnt 0x0
	v_fmac_f64_e32 v[64:65], v[66:67], v[68:69]
	s_and_not1_b32 exec_lo, exec_lo, s1
	s_cbranch_execnz .LBB29_101
; %bb.102:
	s_or_b32 exec_lo, exec_lo, s1
	v_mov_b32_e32 v9, 0
	ds_load_b64 v[66:67], v9 offset:184
	s_wait_dscnt 0x0
	v_mul_f64_e32 v[64:65], v[64:65], v[66:67]
	scratch_store_b64 off, v[64:65], off offset:184
.LBB29_103:
	s_wait_xcnt 0x0
	s_or_b32 exec_lo, exec_lo, s0
	s_wait_storecnt 0x0
	s_barrier_signal -1
	s_barrier_wait -1
	scratch_load_b64 v[64:65], off, off offset:192
	s_mov_b32 s0, exec_lo
	s_wait_loadcnt 0x0
	ds_store_b64 v1, v[64:65]
	s_wait_dscnt 0x0
	s_barrier_signal -1
	s_barrier_wait -1
	v_cmpx_gt_u32_e32 24, v0
	s_cbranch_execz .LBB29_107
; %bb.104:
	v_mov_b64_e32 v[64:65], 0
	v_dual_add_nc_u32 v9, -1, v0 :: v_dual_mov_b32 v13, v2
	v_add_nc_u32_e32 v11, 0xf0, v2
	s_mov_b32 s1, 0
.LBB29_105:                             ; =>This Inner Loop Header: Depth=1
	scratch_load_b64 v[66:67], v13, off
	ds_load_b64 v[68:69], v11
	v_dual_add_nc_u32 v9, 1, v9 :: v_dual_add_nc_u32 v11, 8, v11
	s_wait_xcnt 0x0
	v_add_nc_u32_e32 v13, 8, v13
	s_delay_alu instid0(VALU_DEP_2)
	v_cmp_lt_u32_e32 vcc_lo, 22, v9
	s_or_b32 s1, vcc_lo, s1
	s_wait_loadcnt_dscnt 0x0
	v_fmac_f64_e32 v[64:65], v[66:67], v[68:69]
	s_and_not1_b32 exec_lo, exec_lo, s1
	s_cbranch_execnz .LBB29_105
; %bb.106:
	s_or_b32 exec_lo, exec_lo, s1
	v_mov_b32_e32 v9, 0
	ds_load_b64 v[66:67], v9 offset:192
	s_wait_dscnt 0x0
	v_mul_f64_e32 v[64:65], v[64:65], v[66:67]
	scratch_store_b64 off, v[64:65], off offset:192
.LBB29_107:
	s_wait_xcnt 0x0
	s_or_b32 exec_lo, exec_lo, s0
	s_wait_storecnt 0x0
	s_barrier_signal -1
	s_barrier_wait -1
	scratch_load_b64 v[64:65], off, off offset:200
	;; [unrolled: 40-line block ×6, first 2 shown]
	s_mov_b32 s0, exec_lo
	s_wait_loadcnt 0x0
	ds_store_b64 v1, v[64:65]
	s_wait_dscnt 0x0
	s_barrier_signal -1
	s_barrier_wait -1
	v_cmpx_ne_u32_e32 29, v0
	s_cbranch_execz .LBB29_127
; %bb.124:
	v_mov_b64_e32 v[64:65], 0
	s_mov_b32 s1, 0
.LBB29_125:                             ; =>This Inner Loop Header: Depth=1
	scratch_load_b64 v[66:67], v2, off
	ds_load_b64 v[68:69], v1
	v_dual_add_nc_u32 v3, 1, v3 :: v_dual_add_nc_u32 v1, 8, v1
	s_wait_xcnt 0x0
	v_add_nc_u32_e32 v2, 8, v2
	s_delay_alu instid0(VALU_DEP_2)
	v_cmp_lt_u32_e32 vcc_lo, 27, v3
	s_or_b32 s1, vcc_lo, s1
	s_wait_loadcnt_dscnt 0x0
	v_fmac_f64_e32 v[64:65], v[66:67], v[68:69]
	s_and_not1_b32 exec_lo, exec_lo, s1
	s_cbranch_execnz .LBB29_125
; %bb.126:
	s_or_b32 exec_lo, exec_lo, s1
	v_mov_b32_e32 v1, 0
	ds_load_b64 v[2:3], v1 offset:232
	s_wait_dscnt 0x0
	v_mul_f64_e32 v[2:3], v[64:65], v[2:3]
	scratch_store_b64 off, v[2:3], off offset:232
.LBB29_127:
	s_wait_xcnt 0x0
	s_or_b32 exec_lo, exec_lo, s0
	s_mov_b32 s1, -1
	s_wait_storecnt 0x0
	s_barrier_signal -1
	s_barrier_wait -1
.LBB29_128:
	s_and_b32 vcc_lo, exec_lo, s1
	s_cbranch_vccz .LBB29_130
; %bb.129:
	v_mov_b32_e32 v1, 0
	s_lshl_b64 s[0:1], s[16:17], 2
	s_delay_alu instid0(SALU_CYCLE_1)
	s_add_nc_u64 s[0:1], s[6:7], s[0:1]
	global_load_b32 v1, v1, s[0:1]
	s_wait_loadcnt 0x0
	v_cmp_ne_u32_e32 vcc_lo, 0, v1
	s_cbranch_vccz .LBB29_131
.LBB29_130:
	s_sendmsg sendmsg(MSG_DEALLOC_VGPRS)
	s_endpgm
.LBB29_131:
	s_wait_xcnt 0x0
	v_lshl_add_u32 v1, v0, 3, 0xf0
	s_mov_b32 s0, exec_lo
	v_cmpx_eq_u32_e32 29, v0
	s_cbranch_execz .LBB29_133
; %bb.132:
	scratch_load_b64 v[2:3], off, off offset:224
	v_mov_b64_e32 v[64:65], 0
	scratch_store_b64 off, v[64:65], off offset:224
	s_wait_loadcnt 0x0
	ds_store_b64 v1, v[2:3]
.LBB29_133:
	s_wait_xcnt 0x0
	s_or_b32 exec_lo, exec_lo, s0
	s_wait_storecnt_dscnt 0x0
	s_barrier_signal -1
	s_barrier_wait -1
	scratch_load_b128 v[64:67], off, off offset:224
	v_mov_b32_e32 v2, 0
	s_mov_b32 s0, exec_lo
	ds_load_b64 v[68:69], v2 offset:472
	s_wait_loadcnt_dscnt 0x0
	v_fma_f64 v[66:67], v[66:67], v[68:69], 0
	s_delay_alu instid0(VALU_DEP_1)
	v_add_f64_e64 v[64:65], v[64:65], -v[66:67]
	scratch_store_b64 off, v[64:65], off offset:224
	s_wait_xcnt 0x0
	v_cmpx_lt_u32_e32 27, v0
	s_cbranch_execz .LBB29_135
; %bb.134:
	scratch_load_b64 v[64:65], off, off offset:216
	v_mov_b64_e32 v[66:67], 0
	scratch_store_b64 off, v[66:67], off offset:216
	s_wait_loadcnt 0x0
	ds_store_b64 v1, v[64:65]
.LBB29_135:
	s_wait_xcnt 0x0
	s_or_b32 exec_lo, exec_lo, s0
	s_wait_storecnt_dscnt 0x0
	s_barrier_signal -1
	s_barrier_wait -1
	s_clause 0x1
	scratch_load_b128 v[64:67], off, off offset:216
	scratch_load_b64 v[72:73], off, off offset:232
	ds_load_b128 v[68:71], v2 offset:464
	s_mov_b32 s0, exec_lo
	s_wait_loadcnt_dscnt 0x100
	v_fma_f64 v[2:3], v[66:67], v[68:69], 0
	s_wait_loadcnt 0x0
	s_delay_alu instid0(VALU_DEP_1) | instskip(NEXT) | instid1(VALU_DEP_1)
	v_fmac_f64_e32 v[2:3], v[72:73], v[70:71]
	v_add_f64_e64 v[2:3], v[64:65], -v[2:3]
	scratch_store_b64 off, v[2:3], off offset:216
	s_wait_xcnt 0x0
	v_cmpx_lt_u32_e32 26, v0
	s_cbranch_execz .LBB29_137
; %bb.136:
	scratch_load_b64 v[2:3], off, off offset:208
	v_mov_b64_e32 v[64:65], 0
	scratch_store_b64 off, v[64:65], off offset:208
	s_wait_loadcnt 0x0
	ds_store_b64 v1, v[2:3]
.LBB29_137:
	s_wait_xcnt 0x0
	s_or_b32 exec_lo, exec_lo, s0
	s_wait_storecnt_dscnt 0x0
	s_barrier_signal -1
	s_barrier_wait -1
	s_clause 0x1
	scratch_load_b128 v[64:67], off, off offset:208
	scratch_load_b128 v[68:71], off, off offset:224
	v_mov_b32_e32 v2, 0
	ds_load_2addr_b64 v[72:75], v2 offset0:57 offset1:58
	ds_load_b64 v[76:77], v2 offset:472
	s_mov_b32 s0, exec_lo
	s_wait_loadcnt_dscnt 0x101
	v_fma_f64 v[66:67], v[66:67], v[72:73], 0
	s_wait_loadcnt 0x0
	s_delay_alu instid0(VALU_DEP_1) | instskip(SKIP_1) | instid1(VALU_DEP_1)
	v_fmac_f64_e32 v[66:67], v[68:69], v[74:75]
	s_wait_dscnt 0x0
	v_fmac_f64_e32 v[66:67], v[70:71], v[76:77]
	s_delay_alu instid0(VALU_DEP_1)
	v_add_f64_e64 v[64:65], v[64:65], -v[66:67]
	scratch_store_b64 off, v[64:65], off offset:208
	s_wait_xcnt 0x0
	v_cmpx_lt_u32_e32 25, v0
	s_cbranch_execz .LBB29_139
; %bb.138:
	scratch_load_b64 v[64:65], off, off offset:200
	v_mov_b64_e32 v[66:67], 0
	scratch_store_b64 off, v[66:67], off offset:200
	s_wait_loadcnt 0x0
	ds_store_b64 v1, v[64:65]
.LBB29_139:
	s_wait_xcnt 0x0
	s_or_b32 exec_lo, exec_lo, s0
	s_wait_storecnt_dscnt 0x0
	s_barrier_signal -1
	s_barrier_wait -1
	s_clause 0x2
	scratch_load_b128 v[64:67], off, off offset:200
	scratch_load_b128 v[68:71], off, off offset:216
	scratch_load_b64 v[80:81], off, off offset:232
	ds_load_b128 v[72:75], v2 offset:448
	ds_load_b128 v[76:79], v2 offset:464
	s_mov_b32 s0, exec_lo
	s_wait_loadcnt_dscnt 0x201
	v_fma_f64 v[2:3], v[66:67], v[72:73], 0
	s_wait_loadcnt 0x1
	s_delay_alu instid0(VALU_DEP_1) | instskip(SKIP_1) | instid1(VALU_DEP_1)
	v_fmac_f64_e32 v[2:3], v[68:69], v[74:75]
	s_wait_dscnt 0x0
	v_fmac_f64_e32 v[2:3], v[70:71], v[76:77]
	s_wait_loadcnt 0x0
	s_delay_alu instid0(VALU_DEP_1) | instskip(NEXT) | instid1(VALU_DEP_1)
	v_fmac_f64_e32 v[2:3], v[80:81], v[78:79]
	v_add_f64_e64 v[2:3], v[64:65], -v[2:3]
	scratch_store_b64 off, v[2:3], off offset:200
	s_wait_xcnt 0x0
	v_cmpx_lt_u32_e32 24, v0
	s_cbranch_execz .LBB29_141
; %bb.140:
	scratch_load_b64 v[2:3], off, off offset:192
	v_mov_b64_e32 v[64:65], 0
	scratch_store_b64 off, v[64:65], off offset:192
	s_wait_loadcnt 0x0
	ds_store_b64 v1, v[2:3]
.LBB29_141:
	s_wait_xcnt 0x0
	s_or_b32 exec_lo, exec_lo, s0
	s_wait_storecnt_dscnt 0x0
	s_barrier_signal -1
	s_barrier_wait -1
	s_clause 0x2
	scratch_load_b128 v[64:67], off, off offset:192
	scratch_load_b128 v[68:71], off, off offset:208
	;; [unrolled: 1-line block ×3, first 2 shown]
	v_mov_b32_e32 v2, 0
	ds_load_2addr_b64 v[76:79], v2 offset0:55 offset1:56
	ds_load_2addr_b64 v[80:83], v2 offset0:57 offset1:58
	s_mov_b32 s0, exec_lo
	s_wait_loadcnt_dscnt 0x201
	v_fma_f64 v[66:67], v[66:67], v[76:77], 0
	s_wait_loadcnt 0x1
	s_delay_alu instid0(VALU_DEP_1) | instskip(SKIP_4) | instid1(VALU_DEP_1)
	v_fmac_f64_e32 v[66:67], v[68:69], v[78:79]
	ds_load_b64 v[68:69], v2 offset:472
	s_wait_dscnt 0x1
	v_fmac_f64_e32 v[66:67], v[70:71], v[80:81]
	s_wait_loadcnt 0x0
	v_fmac_f64_e32 v[66:67], v[72:73], v[82:83]
	s_wait_dscnt 0x0
	s_delay_alu instid0(VALU_DEP_1) | instskip(NEXT) | instid1(VALU_DEP_1)
	v_fmac_f64_e32 v[66:67], v[74:75], v[68:69]
	v_add_f64_e64 v[64:65], v[64:65], -v[66:67]
	scratch_store_b64 off, v[64:65], off offset:192
	s_wait_xcnt 0x0
	v_cmpx_lt_u32_e32 23, v0
	s_cbranch_execz .LBB29_143
; %bb.142:
	scratch_load_b64 v[64:65], off, off offset:184
	v_mov_b64_e32 v[66:67], 0
	scratch_store_b64 off, v[66:67], off offset:184
	s_wait_loadcnt 0x0
	ds_store_b64 v1, v[64:65]
.LBB29_143:
	s_wait_xcnt 0x0
	s_or_b32 exec_lo, exec_lo, s0
	s_wait_storecnt_dscnt 0x0
	s_barrier_signal -1
	s_barrier_wait -1
	s_clause 0x3
	scratch_load_b128 v[64:67], off, off offset:184
	scratch_load_b128 v[68:71], off, off offset:200
	;; [unrolled: 1-line block ×3, first 2 shown]
	scratch_load_b64 v[84:85], off, off offset:232
	ds_load_b128 v[76:79], v2 offset:432
	ds_load_b128 v[80:83], v2 offset:448
	s_mov_b32 s0, exec_lo
	s_wait_loadcnt_dscnt 0x301
	v_fma_f64 v[76:77], v[66:67], v[76:77], 0
	s_wait_loadcnt 0x2
	s_delay_alu instid0(VALU_DEP_1) | instskip(SKIP_4) | instid1(VALU_DEP_1)
	v_fmac_f64_e32 v[76:77], v[68:69], v[78:79]
	ds_load_b128 v[66:69], v2 offset:464
	s_wait_dscnt 0x1
	v_fmac_f64_e32 v[76:77], v[70:71], v[80:81]
	s_wait_loadcnt 0x1
	v_fmac_f64_e32 v[76:77], v[72:73], v[82:83]
	s_wait_dscnt 0x0
	s_delay_alu instid0(VALU_DEP_1) | instskip(SKIP_1) | instid1(VALU_DEP_1)
	v_fmac_f64_e32 v[76:77], v[74:75], v[66:67]
	s_wait_loadcnt 0x0
	v_fmac_f64_e32 v[76:77], v[84:85], v[68:69]
	s_delay_alu instid0(VALU_DEP_1)
	v_add_f64_e64 v[2:3], v[64:65], -v[76:77]
	scratch_store_b64 off, v[2:3], off offset:184
	s_wait_xcnt 0x0
	v_cmpx_lt_u32_e32 22, v0
	s_cbranch_execz .LBB29_145
; %bb.144:
	scratch_load_b64 v[2:3], off, off offset:176
	v_mov_b64_e32 v[64:65], 0
	scratch_store_b64 off, v[64:65], off offset:176
	s_wait_loadcnt 0x0
	ds_store_b64 v1, v[2:3]
.LBB29_145:
	s_wait_xcnt 0x0
	s_or_b32 exec_lo, exec_lo, s0
	s_wait_storecnt_dscnt 0x0
	s_barrier_signal -1
	s_barrier_wait -1
	s_clause 0x3
	scratch_load_b128 v[64:67], off, off offset:176
	scratch_load_b128 v[68:71], off, off offset:192
	;; [unrolled: 1-line block ×4, first 2 shown]
	v_mov_b32_e32 v2, 0
	ds_load_2addr_b64 v[80:83], v2 offset0:53 offset1:54
	ds_load_2addr_b64 v[84:87], v2 offset0:55 offset1:56
	s_mov_b32 s0, exec_lo
	s_wait_loadcnt_dscnt 0x301
	v_fma_f64 v[80:81], v[66:67], v[80:81], 0
	s_wait_loadcnt 0x2
	s_delay_alu instid0(VALU_DEP_1) | instskip(SKIP_1) | instid1(VALU_DEP_1)
	v_fmac_f64_e32 v[80:81], v[68:69], v[82:83]
	s_wait_dscnt 0x0
	v_fmac_f64_e32 v[80:81], v[70:71], v[84:85]
	ds_load_2addr_b64 v[66:69], v2 offset0:57 offset1:58
	ds_load_b64 v[70:71], v2 offset:472
	s_wait_loadcnt 0x1
	v_fmac_f64_e32 v[80:81], v[72:73], v[86:87]
	s_wait_dscnt 0x1
	s_delay_alu instid0(VALU_DEP_1) | instskip(SKIP_1) | instid1(VALU_DEP_1)
	v_fmac_f64_e32 v[80:81], v[74:75], v[66:67]
	s_wait_loadcnt 0x0
	v_fmac_f64_e32 v[80:81], v[76:77], v[68:69]
	s_wait_dscnt 0x0
	s_delay_alu instid0(VALU_DEP_1) | instskip(NEXT) | instid1(VALU_DEP_1)
	v_fmac_f64_e32 v[80:81], v[78:79], v[70:71]
	v_add_f64_e64 v[64:65], v[64:65], -v[80:81]
	scratch_store_b64 off, v[64:65], off offset:176
	s_wait_xcnt 0x0
	v_cmpx_lt_u32_e32 21, v0
	s_cbranch_execz .LBB29_147
; %bb.146:
	scratch_load_b64 v[64:65], off, off offset:168
	v_mov_b64_e32 v[66:67], 0
	scratch_store_b64 off, v[66:67], off offset:168
	s_wait_loadcnt 0x0
	ds_store_b64 v1, v[64:65]
.LBB29_147:
	s_wait_xcnt 0x0
	s_or_b32 exec_lo, exec_lo, s0
	s_wait_storecnt_dscnt 0x0
	s_barrier_signal -1
	s_barrier_wait -1
	s_clause 0x4
	scratch_load_b128 v[64:67], off, off offset:168
	scratch_load_b128 v[68:71], off, off offset:184
	;; [unrolled: 1-line block ×4, first 2 shown]
	scratch_load_b64 v[88:89], off, off offset:232
	ds_load_b128 v[80:83], v2 offset:416
	ds_load_b128 v[84:87], v2 offset:432
	s_mov_b32 s0, exec_lo
	s_wait_loadcnt_dscnt 0x401
	v_fma_f64 v[80:81], v[66:67], v[80:81], 0
	s_wait_loadcnt 0x3
	s_delay_alu instid0(VALU_DEP_1) | instskip(SKIP_1) | instid1(VALU_DEP_1)
	v_fmac_f64_e32 v[80:81], v[68:69], v[82:83]
	s_wait_dscnt 0x0
	v_fmac_f64_e32 v[80:81], v[70:71], v[84:85]
	s_wait_loadcnt 0x2
	s_delay_alu instid0(VALU_DEP_1)
	v_fmac_f64_e32 v[80:81], v[72:73], v[86:87]
	ds_load_b128 v[66:69], v2 offset:448
	ds_load_b128 v[70:73], v2 offset:464
	s_wait_dscnt 0x1
	v_fmac_f64_e32 v[80:81], v[74:75], v[66:67]
	s_wait_loadcnt 0x1
	s_delay_alu instid0(VALU_DEP_1) | instskip(SKIP_1) | instid1(VALU_DEP_1)
	v_fmac_f64_e32 v[80:81], v[76:77], v[68:69]
	s_wait_dscnt 0x0
	v_fmac_f64_e32 v[80:81], v[78:79], v[70:71]
	s_wait_loadcnt 0x0
	s_delay_alu instid0(VALU_DEP_1) | instskip(NEXT) | instid1(VALU_DEP_1)
	v_fmac_f64_e32 v[80:81], v[88:89], v[72:73]
	v_add_f64_e64 v[2:3], v[64:65], -v[80:81]
	scratch_store_b64 off, v[2:3], off offset:168
	s_wait_xcnt 0x0
	v_cmpx_lt_u32_e32 20, v0
	s_cbranch_execz .LBB29_149
; %bb.148:
	scratch_load_b64 v[2:3], off, off offset:160
	v_mov_b64_e32 v[64:65], 0
	scratch_store_b64 off, v[64:65], off offset:160
	s_wait_loadcnt 0x0
	ds_store_b64 v1, v[2:3]
.LBB29_149:
	s_wait_xcnt 0x0
	s_or_b32 exec_lo, exec_lo, s0
	s_wait_storecnt_dscnt 0x0
	s_barrier_signal -1
	s_barrier_wait -1
	s_clause 0x4
	scratch_load_b128 v[64:67], off, off offset:160
	scratch_load_b128 v[68:71], off, off offset:176
	;; [unrolled: 1-line block ×5, first 2 shown]
	v_mov_b32_e32 v2, 0
	ds_load_2addr_b64 v[84:87], v2 offset0:51 offset1:52
	ds_load_2addr_b64 v[88:91], v2 offset0:53 offset1:54
	s_mov_b32 s0, exec_lo
	s_wait_loadcnt_dscnt 0x401
	v_fma_f64 v[84:85], v[66:67], v[84:85], 0
	s_wait_loadcnt 0x3
	s_delay_alu instid0(VALU_DEP_1) | instskip(SKIP_1) | instid1(VALU_DEP_1)
	v_fmac_f64_e32 v[84:85], v[68:69], v[86:87]
	s_wait_dscnt 0x0
	v_fmac_f64_e32 v[84:85], v[70:71], v[88:89]
	s_wait_loadcnt 0x2
	s_delay_alu instid0(VALU_DEP_1)
	v_fmac_f64_e32 v[84:85], v[72:73], v[90:91]
	ds_load_2addr_b64 v[66:69], v2 offset0:55 offset1:56
	ds_load_2addr_b64 v[70:73], v2 offset0:57 offset1:58
	s_wait_dscnt 0x1
	v_fmac_f64_e32 v[84:85], v[74:75], v[66:67]
	ds_load_b64 v[66:67], v2 offset:472
	s_wait_loadcnt 0x1
	v_fmac_f64_e32 v[84:85], v[76:77], v[68:69]
	s_wait_dscnt 0x1
	s_delay_alu instid0(VALU_DEP_1) | instskip(SKIP_1) | instid1(VALU_DEP_1)
	v_fmac_f64_e32 v[84:85], v[78:79], v[70:71]
	s_wait_loadcnt 0x0
	v_fmac_f64_e32 v[84:85], v[80:81], v[72:73]
	s_wait_dscnt 0x0
	s_delay_alu instid0(VALU_DEP_1) | instskip(NEXT) | instid1(VALU_DEP_1)
	v_fmac_f64_e32 v[84:85], v[82:83], v[66:67]
	v_add_f64_e64 v[64:65], v[64:65], -v[84:85]
	scratch_store_b64 off, v[64:65], off offset:160
	s_wait_xcnt 0x0
	v_cmpx_lt_u32_e32 19, v0
	s_cbranch_execz .LBB29_151
; %bb.150:
	scratch_load_b64 v[64:65], off, off offset:152
	v_mov_b64_e32 v[66:67], 0
	scratch_store_b64 off, v[66:67], off offset:152
	s_wait_loadcnt 0x0
	ds_store_b64 v1, v[64:65]
.LBB29_151:
	s_wait_xcnt 0x0
	s_or_b32 exec_lo, exec_lo, s0
	s_wait_storecnt_dscnt 0x0
	s_barrier_signal -1
	s_barrier_wait -1
	s_clause 0x5
	scratch_load_b128 v[64:67], off, off offset:152
	scratch_load_b128 v[68:71], off, off offset:168
	;; [unrolled: 1-line block ×5, first 2 shown]
	scratch_load_b64 v[92:93], off, off offset:232
	ds_load_b128 v[84:87], v2 offset:400
	ds_load_b128 v[88:91], v2 offset:416
	s_mov_b32 s0, exec_lo
	s_wait_loadcnt_dscnt 0x501
	v_fma_f64 v[84:85], v[66:67], v[84:85], 0
	s_wait_loadcnt 0x4
	s_delay_alu instid0(VALU_DEP_1) | instskip(SKIP_1) | instid1(VALU_DEP_1)
	v_fmac_f64_e32 v[84:85], v[68:69], v[86:87]
	s_wait_dscnt 0x0
	v_fmac_f64_e32 v[84:85], v[70:71], v[88:89]
	s_wait_loadcnt 0x3
	s_delay_alu instid0(VALU_DEP_1)
	v_fmac_f64_e32 v[84:85], v[72:73], v[90:91]
	ds_load_b128 v[66:69], v2 offset:432
	ds_load_b128 v[70:73], v2 offset:448
	s_wait_dscnt 0x1
	v_fmac_f64_e32 v[84:85], v[74:75], v[66:67]
	s_wait_loadcnt 0x2
	s_delay_alu instid0(VALU_DEP_1) | instskip(SKIP_4) | instid1(VALU_DEP_1)
	v_fmac_f64_e32 v[84:85], v[76:77], v[68:69]
	ds_load_b128 v[66:69], v2 offset:464
	s_wait_dscnt 0x1
	v_fmac_f64_e32 v[84:85], v[78:79], v[70:71]
	s_wait_loadcnt 0x1
	v_fmac_f64_e32 v[84:85], v[80:81], v[72:73]
	s_wait_dscnt 0x0
	s_delay_alu instid0(VALU_DEP_1) | instskip(SKIP_1) | instid1(VALU_DEP_1)
	v_fmac_f64_e32 v[84:85], v[82:83], v[66:67]
	s_wait_loadcnt 0x0
	v_fmac_f64_e32 v[84:85], v[92:93], v[68:69]
	s_delay_alu instid0(VALU_DEP_1)
	v_add_f64_e64 v[2:3], v[64:65], -v[84:85]
	scratch_store_b64 off, v[2:3], off offset:152
	s_wait_xcnt 0x0
	v_cmpx_lt_u32_e32 18, v0
	s_cbranch_execz .LBB29_153
; %bb.152:
	scratch_load_b64 v[2:3], off, off offset:144
	v_mov_b64_e32 v[64:65], 0
	scratch_store_b64 off, v[64:65], off offset:144
	s_wait_loadcnt 0x0
	ds_store_b64 v1, v[2:3]
.LBB29_153:
	s_wait_xcnt 0x0
	s_or_b32 exec_lo, exec_lo, s0
	s_wait_storecnt_dscnt 0x0
	s_barrier_signal -1
	s_barrier_wait -1
	s_clause 0x5
	scratch_load_b128 v[64:67], off, off offset:144
	scratch_load_b128 v[68:71], off, off offset:160
	;; [unrolled: 1-line block ×6, first 2 shown]
	v_mov_b32_e32 v2, 0
	ds_load_2addr_b64 v[88:91], v2 offset0:49 offset1:50
	ds_load_2addr_b64 v[92:95], v2 offset0:51 offset1:52
	s_mov_b32 s0, exec_lo
	s_wait_loadcnt_dscnt 0x501
	v_fma_f64 v[88:89], v[66:67], v[88:89], 0
	s_wait_loadcnt 0x4
	s_delay_alu instid0(VALU_DEP_1) | instskip(SKIP_1) | instid1(VALU_DEP_1)
	v_fmac_f64_e32 v[88:89], v[68:69], v[90:91]
	s_wait_dscnt 0x0
	v_fmac_f64_e32 v[88:89], v[70:71], v[92:93]
	s_wait_loadcnt 0x3
	s_delay_alu instid0(VALU_DEP_1)
	v_fmac_f64_e32 v[88:89], v[72:73], v[94:95]
	ds_load_2addr_b64 v[66:69], v2 offset0:53 offset1:54
	ds_load_2addr_b64 v[70:73], v2 offset0:55 offset1:56
	s_wait_dscnt 0x1
	v_fmac_f64_e32 v[88:89], v[74:75], v[66:67]
	s_wait_loadcnt 0x2
	s_delay_alu instid0(VALU_DEP_1) | instskip(SKIP_1) | instid1(VALU_DEP_1)
	v_fmac_f64_e32 v[88:89], v[76:77], v[68:69]
	s_wait_dscnt 0x0
	v_fmac_f64_e32 v[88:89], v[78:79], v[70:71]
	ds_load_2addr_b64 v[66:69], v2 offset0:57 offset1:58
	ds_load_b64 v[70:71], v2 offset:472
	s_wait_loadcnt 0x1
	v_fmac_f64_e32 v[88:89], v[80:81], v[72:73]
	s_wait_dscnt 0x1
	s_delay_alu instid0(VALU_DEP_1) | instskip(SKIP_1) | instid1(VALU_DEP_1)
	v_fmac_f64_e32 v[88:89], v[82:83], v[66:67]
	s_wait_loadcnt 0x0
	v_fmac_f64_e32 v[88:89], v[84:85], v[68:69]
	s_wait_dscnt 0x0
	s_delay_alu instid0(VALU_DEP_1) | instskip(NEXT) | instid1(VALU_DEP_1)
	v_fmac_f64_e32 v[88:89], v[86:87], v[70:71]
	v_add_f64_e64 v[64:65], v[64:65], -v[88:89]
	scratch_store_b64 off, v[64:65], off offset:144
	s_wait_xcnt 0x0
	v_cmpx_lt_u32_e32 17, v0
	s_cbranch_execz .LBB29_155
; %bb.154:
	scratch_load_b64 v[64:65], off, off offset:136
	v_mov_b64_e32 v[66:67], 0
	scratch_store_b64 off, v[66:67], off offset:136
	s_wait_loadcnt 0x0
	ds_store_b64 v1, v[64:65]
.LBB29_155:
	s_wait_xcnt 0x0
	s_or_b32 exec_lo, exec_lo, s0
	s_wait_storecnt_dscnt 0x0
	s_barrier_signal -1
	s_barrier_wait -1
	s_clause 0x5
	scratch_load_b128 v[64:67], off, off offset:136
	scratch_load_b128 v[68:71], off, off offset:152
	;; [unrolled: 1-line block ×6, first 2 shown]
	ds_load_b128 v[88:91], v2 offset:384
	ds_load_b128 v[92:95], v2 offset:400
	s_mov_b32 s0, exec_lo
	s_wait_loadcnt_dscnt 0x501
	v_fma_f64 v[88:89], v[66:67], v[88:89], 0
	s_wait_loadcnt 0x4
	s_delay_alu instid0(VALU_DEP_1) | instskip(SKIP_4) | instid1(VALU_DEP_1)
	v_fmac_f64_e32 v[88:89], v[68:69], v[90:91]
	scratch_load_b64 v[90:91], off, off offset:232
	s_wait_dscnt 0x0
	v_fmac_f64_e32 v[88:89], v[70:71], v[92:93]
	s_wait_loadcnt 0x4
	v_fmac_f64_e32 v[88:89], v[72:73], v[94:95]
	ds_load_b128 v[66:69], v2 offset:416
	ds_load_b128 v[70:73], v2 offset:432
	s_wait_dscnt 0x1
	v_fmac_f64_e32 v[88:89], v[74:75], v[66:67]
	s_wait_loadcnt 0x3
	s_delay_alu instid0(VALU_DEP_1) | instskip(SKIP_1) | instid1(VALU_DEP_1)
	v_fmac_f64_e32 v[88:89], v[76:77], v[68:69]
	s_wait_dscnt 0x0
	v_fmac_f64_e32 v[88:89], v[78:79], v[70:71]
	s_wait_loadcnt 0x2
	s_delay_alu instid0(VALU_DEP_1)
	v_fmac_f64_e32 v[88:89], v[80:81], v[72:73]
	ds_load_b128 v[66:69], v2 offset:448
	ds_load_b128 v[70:73], v2 offset:464
	s_wait_dscnt 0x1
	v_fmac_f64_e32 v[88:89], v[82:83], v[66:67]
	s_wait_loadcnt 0x1
	s_delay_alu instid0(VALU_DEP_1) | instskip(SKIP_1) | instid1(VALU_DEP_1)
	v_fmac_f64_e32 v[88:89], v[84:85], v[68:69]
	s_wait_dscnt 0x0
	v_fmac_f64_e32 v[88:89], v[86:87], v[70:71]
	s_wait_loadcnt 0x0
	s_delay_alu instid0(VALU_DEP_1) | instskip(NEXT) | instid1(VALU_DEP_1)
	v_fmac_f64_e32 v[88:89], v[90:91], v[72:73]
	v_add_f64_e64 v[2:3], v[64:65], -v[88:89]
	scratch_store_b64 off, v[2:3], off offset:136
	s_wait_xcnt 0x0
	v_cmpx_lt_u32_e32 16, v0
	s_cbranch_execz .LBB29_157
; %bb.156:
	scratch_load_b64 v[2:3], off, off offset:128
	v_mov_b64_e32 v[64:65], 0
	scratch_store_b64 off, v[64:65], off offset:128
	s_wait_loadcnt 0x0
	ds_store_b64 v1, v[2:3]
.LBB29_157:
	s_wait_xcnt 0x0
	s_or_b32 exec_lo, exec_lo, s0
	s_wait_storecnt_dscnt 0x0
	s_barrier_signal -1
	s_barrier_wait -1
	s_clause 0x5
	scratch_load_b128 v[64:67], off, off offset:128
	scratch_load_b128 v[68:71], off, off offset:144
	;; [unrolled: 1-line block ×6, first 2 shown]
	v_mov_b32_e32 v2, 0
	ds_load_2addr_b64 v[88:91], v2 offset0:47 offset1:48
	ds_load_2addr_b64 v[92:95], v2 offset0:49 offset1:50
	s_mov_b32 s0, exec_lo
	s_wait_loadcnt_dscnt 0x501
	v_fma_f64 v[96:97], v[66:67], v[88:89], 0
	s_wait_loadcnt 0x4
	s_delay_alu instid0(VALU_DEP_1) | instskip(SKIP_4) | instid1(VALU_DEP_1)
	v_fmac_f64_e32 v[96:97], v[68:69], v[90:91]
	scratch_load_b128 v[66:69], off, off offset:224
	s_wait_dscnt 0x0
	v_fmac_f64_e32 v[96:97], v[70:71], v[92:93]
	s_wait_loadcnt 0x4
	v_fmac_f64_e32 v[96:97], v[72:73], v[94:95]
	ds_load_2addr_b64 v[70:73], v2 offset0:51 offset1:52
	ds_load_2addr_b64 v[88:91], v2 offset0:53 offset1:54
	s_wait_dscnt 0x1
	v_fmac_f64_e32 v[96:97], v[74:75], v[70:71]
	s_wait_loadcnt 0x3
	s_delay_alu instid0(VALU_DEP_1)
	v_fmac_f64_e32 v[96:97], v[76:77], v[72:73]
	ds_load_2addr_b64 v[70:73], v2 offset0:55 offset1:56
	ds_load_2addr_b64 v[74:77], v2 offset0:57 offset1:58
	s_wait_dscnt 0x2
	v_fmac_f64_e32 v[96:97], v[78:79], v[88:89]
	s_wait_loadcnt 0x2
	s_delay_alu instid0(VALU_DEP_1) | instskip(SKIP_1) | instid1(VALU_DEP_1)
	v_fmac_f64_e32 v[96:97], v[80:81], v[90:91]
	s_wait_dscnt 0x1
	v_fmac_f64_e32 v[96:97], v[82:83], v[70:71]
	s_wait_loadcnt 0x1
	s_delay_alu instid0(VALU_DEP_1) | instskip(SKIP_1) | instid1(VALU_DEP_1)
	v_fmac_f64_e32 v[96:97], v[84:85], v[72:73]
	s_wait_dscnt 0x0
	v_fmac_f64_e32 v[96:97], v[86:87], v[74:75]
	s_wait_loadcnt 0x0
	s_delay_alu instid0(VALU_DEP_1) | instskip(SKIP_3) | instid1(VALU_DEP_1)
	v_fmac_f64_e32 v[96:97], v[66:67], v[76:77]
	ds_load_b64 v[66:67], v2 offset:472
	s_wait_dscnt 0x0
	v_fmac_f64_e32 v[96:97], v[68:69], v[66:67]
	v_add_f64_e64 v[64:65], v[64:65], -v[96:97]
	scratch_store_b64 off, v[64:65], off offset:128
	s_wait_xcnt 0x0
	v_cmpx_lt_u32_e32 15, v0
	s_cbranch_execz .LBB29_159
; %bb.158:
	scratch_load_b64 v[64:65], off, off offset:120
	v_mov_b64_e32 v[66:67], 0
	scratch_store_b64 off, v[66:67], off offset:120
	s_wait_loadcnt 0x0
	ds_store_b64 v1, v[64:65]
.LBB29_159:
	s_wait_xcnt 0x0
	s_or_b32 exec_lo, exec_lo, s0
	s_wait_storecnt_dscnt 0x0
	s_barrier_signal -1
	s_barrier_wait -1
	s_clause 0x5
	scratch_load_b128 v[64:67], off, off offset:120
	scratch_load_b128 v[68:71], off, off offset:136
	;; [unrolled: 1-line block ×6, first 2 shown]
	ds_load_b128 v[88:91], v2 offset:368
	ds_load_b128 v[92:95], v2 offset:384
	s_mov_b32 s0, exec_lo
	s_wait_loadcnt_dscnt 0x501
	v_fma_f64 v[96:97], v[66:67], v[88:89], 0
	s_wait_loadcnt 0x4
	s_delay_alu instid0(VALU_DEP_1)
	v_fmac_f64_e32 v[96:97], v[68:69], v[90:91]
	scratch_load_b128 v[66:69], off, off offset:216
	s_wait_dscnt 0x0
	v_fmac_f64_e32 v[96:97], v[70:71], v[92:93]
	scratch_load_b64 v[92:93], off, off offset:232
	s_wait_loadcnt 0x5
	v_fmac_f64_e32 v[96:97], v[72:73], v[94:95]
	ds_load_b128 v[70:73], v2 offset:400
	ds_load_b128 v[88:91], v2 offset:416
	s_wait_dscnt 0x1
	v_fmac_f64_e32 v[96:97], v[74:75], v[70:71]
	s_wait_loadcnt 0x4
	s_delay_alu instid0(VALU_DEP_1)
	v_fmac_f64_e32 v[96:97], v[76:77], v[72:73]
	ds_load_b128 v[70:73], v2 offset:432
	ds_load_b128 v[74:77], v2 offset:448
	s_wait_dscnt 0x2
	v_fmac_f64_e32 v[96:97], v[78:79], v[88:89]
	s_wait_loadcnt 0x3
	s_delay_alu instid0(VALU_DEP_1) | instskip(SKIP_1) | instid1(VALU_DEP_1)
	v_fmac_f64_e32 v[96:97], v[80:81], v[90:91]
	s_wait_dscnt 0x1
	v_fmac_f64_e32 v[96:97], v[82:83], v[70:71]
	s_wait_loadcnt 0x2
	s_delay_alu instid0(VALU_DEP_1) | instskip(SKIP_4) | instid1(VALU_DEP_1)
	v_fmac_f64_e32 v[96:97], v[84:85], v[72:73]
	ds_load_b128 v[70:73], v2 offset:464
	s_wait_dscnt 0x1
	v_fmac_f64_e32 v[96:97], v[86:87], v[74:75]
	s_wait_loadcnt 0x1
	v_fmac_f64_e32 v[96:97], v[66:67], v[76:77]
	s_wait_dscnt 0x0
	s_delay_alu instid0(VALU_DEP_1) | instskip(SKIP_1) | instid1(VALU_DEP_1)
	v_fmac_f64_e32 v[96:97], v[68:69], v[70:71]
	s_wait_loadcnt 0x0
	v_fmac_f64_e32 v[96:97], v[92:93], v[72:73]
	s_delay_alu instid0(VALU_DEP_1)
	v_add_f64_e64 v[2:3], v[64:65], -v[96:97]
	scratch_store_b64 off, v[2:3], off offset:120
	s_wait_xcnt 0x0
	v_cmpx_lt_u32_e32 14, v0
	s_cbranch_execz .LBB29_161
; %bb.160:
	scratch_load_b64 v[2:3], off, off offset:112
	v_mov_b64_e32 v[64:65], 0
	scratch_store_b64 off, v[64:65], off offset:112
	s_wait_loadcnt 0x0
	ds_store_b64 v1, v[2:3]
.LBB29_161:
	s_wait_xcnt 0x0
	s_or_b32 exec_lo, exec_lo, s0
	s_wait_storecnt_dscnt 0x0
	s_barrier_signal -1
	s_barrier_wait -1
	s_clause 0x5
	scratch_load_b128 v[64:67], off, off offset:112
	scratch_load_b128 v[68:71], off, off offset:128
	;; [unrolled: 1-line block ×6, first 2 shown]
	v_mov_b32_e32 v2, 0
	ds_load_2addr_b64 v[88:91], v2 offset0:45 offset1:46
	ds_load_2addr_b64 v[92:95], v2 offset0:47 offset1:48
	s_mov_b32 s0, exec_lo
	s_wait_loadcnt_dscnt 0x501
	v_fma_f64 v[96:97], v[66:67], v[88:89], 0
	s_wait_loadcnt 0x4
	s_delay_alu instid0(VALU_DEP_1) | instskip(SKIP_4) | instid1(VALU_DEP_1)
	v_fmac_f64_e32 v[96:97], v[68:69], v[90:91]
	scratch_load_b128 v[66:69], off, off offset:208
	s_wait_dscnt 0x0
	v_fmac_f64_e32 v[96:97], v[70:71], v[92:93]
	s_wait_loadcnt 0x4
	v_fmac_f64_e32 v[96:97], v[72:73], v[94:95]
	scratch_load_b128 v[70:73], off, off offset:224
	ds_load_2addr_b64 v[88:91], v2 offset0:49 offset1:50
	ds_load_2addr_b64 v[92:95], v2 offset0:51 offset1:52
	s_wait_dscnt 0x1
	v_fmac_f64_e32 v[96:97], v[74:75], v[88:89]
	s_wait_loadcnt 0x4
	s_delay_alu instid0(VALU_DEP_1) | instskip(SKIP_1) | instid1(VALU_DEP_1)
	v_fmac_f64_e32 v[96:97], v[76:77], v[90:91]
	s_wait_dscnt 0x0
	v_fmac_f64_e32 v[96:97], v[78:79], v[92:93]
	s_wait_loadcnt 0x3
	s_delay_alu instid0(VALU_DEP_1)
	v_fmac_f64_e32 v[96:97], v[80:81], v[94:95]
	ds_load_2addr_b64 v[74:77], v2 offset0:53 offset1:54
	ds_load_2addr_b64 v[78:81], v2 offset0:55 offset1:56
	s_wait_dscnt 0x1
	v_fmac_f64_e32 v[96:97], v[82:83], v[74:75]
	s_wait_loadcnt 0x2
	s_delay_alu instid0(VALU_DEP_1) | instskip(SKIP_1) | instid1(VALU_DEP_1)
	v_fmac_f64_e32 v[96:97], v[84:85], v[76:77]
	s_wait_dscnt 0x0
	v_fmac_f64_e32 v[96:97], v[86:87], v[78:79]
	s_wait_loadcnt 0x1
	s_delay_alu instid0(VALU_DEP_1)
	v_fmac_f64_e32 v[96:97], v[66:67], v[80:81]
	ds_load_2addr_b64 v[74:77], v2 offset0:57 offset1:58
	ds_load_b64 v[66:67], v2 offset:472
	s_wait_dscnt 0x1
	v_fmac_f64_e32 v[96:97], v[68:69], v[74:75]
	s_wait_loadcnt 0x0
	s_delay_alu instid0(VALU_DEP_1) | instskip(SKIP_1) | instid1(VALU_DEP_1)
	v_fmac_f64_e32 v[96:97], v[70:71], v[76:77]
	s_wait_dscnt 0x0
	v_fmac_f64_e32 v[96:97], v[72:73], v[66:67]
	s_delay_alu instid0(VALU_DEP_1)
	v_add_f64_e64 v[64:65], v[64:65], -v[96:97]
	scratch_store_b64 off, v[64:65], off offset:112
	s_wait_xcnt 0x0
	v_cmpx_lt_u32_e32 13, v0
	s_cbranch_execz .LBB29_163
; %bb.162:
	scratch_load_b64 v[64:65], off, off offset:104
	v_mov_b64_e32 v[66:67], 0
	scratch_store_b64 off, v[66:67], off offset:104
	s_wait_loadcnt 0x0
	ds_store_b64 v1, v[64:65]
.LBB29_163:
	s_wait_xcnt 0x0
	s_or_b32 exec_lo, exec_lo, s0
	s_wait_storecnt_dscnt 0x0
	s_barrier_signal -1
	s_barrier_wait -1
	s_clause 0x5
	scratch_load_b128 v[64:67], off, off offset:104
	scratch_load_b128 v[68:71], off, off offset:120
	scratch_load_b128 v[72:75], off, off offset:136
	scratch_load_b128 v[76:79], off, off offset:152
	scratch_load_b128 v[80:83], off, off offset:168
	scratch_load_b128 v[84:87], off, off offset:184
	ds_load_b128 v[88:91], v2 offset:352
	ds_load_b128 v[92:95], v2 offset:368
	s_mov_b32 s0, exec_lo
	s_wait_loadcnt_dscnt 0x501
	v_fma_f64 v[96:97], v[66:67], v[88:89], 0
	s_wait_loadcnt 0x4
	s_delay_alu instid0(VALU_DEP_1) | instskip(SKIP_4) | instid1(VALU_DEP_1)
	v_fmac_f64_e32 v[96:97], v[68:69], v[90:91]
	scratch_load_b128 v[66:69], off, off offset:200
	s_wait_dscnt 0x0
	v_fmac_f64_e32 v[96:97], v[70:71], v[92:93]
	s_wait_loadcnt 0x4
	v_fmac_f64_e32 v[96:97], v[72:73], v[94:95]
	scratch_load_b128 v[70:73], off, off offset:216
	ds_load_b128 v[88:91], v2 offset:384
	ds_load_b128 v[92:95], v2 offset:400
	s_wait_dscnt 0x1
	v_fmac_f64_e32 v[96:97], v[74:75], v[88:89]
	scratch_load_b64 v[88:89], off, off offset:232
	s_wait_loadcnt 0x5
	v_fmac_f64_e32 v[96:97], v[76:77], v[90:91]
	s_wait_dscnt 0x0
	s_delay_alu instid0(VALU_DEP_1) | instskip(SKIP_1) | instid1(VALU_DEP_1)
	v_fmac_f64_e32 v[96:97], v[78:79], v[92:93]
	s_wait_loadcnt 0x4
	v_fmac_f64_e32 v[96:97], v[80:81], v[94:95]
	ds_load_b128 v[74:77], v2 offset:416
	ds_load_b128 v[78:81], v2 offset:432
	s_wait_dscnt 0x1
	v_fmac_f64_e32 v[96:97], v[82:83], v[74:75]
	s_wait_loadcnt 0x3
	s_delay_alu instid0(VALU_DEP_1) | instskip(SKIP_1) | instid1(VALU_DEP_1)
	v_fmac_f64_e32 v[96:97], v[84:85], v[76:77]
	s_wait_dscnt 0x0
	v_fmac_f64_e32 v[96:97], v[86:87], v[78:79]
	s_wait_loadcnt 0x2
	s_delay_alu instid0(VALU_DEP_1)
	v_fmac_f64_e32 v[96:97], v[66:67], v[80:81]
	ds_load_b128 v[74:77], v2 offset:448
	ds_load_b128 v[78:81], v2 offset:464
	s_wait_dscnt 0x1
	v_fmac_f64_e32 v[96:97], v[68:69], v[74:75]
	s_wait_loadcnt 0x1
	s_delay_alu instid0(VALU_DEP_1) | instskip(SKIP_1) | instid1(VALU_DEP_1)
	v_fmac_f64_e32 v[96:97], v[70:71], v[76:77]
	s_wait_dscnt 0x0
	v_fmac_f64_e32 v[96:97], v[72:73], v[78:79]
	s_wait_loadcnt 0x0
	s_delay_alu instid0(VALU_DEP_1) | instskip(NEXT) | instid1(VALU_DEP_1)
	v_fmac_f64_e32 v[96:97], v[88:89], v[80:81]
	v_add_f64_e64 v[2:3], v[64:65], -v[96:97]
	scratch_store_b64 off, v[2:3], off offset:104
	s_wait_xcnt 0x0
	v_cmpx_lt_u32_e32 12, v0
	s_cbranch_execz .LBB29_165
; %bb.164:
	scratch_load_b64 v[2:3], off, off offset:96
	v_mov_b64_e32 v[64:65], 0
	scratch_store_b64 off, v[64:65], off offset:96
	s_wait_loadcnt 0x0
	ds_store_b64 v1, v[2:3]
.LBB29_165:
	s_wait_xcnt 0x0
	s_or_b32 exec_lo, exec_lo, s0
	s_wait_storecnt_dscnt 0x0
	s_barrier_signal -1
	s_barrier_wait -1
	s_clause 0x5
	scratch_load_b128 v[64:67], off, off offset:96
	scratch_load_b128 v[68:71], off, off offset:112
	scratch_load_b128 v[72:75], off, off offset:128
	scratch_load_b128 v[76:79], off, off offset:144
	scratch_load_b128 v[80:83], off, off offset:160
	scratch_load_b128 v[84:87], off, off offset:176
	v_mov_b32_e32 v2, 0
	ds_load_2addr_b64 v[88:91], v2 offset0:43 offset1:44
	ds_load_2addr_b64 v[92:95], v2 offset0:45 offset1:46
	s_mov_b32 s0, exec_lo
	s_wait_loadcnt_dscnt 0x501
	v_fma_f64 v[96:97], v[66:67], v[88:89], 0
	s_wait_loadcnt 0x4
	s_delay_alu instid0(VALU_DEP_1) | instskip(SKIP_4) | instid1(VALU_DEP_1)
	v_fmac_f64_e32 v[96:97], v[68:69], v[90:91]
	scratch_load_b128 v[66:69], off, off offset:192
	s_wait_dscnt 0x0
	v_fmac_f64_e32 v[96:97], v[70:71], v[92:93]
	s_wait_loadcnt 0x4
	v_fmac_f64_e32 v[96:97], v[72:73], v[94:95]
	scratch_load_b128 v[70:73], off, off offset:208
	ds_load_2addr_b64 v[88:91], v2 offset0:47 offset1:48
	ds_load_2addr_b64 v[92:95], v2 offset0:49 offset1:50
	s_wait_dscnt 0x1
	v_fmac_f64_e32 v[96:97], v[74:75], v[88:89]
	s_wait_loadcnt 0x4
	s_delay_alu instid0(VALU_DEP_1) | instskip(SKIP_4) | instid1(VALU_DEP_1)
	v_fmac_f64_e32 v[96:97], v[76:77], v[90:91]
	scratch_load_b128 v[74:77], off, off offset:224
	s_wait_dscnt 0x0
	v_fmac_f64_e32 v[96:97], v[78:79], v[92:93]
	s_wait_loadcnt 0x4
	v_fmac_f64_e32 v[96:97], v[80:81], v[94:95]
	ds_load_2addr_b64 v[78:81], v2 offset0:51 offset1:52
	ds_load_2addr_b64 v[88:91], v2 offset0:53 offset1:54
	s_wait_dscnt 0x1
	v_fmac_f64_e32 v[96:97], v[82:83], v[78:79]
	s_wait_loadcnt 0x3
	s_delay_alu instid0(VALU_DEP_1)
	v_fmac_f64_e32 v[96:97], v[84:85], v[80:81]
	ds_load_2addr_b64 v[78:81], v2 offset0:55 offset1:56
	ds_load_2addr_b64 v[82:85], v2 offset0:57 offset1:58
	s_wait_dscnt 0x2
	v_fmac_f64_e32 v[96:97], v[86:87], v[88:89]
	s_wait_loadcnt 0x2
	s_delay_alu instid0(VALU_DEP_1) | instskip(SKIP_4) | instid1(VALU_DEP_1)
	v_fmac_f64_e32 v[96:97], v[66:67], v[90:91]
	ds_load_b64 v[66:67], v2 offset:472
	s_wait_dscnt 0x2
	v_fmac_f64_e32 v[96:97], v[68:69], v[78:79]
	s_wait_loadcnt 0x1
	v_fmac_f64_e32 v[96:97], v[70:71], v[80:81]
	s_wait_dscnt 0x1
	s_delay_alu instid0(VALU_DEP_1) | instskip(SKIP_1) | instid1(VALU_DEP_1)
	v_fmac_f64_e32 v[96:97], v[72:73], v[82:83]
	s_wait_loadcnt 0x0
	v_fmac_f64_e32 v[96:97], v[74:75], v[84:85]
	s_wait_dscnt 0x0
	s_delay_alu instid0(VALU_DEP_1) | instskip(NEXT) | instid1(VALU_DEP_1)
	v_fmac_f64_e32 v[96:97], v[76:77], v[66:67]
	v_add_f64_e64 v[64:65], v[64:65], -v[96:97]
	scratch_store_b64 off, v[64:65], off offset:96
	s_wait_xcnt 0x0
	v_cmpx_lt_u32_e32 11, v0
	s_cbranch_execz .LBB29_167
; %bb.166:
	scratch_load_b64 v[64:65], off, off offset:88
	v_mov_b64_e32 v[66:67], 0
	scratch_store_b64 off, v[66:67], off offset:88
	s_wait_loadcnt 0x0
	ds_store_b64 v1, v[64:65]
.LBB29_167:
	s_wait_xcnt 0x0
	s_or_b32 exec_lo, exec_lo, s0
	s_wait_storecnt_dscnt 0x0
	s_barrier_signal -1
	s_barrier_wait -1
	s_clause 0x5
	scratch_load_b128 v[64:67], off, off offset:88
	scratch_load_b128 v[68:71], off, off offset:104
	;; [unrolled: 1-line block ×6, first 2 shown]
	ds_load_b128 v[88:91], v2 offset:336
	ds_load_b128 v[92:95], v2 offset:352
	s_mov_b32 s0, exec_lo
	s_wait_loadcnt_dscnt 0x501
	v_fma_f64 v[96:97], v[66:67], v[88:89], 0
	s_wait_loadcnt 0x4
	s_delay_alu instid0(VALU_DEP_1) | instskip(SKIP_4) | instid1(VALU_DEP_1)
	v_fmac_f64_e32 v[96:97], v[68:69], v[90:91]
	scratch_load_b128 v[66:69], off, off offset:184
	s_wait_dscnt 0x0
	v_fmac_f64_e32 v[96:97], v[70:71], v[92:93]
	s_wait_loadcnt 0x4
	v_fmac_f64_e32 v[96:97], v[72:73], v[94:95]
	scratch_load_b128 v[70:73], off, off offset:200
	ds_load_b128 v[88:91], v2 offset:368
	ds_load_b128 v[92:95], v2 offset:384
	s_wait_dscnt 0x1
	v_fmac_f64_e32 v[96:97], v[74:75], v[88:89]
	s_wait_loadcnt 0x4
	s_delay_alu instid0(VALU_DEP_1)
	v_fmac_f64_e32 v[96:97], v[76:77], v[90:91]
	scratch_load_b128 v[74:77], off, off offset:216
	s_wait_dscnt 0x0
	v_fmac_f64_e32 v[96:97], v[78:79], v[92:93]
	scratch_load_b64 v[92:93], off, off offset:232
	s_wait_loadcnt 0x5
	v_fmac_f64_e32 v[96:97], v[80:81], v[94:95]
	ds_load_b128 v[78:81], v2 offset:400
	ds_load_b128 v[88:91], v2 offset:416
	s_wait_dscnt 0x1
	v_fmac_f64_e32 v[96:97], v[82:83], v[78:79]
	s_wait_loadcnt 0x4
	s_delay_alu instid0(VALU_DEP_1)
	v_fmac_f64_e32 v[96:97], v[84:85], v[80:81]
	ds_load_b128 v[78:81], v2 offset:432
	ds_load_b128 v[82:85], v2 offset:448
	s_wait_dscnt 0x2
	v_fmac_f64_e32 v[96:97], v[86:87], v[88:89]
	s_wait_loadcnt 0x3
	s_delay_alu instid0(VALU_DEP_1) | instskip(SKIP_1) | instid1(VALU_DEP_1)
	v_fmac_f64_e32 v[96:97], v[66:67], v[90:91]
	s_wait_dscnt 0x1
	v_fmac_f64_e32 v[96:97], v[68:69], v[78:79]
	ds_load_b128 v[66:69], v2 offset:464
	s_wait_loadcnt 0x2
	v_fmac_f64_e32 v[96:97], v[70:71], v[80:81]
	s_wait_dscnt 0x1
	s_delay_alu instid0(VALU_DEP_1) | instskip(SKIP_1) | instid1(VALU_DEP_1)
	v_fmac_f64_e32 v[96:97], v[72:73], v[82:83]
	s_wait_loadcnt 0x1
	v_fmac_f64_e32 v[96:97], v[74:75], v[84:85]
	s_wait_dscnt 0x0
	s_delay_alu instid0(VALU_DEP_1) | instskip(SKIP_1) | instid1(VALU_DEP_1)
	v_fmac_f64_e32 v[96:97], v[76:77], v[66:67]
	s_wait_loadcnt 0x0
	v_fmac_f64_e32 v[96:97], v[92:93], v[68:69]
	s_delay_alu instid0(VALU_DEP_1)
	v_add_f64_e64 v[2:3], v[64:65], -v[96:97]
	scratch_store_b64 off, v[2:3], off offset:88
	s_wait_xcnt 0x0
	v_cmpx_lt_u32_e32 10, v0
	s_cbranch_execz .LBB29_169
; %bb.168:
	scratch_load_b64 v[2:3], off, off offset:80
	v_mov_b64_e32 v[64:65], 0
	scratch_store_b64 off, v[64:65], off offset:80
	s_wait_loadcnt 0x0
	ds_store_b64 v1, v[2:3]
.LBB29_169:
	s_wait_xcnt 0x0
	s_or_b32 exec_lo, exec_lo, s0
	s_wait_storecnt_dscnt 0x0
	s_barrier_signal -1
	s_barrier_wait -1
	s_clause 0x5
	scratch_load_b128 v[64:67], off, off offset:80
	scratch_load_b128 v[68:71], off, off offset:96
	;; [unrolled: 1-line block ×6, first 2 shown]
	v_mov_b32_e32 v2, 0
	ds_load_2addr_b64 v[88:91], v2 offset0:41 offset1:42
	ds_load_2addr_b64 v[92:95], v2 offset0:43 offset1:44
	s_mov_b32 s0, exec_lo
	s_wait_loadcnt_dscnt 0x501
	v_fma_f64 v[96:97], v[66:67], v[88:89], 0
	s_wait_loadcnt 0x4
	s_delay_alu instid0(VALU_DEP_1) | instskip(SKIP_4) | instid1(VALU_DEP_1)
	v_fmac_f64_e32 v[96:97], v[68:69], v[90:91]
	scratch_load_b128 v[66:69], off, off offset:176
	s_wait_dscnt 0x0
	v_fmac_f64_e32 v[96:97], v[70:71], v[92:93]
	s_wait_loadcnt 0x4
	v_fmac_f64_e32 v[96:97], v[72:73], v[94:95]
	scratch_load_b128 v[70:73], off, off offset:192
	ds_load_2addr_b64 v[88:91], v2 offset0:45 offset1:46
	ds_load_2addr_b64 v[92:95], v2 offset0:47 offset1:48
	s_wait_dscnt 0x1
	v_fmac_f64_e32 v[96:97], v[74:75], v[88:89]
	s_wait_loadcnt 0x4
	s_delay_alu instid0(VALU_DEP_1) | instskip(SKIP_4) | instid1(VALU_DEP_1)
	v_fmac_f64_e32 v[96:97], v[76:77], v[90:91]
	scratch_load_b128 v[74:77], off, off offset:208
	s_wait_dscnt 0x0
	v_fmac_f64_e32 v[96:97], v[78:79], v[92:93]
	s_wait_loadcnt 0x4
	v_fmac_f64_e32 v[96:97], v[80:81], v[94:95]
	scratch_load_b128 v[78:81], off, off offset:224
	ds_load_2addr_b64 v[88:91], v2 offset0:49 offset1:50
	ds_load_2addr_b64 v[92:95], v2 offset0:51 offset1:52
	s_wait_dscnt 0x1
	v_fmac_f64_e32 v[96:97], v[82:83], v[88:89]
	s_wait_loadcnt 0x4
	s_delay_alu instid0(VALU_DEP_1) | instskip(SKIP_1) | instid1(VALU_DEP_1)
	v_fmac_f64_e32 v[96:97], v[84:85], v[90:91]
	s_wait_dscnt 0x0
	v_fmac_f64_e32 v[96:97], v[86:87], v[92:93]
	ds_load_2addr_b64 v[82:85], v2 offset0:53 offset1:54
	ds_load_2addr_b64 v[86:89], v2 offset0:55 offset1:56
	s_wait_loadcnt 0x3
	v_fmac_f64_e32 v[96:97], v[66:67], v[94:95]
	s_wait_dscnt 0x1
	s_delay_alu instid0(VALU_DEP_1) | instskip(SKIP_1) | instid1(VALU_DEP_1)
	v_fmac_f64_e32 v[96:97], v[68:69], v[82:83]
	s_wait_loadcnt 0x2
	v_fmac_f64_e32 v[96:97], v[70:71], v[84:85]
	ds_load_2addr_b64 v[66:69], v2 offset0:57 offset1:58
	ds_load_b64 v[70:71], v2 offset:472
	s_wait_dscnt 0x2
	v_fmac_f64_e32 v[96:97], v[72:73], v[86:87]
	s_wait_loadcnt 0x1
	s_delay_alu instid0(VALU_DEP_1) | instskip(SKIP_1) | instid1(VALU_DEP_1)
	v_fmac_f64_e32 v[96:97], v[74:75], v[88:89]
	s_wait_dscnt 0x1
	v_fmac_f64_e32 v[96:97], v[76:77], v[66:67]
	s_wait_loadcnt 0x0
	s_delay_alu instid0(VALU_DEP_1) | instskip(SKIP_1) | instid1(VALU_DEP_1)
	v_fmac_f64_e32 v[96:97], v[78:79], v[68:69]
	s_wait_dscnt 0x0
	v_fmac_f64_e32 v[96:97], v[80:81], v[70:71]
	s_delay_alu instid0(VALU_DEP_1)
	v_add_f64_e64 v[64:65], v[64:65], -v[96:97]
	scratch_store_b64 off, v[64:65], off offset:80
	s_wait_xcnt 0x0
	v_cmpx_lt_u32_e32 9, v0
	s_cbranch_execz .LBB29_171
; %bb.170:
	scratch_load_b64 v[64:65], off, off offset:72
	v_mov_b64_e32 v[66:67], 0
	scratch_store_b64 off, v[66:67], off offset:72
	s_wait_loadcnt 0x0
	ds_store_b64 v1, v[64:65]
.LBB29_171:
	s_wait_xcnt 0x0
	s_or_b32 exec_lo, exec_lo, s0
	s_wait_storecnt_dscnt 0x0
	s_barrier_signal -1
	s_barrier_wait -1
	s_clause 0x5
	scratch_load_b128 v[64:67], off, off offset:72
	scratch_load_b128 v[68:71], off, off offset:88
	;; [unrolled: 1-line block ×6, first 2 shown]
	ds_load_b128 v[88:91], v2 offset:320
	ds_load_b128 v[92:95], v2 offset:336
	s_mov_b32 s0, exec_lo
	s_wait_loadcnt_dscnt 0x501
	v_fma_f64 v[96:97], v[66:67], v[88:89], 0
	s_wait_loadcnt 0x4
	s_delay_alu instid0(VALU_DEP_1) | instskip(SKIP_4) | instid1(VALU_DEP_1)
	v_fmac_f64_e32 v[96:97], v[68:69], v[90:91]
	scratch_load_b128 v[66:69], off, off offset:168
	s_wait_dscnt 0x0
	v_fmac_f64_e32 v[96:97], v[70:71], v[92:93]
	s_wait_loadcnt 0x4
	v_fmac_f64_e32 v[96:97], v[72:73], v[94:95]
	scratch_load_b128 v[70:73], off, off offset:184
	ds_load_b128 v[88:91], v2 offset:352
	ds_load_b128 v[92:95], v2 offset:368
	s_wait_dscnt 0x1
	v_fmac_f64_e32 v[96:97], v[74:75], v[88:89]
	s_wait_loadcnt 0x4
	s_delay_alu instid0(VALU_DEP_1) | instskip(SKIP_4) | instid1(VALU_DEP_1)
	v_fmac_f64_e32 v[96:97], v[76:77], v[90:91]
	scratch_load_b128 v[74:77], off, off offset:200
	s_wait_dscnt 0x0
	v_fmac_f64_e32 v[96:97], v[78:79], v[92:93]
	s_wait_loadcnt 0x4
	v_fmac_f64_e32 v[96:97], v[80:81], v[94:95]
	scratch_load_b128 v[78:81], off, off offset:216
	ds_load_b128 v[88:91], v2 offset:384
	ds_load_b128 v[92:95], v2 offset:400
	s_wait_dscnt 0x1
	v_fmac_f64_e32 v[96:97], v[82:83], v[88:89]
	s_wait_loadcnt 0x4
	s_delay_alu instid0(VALU_DEP_1)
	v_fmac_f64_e32 v[96:97], v[84:85], v[90:91]
	scratch_load_b64 v[90:91], off, off offset:232
	s_wait_dscnt 0x0
	v_fmac_f64_e32 v[96:97], v[86:87], v[92:93]
	ds_load_b128 v[82:85], v2 offset:416
	ds_load_b128 v[86:89], v2 offset:432
	s_wait_loadcnt 0x4
	v_fmac_f64_e32 v[96:97], v[66:67], v[94:95]
	s_wait_dscnt 0x1
	s_delay_alu instid0(VALU_DEP_1) | instskip(SKIP_1) | instid1(VALU_DEP_1)
	v_fmac_f64_e32 v[96:97], v[68:69], v[82:83]
	s_wait_loadcnt 0x3
	v_fmac_f64_e32 v[96:97], v[70:71], v[84:85]
	s_wait_dscnt 0x0
	s_delay_alu instid0(VALU_DEP_1)
	v_fmac_f64_e32 v[96:97], v[72:73], v[86:87]
	ds_load_b128 v[66:69], v2 offset:448
	ds_load_b128 v[70:73], v2 offset:464
	s_wait_loadcnt 0x2
	v_fmac_f64_e32 v[96:97], v[74:75], v[88:89]
	s_wait_dscnt 0x1
	s_delay_alu instid0(VALU_DEP_1) | instskip(SKIP_1) | instid1(VALU_DEP_1)
	v_fmac_f64_e32 v[96:97], v[76:77], v[66:67]
	s_wait_loadcnt 0x1
	v_fmac_f64_e32 v[96:97], v[78:79], v[68:69]
	s_wait_dscnt 0x0
	s_delay_alu instid0(VALU_DEP_1) | instskip(SKIP_1) | instid1(VALU_DEP_1)
	v_fmac_f64_e32 v[96:97], v[80:81], v[70:71]
	s_wait_loadcnt 0x0
	v_fmac_f64_e32 v[96:97], v[90:91], v[72:73]
	s_delay_alu instid0(VALU_DEP_1)
	v_add_f64_e64 v[2:3], v[64:65], -v[96:97]
	scratch_store_b64 off, v[2:3], off offset:72
	s_wait_xcnt 0x0
	v_cmpx_lt_u32_e32 8, v0
	s_cbranch_execz .LBB29_173
; %bb.172:
	scratch_load_b64 v[2:3], off, off offset:64
	v_mov_b64_e32 v[64:65], 0
	scratch_store_b64 off, v[64:65], off offset:64
	s_wait_loadcnt 0x0
	ds_store_b64 v1, v[2:3]
.LBB29_173:
	s_wait_xcnt 0x0
	s_or_b32 exec_lo, exec_lo, s0
	s_wait_storecnt_dscnt 0x0
	s_barrier_signal -1
	s_barrier_wait -1
	s_clause 0x5
	scratch_load_b128 v[64:67], off, off offset:64
	scratch_load_b128 v[68:71], off, off offset:80
	scratch_load_b128 v[72:75], off, off offset:96
	scratch_load_b128 v[76:79], off, off offset:112
	scratch_load_b128 v[80:83], off, off offset:128
	scratch_load_b128 v[84:87], off, off offset:144
	v_mov_b32_e32 v2, 0
	ds_load_2addr_b64 v[88:91], v2 offset0:39 offset1:40
	ds_load_2addr_b64 v[92:95], v2 offset0:41 offset1:42
	s_mov_b32 s0, exec_lo
	s_wait_loadcnt_dscnt 0x501
	v_fma_f64 v[96:97], v[66:67], v[88:89], 0
	s_wait_loadcnt 0x4
	s_delay_alu instid0(VALU_DEP_1) | instskip(SKIP_4) | instid1(VALU_DEP_1)
	v_fmac_f64_e32 v[96:97], v[68:69], v[90:91]
	scratch_load_b128 v[66:69], off, off offset:160
	s_wait_dscnt 0x0
	v_fmac_f64_e32 v[96:97], v[70:71], v[92:93]
	s_wait_loadcnt 0x4
	v_fmac_f64_e32 v[96:97], v[72:73], v[94:95]
	scratch_load_b128 v[70:73], off, off offset:176
	ds_load_2addr_b64 v[88:91], v2 offset0:43 offset1:44
	ds_load_2addr_b64 v[92:95], v2 offset0:45 offset1:46
	s_wait_dscnt 0x1
	v_fmac_f64_e32 v[96:97], v[74:75], v[88:89]
	s_wait_loadcnt 0x4
	s_delay_alu instid0(VALU_DEP_1) | instskip(SKIP_4) | instid1(VALU_DEP_1)
	v_fmac_f64_e32 v[96:97], v[76:77], v[90:91]
	scratch_load_b128 v[74:77], off, off offset:192
	s_wait_dscnt 0x0
	v_fmac_f64_e32 v[96:97], v[78:79], v[92:93]
	s_wait_loadcnt 0x4
	v_fmac_f64_e32 v[96:97], v[80:81], v[94:95]
	scratch_load_b128 v[78:81], off, off offset:208
	ds_load_2addr_b64 v[88:91], v2 offset0:47 offset1:48
	ds_load_2addr_b64 v[92:95], v2 offset0:49 offset1:50
	s_wait_dscnt 0x1
	v_fmac_f64_e32 v[96:97], v[82:83], v[88:89]
	s_wait_loadcnt 0x4
	s_delay_alu instid0(VALU_DEP_1)
	v_fmac_f64_e32 v[96:97], v[84:85], v[90:91]
	scratch_load_b128 v[82:85], off, off offset:224
	s_wait_dscnt 0x0
	v_fmac_f64_e32 v[96:97], v[86:87], v[92:93]
	ds_load_2addr_b64 v[86:89], v2 offset0:51 offset1:52
	ds_load_2addr_b64 v[90:93], v2 offset0:53 offset1:54
	s_wait_loadcnt 0x4
	v_fmac_f64_e32 v[96:97], v[66:67], v[94:95]
	s_wait_dscnt 0x1
	s_delay_alu instid0(VALU_DEP_1) | instskip(SKIP_1) | instid1(VALU_DEP_1)
	v_fmac_f64_e32 v[96:97], v[68:69], v[86:87]
	s_wait_loadcnt 0x3
	v_fmac_f64_e32 v[96:97], v[70:71], v[88:89]
	s_wait_dscnt 0x0
	s_delay_alu instid0(VALU_DEP_1)
	v_fmac_f64_e32 v[96:97], v[72:73], v[90:91]
	ds_load_2addr_b64 v[66:69], v2 offset0:55 offset1:56
	ds_load_2addr_b64 v[70:73], v2 offset0:57 offset1:58
	s_wait_loadcnt 0x2
	v_fmac_f64_e32 v[96:97], v[74:75], v[92:93]
	s_wait_dscnt 0x1
	s_delay_alu instid0(VALU_DEP_1) | instskip(SKIP_4) | instid1(VALU_DEP_1)
	v_fmac_f64_e32 v[96:97], v[76:77], v[66:67]
	ds_load_b64 v[66:67], v2 offset:472
	s_wait_loadcnt 0x1
	v_fmac_f64_e32 v[96:97], v[78:79], v[68:69]
	s_wait_dscnt 0x1
	v_fmac_f64_e32 v[96:97], v[80:81], v[70:71]
	s_wait_loadcnt 0x0
	s_delay_alu instid0(VALU_DEP_1) | instskip(SKIP_1) | instid1(VALU_DEP_1)
	v_fmac_f64_e32 v[96:97], v[82:83], v[72:73]
	s_wait_dscnt 0x0
	v_fmac_f64_e32 v[96:97], v[84:85], v[66:67]
	s_delay_alu instid0(VALU_DEP_1)
	v_add_f64_e64 v[64:65], v[64:65], -v[96:97]
	scratch_store_b64 off, v[64:65], off offset:64
	s_wait_xcnt 0x0
	v_cmpx_lt_u32_e32 7, v0
	s_cbranch_execz .LBB29_175
; %bb.174:
	scratch_load_b64 v[64:65], off, off offset:56
	v_mov_b64_e32 v[66:67], 0
	scratch_store_b64 off, v[66:67], off offset:56
	s_wait_loadcnt 0x0
	ds_store_b64 v1, v[64:65]
.LBB29_175:
	s_wait_xcnt 0x0
	s_or_b32 exec_lo, exec_lo, s0
	s_wait_storecnt_dscnt 0x0
	s_barrier_signal -1
	s_barrier_wait -1
	s_clause 0x5
	scratch_load_b128 v[64:67], off, off offset:56
	scratch_load_b128 v[68:71], off, off offset:72
	;; [unrolled: 1-line block ×6, first 2 shown]
	ds_load_b128 v[88:91], v2 offset:304
	ds_load_b128 v[92:95], v2 offset:320
	scratch_load_b128 v[96:99], off, off offset:152
	s_mov_b32 s0, exec_lo
	s_wait_loadcnt_dscnt 0x601
	v_fma_f64 v[100:101], v[66:67], v[88:89], 0
	s_wait_loadcnt 0x5
	s_delay_alu instid0(VALU_DEP_1) | instskip(SKIP_4) | instid1(VALU_DEP_1)
	v_fmac_f64_e32 v[100:101], v[68:69], v[90:91]
	scratch_load_b128 v[66:69], off, off offset:168
	s_wait_dscnt 0x0
	v_fmac_f64_e32 v[100:101], v[70:71], v[92:93]
	s_wait_loadcnt 0x5
	v_fmac_f64_e32 v[100:101], v[72:73], v[94:95]
	ds_load_b128 v[70:73], v2 offset:336
	ds_load_b128 v[88:91], v2 offset:352
	s_wait_dscnt 0x1
	v_fmac_f64_e32 v[100:101], v[74:75], v[70:71]
	s_wait_loadcnt 0x4
	s_delay_alu instid0(VALU_DEP_1)
	v_fmac_f64_e32 v[100:101], v[76:77], v[72:73]
	s_clause 0x1
	scratch_load_b128 v[70:73], off, off offset:184
	scratch_load_b128 v[74:77], off, off offset:200
	s_wait_dscnt 0x0
	v_fmac_f64_e32 v[100:101], v[78:79], v[88:89]
	s_wait_loadcnt 0x5
	s_delay_alu instid0(VALU_DEP_1)
	v_fmac_f64_e32 v[100:101], v[80:81], v[90:91]
	ds_load_b128 v[78:81], v2 offset:368
	ds_load_b128 v[88:91], v2 offset:384
	s_wait_dscnt 0x1
	v_fmac_f64_e32 v[100:101], v[82:83], v[78:79]
	s_wait_loadcnt 0x4
	s_delay_alu instid0(VALU_DEP_1) | instskip(SKIP_4) | instid1(VALU_DEP_1)
	v_fmac_f64_e32 v[100:101], v[84:85], v[80:81]
	scratch_load_b128 v[78:81], off, off offset:216
	s_wait_dscnt 0x0
	v_fmac_f64_e32 v[100:101], v[86:87], v[88:89]
	s_wait_loadcnt 0x4
	v_fmac_f64_e32 v[100:101], v[96:97], v[90:91]
	scratch_load_b64 v[90:91], off, off offset:232
	ds_load_b128 v[82:85], v2 offset:400
	ds_load_b128 v[86:89], v2 offset:416
	s_wait_dscnt 0x1
	v_fmac_f64_e32 v[100:101], v[98:99], v[82:83]
	s_wait_loadcnt 0x4
	s_delay_alu instid0(VALU_DEP_1) | instskip(SKIP_1) | instid1(VALU_DEP_1)
	v_fmac_f64_e32 v[100:101], v[66:67], v[84:85]
	s_wait_dscnt 0x0
	v_fmac_f64_e32 v[100:101], v[68:69], v[86:87]
	ds_load_b128 v[66:69], v2 offset:432
	ds_load_b128 v[82:85], v2 offset:448
	s_wait_loadcnt 0x3
	v_fmac_f64_e32 v[100:101], v[70:71], v[88:89]
	s_wait_dscnt 0x1
	s_delay_alu instid0(VALU_DEP_1) | instskip(SKIP_1) | instid1(VALU_DEP_1)
	v_fmac_f64_e32 v[100:101], v[72:73], v[66:67]
	s_wait_loadcnt 0x2
	v_fmac_f64_e32 v[100:101], v[74:75], v[68:69]
	ds_load_b128 v[66:69], v2 offset:464
	s_wait_dscnt 0x1
	v_fmac_f64_e32 v[100:101], v[76:77], v[82:83]
	s_wait_loadcnt 0x1
	s_delay_alu instid0(VALU_DEP_1) | instskip(SKIP_1) | instid1(VALU_DEP_1)
	v_fmac_f64_e32 v[100:101], v[78:79], v[84:85]
	s_wait_dscnt 0x0
	v_fmac_f64_e32 v[100:101], v[80:81], v[66:67]
	s_wait_loadcnt 0x0
	s_delay_alu instid0(VALU_DEP_1) | instskip(NEXT) | instid1(VALU_DEP_1)
	v_fmac_f64_e32 v[100:101], v[90:91], v[68:69]
	v_add_f64_e64 v[2:3], v[64:65], -v[100:101]
	scratch_store_b64 off, v[2:3], off offset:56
	s_wait_xcnt 0x0
	v_cmpx_lt_u32_e32 6, v0
	s_cbranch_execz .LBB29_177
; %bb.176:
	scratch_load_b64 v[2:3], off, off offset:48
	v_mov_b64_e32 v[64:65], 0
	scratch_store_b64 off, v[64:65], off offset:48
	s_wait_loadcnt 0x0
	ds_store_b64 v1, v[2:3]
.LBB29_177:
	s_wait_xcnt 0x0
	s_or_b32 exec_lo, exec_lo, s0
	s_wait_storecnt_dscnt 0x0
	s_barrier_signal -1
	s_barrier_wait -1
	s_clause 0x5
	scratch_load_b128 v[64:67], off, off offset:48
	scratch_load_b128 v[68:71], off, off offset:64
	;; [unrolled: 1-line block ×6, first 2 shown]
	v_mov_b32_e32 v2, 0
	ds_load_2addr_b64 v[88:91], v2 offset0:37 offset1:38
	ds_load_2addr_b64 v[92:95], v2 offset0:39 offset1:40
	scratch_load_b128 v[96:99], off, off offset:144
	s_mov_b32 s0, exec_lo
	s_wait_loadcnt_dscnt 0x601
	v_fma_f64 v[100:101], v[66:67], v[88:89], 0
	s_wait_loadcnt 0x5
	s_delay_alu instid0(VALU_DEP_1) | instskip(SKIP_4) | instid1(VALU_DEP_1)
	v_fmac_f64_e32 v[100:101], v[68:69], v[90:91]
	scratch_load_b128 v[66:69], off, off offset:160
	s_wait_dscnt 0x0
	v_fmac_f64_e32 v[100:101], v[70:71], v[92:93]
	s_wait_loadcnt 0x5
	v_fmac_f64_e32 v[100:101], v[72:73], v[94:95]
	ds_load_2addr_b64 v[70:73], v2 offset0:41 offset1:42
	ds_load_2addr_b64 v[88:91], v2 offset0:43 offset1:44
	s_wait_dscnt 0x1
	v_fmac_f64_e32 v[100:101], v[74:75], v[70:71]
	s_wait_loadcnt 0x4
	s_delay_alu instid0(VALU_DEP_1)
	v_fmac_f64_e32 v[100:101], v[76:77], v[72:73]
	s_clause 0x1
	scratch_load_b128 v[70:73], off, off offset:176
	scratch_load_b128 v[74:77], off, off offset:192
	s_wait_dscnt 0x0
	v_fmac_f64_e32 v[100:101], v[78:79], v[88:89]
	s_wait_loadcnt 0x5
	s_delay_alu instid0(VALU_DEP_1)
	v_fmac_f64_e32 v[100:101], v[80:81], v[90:91]
	ds_load_2addr_b64 v[78:81], v2 offset0:45 offset1:46
	ds_load_2addr_b64 v[88:91], v2 offset0:47 offset1:48
	s_wait_dscnt 0x1
	v_fmac_f64_e32 v[100:101], v[82:83], v[78:79]
	s_wait_loadcnt 0x4
	s_delay_alu instid0(VALU_DEP_1)
	v_fmac_f64_e32 v[100:101], v[84:85], v[80:81]
	s_clause 0x1
	scratch_load_b128 v[78:81], off, off offset:208
	scratch_load_b128 v[82:85], off, off offset:224
	s_wait_dscnt 0x0
	v_fmac_f64_e32 v[100:101], v[86:87], v[88:89]
	s_wait_loadcnt 0x5
	s_delay_alu instid0(VALU_DEP_1)
	v_fmac_f64_e32 v[100:101], v[96:97], v[90:91]
	ds_load_2addr_b64 v[86:89], v2 offset0:49 offset1:50
	ds_load_2addr_b64 v[90:93], v2 offset0:51 offset1:52
	s_wait_dscnt 0x1
	v_fmac_f64_e32 v[100:101], v[98:99], v[86:87]
	s_wait_loadcnt 0x4
	s_delay_alu instid0(VALU_DEP_1) | instskip(SKIP_1) | instid1(VALU_DEP_1)
	v_fmac_f64_e32 v[100:101], v[66:67], v[88:89]
	s_wait_dscnt 0x0
	v_fmac_f64_e32 v[100:101], v[68:69], v[90:91]
	ds_load_2addr_b64 v[66:69], v2 offset0:53 offset1:54
	ds_load_2addr_b64 v[86:89], v2 offset0:55 offset1:56
	s_wait_loadcnt 0x3
	v_fmac_f64_e32 v[100:101], v[70:71], v[92:93]
	s_wait_dscnt 0x1
	s_delay_alu instid0(VALU_DEP_1) | instskip(SKIP_1) | instid1(VALU_DEP_1)
	v_fmac_f64_e32 v[100:101], v[72:73], v[66:67]
	s_wait_loadcnt 0x2
	v_fmac_f64_e32 v[100:101], v[74:75], v[68:69]
	ds_load_2addr_b64 v[66:69], v2 offset0:57 offset1:58
	ds_load_b64 v[70:71], v2 offset:472
	s_wait_dscnt 0x2
	v_fmac_f64_e32 v[100:101], v[76:77], v[86:87]
	s_wait_loadcnt 0x1
	s_delay_alu instid0(VALU_DEP_1) | instskip(SKIP_1) | instid1(VALU_DEP_1)
	v_fmac_f64_e32 v[100:101], v[78:79], v[88:89]
	s_wait_dscnt 0x1
	v_fmac_f64_e32 v[100:101], v[80:81], v[66:67]
	s_wait_loadcnt 0x0
	s_delay_alu instid0(VALU_DEP_1) | instskip(SKIP_1) | instid1(VALU_DEP_1)
	v_fmac_f64_e32 v[100:101], v[82:83], v[68:69]
	s_wait_dscnt 0x0
	v_fmac_f64_e32 v[100:101], v[84:85], v[70:71]
	s_delay_alu instid0(VALU_DEP_1)
	v_add_f64_e64 v[64:65], v[64:65], -v[100:101]
	scratch_store_b64 off, v[64:65], off offset:48
	s_wait_xcnt 0x0
	v_cmpx_lt_u32_e32 5, v0
	s_cbranch_execz .LBB29_179
; %bb.178:
	scratch_load_b64 v[64:65], off, off offset:40
	v_mov_b64_e32 v[66:67], 0
	scratch_store_b64 off, v[66:67], off offset:40
	s_wait_loadcnt 0x0
	ds_store_b64 v1, v[64:65]
.LBB29_179:
	s_wait_xcnt 0x0
	s_or_b32 exec_lo, exec_lo, s0
	s_wait_storecnt_dscnt 0x0
	s_barrier_signal -1
	s_barrier_wait -1
	s_clause 0x5
	scratch_load_b128 v[64:67], off, off offset:40
	scratch_load_b128 v[68:71], off, off offset:56
	scratch_load_b128 v[72:75], off, off offset:72
	scratch_load_b128 v[76:79], off, off offset:88
	scratch_load_b128 v[80:83], off, off offset:104
	scratch_load_b128 v[84:87], off, off offset:120
	ds_load_b128 v[88:91], v2 offset:288
	ds_load_b128 v[92:95], v2 offset:304
	scratch_load_b128 v[96:99], off, off offset:136
	s_mov_b32 s0, exec_lo
	s_wait_loadcnt_dscnt 0x601
	v_fma_f64 v[100:101], v[66:67], v[88:89], 0
	s_wait_loadcnt 0x5
	s_delay_alu instid0(VALU_DEP_1) | instskip(SKIP_4) | instid1(VALU_DEP_1)
	v_fmac_f64_e32 v[100:101], v[68:69], v[90:91]
	scratch_load_b128 v[66:69], off, off offset:152
	s_wait_dscnt 0x0
	v_fmac_f64_e32 v[100:101], v[70:71], v[92:93]
	s_wait_loadcnt 0x5
	v_fmac_f64_e32 v[100:101], v[72:73], v[94:95]
	ds_load_b128 v[70:73], v2 offset:320
	ds_load_b128 v[88:91], v2 offset:336
	s_wait_dscnt 0x1
	v_fmac_f64_e32 v[100:101], v[74:75], v[70:71]
	s_wait_loadcnt 0x4
	s_delay_alu instid0(VALU_DEP_1)
	v_fmac_f64_e32 v[100:101], v[76:77], v[72:73]
	s_clause 0x1
	scratch_load_b128 v[70:73], off, off offset:168
	scratch_load_b128 v[74:77], off, off offset:184
	s_wait_dscnt 0x0
	v_fmac_f64_e32 v[100:101], v[78:79], v[88:89]
	s_wait_loadcnt 0x5
	s_delay_alu instid0(VALU_DEP_1)
	v_fmac_f64_e32 v[100:101], v[80:81], v[90:91]
	ds_load_b128 v[78:81], v2 offset:352
	ds_load_b128 v[88:91], v2 offset:368
	s_wait_dscnt 0x1
	v_fmac_f64_e32 v[100:101], v[82:83], v[78:79]
	s_wait_loadcnt 0x4
	s_delay_alu instid0(VALU_DEP_1)
	v_fmac_f64_e32 v[100:101], v[84:85], v[80:81]
	s_clause 0x1
	scratch_load_b128 v[78:81], off, off offset:200
	scratch_load_b128 v[82:85], off, off offset:216
	s_wait_dscnt 0x0
	v_fmac_f64_e32 v[100:101], v[86:87], v[88:89]
	s_wait_loadcnt 0x5
	s_delay_alu instid0(VALU_DEP_1)
	v_fmac_f64_e32 v[100:101], v[96:97], v[90:91]
	ds_load_b128 v[86:89], v2 offset:384
	ds_load_b128 v[90:93], v2 offset:400
	scratch_load_b64 v[94:95], off, off offset:232
	s_wait_dscnt 0x1
	v_fmac_f64_e32 v[100:101], v[98:99], v[86:87]
	s_wait_loadcnt 0x5
	s_delay_alu instid0(VALU_DEP_1) | instskip(SKIP_1) | instid1(VALU_DEP_1)
	v_fmac_f64_e32 v[100:101], v[66:67], v[88:89]
	s_wait_dscnt 0x0
	v_fmac_f64_e32 v[100:101], v[68:69], v[90:91]
	ds_load_b128 v[66:69], v2 offset:416
	ds_load_b128 v[86:89], v2 offset:432
	s_wait_loadcnt 0x4
	v_fmac_f64_e32 v[100:101], v[70:71], v[92:93]
	s_wait_dscnt 0x1
	s_delay_alu instid0(VALU_DEP_1) | instskip(SKIP_1) | instid1(VALU_DEP_1)
	v_fmac_f64_e32 v[100:101], v[72:73], v[66:67]
	s_wait_loadcnt 0x3
	v_fmac_f64_e32 v[100:101], v[74:75], v[68:69]
	ds_load_b128 v[66:69], v2 offset:448
	ds_load_b128 v[70:73], v2 offset:464
	s_wait_dscnt 0x2
	v_fmac_f64_e32 v[100:101], v[76:77], v[86:87]
	s_wait_loadcnt 0x2
	s_delay_alu instid0(VALU_DEP_1) | instskip(SKIP_1) | instid1(VALU_DEP_1)
	v_fmac_f64_e32 v[100:101], v[78:79], v[88:89]
	s_wait_dscnt 0x1
	v_fmac_f64_e32 v[100:101], v[80:81], v[66:67]
	s_wait_loadcnt 0x1
	s_delay_alu instid0(VALU_DEP_1) | instskip(SKIP_1) | instid1(VALU_DEP_1)
	v_fmac_f64_e32 v[100:101], v[82:83], v[68:69]
	s_wait_dscnt 0x0
	v_fmac_f64_e32 v[100:101], v[84:85], v[70:71]
	s_wait_loadcnt 0x0
	s_delay_alu instid0(VALU_DEP_1) | instskip(NEXT) | instid1(VALU_DEP_1)
	v_fmac_f64_e32 v[100:101], v[94:95], v[72:73]
	v_add_f64_e64 v[2:3], v[64:65], -v[100:101]
	scratch_store_b64 off, v[2:3], off offset:40
	s_wait_xcnt 0x0
	v_cmpx_lt_u32_e32 4, v0
	s_cbranch_execz .LBB29_181
; %bb.180:
	scratch_load_b64 v[2:3], off, off offset:32
	v_mov_b64_e32 v[64:65], 0
	scratch_store_b64 off, v[64:65], off offset:32
	s_wait_loadcnt 0x0
	ds_store_b64 v1, v[2:3]
.LBB29_181:
	s_wait_xcnt 0x0
	s_or_b32 exec_lo, exec_lo, s0
	s_wait_storecnt_dscnt 0x0
	s_barrier_signal -1
	s_barrier_wait -1
	s_clause 0x5
	scratch_load_b128 v[64:67], off, off offset:32
	scratch_load_b128 v[68:71], off, off offset:48
	;; [unrolled: 1-line block ×6, first 2 shown]
	v_mov_b32_e32 v2, 0
	ds_load_2addr_b64 v[88:91], v2 offset0:35 offset1:36
	ds_load_2addr_b64 v[92:95], v2 offset0:37 offset1:38
	scratch_load_b128 v[96:99], off, off offset:128
	s_mov_b32 s0, exec_lo
	s_wait_loadcnt_dscnt 0x601
	v_fma_f64 v[100:101], v[66:67], v[88:89], 0
	s_wait_loadcnt 0x5
	s_delay_alu instid0(VALU_DEP_1) | instskip(SKIP_4) | instid1(VALU_DEP_1)
	v_fmac_f64_e32 v[100:101], v[68:69], v[90:91]
	scratch_load_b128 v[66:69], off, off offset:144
	s_wait_dscnt 0x0
	v_fmac_f64_e32 v[100:101], v[70:71], v[92:93]
	s_wait_loadcnt 0x5
	v_fmac_f64_e32 v[100:101], v[72:73], v[94:95]
	ds_load_2addr_b64 v[70:73], v2 offset0:39 offset1:40
	ds_load_2addr_b64 v[88:91], v2 offset0:41 offset1:42
	s_wait_dscnt 0x1
	v_fmac_f64_e32 v[100:101], v[74:75], v[70:71]
	s_wait_loadcnt 0x4
	s_delay_alu instid0(VALU_DEP_1)
	v_fmac_f64_e32 v[100:101], v[76:77], v[72:73]
	s_clause 0x1
	scratch_load_b128 v[70:73], off, off offset:160
	scratch_load_b128 v[74:77], off, off offset:176
	s_wait_dscnt 0x0
	v_fmac_f64_e32 v[100:101], v[78:79], v[88:89]
	s_wait_loadcnt 0x5
	s_delay_alu instid0(VALU_DEP_1)
	v_fmac_f64_e32 v[100:101], v[80:81], v[90:91]
	ds_load_2addr_b64 v[78:81], v2 offset0:43 offset1:44
	ds_load_2addr_b64 v[88:91], v2 offset0:45 offset1:46
	s_wait_dscnt 0x1
	v_fmac_f64_e32 v[100:101], v[82:83], v[78:79]
	s_wait_loadcnt 0x4
	s_delay_alu instid0(VALU_DEP_1)
	v_fmac_f64_e32 v[100:101], v[84:85], v[80:81]
	s_clause 0x1
	scratch_load_b128 v[78:81], off, off offset:192
	scratch_load_b128 v[82:85], off, off offset:208
	s_wait_dscnt 0x0
	v_fmac_f64_e32 v[100:101], v[86:87], v[88:89]
	s_wait_loadcnt 0x5
	s_delay_alu instid0(VALU_DEP_1)
	v_fmac_f64_e32 v[100:101], v[96:97], v[90:91]
	ds_load_2addr_b64 v[86:89], v2 offset0:47 offset1:48
	ds_load_2addr_b64 v[90:93], v2 offset0:49 offset1:50
	s_wait_dscnt 0x1
	v_fmac_f64_e32 v[100:101], v[98:99], v[86:87]
	s_wait_loadcnt 0x4
	s_delay_alu instid0(VALU_DEP_1) | instskip(SKIP_4) | instid1(VALU_DEP_1)
	v_fmac_f64_e32 v[100:101], v[66:67], v[88:89]
	scratch_load_b128 v[86:89], off, off offset:224
	s_wait_dscnt 0x0
	v_fmac_f64_e32 v[100:101], v[68:69], v[90:91]
	s_wait_loadcnt 0x4
	v_fmac_f64_e32 v[100:101], v[70:71], v[92:93]
	ds_load_2addr_b64 v[66:69], v2 offset0:51 offset1:52
	ds_load_2addr_b64 v[90:93], v2 offset0:53 offset1:54
	s_wait_dscnt 0x1
	v_fmac_f64_e32 v[100:101], v[72:73], v[66:67]
	s_wait_loadcnt 0x3
	s_delay_alu instid0(VALU_DEP_1)
	v_fmac_f64_e32 v[100:101], v[74:75], v[68:69]
	ds_load_2addr_b64 v[66:69], v2 offset0:55 offset1:56
	ds_load_2addr_b64 v[70:73], v2 offset0:57 offset1:58
	s_wait_dscnt 0x2
	v_fmac_f64_e32 v[100:101], v[76:77], v[90:91]
	s_wait_loadcnt 0x2
	s_delay_alu instid0(VALU_DEP_1) | instskip(SKIP_1) | instid1(VALU_DEP_1)
	v_fmac_f64_e32 v[100:101], v[78:79], v[92:93]
	s_wait_dscnt 0x1
	v_fmac_f64_e32 v[100:101], v[80:81], v[66:67]
	ds_load_b64 v[66:67], v2 offset:472
	s_wait_loadcnt 0x1
	v_fmac_f64_e32 v[100:101], v[82:83], v[68:69]
	s_wait_dscnt 0x1
	s_delay_alu instid0(VALU_DEP_1) | instskip(SKIP_1) | instid1(VALU_DEP_1)
	v_fmac_f64_e32 v[100:101], v[84:85], v[70:71]
	s_wait_loadcnt 0x0
	v_fmac_f64_e32 v[100:101], v[86:87], v[72:73]
	s_wait_dscnt 0x0
	s_delay_alu instid0(VALU_DEP_1) | instskip(NEXT) | instid1(VALU_DEP_1)
	v_fmac_f64_e32 v[100:101], v[88:89], v[66:67]
	v_add_f64_e64 v[64:65], v[64:65], -v[100:101]
	scratch_store_b64 off, v[64:65], off offset:32
	s_wait_xcnt 0x0
	v_cmpx_lt_u32_e32 3, v0
	s_cbranch_execz .LBB29_183
; %bb.182:
	scratch_load_b64 v[64:65], off, off offset:24
	v_mov_b64_e32 v[66:67], 0
	scratch_store_b64 off, v[66:67], off offset:24
	s_wait_loadcnt 0x0
	ds_store_b64 v1, v[64:65]
.LBB29_183:
	s_wait_xcnt 0x0
	s_or_b32 exec_lo, exec_lo, s0
	s_wait_storecnt_dscnt 0x0
	s_barrier_signal -1
	s_barrier_wait -1
	s_clause 0x5
	scratch_load_b128 v[64:67], off, off offset:24
	scratch_load_b128 v[68:71], off, off offset:40
	;; [unrolled: 1-line block ×6, first 2 shown]
	ds_load_b128 v[88:91], v2 offset:272
	ds_load_b128 v[92:95], v2 offset:288
	scratch_load_b128 v[96:99], off, off offset:120
	s_mov_b32 s0, exec_lo
	s_wait_loadcnt_dscnt 0x601
	v_fma_f64 v[100:101], v[66:67], v[88:89], 0
	s_wait_loadcnt 0x5
	s_delay_alu instid0(VALU_DEP_1) | instskip(SKIP_4) | instid1(VALU_DEP_1)
	v_fmac_f64_e32 v[100:101], v[68:69], v[90:91]
	scratch_load_b128 v[66:69], off, off offset:136
	s_wait_dscnt 0x0
	v_fmac_f64_e32 v[100:101], v[70:71], v[92:93]
	s_wait_loadcnt 0x5
	v_fmac_f64_e32 v[100:101], v[72:73], v[94:95]
	ds_load_b128 v[70:73], v2 offset:304
	ds_load_b128 v[88:91], v2 offset:320
	scratch_load_b128 v[92:95], off, off offset:152
	s_wait_dscnt 0x1
	v_fmac_f64_e32 v[100:101], v[74:75], v[70:71]
	s_wait_loadcnt 0x5
	s_delay_alu instid0(VALU_DEP_1) | instskip(SKIP_4) | instid1(VALU_DEP_1)
	v_fmac_f64_e32 v[100:101], v[76:77], v[72:73]
	scratch_load_b128 v[70:73], off, off offset:168
	s_wait_dscnt 0x0
	v_fmac_f64_e32 v[100:101], v[78:79], v[88:89]
	s_wait_loadcnt 0x5
	v_fmac_f64_e32 v[100:101], v[80:81], v[90:91]
	ds_load_b128 v[74:77], v2 offset:336
	ds_load_b128 v[78:81], v2 offset:352
	s_wait_dscnt 0x1
	v_fmac_f64_e32 v[100:101], v[82:83], v[74:75]
	s_wait_loadcnt 0x4
	s_delay_alu instid0(VALU_DEP_1) | instskip(SKIP_4) | instid1(VALU_DEP_1)
	v_fmac_f64_e32 v[100:101], v[84:85], v[76:77]
	scratch_load_b128 v[74:77], off, off offset:184
	s_wait_dscnt 0x0
	v_fmac_f64_e32 v[100:101], v[86:87], v[78:79]
	s_wait_loadcnt 0x4
	v_fmac_f64_e32 v[100:101], v[96:97], v[80:81]
	scratch_load_b128 v[78:81], off, off offset:200
	ds_load_b128 v[82:85], v2 offset:368
	ds_load_b128 v[86:89], v2 offset:384
	scratch_load_b64 v[90:91], off, off offset:232
	s_wait_dscnt 0x1
	v_fmac_f64_e32 v[100:101], v[98:99], v[82:83]
	s_wait_loadcnt 0x5
	s_delay_alu instid0(VALU_DEP_1) | instskip(SKIP_4) | instid1(VALU_DEP_1)
	v_fmac_f64_e32 v[100:101], v[66:67], v[84:85]
	scratch_load_b128 v[82:85], off, off offset:216
	s_wait_dscnt 0x0
	v_fmac_f64_e32 v[100:101], v[68:69], v[86:87]
	s_wait_loadcnt 0x5
	v_fmac_f64_e32 v[100:101], v[92:93], v[88:89]
	ds_load_b128 v[66:69], v2 offset:400
	ds_load_b128 v[86:89], v2 offset:416
	s_wait_dscnt 0x1
	v_fmac_f64_e32 v[100:101], v[94:95], v[66:67]
	s_wait_loadcnt 0x4
	s_delay_alu instid0(VALU_DEP_1) | instskip(SKIP_1) | instid1(VALU_DEP_1)
	v_fmac_f64_e32 v[100:101], v[70:71], v[68:69]
	s_wait_dscnt 0x0
	v_fmac_f64_e32 v[100:101], v[72:73], v[86:87]
	ds_load_b128 v[66:69], v2 offset:432
	ds_load_b128 v[70:73], v2 offset:448
	s_wait_loadcnt 0x3
	v_fmac_f64_e32 v[100:101], v[74:75], v[88:89]
	s_wait_dscnt 0x1
	s_delay_alu instid0(VALU_DEP_1) | instskip(SKIP_1) | instid1(VALU_DEP_1)
	v_fmac_f64_e32 v[100:101], v[76:77], v[66:67]
	s_wait_loadcnt 0x2
	v_fmac_f64_e32 v[100:101], v[78:79], v[68:69]
	ds_load_b128 v[66:69], v2 offset:464
	s_wait_dscnt 0x1
	v_fmac_f64_e32 v[100:101], v[80:81], v[70:71]
	s_wait_loadcnt 0x0
	s_delay_alu instid0(VALU_DEP_1) | instskip(SKIP_1) | instid1(VALU_DEP_1)
	v_fmac_f64_e32 v[100:101], v[82:83], v[72:73]
	s_wait_dscnt 0x0
	v_fmac_f64_e32 v[100:101], v[84:85], v[66:67]
	s_delay_alu instid0(VALU_DEP_1) | instskip(NEXT) | instid1(VALU_DEP_1)
	v_fmac_f64_e32 v[100:101], v[90:91], v[68:69]
	v_add_f64_e64 v[2:3], v[64:65], -v[100:101]
	scratch_store_b64 off, v[2:3], off offset:24
	s_wait_xcnt 0x0
	v_cmpx_lt_u32_e32 2, v0
	s_cbranch_execz .LBB29_185
; %bb.184:
	scratch_load_b64 v[2:3], off, off offset:16
	v_mov_b64_e32 v[64:65], 0
	scratch_store_b64 off, v[64:65], off offset:16
	s_wait_loadcnt 0x0
	ds_store_b64 v1, v[2:3]
.LBB29_185:
	s_wait_xcnt 0x0
	s_or_b32 exec_lo, exec_lo, s0
	s_wait_storecnt_dscnt 0x0
	s_barrier_signal -1
	s_barrier_wait -1
	s_clause 0x5
	scratch_load_b128 v[64:67], off, off offset:16
	scratch_load_b128 v[68:71], off, off offset:32
	;; [unrolled: 1-line block ×6, first 2 shown]
	v_mov_b32_e32 v2, 0
	ds_load_2addr_b64 v[88:91], v2 offset0:33 offset1:34
	ds_load_2addr_b64 v[92:95], v2 offset0:35 offset1:36
	scratch_load_b128 v[96:99], off, off offset:112
	s_mov_b32 s0, exec_lo
	s_wait_loadcnt_dscnt 0x601
	v_fma_f64 v[100:101], v[66:67], v[88:89], 0
	s_wait_loadcnt 0x5
	s_delay_alu instid0(VALU_DEP_1) | instskip(SKIP_4) | instid1(VALU_DEP_1)
	v_fmac_f64_e32 v[100:101], v[68:69], v[90:91]
	scratch_load_b128 v[66:69], off, off offset:128
	s_wait_dscnt 0x0
	v_fmac_f64_e32 v[100:101], v[70:71], v[92:93]
	s_wait_loadcnt 0x5
	v_fmac_f64_e32 v[100:101], v[72:73], v[94:95]
	ds_load_2addr_b64 v[70:73], v2 offset0:37 offset1:38
	ds_load_2addr_b64 v[88:91], v2 offset0:39 offset1:40
	scratch_load_b128 v[92:95], off, off offset:144
	s_wait_dscnt 0x1
	v_fmac_f64_e32 v[100:101], v[74:75], v[70:71]
	s_wait_loadcnt 0x5
	s_delay_alu instid0(VALU_DEP_1) | instskip(SKIP_4) | instid1(VALU_DEP_1)
	v_fmac_f64_e32 v[100:101], v[76:77], v[72:73]
	scratch_load_b128 v[70:73], off, off offset:160
	s_wait_dscnt 0x0
	v_fmac_f64_e32 v[100:101], v[78:79], v[88:89]
	s_wait_loadcnt 0x5
	v_fmac_f64_e32 v[100:101], v[80:81], v[90:91]
	ds_load_2addr_b64 v[74:77], v2 offset0:41 offset1:42
	ds_load_2addr_b64 v[78:81], v2 offset0:43 offset1:44
	s_wait_dscnt 0x1
	v_fmac_f64_e32 v[100:101], v[82:83], v[74:75]
	s_wait_loadcnt 0x4
	s_delay_alu instid0(VALU_DEP_1) | instskip(SKIP_4) | instid1(VALU_DEP_1)
	v_fmac_f64_e32 v[100:101], v[84:85], v[76:77]
	scratch_load_b128 v[74:77], off, off offset:176
	s_wait_dscnt 0x0
	v_fmac_f64_e32 v[100:101], v[86:87], v[78:79]
	s_wait_loadcnt 0x4
	v_fmac_f64_e32 v[100:101], v[96:97], v[80:81]
	scratch_load_b128 v[78:81], off, off offset:192
	ds_load_2addr_b64 v[82:85], v2 offset0:45 offset1:46
	ds_load_2addr_b64 v[86:89], v2 offset0:47 offset1:48
	s_wait_dscnt 0x1
	v_fmac_f64_e32 v[100:101], v[98:99], v[82:83]
	s_wait_loadcnt 0x4
	s_delay_alu instid0(VALU_DEP_1)
	v_fmac_f64_e32 v[100:101], v[66:67], v[84:85]
	scratch_load_b128 v[82:85], off, off offset:208
	s_wait_dscnt 0x0
	v_fmac_f64_e32 v[100:101], v[68:69], v[86:87]
	scratch_load_b128 v[66:69], off, off offset:224
	s_wait_loadcnt 0x5
	v_fmac_f64_e32 v[100:101], v[92:93], v[88:89]
	ds_load_2addr_b64 v[86:89], v2 offset0:49 offset1:50
	ds_load_2addr_b64 v[90:93], v2 offset0:51 offset1:52
	s_wait_dscnt 0x1
	v_fmac_f64_e32 v[100:101], v[94:95], v[86:87]
	s_wait_loadcnt 0x4
	s_delay_alu instid0(VALU_DEP_1) | instskip(SKIP_1) | instid1(VALU_DEP_1)
	v_fmac_f64_e32 v[100:101], v[70:71], v[88:89]
	s_wait_dscnt 0x0
	v_fmac_f64_e32 v[100:101], v[72:73], v[90:91]
	ds_load_2addr_b64 v[70:73], v2 offset0:53 offset1:54
	ds_load_2addr_b64 v[86:89], v2 offset0:55 offset1:56
	s_wait_loadcnt 0x3
	v_fmac_f64_e32 v[100:101], v[74:75], v[92:93]
	s_wait_dscnt 0x1
	s_delay_alu instid0(VALU_DEP_1) | instskip(SKIP_1) | instid1(VALU_DEP_1)
	v_fmac_f64_e32 v[100:101], v[76:77], v[70:71]
	s_wait_loadcnt 0x2
	v_fmac_f64_e32 v[100:101], v[78:79], v[72:73]
	ds_load_2addr_b64 v[70:73], v2 offset0:57 offset1:58
	ds_load_b64 v[74:75], v2 offset:472
	s_wait_dscnt 0x2
	v_fmac_f64_e32 v[100:101], v[80:81], v[86:87]
	s_wait_loadcnt 0x1
	s_delay_alu instid0(VALU_DEP_1) | instskip(SKIP_1) | instid1(VALU_DEP_1)
	v_fmac_f64_e32 v[100:101], v[82:83], v[88:89]
	s_wait_dscnt 0x1
	v_fmac_f64_e32 v[100:101], v[84:85], v[70:71]
	s_wait_loadcnt 0x0
	s_delay_alu instid0(VALU_DEP_1) | instskip(SKIP_1) | instid1(VALU_DEP_1)
	v_fmac_f64_e32 v[100:101], v[66:67], v[72:73]
	s_wait_dscnt 0x0
	v_fmac_f64_e32 v[100:101], v[68:69], v[74:75]
	s_delay_alu instid0(VALU_DEP_1)
	v_add_f64_e64 v[64:65], v[64:65], -v[100:101]
	scratch_store_b64 off, v[64:65], off offset:16
	s_wait_xcnt 0x0
	v_cmpx_lt_u32_e32 1, v0
	s_cbranch_execz .LBB29_187
; %bb.186:
	scratch_load_b64 v[64:65], off, off offset:8
	v_mov_b64_e32 v[66:67], 0
	scratch_store_b64 off, v[66:67], off offset:8
	s_wait_loadcnt 0x0
	ds_store_b64 v1, v[64:65]
.LBB29_187:
	s_wait_xcnt 0x0
	s_or_b32 exec_lo, exec_lo, s0
	s_wait_storecnt_dscnt 0x0
	s_barrier_signal -1
	s_barrier_wait -1
	s_clause 0x4
	scratch_load_b128 v[64:67], off, off offset:8
	scratch_load_b128 v[68:71], off, off offset:24
	;; [unrolled: 1-line block ×5, first 2 shown]
	ds_load_b128 v[84:87], v2 offset:256
	ds_load_b128 v[88:91], v2 offset:272
	scratch_load_b128 v[92:95], off, off offset:88
	v_dual_ashrrev_i32 v9, 31, v8 :: v_dual_ashrrev_i32 v11, 31, v10
	v_dual_ashrrev_i32 v13, 31, v12 :: v_dual_ashrrev_i32 v19, 31, v18
	;; [unrolled: 1-line block ×13, first 2 shown]
	v_ashrrev_i32_e32 v61, 31, v60
	s_mov_b32 s0, exec_lo
	v_ashrrev_i32_e32 v15, 31, v14
	s_wait_loadcnt_dscnt 0x501
	v_fma_f64 v[96:97], v[66:67], v[84:85], 0
	s_wait_loadcnt 0x4
	s_delay_alu instid0(VALU_DEP_1) | instskip(SKIP_4) | instid1(VALU_DEP_1)
	v_fmac_f64_e32 v[96:97], v[68:69], v[86:87]
	scratch_load_b128 v[66:69], off, off offset:104
	s_wait_dscnt 0x0
	v_fmac_f64_e32 v[96:97], v[70:71], v[88:89]
	s_wait_loadcnt 0x4
	v_fmac_f64_e32 v[96:97], v[72:73], v[90:91]
	ds_load_b128 v[70:73], v2 offset:288
	ds_load_b128 v[84:87], v2 offset:304
	scratch_load_b128 v[88:91], off, off offset:120
	s_wait_dscnt 0x1
	v_fmac_f64_e32 v[96:97], v[74:75], v[70:71]
	s_wait_loadcnt 0x4
	s_delay_alu instid0(VALU_DEP_1) | instskip(SKIP_4) | instid1(VALU_DEP_1)
	v_fmac_f64_e32 v[96:97], v[76:77], v[72:73]
	scratch_load_b128 v[70:73], off, off offset:136
	s_wait_dscnt 0x0
	v_fmac_f64_e32 v[96:97], v[78:79], v[84:85]
	s_wait_loadcnt 0x4
	v_fmac_f64_e32 v[96:97], v[80:81], v[86:87]
	ds_load_b128 v[74:77], v2 offset:320
	ds_load_b128 v[78:81], v2 offset:336
	s_wait_dscnt 0x1
	v_fmac_f64_e32 v[96:97], v[82:83], v[74:75]
	scratch_load_b128 v[82:85], off, off offset:152
	s_wait_loadcnt 0x4
	v_fmac_f64_e32 v[96:97], v[92:93], v[76:77]
	scratch_load_b128 v[74:77], off, off offset:168
	s_wait_dscnt 0x0
	v_fmac_f64_e32 v[96:97], v[94:95], v[78:79]
	s_wait_loadcnt 0x4
	s_delay_alu instid0(VALU_DEP_1)
	v_fmac_f64_e32 v[96:97], v[66:67], v[80:81]
	ds_load_b128 v[78:81], v2 offset:352
	ds_load_b128 v[92:95], v2 offset:368
	s_wait_dscnt 0x1
	v_fmac_f64_e32 v[96:97], v[68:69], v[78:79]
	scratch_load_b128 v[66:69], off, off offset:184
	s_wait_loadcnt 0x4
	v_fmac_f64_e32 v[96:97], v[88:89], v[80:81]
	scratch_load_b128 v[78:81], off, off offset:200
	s_wait_dscnt 0x0
	v_fmac_f64_e32 v[96:97], v[90:91], v[92:93]
	ds_load_b128 v[86:89], v2 offset:384
	ds_load_b128 v[90:93], v2 offset:400
	s_wait_loadcnt 0x4
	v_fmac_f64_e32 v[96:97], v[70:71], v[94:95]
	scratch_load_b64 v[94:95], off, off offset:232
	s_wait_dscnt 0x1
	v_fmac_f64_e32 v[96:97], v[72:73], v[86:87]
	scratch_load_b128 v[70:73], off, off offset:216
	s_wait_loadcnt 0x5
	v_fmac_f64_e32 v[96:97], v[82:83], v[88:89]
	s_wait_dscnt 0x0
	s_delay_alu instid0(VALU_DEP_1)
	v_fmac_f64_e32 v[96:97], v[84:85], v[90:91]
	ds_load_b128 v[82:85], v2 offset:416
	ds_load_b128 v[86:89], v2 offset:432
	s_wait_loadcnt 0x4
	v_fmac_f64_e32 v[96:97], v[74:75], v[92:93]
	s_wait_dscnt 0x1
	s_delay_alu instid0(VALU_DEP_1) | instskip(SKIP_1) | instid1(VALU_DEP_1)
	v_fmac_f64_e32 v[96:97], v[76:77], v[82:83]
	s_wait_loadcnt 0x3
	v_fmac_f64_e32 v[96:97], v[66:67], v[84:85]
	s_wait_dscnt 0x0
	s_delay_alu instid0(VALU_DEP_1)
	v_fmac_f64_e32 v[96:97], v[68:69], v[86:87]
	ds_load_b128 v[66:69], v2 offset:448
	ds_load_b128 v[74:77], v2 offset:464
	s_wait_loadcnt 0x2
	v_fmac_f64_e32 v[96:97], v[78:79], v[88:89]
	s_wait_dscnt 0x1
	s_delay_alu instid0(VALU_DEP_1) | instskip(SKIP_1) | instid1(VALU_DEP_1)
	v_fmac_f64_e32 v[96:97], v[80:81], v[66:67]
	s_wait_loadcnt 0x0
	v_fmac_f64_e32 v[96:97], v[70:71], v[68:69]
	s_wait_dscnt 0x0
	s_delay_alu instid0(VALU_DEP_1) | instskip(NEXT) | instid1(VALU_DEP_1)
	v_fmac_f64_e32 v[96:97], v[72:73], v[74:75]
	v_fmac_f64_e32 v[96:97], v[94:95], v[76:77]
	s_delay_alu instid0(VALU_DEP_1)
	v_add_f64_e64 v[2:3], v[64:65], -v[96:97]
	scratch_store_b64 off, v[2:3], off offset:8
	s_wait_xcnt 0x0
	v_cmpx_ne_u32_e32 0, v0
	s_cbranch_execz .LBB29_189
; %bb.188:
	scratch_load_b64 v[2:3], off, off
	v_mov_b64_e32 v[64:65], 0
	scratch_store_b64 off, v[64:65], off
	s_wait_loadcnt 0x0
	ds_store_b64 v1, v[2:3]
.LBB29_189:
	s_wait_xcnt 0x0
	s_or_b32 exec_lo, exec_lo, s0
	s_wait_storecnt_dscnt 0x0
	s_barrier_signal -1
	s_barrier_wait -1
	s_clause 0x5
	scratch_load_b128 v[66:69], off, off
	scratch_load_b128 v[0:3], off, off offset:16
	scratch_load_b128 v[70:73], off, off offset:32
	;; [unrolled: 1-line block ×5, first 2 shown]
	v_mov_b32_e32 v64, 0
	scratch_load_b128 v[90:93], off, off offset:96
	s_and_b32 vcc_lo, exec_lo, s18
	scratch_load_b128 v[94:97], off, off offset:208
	ds_load_2addr_b64 v[86:89], v64 offset0:31 offset1:32
	s_wait_loadcnt_dscnt 0x700
	v_fma_f64 v[98:99], v[68:69], v[86:87], 0
	s_wait_loadcnt 0x6
	s_delay_alu instid0(VALU_DEP_1)
	v_fmac_f64_e32 v[98:99], v[0:1], v[88:89]
	ds_load_2addr_b64 v[86:89], v64 offset0:33 offset1:34
	s_wait_dscnt 0x0
	v_fmac_f64_e32 v[98:99], v[2:3], v[86:87]
	scratch_load_b128 v[0:3], off, off offset:112
	s_wait_loadcnt 0x6
	v_fmac_f64_e32 v[98:99], v[70:71], v[88:89]
	ds_load_2addr_b64 v[68:71], v64 offset0:35 offset1:36
	scratch_load_b128 v[86:89], off, off offset:128
	s_wait_dscnt 0x0
	v_fmac_f64_e32 v[98:99], v[72:73], v[68:69]
	s_wait_loadcnt 0x6
	s_delay_alu instid0(VALU_DEP_1)
	v_fmac_f64_e32 v[98:99], v[74:75], v[70:71]
	ds_load_2addr_b64 v[68:71], v64 offset0:37 offset1:38
	scratch_load_b128 v[72:75], off, off offset:144
	s_wait_dscnt 0x0
	v_fmac_f64_e32 v[98:99], v[76:77], v[68:69]
	s_wait_loadcnt 0x6
	s_delay_alu instid0(VALU_DEP_1)
	;; [unrolled: 7-line block ×4, first 2 shown]
	v_fmac_f64_e32 v[98:99], v[90:91], v[70:71]
	ds_load_2addr_b64 v[68:71], v64 offset0:43 offset1:44
	s_wait_dscnt 0x0
	v_fmac_f64_e32 v[98:99], v[92:93], v[68:69]
	scratch_load_b128 v[90:93], off, off offset:192
	s_wait_loadcnt 0x5
	v_fmac_f64_e32 v[98:99], v[0:1], v[70:71]
	ds_load_2addr_b64 v[68:71], v64 offset0:45 offset1:46
	s_wait_dscnt 0x0
	v_fmac_f64_e32 v[98:99], v[2:3], v[68:69]
	scratch_load_b128 v[0:3], off, off offset:224
	s_wait_loadcnt 0x5
	v_fmac_f64_e32 v[98:99], v[86:87], v[70:71]
	ds_load_2addr_b64 v[68:71], v64 offset0:47 offset1:48
	s_wait_dscnt 0x0
	v_fmac_f64_e32 v[98:99], v[88:89], v[68:69]
	s_wait_loadcnt 0x4
	s_delay_alu instid0(VALU_DEP_1) | instskip(SKIP_4) | instid1(VALU_DEP_1)
	v_fmac_f64_e32 v[98:99], v[72:73], v[70:71]
	ds_load_2addr_b64 v[68:71], v64 offset0:49 offset1:50
	s_wait_dscnt 0x0
	v_fmac_f64_e32 v[98:99], v[74:75], v[68:69]
	s_wait_loadcnt 0x3
	v_fmac_f64_e32 v[98:99], v[76:77], v[70:71]
	ds_load_2addr_b64 v[68:71], v64 offset0:51 offset1:52
	s_wait_dscnt 0x0
	v_fmac_f64_e32 v[98:99], v[78:79], v[68:69]
	s_wait_loadcnt 0x2
	s_delay_alu instid0(VALU_DEP_1) | instskip(SKIP_4) | instid1(VALU_DEP_1)
	v_fmac_f64_e32 v[98:99], v[80:81], v[70:71]
	ds_load_2addr_b64 v[68:71], v64 offset0:53 offset1:54
	s_wait_dscnt 0x0
	v_fmac_f64_e32 v[98:99], v[82:83], v[68:69]
	s_wait_loadcnt 0x1
	v_fmac_f64_e32 v[98:99], v[90:91], v[70:71]
	ds_load_2addr_b64 v[68:71], v64 offset0:55 offset1:56
	s_wait_dscnt 0x0
	v_fmac_f64_e32 v[98:99], v[92:93], v[68:69]
	s_delay_alu instid0(VALU_DEP_1)
	v_fmac_f64_e32 v[98:99], v[94:95], v[70:71]
	ds_load_2addr_b64 v[68:71], v64 offset0:57 offset1:58
	s_wait_dscnt 0x0
	v_fmac_f64_e32 v[98:99], v[96:97], v[68:69]
	ds_load_b64 v[68:69], v64 offset:472
	s_wait_loadcnt 0x0
	v_fmac_f64_e32 v[98:99], v[0:1], v[70:71]
	s_wait_dscnt 0x0
	s_delay_alu instid0(VALU_DEP_1) | instskip(NEXT) | instid1(VALU_DEP_1)
	v_fmac_f64_e32 v[98:99], v[2:3], v[68:69]
	v_add_f64_e64 v[70:71], v[66:67], -v[98:99]
	scratch_store_b64 off, v[70:71], off
	s_cbranch_vccz .LBB29_248
; %bb.190:
	global_load_b32 v2, v64, s[2:3] offset:112
	s_wait_loadcnt 0x0
	v_cmp_ne_u32_e32 vcc_lo, 29, v2
	s_cbranch_vccz .LBB29_192
; %bb.191:
	v_lshlrev_b32_e32 v2, 3, v2
	s_wait_xcnt 0x0
	s_delay_alu instid0(VALU_DEP_1)
	v_mov_b32_e32 v64, v2
	scratch_load_b64 v[2:3], v64, off offset:-8
	s_wait_loadcnt 0x0
	scratch_store_b64 off, v[2:3], off offset:224
	scratch_store_b64 v64, v[0:1], off offset:-8
.LBB29_192:
	s_wait_xcnt 0x0
	v_mov_b32_e32 v0, 0
	global_load_b32 v1, v0, s[2:3] offset:108
	s_wait_loadcnt 0x0
	v_cmp_eq_u32_e32 vcc_lo, 28, v1
	s_cbranch_vccnz .LBB29_194
; %bb.193:
	v_lshlrev_b32_e32 v1, 3, v1
	scratch_load_b64 v[2:3], v1, off offset:-8
	scratch_load_b64 v[64:65], off, off offset:216
	s_wait_loadcnt 0x1
	scratch_store_b64 off, v[2:3], off offset:216
	s_wait_loadcnt 0x0
	scratch_store_b64 v1, v[64:65], off offset:-8
.LBB29_194:
	global_load_b32 v0, v0, s[2:3] offset:104
	s_wait_loadcnt 0x0
	v_cmp_eq_u32_e32 vcc_lo, 27, v0
	s_cbranch_vccnz .LBB29_196
; %bb.195:
	s_wait_xcnt 0x0
	v_lshlrev_b32_e32 v0, 3, v0
	s_delay_alu instid0(VALU_DEP_1)
	v_mov_b32_e32 v64, v0
	scratch_load_b64 v[0:1], v64, off offset:-8
	scratch_load_b64 v[2:3], off, off offset:208
	s_wait_loadcnt 0x1
	scratch_store_b64 off, v[0:1], off offset:208
	s_wait_loadcnt 0x0
	scratch_store_b64 v64, v[2:3], off offset:-8
.LBB29_196:
	s_wait_xcnt 0x0
	v_mov_b32_e32 v0, 0
	global_load_b32 v1, v0, s[2:3] offset:100
	s_wait_loadcnt 0x0
	v_cmp_eq_u32_e32 vcc_lo, 26, v1
	s_cbranch_vccnz .LBB29_198
; %bb.197:
	v_lshlrev_b32_e32 v1, 3, v1
	scratch_load_b64 v[2:3], v1, off offset:-8
	scratch_load_b64 v[64:65], off, off offset:200
	s_wait_loadcnt 0x1
	scratch_store_b64 off, v[2:3], off offset:200
	s_wait_loadcnt 0x0
	scratch_store_b64 v1, v[64:65], off offset:-8
.LBB29_198:
	global_load_b32 v0, v0, s[2:3] offset:96
	s_wait_loadcnt 0x0
	v_cmp_eq_u32_e32 vcc_lo, 25, v0
	s_cbranch_vccnz .LBB29_200
; %bb.199:
	s_wait_xcnt 0x0
	v_lshlrev_b32_e32 v0, 3, v0
	s_delay_alu instid0(VALU_DEP_1)
	v_mov_b32_e32 v64, v0
	scratch_load_b64 v[0:1], v64, off offset:-8
	scratch_load_b64 v[2:3], off, off offset:192
	s_wait_loadcnt 0x1
	scratch_store_b64 off, v[0:1], off offset:192
	s_wait_loadcnt 0x0
	scratch_store_b64 v64, v[2:3], off offset:-8
.LBB29_200:
	;; [unrolled: 31-line block ×13, first 2 shown]
	s_wait_xcnt 0x0
	v_mov_b32_e32 v0, 0
	global_load_b32 v1, v0, s[2:3] offset:4
	s_wait_loadcnt 0x0
	v_cmp_eq_u32_e32 vcc_lo, 2, v1
	s_cbranch_vccnz .LBB29_246
; %bb.245:
	v_lshlrev_b32_e32 v1, 3, v1
	scratch_load_b64 v[2:3], v1, off offset:-8
	scratch_load_b64 v[64:65], off, off offset:8
	s_wait_loadcnt 0x1
	scratch_store_b64 off, v[2:3], off offset:8
	s_wait_loadcnt 0x0
	scratch_store_b64 v1, v[64:65], off offset:-8
.LBB29_246:
	global_load_b32 v0, v0, s[2:3]
	scratch_load_b64 v[70:71], off, off
	s_wait_loadcnt 0x1
	v_cmp_eq_u32_e32 vcc_lo, 1, v0
	s_cbranch_vccnz .LBB29_248
; %bb.247:
	s_wait_xcnt 0x1
	v_lshlrev_b32_e32 v0, 3, v0
	s_delay_alu instid0(VALU_DEP_1)
	v_mov_b32_e32 v2, v0
	scratch_load_b64 v[0:1], v2, off offset:-8
	s_wait_loadcnt 0x0
	scratch_store_b64 off, v[0:1], off
	scratch_store_b64 v2, v[70:71], off offset:-8
	scratch_load_b64 v[70:71], off, off
.LBB29_248:
	v_lshl_add_u64 v[74:75], v[8:9], 3, s[4:5]
	v_lshl_add_u64 v[72:73], v[10:11], 3, s[4:5]
	;; [unrolled: 1-line block ×5, first 2 shown]
	s_wait_xcnt 0x1
	v_lshl_add_u64 v[0:1], v[18:19], 3, s[4:5]
	v_lshl_add_u64 v[8:9], v[22:23], 3, s[4:5]
	v_lshl_add_u64 v[10:11], v[24:25], 3, s[4:5]
	v_lshl_add_u64 v[12:13], v[26:27], 3, s[4:5]
	v_lshl_add_u64 v[14:15], v[28:29], 3, s[4:5]
	v_lshl_add_u64 v[16:17], v[30:31], 3, s[4:5]
	v_lshl_add_u64 v[18:19], v[32:33], 3, s[4:5]
	v_lshl_add_u64 v[22:23], v[36:37], 3, s[4:5]
	v_lshl_add_u64 v[24:25], v[38:39], 3, s[4:5]
	v_lshl_add_u64 v[26:27], v[40:41], 3, s[4:5]
	v_lshl_add_u64 v[28:29], v[42:43], 3, s[4:5]
	v_lshl_add_u64 v[30:31], v[44:45], 3, s[4:5]
	v_lshl_add_u64 v[32:33], v[46:47], 3, s[4:5]
	v_lshl_add_u64 v[36:37], v[50:51], 3, s[4:5]
	v_lshl_add_u64 v[38:39], v[52:53], 3, s[4:5]
	v_lshl_add_u64 v[40:41], v[54:55], 3, s[4:5]
	v_lshl_add_u64 v[42:43], v[56:57], 3, s[4:5]
	v_lshl_add_u64 v[44:45], v[58:59], 3, s[4:5]
	v_lshl_add_u64 v[46:47], v[60:61], 3, s[4:5]
	s_clause 0x6
	scratch_load_b128 v[50:53], off, off offset:8
	scratch_load_b128 v[54:57], off, off offset:24
	;; [unrolled: 1-line block ×7, first 2 shown]
	s_wait_loadcnt 0x7
	global_store_b64 v[4:5], v[70:71], off
	v_lshl_add_u64 v[2:3], v[20:21], 3, s[4:5]
	v_lshl_add_u64 v[20:21], v[34:35], 3, s[4:5]
	;; [unrolled: 1-line block ×4, first 2 shown]
	scratch_load_b128 v[92:95], off, off offset:120
	s_wait_loadcnt 0x7
	s_clause 0x1
	global_store_b64 v[6:7], v[50:51], off
	global_store_b64 v[74:75], v[52:53], off
	s_wait_loadcnt 0x6
	s_clause 0x1
	global_store_b64 v[72:73], v[54:55], off
	global_store_b64 v[68:69], v[56:57], off
	;; [unrolled: 4-line block ×3, first 2 shown]
	s_clause 0x6
	scratch_load_b128 v[4:7], off, off offset:136
	scratch_load_b128 v[50:53], off, off offset:152
	;; [unrolled: 1-line block ×6, first 2 shown]
	scratch_load_b64 v[62:63], off, off offset:232
	s_wait_loadcnt 0xb
	s_clause 0x1
	global_store_b64 v[0:1], v[76:77], off
	global_store_b64 v[2:3], v[78:79], off
	s_wait_loadcnt 0xa
	s_clause 0x1
	global_store_b64 v[8:9], v[80:81], off
	global_store_b64 v[10:11], v[82:83], off
	;; [unrolled: 4-line block ×11, first 2 shown]
	s_wait_loadcnt 0x0
	global_store_b64 v[48:49], v[62:63], off
	s_sendmsg sendmsg(MSG_DEALLOC_VGPRS)
	s_endpgm
	.section	.rodata,"a",@progbits
	.p2align	6, 0x0
	.amdhsa_kernel _ZN9rocsolver6v33100L18getri_kernel_smallILi30EdPdEEvT1_iilPiilS4_bb
		.amdhsa_group_segment_fixed_size 488
		.amdhsa_private_segment_fixed_size 256
		.amdhsa_kernarg_size 60
		.amdhsa_user_sgpr_count 2
		.amdhsa_user_sgpr_dispatch_ptr 0
		.amdhsa_user_sgpr_queue_ptr 0
		.amdhsa_user_sgpr_kernarg_segment_ptr 1
		.amdhsa_user_sgpr_dispatch_id 0
		.amdhsa_user_sgpr_kernarg_preload_length 0
		.amdhsa_user_sgpr_kernarg_preload_offset 0
		.amdhsa_user_sgpr_private_segment_size 0
		.amdhsa_wavefront_size32 1
		.amdhsa_uses_dynamic_stack 0
		.amdhsa_enable_private_segment 1
		.amdhsa_system_sgpr_workgroup_id_x 1
		.amdhsa_system_sgpr_workgroup_id_y 0
		.amdhsa_system_sgpr_workgroup_id_z 0
		.amdhsa_system_sgpr_workgroup_info 0
		.amdhsa_system_vgpr_workitem_id 0
		.amdhsa_next_free_vgpr 102
		.amdhsa_next_free_sgpr 19
		.amdhsa_named_barrier_count 0
		.amdhsa_reserve_vcc 1
		.amdhsa_float_round_mode_32 0
		.amdhsa_float_round_mode_16_64 0
		.amdhsa_float_denorm_mode_32 3
		.amdhsa_float_denorm_mode_16_64 3
		.amdhsa_fp16_overflow 0
		.amdhsa_memory_ordered 1
		.amdhsa_forward_progress 1
		.amdhsa_inst_pref_size 180
		.amdhsa_round_robin_scheduling 0
		.amdhsa_exception_fp_ieee_invalid_op 0
		.amdhsa_exception_fp_denorm_src 0
		.amdhsa_exception_fp_ieee_div_zero 0
		.amdhsa_exception_fp_ieee_overflow 0
		.amdhsa_exception_fp_ieee_underflow 0
		.amdhsa_exception_fp_ieee_inexact 0
		.amdhsa_exception_int_div_zero 0
	.end_amdhsa_kernel
	.section	.text._ZN9rocsolver6v33100L18getri_kernel_smallILi30EdPdEEvT1_iilPiilS4_bb,"axG",@progbits,_ZN9rocsolver6v33100L18getri_kernel_smallILi30EdPdEEvT1_iilPiilS4_bb,comdat
.Lfunc_end29:
	.size	_ZN9rocsolver6v33100L18getri_kernel_smallILi30EdPdEEvT1_iilPiilS4_bb, .Lfunc_end29-_ZN9rocsolver6v33100L18getri_kernel_smallILi30EdPdEEvT1_iilPiilS4_bb
                                        ; -- End function
	.set _ZN9rocsolver6v33100L18getri_kernel_smallILi30EdPdEEvT1_iilPiilS4_bb.num_vgpr, 102
	.set _ZN9rocsolver6v33100L18getri_kernel_smallILi30EdPdEEvT1_iilPiilS4_bb.num_agpr, 0
	.set _ZN9rocsolver6v33100L18getri_kernel_smallILi30EdPdEEvT1_iilPiilS4_bb.numbered_sgpr, 19
	.set _ZN9rocsolver6v33100L18getri_kernel_smallILi30EdPdEEvT1_iilPiilS4_bb.num_named_barrier, 0
	.set _ZN9rocsolver6v33100L18getri_kernel_smallILi30EdPdEEvT1_iilPiilS4_bb.private_seg_size, 256
	.set _ZN9rocsolver6v33100L18getri_kernel_smallILi30EdPdEEvT1_iilPiilS4_bb.uses_vcc, 1
	.set _ZN9rocsolver6v33100L18getri_kernel_smallILi30EdPdEEvT1_iilPiilS4_bb.uses_flat_scratch, 1
	.set _ZN9rocsolver6v33100L18getri_kernel_smallILi30EdPdEEvT1_iilPiilS4_bb.has_dyn_sized_stack, 0
	.set _ZN9rocsolver6v33100L18getri_kernel_smallILi30EdPdEEvT1_iilPiilS4_bb.has_recursion, 0
	.set _ZN9rocsolver6v33100L18getri_kernel_smallILi30EdPdEEvT1_iilPiilS4_bb.has_indirect_call, 0
	.section	.AMDGPU.csdata,"",@progbits
; Kernel info:
; codeLenInByte = 22956
; TotalNumSgprs: 21
; NumVgprs: 102
; ScratchSize: 256
; MemoryBound: 0
; FloatMode: 240
; IeeeMode: 1
; LDSByteSize: 488 bytes/workgroup (compile time only)
; SGPRBlocks: 0
; VGPRBlocks: 6
; NumSGPRsForWavesPerEU: 21
; NumVGPRsForWavesPerEU: 102
; NamedBarCnt: 0
; Occupancy: 9
; WaveLimiterHint : 1
; COMPUTE_PGM_RSRC2:SCRATCH_EN: 1
; COMPUTE_PGM_RSRC2:USER_SGPR: 2
; COMPUTE_PGM_RSRC2:TRAP_HANDLER: 0
; COMPUTE_PGM_RSRC2:TGID_X_EN: 1
; COMPUTE_PGM_RSRC2:TGID_Y_EN: 0
; COMPUTE_PGM_RSRC2:TGID_Z_EN: 0
; COMPUTE_PGM_RSRC2:TIDIG_COMP_CNT: 0
	.section	.text._ZN9rocsolver6v33100L18getri_kernel_smallILi31EdPdEEvT1_iilPiilS4_bb,"axG",@progbits,_ZN9rocsolver6v33100L18getri_kernel_smallILi31EdPdEEvT1_iilPiilS4_bb,comdat
	.globl	_ZN9rocsolver6v33100L18getri_kernel_smallILi31EdPdEEvT1_iilPiilS4_bb ; -- Begin function _ZN9rocsolver6v33100L18getri_kernel_smallILi31EdPdEEvT1_iilPiilS4_bb
	.p2align	8
	.type	_ZN9rocsolver6v33100L18getri_kernel_smallILi31EdPdEEvT1_iilPiilS4_bb,@function
_ZN9rocsolver6v33100L18getri_kernel_smallILi31EdPdEEvT1_iilPiilS4_bb: ; @_ZN9rocsolver6v33100L18getri_kernel_smallILi31EdPdEEvT1_iilPiilS4_bb
; %bb.0:
	s_mov_b32 s2, exec_lo
	v_cmpx_gt_u32_e32 31, v0
	s_cbranch_execz .LBB30_134
; %bb.1:
	s_clause 0x2
	s_load_b32 s2, s[0:1], 0x38
	s_load_b128 s[12:15], s[0:1], 0x10
	s_load_b128 s[4:7], s[0:1], 0x28
	s_getreg_b32 s9, hwreg(HW_REG_IB_STS2, 6, 4)
	s_wait_kmcnt 0x0
	s_bitcmp1_b32 s2, 8
	s_cselect_b32 s18, -1, 0
	s_bfe_u32 s3, ttmp6, 0x4000c
	s_and_b32 s8, ttmp6, 15
	s_add_co_i32 s3, s3, 1
	s_delay_alu instid0(SALU_CYCLE_1) | instskip(NEXT) | instid1(SALU_CYCLE_1)
	s_mul_i32 s3, ttmp9, s3
	s_add_co_i32 s8, s8, s3
	s_cmp_eq_u32 s9, 0
	s_cselect_b32 s16, ttmp9, s8
	s_bfe_u32 s2, s2, 0x10008
	s_ashr_i32 s17, s16, 31
	s_cmp_eq_u32 s2, 0
                                        ; implicit-def: $sgpr2_sgpr3
	s_cbranch_scc1 .LBB30_3
; %bb.2:
	s_load_b32 s2, s[0:1], 0x20
	s_mul_u64 s[4:5], s[4:5], s[16:17]
	s_delay_alu instid0(SALU_CYCLE_1) | instskip(NEXT) | instid1(SALU_CYCLE_1)
	s_lshl_b64 s[4:5], s[4:5], 2
	s_add_nc_u64 s[4:5], s[14:15], s[4:5]
	s_wait_kmcnt 0x0
	s_ashr_i32 s3, s2, 31
	s_delay_alu instid0(SALU_CYCLE_1) | instskip(NEXT) | instid1(SALU_CYCLE_1)
	s_lshl_b64 s[2:3], s[2:3], 2
	s_add_nc_u64 s[2:3], s[4:5], s[2:3]
.LBB30_3:
	s_clause 0x1
	s_load_b128 s[8:11], s[0:1], 0x0
	s_load_b32 s14, s[0:1], 0x38
	s_wait_xcnt 0x0
	s_mul_u64 s[0:1], s[12:13], s[16:17]
	v_dual_mov_b32 v3, 0 :: v_dual_lshlrev_b32 v2, 3, v0
	s_lshl_b64 s[0:1], s[0:1], 3
	s_wait_kmcnt 0x0
	v_add3_u32 v8, s11, s11, v0
	s_ashr_i32 s5, s10, 31
	s_mov_b32 s4, s10
	s_add_nc_u64 s[0:1], s[8:9], s[0:1]
	s_lshl_b64 s[4:5], s[4:5], 3
	v_add_nc_u32_e32 v10, s11, v8
	s_add_nc_u64 s[4:5], s[0:1], s[4:5]
	s_ashr_i32 s1, s11, 31
	v_add_nc_u64_e32 v[6:7], s[4:5], v[2:3]
	s_mov_b32 s0, s11
	v_add_nc_u32_e32 v12, s11, v10
	s_bitcmp0_b32 s14, 0
	s_delay_alu instid0(VALU_DEP_2) | instskip(NEXT) | instid1(VALU_DEP_2)
	v_lshl_add_u64 v[4:5], s[0:1], 3, v[6:7]
	v_add_nc_u32_e32 v14, s11, v12
	s_clause 0x1
	global_load_b64 v[56:57], v0, s[4:5] scale_offset
	global_load_b64 v[58:59], v[4:5], off
	s_mov_b32 s1, -1
	v_add_nc_u32_e32 v16, s11, v14
	s_delay_alu instid0(VALU_DEP_1) | instskip(NEXT) | instid1(VALU_DEP_1)
	v_add_nc_u32_e32 v18, s11, v16
	v_add_nc_u32_e32 v20, s11, v18
	s_clause 0x3
	global_load_b64 v[60:61], v8, s[4:5] scale_offset
	global_load_b64 v[62:63], v10, s[4:5] scale_offset
	;; [unrolled: 1-line block ×4, first 2 shown]
	v_add_nc_u32_e32 v22, s11, v20
	s_delay_alu instid0(VALU_DEP_1) | instskip(NEXT) | instid1(VALU_DEP_1)
	v_add_nc_u32_e32 v24, s11, v22
	v_add_nc_u32_e32 v26, s11, v24
	s_delay_alu instid0(VALU_DEP_1)
	v_add_nc_u32_e32 v28, s11, v26
	s_clause 0x3
	global_load_b64 v[68:69], v16, s[4:5] scale_offset
	global_load_b64 v[70:71], v18, s[4:5] scale_offset
	;; [unrolled: 1-line block ×4, first 2 shown]
	v_add_nc_u32_e32 v30, s11, v28
	s_delay_alu instid0(VALU_DEP_1)
	v_add_nc_u32_e32 v32, s11, v30
	s_clause 0x3
	global_load_b64 v[76:77], v24, s[4:5] scale_offset
	global_load_b64 v[78:79], v26, s[4:5] scale_offset
	;; [unrolled: 1-line block ×4, first 2 shown]
	v_add_nc_u32_e32 v34, s11, v32
	s_delay_alu instid0(VALU_DEP_1) | instskip(NEXT) | instid1(VALU_DEP_1)
	v_add_nc_u32_e32 v36, s11, v34
	v_add_nc_u32_e32 v38, s11, v36
	s_delay_alu instid0(VALU_DEP_1) | instskip(NEXT) | instid1(VALU_DEP_1)
	v_add_nc_u32_e32 v40, s11, v38
	v_add_nc_u32_e32 v42, s11, v40
	s_delay_alu instid0(VALU_DEP_1)
	v_add_nc_u32_e32 v44, s11, v42
	s_clause 0x3
	global_load_b64 v[84:85], v32, s[4:5] scale_offset
	global_load_b64 v[86:87], v34, s[4:5] scale_offset
	;; [unrolled: 1-line block ×4, first 2 shown]
	v_add_nc_u32_e32 v46, s11, v44
	s_delay_alu instid0(VALU_DEP_1) | instskip(NEXT) | instid1(VALU_DEP_1)
	v_add_nc_u32_e32 v48, s11, v46
	v_add_nc_u32_e32 v50, s11, v48
	s_delay_alu instid0(VALU_DEP_1) | instskip(NEXT) | instid1(VALU_DEP_1)
	v_add_nc_u32_e32 v52, s11, v50
	v_add_nc_u32_e32 v54, s11, v52
	s_wait_loadcnt 0x10
	scratch_store_b128 off, v[56:59], off
	s_wait_xcnt 0x0
	v_add_nc_u32_e32 v56, s11, v54
	s_delay_alu instid0(VALU_DEP_1)
	v_add_nc_u32_e32 v58, s11, v56
	s_wait_loadcnt 0xe
	scratch_store_b128 off, v[60:63], off offset:16
	s_wait_xcnt 0x0
	v_add_nc_u32_e32 v60, s11, v58
	s_wait_loadcnt 0xc
	scratch_store_b128 off, v[64:67], off offset:32
	s_wait_loadcnt 0xa
	scratch_store_b128 off, v[68:71], off offset:48
	v_add_nc_u32_e32 v62, s11, v60
	s_clause 0x3
	global_load_b64 v[66:67], v40, s[4:5] scale_offset
	global_load_b64 v[68:69], v42, s[4:5] scale_offset
	;; [unrolled: 1-line block ×4, first 2 shown]
	s_wait_loadcnt 0xc
	scratch_store_b128 off, v[72:75], off offset:64
	s_wait_loadcnt 0xa
	scratch_store_b128 off, v[76:79], off offset:80
	v_add_nc_u32_e32 v64, s11, v62
	s_clause 0x3
	global_load_b64 v[70:71], v48, s[4:5] scale_offset
	global_load_b64 v[72:73], v50, s[4:5] scale_offset
	global_load_b64 v[74:75], v52, s[4:5] scale_offset
	global_load_b64 v[76:77], v54, s[4:5] scale_offset
	s_wait_loadcnt 0xc
	scratch_store_b128 off, v[80:83], off offset:96
	s_wait_loadcnt 0xa
	scratch_store_b128 off, v[84:87], off offset:112
	s_clause 0x1
	global_load_b64 v[78:79], v56, s[4:5] scale_offset
	global_load_b64 v[80:81], v58, s[4:5] scale_offset
	s_wait_loadcnt 0xa
	scratch_store_b128 off, v[88:91], off offset:128
	s_clause 0x2
	global_load_b64 v[82:83], v60, s[4:5] scale_offset
	global_load_b64 v[84:85], v62, s[4:5] scale_offset
	;; [unrolled: 1-line block ×3, first 2 shown]
	s_wait_loadcnt 0xb
	scratch_store_b128 off, v[66:69], off offset:144
	s_wait_loadcnt 0x9
	scratch_store_b128 off, v[92:95], off offset:160
	;; [unrolled: 2-line block ×6, first 2 shown]
	s_wait_loadcnt 0x0
	scratch_store_b64 off, v[86:87], off offset:240
	s_cbranch_scc1 .LBB30_132
; %bb.4:
	v_cmp_eq_u32_e64 s0, 0, v0
	s_wait_xcnt 0x0
	s_and_saveexec_b32 s1, s0
; %bb.5:
	v_mov_b32_e32 v1, 0
	ds_store_b32 v1, v1 offset:248
; %bb.6:
	s_or_b32 exec_lo, exec_lo, s1
	s_wait_storecnt_dscnt 0x0
	s_barrier_signal -1
	s_barrier_wait -1
	scratch_load_b64 v[66:67], v0, off scale_offset
	s_mov_b32 s8, exec_lo
	s_wait_loadcnt 0x0
	v_cmpx_eq_f64_e32 0, v[66:67]
	s_cbranch_execz .LBB30_10
; %bb.7:
	v_mov_b32_e32 v1, 0
	s_mov_b32 s9, 0
	ds_load_b32 v3, v1 offset:248
	s_wait_dscnt 0x0
	v_readfirstlane_b32 s1, v3
	v_add_nc_u32_e32 v3, 1, v0
	s_cmp_eq_u32 s1, 0
	s_delay_alu instid0(VALU_DEP_1) | instskip(SKIP_1) | instid1(SALU_CYCLE_1)
	v_cmp_gt_i32_e32 vcc_lo, s1, v3
	s_cselect_b32 s10, -1, 0
	s_or_b32 s10, s10, vcc_lo
	s_delay_alu instid0(SALU_CYCLE_1)
	s_and_b32 exec_lo, exec_lo, s10
	s_cbranch_execz .LBB30_10
; %bb.8:
	v_mov_b32_e32 v9, s1
.LBB30_9:                               ; =>This Inner Loop Header: Depth=1
	ds_cmpstore_rtn_b32 v9, v1, v3, v9 offset:248
	s_wait_dscnt 0x0
	v_cmp_ne_u32_e32 vcc_lo, 0, v9
	v_cmp_le_i32_e64 s1, v9, v3
	s_and_b32 s1, vcc_lo, s1
	s_delay_alu instid0(SALU_CYCLE_1) | instskip(NEXT) | instid1(SALU_CYCLE_1)
	s_and_b32 s1, exec_lo, s1
	s_or_b32 s9, s1, s9
	s_delay_alu instid0(SALU_CYCLE_1)
	s_and_not1_b32 exec_lo, exec_lo, s9
	s_cbranch_execnz .LBB30_9
.LBB30_10:
	s_or_b32 exec_lo, exec_lo, s8
	v_mov_b32_e32 v1, 0
	s_barrier_signal -1
	s_barrier_wait -1
	ds_load_b32 v3, v1 offset:248
	s_and_saveexec_b32 s1, s0
	s_cbranch_execz .LBB30_12
; %bb.11:
	s_lshl_b64 s[8:9], s[16:17], 2
	s_delay_alu instid0(SALU_CYCLE_1)
	s_add_nc_u64 s[8:9], s[6:7], s[8:9]
	s_wait_dscnt 0x0
	global_store_b32 v1, v3, s[8:9]
.LBB30_12:
	s_wait_xcnt 0x0
	s_or_b32 exec_lo, exec_lo, s1
	s_wait_dscnt 0x0
	v_cmp_ne_u32_e32 vcc_lo, 0, v3
	s_mov_b32 s1, 0
	s_cbranch_vccnz .LBB30_132
; %bb.13:
	v_lshl_add_u32 v3, v0, 3, 0
	v_add_nc_u32_e32 v1, 0x100, v2
	scratch_load_b64 v[66:67], v3, off
	s_wait_loadcnt 0x0
	v_div_scale_f64 v[68:69], null, v[66:67], v[66:67], 1.0
	v_div_scale_f64 v[74:75], vcc_lo, 1.0, v[66:67], 1.0
	s_delay_alu instid0(VALU_DEP_2) | instskip(SKIP_1) | instid1(TRANS32_DEP_1)
	v_rcp_f64_e32 v[70:71], v[68:69]
	v_nop
	v_fma_f64 v[72:73], -v[68:69], v[70:71], 1.0
	s_delay_alu instid0(VALU_DEP_1) | instskip(NEXT) | instid1(VALU_DEP_1)
	v_fmac_f64_e32 v[70:71], v[70:71], v[72:73]
	v_fma_f64 v[72:73], -v[68:69], v[70:71], 1.0
	s_delay_alu instid0(VALU_DEP_1) | instskip(NEXT) | instid1(VALU_DEP_1)
	v_fmac_f64_e32 v[70:71], v[70:71], v[72:73]
	v_mul_f64_e32 v[72:73], v[74:75], v[70:71]
	s_delay_alu instid0(VALU_DEP_1) | instskip(NEXT) | instid1(VALU_DEP_1)
	v_fma_f64 v[68:69], -v[68:69], v[72:73], v[74:75]
	v_div_fmas_f64 v[68:69], v[68:69], v[70:71], v[72:73]
	s_delay_alu instid0(VALU_DEP_1)
	v_div_fixup_f64 v[66:67], v[68:69], v[66:67], 1.0
	scratch_store_b64 v3, v[66:67], off
	scratch_load_b64 v[68:69], off, off offset:8
	s_wait_xcnt 0x1
	v_xor_b32_e32 v67, 0x80000000, v67
	s_wait_loadcnt 0x0
	ds_store_2addr_b64 v2, v[66:67], v[68:69] offset1:32
	s_wait_storecnt_dscnt 0x0
	s_barrier_signal -1
	s_barrier_wait -1
	s_wait_xcnt 0x0
	s_and_saveexec_b32 s1, s0
	s_cbranch_execz .LBB30_15
; %bb.14:
	scratch_load_b64 v[66:67], v3, off
	ds_load_b64 v[68:69], v1
	s_wait_loadcnt_dscnt 0x0
	v_fma_f64 v[66:67], v[66:67], v[68:69], 0
	v_mov_b32_e32 v9, 0
	ds_load_b64 v[70:71], v9 offset:8
	s_wait_dscnt 0x0
	v_mul_f64_e32 v[66:67], v[66:67], v[70:71]
	scratch_store_b64 off, v[66:67], off offset:8
.LBB30_15:
	s_wait_xcnt 0x0
	s_or_b32 exec_lo, exec_lo, s1
	s_wait_storecnt 0x0
	s_barrier_signal -1
	s_barrier_wait -1
	scratch_load_b64 v[66:67], off, off offset:16
	s_mov_b32 s1, exec_lo
	s_wait_loadcnt 0x0
	ds_store_b64 v1, v[66:67]
	s_wait_dscnt 0x0
	s_barrier_signal -1
	s_barrier_wait -1
	v_cmpx_gt_u32_e32 2, v0
	s_cbranch_execz .LBB30_19
; %bb.16:
	scratch_load_b64 v[66:67], v3, off
	ds_load_b64 v[68:69], v1
	s_wait_loadcnt_dscnt 0x0
	v_fma_f64 v[66:67], v[66:67], v[68:69], 0
	s_and_saveexec_b32 s8, s0
	s_cbranch_execz .LBB30_18
; %bb.17:
	scratch_load_b64 v[68:69], off, off offset:8
	v_mov_b32_e32 v3, 0
	ds_load_b64 v[70:71], v3 offset:264
	s_wait_loadcnt_dscnt 0x0
	v_fmac_f64_e32 v[66:67], v[68:69], v[70:71]
.LBB30_18:
	s_or_b32 exec_lo, exec_lo, s8
	v_mov_b32_e32 v3, 0
	ds_load_b64 v[68:69], v3 offset:16
	s_wait_dscnt 0x0
	v_mul_f64_e32 v[66:67], v[66:67], v[68:69]
	scratch_store_b64 off, v[66:67], off offset:16
.LBB30_19:
	s_wait_xcnt 0x0
	s_or_b32 exec_lo, exec_lo, s1
	s_wait_storecnt 0x0
	s_barrier_signal -1
	s_barrier_wait -1
	scratch_load_b64 v[66:67], off, off offset:24
	v_add_nc_u32_e32 v3, -1, v0
	s_mov_b32 s0, exec_lo
	s_wait_loadcnt 0x0
	ds_store_b64 v1, v[66:67]
	s_wait_dscnt 0x0
	s_barrier_signal -1
	s_barrier_wait -1
	v_cmpx_gt_u32_e32 3, v0
	s_cbranch_execz .LBB30_23
; %bb.20:
	v_mov_b64_e32 v[66:67], 0
	v_dual_add_nc_u32 v9, -1, v0 :: v_dual_mov_b32 v13, v2
	v_add_nc_u32_e32 v11, 0x100, v2
	s_mov_b32 s1, 0
.LBB30_21:                              ; =>This Inner Loop Header: Depth=1
	scratch_load_b64 v[68:69], v13, off
	ds_load_b64 v[70:71], v11
	v_dual_add_nc_u32 v9, 1, v9 :: v_dual_add_nc_u32 v11, 8, v11
	s_wait_xcnt 0x0
	v_add_nc_u32_e32 v13, 8, v13
	s_delay_alu instid0(VALU_DEP_2)
	v_cmp_lt_u32_e32 vcc_lo, 1, v9
	s_or_b32 s1, vcc_lo, s1
	s_wait_loadcnt_dscnt 0x0
	v_fmac_f64_e32 v[66:67], v[68:69], v[70:71]
	s_and_not1_b32 exec_lo, exec_lo, s1
	s_cbranch_execnz .LBB30_21
; %bb.22:
	s_or_b32 exec_lo, exec_lo, s1
	v_mov_b32_e32 v9, 0
	ds_load_b64 v[68:69], v9 offset:24
	s_wait_dscnt 0x0
	v_mul_f64_e32 v[66:67], v[66:67], v[68:69]
	scratch_store_b64 off, v[66:67], off offset:24
.LBB30_23:
	s_wait_xcnt 0x0
	s_or_b32 exec_lo, exec_lo, s0
	s_wait_storecnt 0x0
	s_barrier_signal -1
	s_barrier_wait -1
	scratch_load_b64 v[66:67], off, off offset:32
	s_mov_b32 s0, exec_lo
	s_wait_loadcnt 0x0
	ds_store_b64 v1, v[66:67]
	s_wait_dscnt 0x0
	s_barrier_signal -1
	s_barrier_wait -1
	v_cmpx_gt_u32_e32 4, v0
	s_cbranch_execz .LBB30_27
; %bb.24:
	v_mov_b64_e32 v[66:67], 0
	v_dual_add_nc_u32 v9, -1, v0 :: v_dual_mov_b32 v13, v2
	v_add_nc_u32_e32 v11, 0x100, v2
	s_mov_b32 s1, 0
.LBB30_25:                              ; =>This Inner Loop Header: Depth=1
	scratch_load_b64 v[68:69], v13, off
	ds_load_b64 v[70:71], v11
	v_dual_add_nc_u32 v9, 1, v9 :: v_dual_add_nc_u32 v11, 8, v11
	s_wait_xcnt 0x0
	v_add_nc_u32_e32 v13, 8, v13
	s_delay_alu instid0(VALU_DEP_2)
	v_cmp_lt_u32_e32 vcc_lo, 2, v9
	s_or_b32 s1, vcc_lo, s1
	s_wait_loadcnt_dscnt 0x0
	v_fmac_f64_e32 v[66:67], v[68:69], v[70:71]
	s_and_not1_b32 exec_lo, exec_lo, s1
	s_cbranch_execnz .LBB30_25
; %bb.26:
	s_or_b32 exec_lo, exec_lo, s1
	v_mov_b32_e32 v9, 0
	ds_load_b64 v[68:69], v9 offset:32
	s_wait_dscnt 0x0
	v_mul_f64_e32 v[66:67], v[66:67], v[68:69]
	scratch_store_b64 off, v[66:67], off offset:32
.LBB30_27:
	s_wait_xcnt 0x0
	s_or_b32 exec_lo, exec_lo, s0
	s_wait_storecnt 0x0
	s_barrier_signal -1
	s_barrier_wait -1
	scratch_load_b64 v[66:67], off, off offset:40
	;; [unrolled: 40-line block ×20, first 2 shown]
	s_mov_b32 s0, exec_lo
	s_wait_loadcnt 0x0
	ds_store_b64 v1, v[66:67]
	s_wait_dscnt 0x0
	s_barrier_signal -1
	s_barrier_wait -1
	v_cmpx_gt_u32_e32 23, v0
	s_cbranch_execz .LBB30_103
; %bb.100:
	v_mov_b64_e32 v[66:67], 0
	v_dual_add_nc_u32 v9, -1, v0 :: v_dual_mov_b32 v13, v2
	v_add_nc_u32_e32 v11, 0x100, v2
	s_mov_b32 s1, 0
.LBB30_101:                             ; =>This Inner Loop Header: Depth=1
	scratch_load_b64 v[68:69], v13, off
	ds_load_b64 v[70:71], v11
	v_dual_add_nc_u32 v9, 1, v9 :: v_dual_add_nc_u32 v11, 8, v11
	s_wait_xcnt 0x0
	v_add_nc_u32_e32 v13, 8, v13
	s_delay_alu instid0(VALU_DEP_2)
	v_cmp_lt_u32_e32 vcc_lo, 21, v9
	s_or_b32 s1, vcc_lo, s1
	s_wait_loadcnt_dscnt 0x0
	v_fmac_f64_e32 v[66:67], v[68:69], v[70:71]
	s_and_not1_b32 exec_lo, exec_lo, s1
	s_cbranch_execnz .LBB30_101
; %bb.102:
	s_or_b32 exec_lo, exec_lo, s1
	v_mov_b32_e32 v9, 0
	ds_load_b64 v[68:69], v9 offset:184
	s_wait_dscnt 0x0
	v_mul_f64_e32 v[66:67], v[66:67], v[68:69]
	scratch_store_b64 off, v[66:67], off offset:184
.LBB30_103:
	s_wait_xcnt 0x0
	s_or_b32 exec_lo, exec_lo, s0
	s_wait_storecnt 0x0
	s_barrier_signal -1
	s_barrier_wait -1
	scratch_load_b64 v[66:67], off, off offset:192
	s_mov_b32 s0, exec_lo
	s_wait_loadcnt 0x0
	ds_store_b64 v1, v[66:67]
	s_wait_dscnt 0x0
	s_barrier_signal -1
	s_barrier_wait -1
	v_cmpx_gt_u32_e32 24, v0
	s_cbranch_execz .LBB30_107
; %bb.104:
	v_mov_b64_e32 v[66:67], 0
	v_dual_add_nc_u32 v9, -1, v0 :: v_dual_mov_b32 v13, v2
	v_add_nc_u32_e32 v11, 0x100, v2
	s_mov_b32 s1, 0
.LBB30_105:                             ; =>This Inner Loop Header: Depth=1
	scratch_load_b64 v[68:69], v13, off
	ds_load_b64 v[70:71], v11
	v_dual_add_nc_u32 v9, 1, v9 :: v_dual_add_nc_u32 v11, 8, v11
	s_wait_xcnt 0x0
	v_add_nc_u32_e32 v13, 8, v13
	s_delay_alu instid0(VALU_DEP_2)
	v_cmp_lt_u32_e32 vcc_lo, 22, v9
	s_or_b32 s1, vcc_lo, s1
	s_wait_loadcnt_dscnt 0x0
	v_fmac_f64_e32 v[66:67], v[68:69], v[70:71]
	s_and_not1_b32 exec_lo, exec_lo, s1
	s_cbranch_execnz .LBB30_105
; %bb.106:
	s_or_b32 exec_lo, exec_lo, s1
	v_mov_b32_e32 v9, 0
	ds_load_b64 v[68:69], v9 offset:192
	s_wait_dscnt 0x0
	v_mul_f64_e32 v[66:67], v[66:67], v[68:69]
	scratch_store_b64 off, v[66:67], off offset:192
.LBB30_107:
	s_wait_xcnt 0x0
	s_or_b32 exec_lo, exec_lo, s0
	s_wait_storecnt 0x0
	s_barrier_signal -1
	s_barrier_wait -1
	scratch_load_b64 v[66:67], off, off offset:200
	;; [unrolled: 40-line block ×7, first 2 shown]
	s_mov_b32 s0, exec_lo
	s_wait_loadcnt 0x0
	ds_store_b64 v1, v[66:67]
	s_wait_dscnt 0x0
	s_barrier_signal -1
	s_barrier_wait -1
	v_cmpx_ne_u32_e32 30, v0
	s_cbranch_execz .LBB30_131
; %bb.128:
	v_mov_b64_e32 v[66:67], 0
	s_mov_b32 s1, 0
.LBB30_129:                             ; =>This Inner Loop Header: Depth=1
	scratch_load_b64 v[68:69], v2, off
	ds_load_b64 v[70:71], v1
	v_dual_add_nc_u32 v3, 1, v3 :: v_dual_add_nc_u32 v1, 8, v1
	s_wait_xcnt 0x0
	v_add_nc_u32_e32 v2, 8, v2
	s_delay_alu instid0(VALU_DEP_2)
	v_cmp_lt_u32_e32 vcc_lo, 28, v3
	s_or_b32 s1, vcc_lo, s1
	s_wait_loadcnt_dscnt 0x0
	v_fmac_f64_e32 v[66:67], v[68:69], v[70:71]
	s_and_not1_b32 exec_lo, exec_lo, s1
	s_cbranch_execnz .LBB30_129
; %bb.130:
	s_or_b32 exec_lo, exec_lo, s1
	v_mov_b32_e32 v1, 0
	ds_load_b64 v[2:3], v1 offset:240
	s_wait_dscnt 0x0
	v_mul_f64_e32 v[2:3], v[66:67], v[2:3]
	scratch_store_b64 off, v[2:3], off offset:240
.LBB30_131:
	s_wait_xcnt 0x0
	s_or_b32 exec_lo, exec_lo, s0
	s_mov_b32 s1, -1
	s_wait_storecnt 0x0
	s_barrier_signal -1
	s_barrier_wait -1
.LBB30_132:
	s_and_b32 vcc_lo, exec_lo, s1
	s_cbranch_vccz .LBB30_134
; %bb.133:
	v_mov_b32_e32 v1, 0
	s_lshl_b64 s[0:1], s[16:17], 2
	s_delay_alu instid0(SALU_CYCLE_1)
	s_add_nc_u64 s[0:1], s[6:7], s[0:1]
	global_load_b32 v1, v1, s[0:1]
	s_wait_loadcnt 0x0
	v_cmp_ne_u32_e32 vcc_lo, 0, v1
	s_cbranch_vccz .LBB30_135
.LBB30_134:
	s_sendmsg sendmsg(MSG_DEALLOC_VGPRS)
	s_endpgm
.LBB30_135:
	s_wait_xcnt 0x0
	v_lshl_add_u32 v1, v0, 3, 0x100
	s_mov_b32 s0, exec_lo
	v_cmpx_eq_u32_e32 30, v0
	s_cbranch_execz .LBB30_137
; %bb.136:
	scratch_load_b64 v[2:3], off, off offset:232
	v_mov_b64_e32 v[66:67], 0
	scratch_store_b64 off, v[66:67], off offset:232
	s_wait_loadcnt 0x0
	ds_store_b64 v1, v[2:3]
.LBB30_137:
	s_wait_xcnt 0x0
	s_or_b32 exec_lo, exec_lo, s0
	s_wait_storecnt_dscnt 0x0
	s_barrier_signal -1
	s_barrier_wait -1
	scratch_load_b128 v[66:69], off, off offset:232
	v_mov_b32_e32 v2, 0
	s_mov_b32 s0, exec_lo
	ds_load_b64 v[70:71], v2 offset:496
	s_wait_loadcnt_dscnt 0x0
	v_fma_f64 v[68:69], v[68:69], v[70:71], 0
	s_delay_alu instid0(VALU_DEP_1)
	v_add_f64_e64 v[66:67], v[66:67], -v[68:69]
	scratch_store_b64 off, v[66:67], off offset:232
	s_wait_xcnt 0x0
	v_cmpx_lt_u32_e32 28, v0
	s_cbranch_execz .LBB30_139
; %bb.138:
	scratch_load_b64 v[66:67], off, off offset:224
	v_mov_b64_e32 v[68:69], 0
	scratch_store_b64 off, v[68:69], off offset:224
	s_wait_loadcnt 0x0
	ds_store_b64 v1, v[66:67]
.LBB30_139:
	s_wait_xcnt 0x0
	s_or_b32 exec_lo, exec_lo, s0
	s_wait_storecnt_dscnt 0x0
	s_barrier_signal -1
	s_barrier_wait -1
	s_clause 0x1
	scratch_load_b128 v[66:69], off, off offset:224
	scratch_load_b64 v[74:75], off, off offset:240
	ds_load_2addr_b64 v[70:73], v2 offset0:61 offset1:62
	s_mov_b32 s0, exec_lo
	s_wait_loadcnt_dscnt 0x100
	v_fma_f64 v[2:3], v[68:69], v[70:71], 0
	s_wait_loadcnt 0x0
	s_delay_alu instid0(VALU_DEP_1) | instskip(NEXT) | instid1(VALU_DEP_1)
	v_fmac_f64_e32 v[2:3], v[74:75], v[72:73]
	v_add_f64_e64 v[2:3], v[66:67], -v[2:3]
	scratch_store_b64 off, v[2:3], off offset:224
	s_wait_xcnt 0x0
	v_cmpx_lt_u32_e32 27, v0
	s_cbranch_execz .LBB30_141
; %bb.140:
	scratch_load_b64 v[2:3], off, off offset:216
	v_mov_b64_e32 v[66:67], 0
	scratch_store_b64 off, v[66:67], off offset:216
	s_wait_loadcnt 0x0
	ds_store_b64 v1, v[2:3]
.LBB30_141:
	s_wait_xcnt 0x0
	s_or_b32 exec_lo, exec_lo, s0
	s_wait_storecnt_dscnt 0x0
	s_barrier_signal -1
	s_barrier_wait -1
	s_clause 0x1
	scratch_load_b128 v[66:69], off, off offset:216
	scratch_load_b128 v[70:73], off, off offset:232
	v_mov_b32_e32 v2, 0
	ds_load_b128 v[74:77], v2 offset:480
	ds_load_b64 v[78:79], v2 offset:496
	s_mov_b32 s0, exec_lo
	s_wait_loadcnt_dscnt 0x101
	v_fma_f64 v[68:69], v[68:69], v[74:75], 0
	s_wait_loadcnt 0x0
	s_delay_alu instid0(VALU_DEP_1) | instskip(SKIP_1) | instid1(VALU_DEP_1)
	v_fmac_f64_e32 v[68:69], v[70:71], v[76:77]
	s_wait_dscnt 0x0
	v_fmac_f64_e32 v[68:69], v[72:73], v[78:79]
	s_delay_alu instid0(VALU_DEP_1)
	v_add_f64_e64 v[66:67], v[66:67], -v[68:69]
	scratch_store_b64 off, v[66:67], off offset:216
	s_wait_xcnt 0x0
	v_cmpx_lt_u32_e32 26, v0
	s_cbranch_execz .LBB30_143
; %bb.142:
	scratch_load_b64 v[66:67], off, off offset:208
	v_mov_b64_e32 v[68:69], 0
	scratch_store_b64 off, v[68:69], off offset:208
	s_wait_loadcnt 0x0
	ds_store_b64 v1, v[66:67]
.LBB30_143:
	s_wait_xcnt 0x0
	s_or_b32 exec_lo, exec_lo, s0
	s_wait_storecnt_dscnt 0x0
	s_barrier_signal -1
	s_barrier_wait -1
	s_clause 0x2
	scratch_load_b128 v[66:69], off, off offset:208
	scratch_load_b128 v[70:73], off, off offset:224
	scratch_load_b64 v[82:83], off, off offset:240
	ds_load_2addr_b64 v[74:77], v2 offset0:59 offset1:60
	ds_load_2addr_b64 v[78:81], v2 offset0:61 offset1:62
	s_mov_b32 s0, exec_lo
	s_wait_loadcnt_dscnt 0x201
	v_fma_f64 v[2:3], v[68:69], v[74:75], 0
	s_wait_loadcnt 0x1
	s_delay_alu instid0(VALU_DEP_1) | instskip(SKIP_1) | instid1(VALU_DEP_1)
	v_fmac_f64_e32 v[2:3], v[70:71], v[76:77]
	s_wait_dscnt 0x0
	v_fmac_f64_e32 v[2:3], v[72:73], v[78:79]
	s_wait_loadcnt 0x0
	s_delay_alu instid0(VALU_DEP_1) | instskip(NEXT) | instid1(VALU_DEP_1)
	v_fmac_f64_e32 v[2:3], v[82:83], v[80:81]
	v_add_f64_e64 v[2:3], v[66:67], -v[2:3]
	scratch_store_b64 off, v[2:3], off offset:208
	s_wait_xcnt 0x0
	v_cmpx_lt_u32_e32 25, v0
	s_cbranch_execz .LBB30_145
; %bb.144:
	scratch_load_b64 v[2:3], off, off offset:200
	v_mov_b64_e32 v[66:67], 0
	scratch_store_b64 off, v[66:67], off offset:200
	s_wait_loadcnt 0x0
	ds_store_b64 v1, v[2:3]
.LBB30_145:
	s_wait_xcnt 0x0
	s_or_b32 exec_lo, exec_lo, s0
	s_wait_storecnt_dscnt 0x0
	s_barrier_signal -1
	s_barrier_wait -1
	s_clause 0x2
	scratch_load_b128 v[66:69], off, off offset:200
	scratch_load_b128 v[70:73], off, off offset:216
	;; [unrolled: 1-line block ×3, first 2 shown]
	v_mov_b32_e32 v2, 0
	ds_load_b128 v[78:81], v2 offset:464
	ds_load_b128 v[82:85], v2 offset:480
	s_mov_b32 s0, exec_lo
	s_wait_loadcnt_dscnt 0x201
	v_fma_f64 v[68:69], v[68:69], v[78:79], 0
	s_wait_loadcnt 0x1
	s_delay_alu instid0(VALU_DEP_1) | instskip(SKIP_4) | instid1(VALU_DEP_1)
	v_fmac_f64_e32 v[68:69], v[70:71], v[80:81]
	ds_load_b64 v[70:71], v2 offset:496
	s_wait_dscnt 0x1
	v_fmac_f64_e32 v[68:69], v[72:73], v[82:83]
	s_wait_loadcnt 0x0
	v_fmac_f64_e32 v[68:69], v[74:75], v[84:85]
	s_wait_dscnt 0x0
	s_delay_alu instid0(VALU_DEP_1) | instskip(NEXT) | instid1(VALU_DEP_1)
	v_fmac_f64_e32 v[68:69], v[76:77], v[70:71]
	v_add_f64_e64 v[66:67], v[66:67], -v[68:69]
	scratch_store_b64 off, v[66:67], off offset:200
	s_wait_xcnt 0x0
	v_cmpx_lt_u32_e32 24, v0
	s_cbranch_execz .LBB30_147
; %bb.146:
	scratch_load_b64 v[66:67], off, off offset:192
	v_mov_b64_e32 v[68:69], 0
	scratch_store_b64 off, v[68:69], off offset:192
	s_wait_loadcnt 0x0
	ds_store_b64 v1, v[66:67]
.LBB30_147:
	s_wait_xcnt 0x0
	s_or_b32 exec_lo, exec_lo, s0
	s_wait_storecnt_dscnt 0x0
	s_barrier_signal -1
	s_barrier_wait -1
	s_clause 0x3
	scratch_load_b128 v[66:69], off, off offset:192
	scratch_load_b128 v[70:73], off, off offset:208
	;; [unrolled: 1-line block ×3, first 2 shown]
	scratch_load_b64 v[86:87], off, off offset:240
	ds_load_2addr_b64 v[78:81], v2 offset0:57 offset1:58
	ds_load_2addr_b64 v[82:85], v2 offset0:59 offset1:60
	s_mov_b32 s0, exec_lo
	s_wait_loadcnt_dscnt 0x301
	v_fma_f64 v[78:79], v[68:69], v[78:79], 0
	s_wait_loadcnt 0x2
	s_delay_alu instid0(VALU_DEP_1) | instskip(SKIP_4) | instid1(VALU_DEP_1)
	v_fmac_f64_e32 v[78:79], v[70:71], v[80:81]
	ds_load_2addr_b64 v[68:71], v2 offset0:61 offset1:62
	s_wait_dscnt 0x1
	v_fmac_f64_e32 v[78:79], v[72:73], v[82:83]
	s_wait_loadcnt 0x1
	v_fmac_f64_e32 v[78:79], v[74:75], v[84:85]
	s_wait_dscnt 0x0
	s_delay_alu instid0(VALU_DEP_1) | instskip(SKIP_1) | instid1(VALU_DEP_1)
	v_fmac_f64_e32 v[78:79], v[76:77], v[68:69]
	s_wait_loadcnt 0x0
	v_fmac_f64_e32 v[78:79], v[86:87], v[70:71]
	s_delay_alu instid0(VALU_DEP_1)
	v_add_f64_e64 v[2:3], v[66:67], -v[78:79]
	scratch_store_b64 off, v[2:3], off offset:192
	s_wait_xcnt 0x0
	v_cmpx_lt_u32_e32 23, v0
	s_cbranch_execz .LBB30_149
; %bb.148:
	scratch_load_b64 v[2:3], off, off offset:184
	v_mov_b64_e32 v[66:67], 0
	scratch_store_b64 off, v[66:67], off offset:184
	s_wait_loadcnt 0x0
	ds_store_b64 v1, v[2:3]
.LBB30_149:
	s_wait_xcnt 0x0
	s_or_b32 exec_lo, exec_lo, s0
	s_wait_storecnt_dscnt 0x0
	s_barrier_signal -1
	s_barrier_wait -1
	s_clause 0x3
	scratch_load_b128 v[66:69], off, off offset:184
	scratch_load_b128 v[70:73], off, off offset:200
	;; [unrolled: 1-line block ×4, first 2 shown]
	v_mov_b32_e32 v2, 0
	ds_load_b128 v[82:85], v2 offset:448
	ds_load_b128 v[86:89], v2 offset:464
	s_mov_b32 s0, exec_lo
	s_wait_loadcnt_dscnt 0x301
	v_fma_f64 v[82:83], v[68:69], v[82:83], 0
	s_wait_loadcnt 0x2
	s_delay_alu instid0(VALU_DEP_1) | instskip(SKIP_1) | instid1(VALU_DEP_1)
	v_fmac_f64_e32 v[82:83], v[70:71], v[84:85]
	s_wait_dscnt 0x0
	v_fmac_f64_e32 v[82:83], v[72:73], v[86:87]
	ds_load_b128 v[68:71], v2 offset:480
	ds_load_b64 v[72:73], v2 offset:496
	s_wait_loadcnt 0x1
	v_fmac_f64_e32 v[82:83], v[74:75], v[88:89]
	s_wait_dscnt 0x1
	s_delay_alu instid0(VALU_DEP_1) | instskip(SKIP_1) | instid1(VALU_DEP_1)
	v_fmac_f64_e32 v[82:83], v[76:77], v[68:69]
	s_wait_loadcnt 0x0
	v_fmac_f64_e32 v[82:83], v[78:79], v[70:71]
	s_wait_dscnt 0x0
	s_delay_alu instid0(VALU_DEP_1) | instskip(NEXT) | instid1(VALU_DEP_1)
	v_fmac_f64_e32 v[82:83], v[80:81], v[72:73]
	v_add_f64_e64 v[66:67], v[66:67], -v[82:83]
	scratch_store_b64 off, v[66:67], off offset:184
	s_wait_xcnt 0x0
	v_cmpx_lt_u32_e32 22, v0
	s_cbranch_execz .LBB30_151
; %bb.150:
	scratch_load_b64 v[66:67], off, off offset:176
	v_mov_b64_e32 v[68:69], 0
	scratch_store_b64 off, v[68:69], off offset:176
	s_wait_loadcnt 0x0
	ds_store_b64 v1, v[66:67]
.LBB30_151:
	s_wait_xcnt 0x0
	s_or_b32 exec_lo, exec_lo, s0
	s_wait_storecnt_dscnt 0x0
	s_barrier_signal -1
	s_barrier_wait -1
	s_clause 0x4
	scratch_load_b128 v[66:69], off, off offset:176
	scratch_load_b128 v[70:73], off, off offset:192
	;; [unrolled: 1-line block ×4, first 2 shown]
	scratch_load_b64 v[90:91], off, off offset:240
	ds_load_2addr_b64 v[82:85], v2 offset0:55 offset1:56
	ds_load_2addr_b64 v[86:89], v2 offset0:57 offset1:58
	s_mov_b32 s0, exec_lo
	s_wait_loadcnt_dscnt 0x401
	v_fma_f64 v[82:83], v[68:69], v[82:83], 0
	s_wait_loadcnt 0x3
	s_delay_alu instid0(VALU_DEP_1) | instskip(SKIP_1) | instid1(VALU_DEP_1)
	v_fmac_f64_e32 v[82:83], v[70:71], v[84:85]
	s_wait_dscnt 0x0
	v_fmac_f64_e32 v[82:83], v[72:73], v[86:87]
	s_wait_loadcnt 0x2
	s_delay_alu instid0(VALU_DEP_1)
	v_fmac_f64_e32 v[82:83], v[74:75], v[88:89]
	ds_load_2addr_b64 v[68:71], v2 offset0:59 offset1:60
	ds_load_2addr_b64 v[72:75], v2 offset0:61 offset1:62
	s_wait_dscnt 0x1
	v_fmac_f64_e32 v[82:83], v[76:77], v[68:69]
	s_wait_loadcnt 0x1
	s_delay_alu instid0(VALU_DEP_1) | instskip(SKIP_1) | instid1(VALU_DEP_1)
	v_fmac_f64_e32 v[82:83], v[78:79], v[70:71]
	s_wait_dscnt 0x0
	v_fmac_f64_e32 v[82:83], v[80:81], v[72:73]
	s_wait_loadcnt 0x0
	s_delay_alu instid0(VALU_DEP_1) | instskip(NEXT) | instid1(VALU_DEP_1)
	v_fmac_f64_e32 v[82:83], v[90:91], v[74:75]
	v_add_f64_e64 v[2:3], v[66:67], -v[82:83]
	scratch_store_b64 off, v[2:3], off offset:176
	s_wait_xcnt 0x0
	v_cmpx_lt_u32_e32 21, v0
	s_cbranch_execz .LBB30_153
; %bb.152:
	scratch_load_b64 v[2:3], off, off offset:168
	v_mov_b64_e32 v[66:67], 0
	scratch_store_b64 off, v[66:67], off offset:168
	s_wait_loadcnt 0x0
	ds_store_b64 v1, v[2:3]
.LBB30_153:
	s_wait_xcnt 0x0
	s_or_b32 exec_lo, exec_lo, s0
	s_wait_storecnt_dscnt 0x0
	s_barrier_signal -1
	s_barrier_wait -1
	s_clause 0x4
	scratch_load_b128 v[66:69], off, off offset:168
	scratch_load_b128 v[70:73], off, off offset:184
	;; [unrolled: 1-line block ×5, first 2 shown]
	v_mov_b32_e32 v2, 0
	ds_load_b128 v[86:89], v2 offset:432
	ds_load_b128 v[90:93], v2 offset:448
	s_mov_b32 s0, exec_lo
	s_wait_loadcnt_dscnt 0x401
	v_fma_f64 v[86:87], v[68:69], v[86:87], 0
	s_wait_loadcnt 0x3
	s_delay_alu instid0(VALU_DEP_1) | instskip(SKIP_1) | instid1(VALU_DEP_1)
	v_fmac_f64_e32 v[86:87], v[70:71], v[88:89]
	s_wait_dscnt 0x0
	v_fmac_f64_e32 v[86:87], v[72:73], v[90:91]
	s_wait_loadcnt 0x2
	s_delay_alu instid0(VALU_DEP_1)
	v_fmac_f64_e32 v[86:87], v[74:75], v[92:93]
	ds_load_b128 v[68:71], v2 offset:464
	ds_load_b128 v[72:75], v2 offset:480
	s_wait_dscnt 0x1
	v_fmac_f64_e32 v[86:87], v[76:77], v[68:69]
	ds_load_b64 v[68:69], v2 offset:496
	s_wait_loadcnt 0x1
	v_fmac_f64_e32 v[86:87], v[78:79], v[70:71]
	s_wait_dscnt 0x1
	s_delay_alu instid0(VALU_DEP_1) | instskip(SKIP_1) | instid1(VALU_DEP_1)
	v_fmac_f64_e32 v[86:87], v[80:81], v[72:73]
	s_wait_loadcnt 0x0
	v_fmac_f64_e32 v[86:87], v[82:83], v[74:75]
	s_wait_dscnt 0x0
	s_delay_alu instid0(VALU_DEP_1) | instskip(NEXT) | instid1(VALU_DEP_1)
	v_fmac_f64_e32 v[86:87], v[84:85], v[68:69]
	v_add_f64_e64 v[66:67], v[66:67], -v[86:87]
	scratch_store_b64 off, v[66:67], off offset:168
	s_wait_xcnt 0x0
	v_cmpx_lt_u32_e32 20, v0
	s_cbranch_execz .LBB30_155
; %bb.154:
	scratch_load_b64 v[66:67], off, off offset:160
	v_mov_b64_e32 v[68:69], 0
	scratch_store_b64 off, v[68:69], off offset:160
	s_wait_loadcnt 0x0
	ds_store_b64 v1, v[66:67]
.LBB30_155:
	s_wait_xcnt 0x0
	s_or_b32 exec_lo, exec_lo, s0
	s_wait_storecnt_dscnt 0x0
	s_barrier_signal -1
	s_barrier_wait -1
	s_clause 0x5
	scratch_load_b128 v[66:69], off, off offset:160
	scratch_load_b128 v[70:73], off, off offset:176
	;; [unrolled: 1-line block ×5, first 2 shown]
	scratch_load_b64 v[94:95], off, off offset:240
	ds_load_2addr_b64 v[86:89], v2 offset0:53 offset1:54
	ds_load_2addr_b64 v[90:93], v2 offset0:55 offset1:56
	s_mov_b32 s0, exec_lo
	s_wait_loadcnt_dscnt 0x501
	v_fma_f64 v[86:87], v[68:69], v[86:87], 0
	s_wait_loadcnt 0x4
	s_delay_alu instid0(VALU_DEP_1) | instskip(SKIP_1) | instid1(VALU_DEP_1)
	v_fmac_f64_e32 v[86:87], v[70:71], v[88:89]
	s_wait_dscnt 0x0
	v_fmac_f64_e32 v[86:87], v[72:73], v[90:91]
	s_wait_loadcnt 0x3
	s_delay_alu instid0(VALU_DEP_1)
	v_fmac_f64_e32 v[86:87], v[74:75], v[92:93]
	ds_load_2addr_b64 v[68:71], v2 offset0:57 offset1:58
	ds_load_2addr_b64 v[72:75], v2 offset0:59 offset1:60
	s_wait_dscnt 0x1
	v_fmac_f64_e32 v[86:87], v[76:77], v[68:69]
	s_wait_loadcnt 0x2
	s_delay_alu instid0(VALU_DEP_1) | instskip(SKIP_4) | instid1(VALU_DEP_1)
	v_fmac_f64_e32 v[86:87], v[78:79], v[70:71]
	ds_load_2addr_b64 v[68:71], v2 offset0:61 offset1:62
	s_wait_dscnt 0x1
	v_fmac_f64_e32 v[86:87], v[80:81], v[72:73]
	s_wait_loadcnt 0x1
	v_fmac_f64_e32 v[86:87], v[82:83], v[74:75]
	s_wait_dscnt 0x0
	s_delay_alu instid0(VALU_DEP_1) | instskip(SKIP_1) | instid1(VALU_DEP_1)
	v_fmac_f64_e32 v[86:87], v[84:85], v[68:69]
	s_wait_loadcnt 0x0
	v_fmac_f64_e32 v[86:87], v[94:95], v[70:71]
	s_delay_alu instid0(VALU_DEP_1)
	v_add_f64_e64 v[2:3], v[66:67], -v[86:87]
	scratch_store_b64 off, v[2:3], off offset:160
	s_wait_xcnt 0x0
	v_cmpx_lt_u32_e32 19, v0
	s_cbranch_execz .LBB30_157
; %bb.156:
	scratch_load_b64 v[2:3], off, off offset:152
	v_mov_b64_e32 v[66:67], 0
	scratch_store_b64 off, v[66:67], off offset:152
	s_wait_loadcnt 0x0
	ds_store_b64 v1, v[2:3]
.LBB30_157:
	s_wait_xcnt 0x0
	s_or_b32 exec_lo, exec_lo, s0
	s_wait_storecnt_dscnt 0x0
	s_barrier_signal -1
	s_barrier_wait -1
	s_clause 0x5
	scratch_load_b128 v[66:69], off, off offset:152
	scratch_load_b128 v[70:73], off, off offset:168
	;; [unrolled: 1-line block ×6, first 2 shown]
	v_mov_b32_e32 v2, 0
	ds_load_b128 v[90:93], v2 offset:416
	ds_load_b128 v[94:97], v2 offset:432
	s_mov_b32 s0, exec_lo
	s_wait_loadcnt_dscnt 0x501
	v_fma_f64 v[90:91], v[68:69], v[90:91], 0
	s_wait_loadcnt 0x4
	s_delay_alu instid0(VALU_DEP_1) | instskip(SKIP_1) | instid1(VALU_DEP_1)
	v_fmac_f64_e32 v[90:91], v[70:71], v[92:93]
	s_wait_dscnt 0x0
	v_fmac_f64_e32 v[90:91], v[72:73], v[94:95]
	s_wait_loadcnt 0x3
	s_delay_alu instid0(VALU_DEP_1)
	v_fmac_f64_e32 v[90:91], v[74:75], v[96:97]
	ds_load_b128 v[68:71], v2 offset:448
	ds_load_b128 v[72:75], v2 offset:464
	s_wait_dscnt 0x1
	v_fmac_f64_e32 v[90:91], v[76:77], v[68:69]
	s_wait_loadcnt 0x2
	s_delay_alu instid0(VALU_DEP_1) | instskip(SKIP_1) | instid1(VALU_DEP_1)
	v_fmac_f64_e32 v[90:91], v[78:79], v[70:71]
	s_wait_dscnt 0x0
	v_fmac_f64_e32 v[90:91], v[80:81], v[72:73]
	ds_load_b128 v[68:71], v2 offset:480
	ds_load_b64 v[72:73], v2 offset:496
	s_wait_loadcnt 0x1
	v_fmac_f64_e32 v[90:91], v[82:83], v[74:75]
	s_wait_dscnt 0x1
	s_delay_alu instid0(VALU_DEP_1) | instskip(SKIP_1) | instid1(VALU_DEP_1)
	v_fmac_f64_e32 v[90:91], v[84:85], v[68:69]
	s_wait_loadcnt 0x0
	v_fmac_f64_e32 v[90:91], v[86:87], v[70:71]
	s_wait_dscnt 0x0
	s_delay_alu instid0(VALU_DEP_1) | instskip(NEXT) | instid1(VALU_DEP_1)
	v_fmac_f64_e32 v[90:91], v[88:89], v[72:73]
	v_add_f64_e64 v[66:67], v[66:67], -v[90:91]
	scratch_store_b64 off, v[66:67], off offset:152
	s_wait_xcnt 0x0
	v_cmpx_lt_u32_e32 18, v0
	s_cbranch_execz .LBB30_159
; %bb.158:
	scratch_load_b64 v[66:67], off, off offset:144
	v_mov_b64_e32 v[68:69], 0
	scratch_store_b64 off, v[68:69], off offset:144
	s_wait_loadcnt 0x0
	ds_store_b64 v1, v[66:67]
.LBB30_159:
	s_wait_xcnt 0x0
	s_or_b32 exec_lo, exec_lo, s0
	s_wait_storecnt_dscnt 0x0
	s_barrier_signal -1
	s_barrier_wait -1
	s_clause 0x5
	scratch_load_b128 v[66:69], off, off offset:144
	scratch_load_b128 v[70:73], off, off offset:160
	scratch_load_b128 v[74:77], off, off offset:176
	scratch_load_b128 v[78:81], off, off offset:192
	scratch_load_b128 v[82:85], off, off offset:208
	scratch_load_b128 v[86:89], off, off offset:224
	ds_load_2addr_b64 v[90:93], v2 offset0:51 offset1:52
	ds_load_2addr_b64 v[94:97], v2 offset0:53 offset1:54
	s_mov_b32 s0, exec_lo
	s_wait_loadcnt_dscnt 0x501
	v_fma_f64 v[90:91], v[68:69], v[90:91], 0
	s_wait_loadcnt 0x4
	s_delay_alu instid0(VALU_DEP_1) | instskip(SKIP_4) | instid1(VALU_DEP_1)
	v_fmac_f64_e32 v[90:91], v[70:71], v[92:93]
	scratch_load_b64 v[92:93], off, off offset:240
	s_wait_dscnt 0x0
	v_fmac_f64_e32 v[90:91], v[72:73], v[94:95]
	s_wait_loadcnt 0x4
	v_fmac_f64_e32 v[90:91], v[74:75], v[96:97]
	ds_load_2addr_b64 v[68:71], v2 offset0:55 offset1:56
	ds_load_2addr_b64 v[72:75], v2 offset0:57 offset1:58
	s_wait_dscnt 0x1
	v_fmac_f64_e32 v[90:91], v[76:77], v[68:69]
	s_wait_loadcnt 0x3
	s_delay_alu instid0(VALU_DEP_1) | instskip(SKIP_1) | instid1(VALU_DEP_1)
	v_fmac_f64_e32 v[90:91], v[78:79], v[70:71]
	s_wait_dscnt 0x0
	v_fmac_f64_e32 v[90:91], v[80:81], v[72:73]
	s_wait_loadcnt 0x2
	s_delay_alu instid0(VALU_DEP_1)
	v_fmac_f64_e32 v[90:91], v[82:83], v[74:75]
	ds_load_2addr_b64 v[68:71], v2 offset0:59 offset1:60
	ds_load_2addr_b64 v[72:75], v2 offset0:61 offset1:62
	s_wait_dscnt 0x1
	v_fmac_f64_e32 v[90:91], v[84:85], v[68:69]
	s_wait_loadcnt 0x1
	s_delay_alu instid0(VALU_DEP_1) | instskip(SKIP_1) | instid1(VALU_DEP_1)
	v_fmac_f64_e32 v[90:91], v[86:87], v[70:71]
	s_wait_dscnt 0x0
	v_fmac_f64_e32 v[90:91], v[88:89], v[72:73]
	s_wait_loadcnt 0x0
	s_delay_alu instid0(VALU_DEP_1) | instskip(NEXT) | instid1(VALU_DEP_1)
	v_fmac_f64_e32 v[90:91], v[92:93], v[74:75]
	v_add_f64_e64 v[2:3], v[66:67], -v[90:91]
	scratch_store_b64 off, v[2:3], off offset:144
	s_wait_xcnt 0x0
	v_cmpx_lt_u32_e32 17, v0
	s_cbranch_execz .LBB30_161
; %bb.160:
	scratch_load_b64 v[2:3], off, off offset:136
	v_mov_b64_e32 v[66:67], 0
	scratch_store_b64 off, v[66:67], off offset:136
	s_wait_loadcnt 0x0
	ds_store_b64 v1, v[2:3]
.LBB30_161:
	s_wait_xcnt 0x0
	s_or_b32 exec_lo, exec_lo, s0
	s_wait_storecnt_dscnt 0x0
	s_barrier_signal -1
	s_barrier_wait -1
	s_clause 0x5
	scratch_load_b128 v[66:69], off, off offset:136
	scratch_load_b128 v[70:73], off, off offset:152
	;; [unrolled: 1-line block ×6, first 2 shown]
	v_mov_b32_e32 v2, 0
	ds_load_b128 v[90:93], v2 offset:400
	ds_load_b128 v[94:97], v2 offset:416
	s_mov_b32 s0, exec_lo
	s_wait_loadcnt_dscnt 0x501
	v_fma_f64 v[98:99], v[68:69], v[90:91], 0
	s_wait_loadcnt 0x4
	s_delay_alu instid0(VALU_DEP_1) | instskip(SKIP_4) | instid1(VALU_DEP_1)
	v_fmac_f64_e32 v[98:99], v[70:71], v[92:93]
	scratch_load_b128 v[68:71], off, off offset:232
	s_wait_dscnt 0x0
	v_fmac_f64_e32 v[98:99], v[72:73], v[94:95]
	s_wait_loadcnt 0x4
	v_fmac_f64_e32 v[98:99], v[74:75], v[96:97]
	ds_load_b128 v[72:75], v2 offset:432
	ds_load_b128 v[90:93], v2 offset:448
	s_wait_dscnt 0x1
	v_fmac_f64_e32 v[98:99], v[76:77], v[72:73]
	s_wait_loadcnt 0x3
	s_delay_alu instid0(VALU_DEP_1)
	v_fmac_f64_e32 v[98:99], v[78:79], v[74:75]
	ds_load_b128 v[72:75], v2 offset:464
	ds_load_b128 v[76:79], v2 offset:480
	s_wait_dscnt 0x2
	v_fmac_f64_e32 v[98:99], v[80:81], v[90:91]
	s_wait_loadcnt 0x2
	s_delay_alu instid0(VALU_DEP_1) | instskip(SKIP_1) | instid1(VALU_DEP_1)
	v_fmac_f64_e32 v[98:99], v[82:83], v[92:93]
	s_wait_dscnt 0x1
	v_fmac_f64_e32 v[98:99], v[84:85], v[72:73]
	s_wait_loadcnt 0x1
	s_delay_alu instid0(VALU_DEP_1) | instskip(SKIP_1) | instid1(VALU_DEP_1)
	v_fmac_f64_e32 v[98:99], v[86:87], v[74:75]
	s_wait_dscnt 0x0
	v_fmac_f64_e32 v[98:99], v[88:89], v[76:77]
	s_wait_loadcnt 0x0
	s_delay_alu instid0(VALU_DEP_1) | instskip(SKIP_3) | instid1(VALU_DEP_1)
	v_fmac_f64_e32 v[98:99], v[68:69], v[78:79]
	ds_load_b64 v[68:69], v2 offset:496
	s_wait_dscnt 0x0
	v_fmac_f64_e32 v[98:99], v[70:71], v[68:69]
	v_add_f64_e64 v[66:67], v[66:67], -v[98:99]
	scratch_store_b64 off, v[66:67], off offset:136
	s_wait_xcnt 0x0
	v_cmpx_lt_u32_e32 16, v0
	s_cbranch_execz .LBB30_163
; %bb.162:
	scratch_load_b64 v[66:67], off, off offset:128
	v_mov_b64_e32 v[68:69], 0
	scratch_store_b64 off, v[68:69], off offset:128
	s_wait_loadcnt 0x0
	ds_store_b64 v1, v[66:67]
.LBB30_163:
	s_wait_xcnt 0x0
	s_or_b32 exec_lo, exec_lo, s0
	s_wait_storecnt_dscnt 0x0
	s_barrier_signal -1
	s_barrier_wait -1
	s_clause 0x5
	scratch_load_b128 v[66:69], off, off offset:128
	scratch_load_b128 v[70:73], off, off offset:144
	;; [unrolled: 1-line block ×6, first 2 shown]
	ds_load_2addr_b64 v[90:93], v2 offset0:49 offset1:50
	ds_load_2addr_b64 v[94:97], v2 offset0:51 offset1:52
	s_mov_b32 s0, exec_lo
	s_wait_loadcnt_dscnt 0x501
	v_fma_f64 v[98:99], v[68:69], v[90:91], 0
	s_wait_loadcnt 0x4
	s_delay_alu instid0(VALU_DEP_1)
	v_fmac_f64_e32 v[98:99], v[70:71], v[92:93]
	scratch_load_b128 v[68:71], off, off offset:224
	s_wait_dscnt 0x0
	v_fmac_f64_e32 v[98:99], v[72:73], v[94:95]
	scratch_load_b64 v[94:95], off, off offset:240
	s_wait_loadcnt 0x5
	v_fmac_f64_e32 v[98:99], v[74:75], v[96:97]
	ds_load_2addr_b64 v[72:75], v2 offset0:53 offset1:54
	ds_load_2addr_b64 v[90:93], v2 offset0:55 offset1:56
	s_wait_dscnt 0x1
	v_fmac_f64_e32 v[98:99], v[76:77], v[72:73]
	s_wait_loadcnt 0x4
	s_delay_alu instid0(VALU_DEP_1)
	v_fmac_f64_e32 v[98:99], v[78:79], v[74:75]
	ds_load_2addr_b64 v[72:75], v2 offset0:57 offset1:58
	ds_load_2addr_b64 v[76:79], v2 offset0:59 offset1:60
	s_wait_dscnt 0x2
	v_fmac_f64_e32 v[98:99], v[80:81], v[90:91]
	s_wait_loadcnt 0x3
	s_delay_alu instid0(VALU_DEP_1) | instskip(SKIP_1) | instid1(VALU_DEP_1)
	v_fmac_f64_e32 v[98:99], v[82:83], v[92:93]
	s_wait_dscnt 0x1
	v_fmac_f64_e32 v[98:99], v[84:85], v[72:73]
	s_wait_loadcnt 0x2
	s_delay_alu instid0(VALU_DEP_1) | instskip(SKIP_4) | instid1(VALU_DEP_1)
	v_fmac_f64_e32 v[98:99], v[86:87], v[74:75]
	ds_load_2addr_b64 v[72:75], v2 offset0:61 offset1:62
	s_wait_dscnt 0x1
	v_fmac_f64_e32 v[98:99], v[88:89], v[76:77]
	s_wait_loadcnt 0x1
	v_fmac_f64_e32 v[98:99], v[68:69], v[78:79]
	s_wait_dscnt 0x0
	s_delay_alu instid0(VALU_DEP_1) | instskip(SKIP_1) | instid1(VALU_DEP_1)
	v_fmac_f64_e32 v[98:99], v[70:71], v[72:73]
	s_wait_loadcnt 0x0
	v_fmac_f64_e32 v[98:99], v[94:95], v[74:75]
	s_delay_alu instid0(VALU_DEP_1)
	v_add_f64_e64 v[2:3], v[66:67], -v[98:99]
	scratch_store_b64 off, v[2:3], off offset:128
	s_wait_xcnt 0x0
	v_cmpx_lt_u32_e32 15, v0
	s_cbranch_execz .LBB30_165
; %bb.164:
	scratch_load_b64 v[2:3], off, off offset:120
	v_mov_b64_e32 v[66:67], 0
	scratch_store_b64 off, v[66:67], off offset:120
	s_wait_loadcnt 0x0
	ds_store_b64 v1, v[2:3]
.LBB30_165:
	s_wait_xcnt 0x0
	s_or_b32 exec_lo, exec_lo, s0
	s_wait_storecnt_dscnt 0x0
	s_barrier_signal -1
	s_barrier_wait -1
	s_clause 0x5
	scratch_load_b128 v[66:69], off, off offset:120
	scratch_load_b128 v[70:73], off, off offset:136
	;; [unrolled: 1-line block ×6, first 2 shown]
	v_mov_b32_e32 v2, 0
	ds_load_b128 v[90:93], v2 offset:384
	ds_load_b128 v[94:97], v2 offset:400
	s_mov_b32 s0, exec_lo
	s_wait_loadcnt_dscnt 0x501
	v_fma_f64 v[98:99], v[68:69], v[90:91], 0
	s_wait_loadcnt 0x4
	s_delay_alu instid0(VALU_DEP_1) | instskip(SKIP_4) | instid1(VALU_DEP_1)
	v_fmac_f64_e32 v[98:99], v[70:71], v[92:93]
	scratch_load_b128 v[68:71], off, off offset:216
	s_wait_dscnt 0x0
	v_fmac_f64_e32 v[98:99], v[72:73], v[94:95]
	s_wait_loadcnt 0x4
	v_fmac_f64_e32 v[98:99], v[74:75], v[96:97]
	scratch_load_b128 v[72:75], off, off offset:232
	ds_load_b128 v[90:93], v2 offset:416
	ds_load_b128 v[94:97], v2 offset:432
	s_wait_dscnt 0x1
	v_fmac_f64_e32 v[98:99], v[76:77], v[90:91]
	s_wait_loadcnt 0x4
	s_delay_alu instid0(VALU_DEP_1) | instskip(SKIP_1) | instid1(VALU_DEP_1)
	v_fmac_f64_e32 v[98:99], v[78:79], v[92:93]
	s_wait_dscnt 0x0
	v_fmac_f64_e32 v[98:99], v[80:81], v[94:95]
	s_wait_loadcnt 0x3
	s_delay_alu instid0(VALU_DEP_1)
	v_fmac_f64_e32 v[98:99], v[82:83], v[96:97]
	ds_load_b128 v[76:79], v2 offset:448
	ds_load_b128 v[80:83], v2 offset:464
	s_wait_dscnt 0x1
	v_fmac_f64_e32 v[98:99], v[84:85], v[76:77]
	s_wait_loadcnt 0x2
	s_delay_alu instid0(VALU_DEP_1) | instskip(SKIP_1) | instid1(VALU_DEP_1)
	v_fmac_f64_e32 v[98:99], v[86:87], v[78:79]
	s_wait_dscnt 0x0
	v_fmac_f64_e32 v[98:99], v[88:89], v[80:81]
	s_wait_loadcnt 0x1
	s_delay_alu instid0(VALU_DEP_1)
	v_fmac_f64_e32 v[98:99], v[68:69], v[82:83]
	ds_load_b128 v[76:79], v2 offset:480
	ds_load_b64 v[68:69], v2 offset:496
	s_wait_dscnt 0x1
	v_fmac_f64_e32 v[98:99], v[70:71], v[76:77]
	s_wait_loadcnt 0x0
	s_delay_alu instid0(VALU_DEP_1) | instskip(SKIP_1) | instid1(VALU_DEP_1)
	v_fmac_f64_e32 v[98:99], v[72:73], v[78:79]
	s_wait_dscnt 0x0
	v_fmac_f64_e32 v[98:99], v[74:75], v[68:69]
	s_delay_alu instid0(VALU_DEP_1)
	v_add_f64_e64 v[66:67], v[66:67], -v[98:99]
	scratch_store_b64 off, v[66:67], off offset:120
	s_wait_xcnt 0x0
	v_cmpx_lt_u32_e32 14, v0
	s_cbranch_execz .LBB30_167
; %bb.166:
	scratch_load_b64 v[66:67], off, off offset:112
	v_mov_b64_e32 v[68:69], 0
	scratch_store_b64 off, v[68:69], off offset:112
	s_wait_loadcnt 0x0
	ds_store_b64 v1, v[66:67]
.LBB30_167:
	s_wait_xcnt 0x0
	s_or_b32 exec_lo, exec_lo, s0
	s_wait_storecnt_dscnt 0x0
	s_barrier_signal -1
	s_barrier_wait -1
	s_clause 0x5
	scratch_load_b128 v[66:69], off, off offset:112
	scratch_load_b128 v[70:73], off, off offset:128
	;; [unrolled: 1-line block ×6, first 2 shown]
	ds_load_2addr_b64 v[90:93], v2 offset0:47 offset1:48
	ds_load_2addr_b64 v[94:97], v2 offset0:49 offset1:50
	s_mov_b32 s0, exec_lo
	s_wait_loadcnt_dscnt 0x501
	v_fma_f64 v[98:99], v[68:69], v[90:91], 0
	s_wait_loadcnt 0x4
	s_delay_alu instid0(VALU_DEP_1) | instskip(SKIP_4) | instid1(VALU_DEP_1)
	v_fmac_f64_e32 v[98:99], v[70:71], v[92:93]
	scratch_load_b128 v[68:71], off, off offset:208
	s_wait_dscnt 0x0
	v_fmac_f64_e32 v[98:99], v[72:73], v[94:95]
	s_wait_loadcnt 0x4
	v_fmac_f64_e32 v[98:99], v[74:75], v[96:97]
	scratch_load_b128 v[72:75], off, off offset:224
	ds_load_2addr_b64 v[90:93], v2 offset0:51 offset1:52
	ds_load_2addr_b64 v[94:97], v2 offset0:53 offset1:54
	s_wait_dscnt 0x1
	v_fmac_f64_e32 v[98:99], v[76:77], v[90:91]
	scratch_load_b64 v[90:91], off, off offset:240
	s_wait_loadcnt 0x5
	v_fmac_f64_e32 v[98:99], v[78:79], v[92:93]
	s_wait_dscnt 0x0
	s_delay_alu instid0(VALU_DEP_1) | instskip(SKIP_1) | instid1(VALU_DEP_1)
	v_fmac_f64_e32 v[98:99], v[80:81], v[94:95]
	s_wait_loadcnt 0x4
	v_fmac_f64_e32 v[98:99], v[82:83], v[96:97]
	ds_load_2addr_b64 v[76:79], v2 offset0:55 offset1:56
	ds_load_2addr_b64 v[80:83], v2 offset0:57 offset1:58
	s_wait_dscnt 0x1
	v_fmac_f64_e32 v[98:99], v[84:85], v[76:77]
	s_wait_loadcnt 0x3
	s_delay_alu instid0(VALU_DEP_1) | instskip(SKIP_1) | instid1(VALU_DEP_1)
	v_fmac_f64_e32 v[98:99], v[86:87], v[78:79]
	s_wait_dscnt 0x0
	v_fmac_f64_e32 v[98:99], v[88:89], v[80:81]
	s_wait_loadcnt 0x2
	s_delay_alu instid0(VALU_DEP_1)
	v_fmac_f64_e32 v[98:99], v[68:69], v[82:83]
	ds_load_2addr_b64 v[76:79], v2 offset0:59 offset1:60
	ds_load_2addr_b64 v[80:83], v2 offset0:61 offset1:62
	s_wait_dscnt 0x1
	v_fmac_f64_e32 v[98:99], v[70:71], v[76:77]
	s_wait_loadcnt 0x1
	s_delay_alu instid0(VALU_DEP_1) | instskip(SKIP_1) | instid1(VALU_DEP_1)
	v_fmac_f64_e32 v[98:99], v[72:73], v[78:79]
	s_wait_dscnt 0x0
	v_fmac_f64_e32 v[98:99], v[74:75], v[80:81]
	s_wait_loadcnt 0x0
	s_delay_alu instid0(VALU_DEP_1) | instskip(NEXT) | instid1(VALU_DEP_1)
	v_fmac_f64_e32 v[98:99], v[90:91], v[82:83]
	v_add_f64_e64 v[2:3], v[66:67], -v[98:99]
	scratch_store_b64 off, v[2:3], off offset:112
	s_wait_xcnt 0x0
	v_cmpx_lt_u32_e32 13, v0
	s_cbranch_execz .LBB30_169
; %bb.168:
	scratch_load_b64 v[2:3], off, off offset:104
	v_mov_b64_e32 v[66:67], 0
	scratch_store_b64 off, v[66:67], off offset:104
	s_wait_loadcnt 0x0
	ds_store_b64 v1, v[2:3]
.LBB30_169:
	s_wait_xcnt 0x0
	s_or_b32 exec_lo, exec_lo, s0
	s_wait_storecnt_dscnt 0x0
	s_barrier_signal -1
	s_barrier_wait -1
	s_clause 0x5
	scratch_load_b128 v[66:69], off, off offset:104
	scratch_load_b128 v[70:73], off, off offset:120
	;; [unrolled: 1-line block ×6, first 2 shown]
	v_mov_b32_e32 v2, 0
	ds_load_b128 v[90:93], v2 offset:368
	ds_load_b128 v[94:97], v2 offset:384
	s_mov_b32 s0, exec_lo
	s_wait_loadcnt_dscnt 0x501
	v_fma_f64 v[98:99], v[68:69], v[90:91], 0
	s_wait_loadcnt 0x4
	s_delay_alu instid0(VALU_DEP_1) | instskip(SKIP_4) | instid1(VALU_DEP_1)
	v_fmac_f64_e32 v[98:99], v[70:71], v[92:93]
	scratch_load_b128 v[68:71], off, off offset:200
	s_wait_dscnt 0x0
	v_fmac_f64_e32 v[98:99], v[72:73], v[94:95]
	s_wait_loadcnt 0x4
	v_fmac_f64_e32 v[98:99], v[74:75], v[96:97]
	scratch_load_b128 v[72:75], off, off offset:216
	ds_load_b128 v[90:93], v2 offset:400
	ds_load_b128 v[94:97], v2 offset:416
	s_wait_dscnt 0x1
	v_fmac_f64_e32 v[98:99], v[76:77], v[90:91]
	s_wait_loadcnt 0x4
	s_delay_alu instid0(VALU_DEP_1) | instskip(SKIP_4) | instid1(VALU_DEP_1)
	v_fmac_f64_e32 v[98:99], v[78:79], v[92:93]
	scratch_load_b128 v[76:79], off, off offset:232
	s_wait_dscnt 0x0
	v_fmac_f64_e32 v[98:99], v[80:81], v[94:95]
	s_wait_loadcnt 0x4
	v_fmac_f64_e32 v[98:99], v[82:83], v[96:97]
	ds_load_b128 v[80:83], v2 offset:432
	ds_load_b128 v[90:93], v2 offset:448
	s_wait_dscnt 0x1
	v_fmac_f64_e32 v[98:99], v[84:85], v[80:81]
	s_wait_loadcnt 0x3
	s_delay_alu instid0(VALU_DEP_1)
	v_fmac_f64_e32 v[98:99], v[86:87], v[82:83]
	ds_load_b128 v[80:83], v2 offset:464
	ds_load_b128 v[84:87], v2 offset:480
	s_wait_dscnt 0x2
	v_fmac_f64_e32 v[98:99], v[88:89], v[90:91]
	s_wait_loadcnt 0x2
	s_delay_alu instid0(VALU_DEP_1) | instskip(SKIP_4) | instid1(VALU_DEP_1)
	v_fmac_f64_e32 v[98:99], v[68:69], v[92:93]
	ds_load_b64 v[68:69], v2 offset:496
	s_wait_dscnt 0x2
	v_fmac_f64_e32 v[98:99], v[70:71], v[80:81]
	s_wait_loadcnt 0x1
	v_fmac_f64_e32 v[98:99], v[72:73], v[82:83]
	s_wait_dscnt 0x1
	s_delay_alu instid0(VALU_DEP_1) | instskip(SKIP_1) | instid1(VALU_DEP_1)
	v_fmac_f64_e32 v[98:99], v[74:75], v[84:85]
	s_wait_loadcnt 0x0
	v_fmac_f64_e32 v[98:99], v[76:77], v[86:87]
	s_wait_dscnt 0x0
	s_delay_alu instid0(VALU_DEP_1) | instskip(NEXT) | instid1(VALU_DEP_1)
	v_fmac_f64_e32 v[98:99], v[78:79], v[68:69]
	v_add_f64_e64 v[66:67], v[66:67], -v[98:99]
	scratch_store_b64 off, v[66:67], off offset:104
	s_wait_xcnt 0x0
	v_cmpx_lt_u32_e32 12, v0
	s_cbranch_execz .LBB30_171
; %bb.170:
	scratch_load_b64 v[66:67], off, off offset:96
	v_mov_b64_e32 v[68:69], 0
	scratch_store_b64 off, v[68:69], off offset:96
	s_wait_loadcnt 0x0
	ds_store_b64 v1, v[66:67]
.LBB30_171:
	s_wait_xcnt 0x0
	s_or_b32 exec_lo, exec_lo, s0
	s_wait_storecnt_dscnt 0x0
	s_barrier_signal -1
	s_barrier_wait -1
	s_clause 0x5
	scratch_load_b128 v[66:69], off, off offset:96
	scratch_load_b128 v[70:73], off, off offset:112
	;; [unrolled: 1-line block ×6, first 2 shown]
	ds_load_2addr_b64 v[90:93], v2 offset0:45 offset1:46
	ds_load_2addr_b64 v[94:97], v2 offset0:47 offset1:48
	s_mov_b32 s0, exec_lo
	s_wait_loadcnt_dscnt 0x501
	v_fma_f64 v[98:99], v[68:69], v[90:91], 0
	s_wait_loadcnt 0x4
	s_delay_alu instid0(VALU_DEP_1) | instskip(SKIP_4) | instid1(VALU_DEP_1)
	v_fmac_f64_e32 v[98:99], v[70:71], v[92:93]
	scratch_load_b128 v[68:71], off, off offset:192
	s_wait_dscnt 0x0
	v_fmac_f64_e32 v[98:99], v[72:73], v[94:95]
	s_wait_loadcnt 0x4
	v_fmac_f64_e32 v[98:99], v[74:75], v[96:97]
	scratch_load_b128 v[72:75], off, off offset:208
	ds_load_2addr_b64 v[90:93], v2 offset0:49 offset1:50
	ds_load_2addr_b64 v[94:97], v2 offset0:51 offset1:52
	s_wait_dscnt 0x1
	v_fmac_f64_e32 v[98:99], v[76:77], v[90:91]
	s_wait_loadcnt 0x4
	s_delay_alu instid0(VALU_DEP_1)
	v_fmac_f64_e32 v[98:99], v[78:79], v[92:93]
	scratch_load_b128 v[76:79], off, off offset:224
	s_wait_dscnt 0x0
	v_fmac_f64_e32 v[98:99], v[80:81], v[94:95]
	scratch_load_b64 v[94:95], off, off offset:240
	s_wait_loadcnt 0x5
	v_fmac_f64_e32 v[98:99], v[82:83], v[96:97]
	ds_load_2addr_b64 v[80:83], v2 offset0:53 offset1:54
	ds_load_2addr_b64 v[90:93], v2 offset0:55 offset1:56
	s_wait_dscnt 0x1
	v_fmac_f64_e32 v[98:99], v[84:85], v[80:81]
	s_wait_loadcnt 0x4
	s_delay_alu instid0(VALU_DEP_1)
	v_fmac_f64_e32 v[98:99], v[86:87], v[82:83]
	ds_load_2addr_b64 v[80:83], v2 offset0:57 offset1:58
	ds_load_2addr_b64 v[84:87], v2 offset0:59 offset1:60
	s_wait_dscnt 0x2
	v_fmac_f64_e32 v[98:99], v[88:89], v[90:91]
	s_wait_loadcnt 0x3
	s_delay_alu instid0(VALU_DEP_1) | instskip(SKIP_1) | instid1(VALU_DEP_1)
	v_fmac_f64_e32 v[98:99], v[68:69], v[92:93]
	s_wait_dscnt 0x1
	v_fmac_f64_e32 v[98:99], v[70:71], v[80:81]
	ds_load_2addr_b64 v[68:71], v2 offset0:61 offset1:62
	s_wait_loadcnt 0x2
	v_fmac_f64_e32 v[98:99], v[72:73], v[82:83]
	s_wait_dscnt 0x1
	s_delay_alu instid0(VALU_DEP_1) | instskip(SKIP_1) | instid1(VALU_DEP_1)
	v_fmac_f64_e32 v[98:99], v[74:75], v[84:85]
	s_wait_loadcnt 0x1
	v_fmac_f64_e32 v[98:99], v[76:77], v[86:87]
	s_wait_dscnt 0x0
	s_delay_alu instid0(VALU_DEP_1) | instskip(SKIP_1) | instid1(VALU_DEP_1)
	v_fmac_f64_e32 v[98:99], v[78:79], v[68:69]
	s_wait_loadcnt 0x0
	v_fmac_f64_e32 v[98:99], v[94:95], v[70:71]
	s_delay_alu instid0(VALU_DEP_1)
	v_add_f64_e64 v[2:3], v[66:67], -v[98:99]
	scratch_store_b64 off, v[2:3], off offset:96
	s_wait_xcnt 0x0
	v_cmpx_lt_u32_e32 11, v0
	s_cbranch_execz .LBB30_173
; %bb.172:
	scratch_load_b64 v[2:3], off, off offset:88
	v_mov_b64_e32 v[66:67], 0
	scratch_store_b64 off, v[66:67], off offset:88
	s_wait_loadcnt 0x0
	ds_store_b64 v1, v[2:3]
.LBB30_173:
	s_wait_xcnt 0x0
	s_or_b32 exec_lo, exec_lo, s0
	s_wait_storecnt_dscnt 0x0
	s_barrier_signal -1
	s_barrier_wait -1
	s_clause 0x5
	scratch_load_b128 v[66:69], off, off offset:88
	scratch_load_b128 v[70:73], off, off offset:104
	;; [unrolled: 1-line block ×6, first 2 shown]
	v_mov_b32_e32 v2, 0
	ds_load_b128 v[90:93], v2 offset:352
	ds_load_b128 v[94:97], v2 offset:368
	s_mov_b32 s0, exec_lo
	s_wait_loadcnt_dscnt 0x501
	v_fma_f64 v[98:99], v[68:69], v[90:91], 0
	s_wait_loadcnt 0x4
	s_delay_alu instid0(VALU_DEP_1) | instskip(SKIP_4) | instid1(VALU_DEP_1)
	v_fmac_f64_e32 v[98:99], v[70:71], v[92:93]
	scratch_load_b128 v[68:71], off, off offset:184
	s_wait_dscnt 0x0
	v_fmac_f64_e32 v[98:99], v[72:73], v[94:95]
	s_wait_loadcnt 0x4
	v_fmac_f64_e32 v[98:99], v[74:75], v[96:97]
	scratch_load_b128 v[72:75], off, off offset:200
	ds_load_b128 v[90:93], v2 offset:384
	ds_load_b128 v[94:97], v2 offset:400
	s_wait_dscnt 0x1
	v_fmac_f64_e32 v[98:99], v[76:77], v[90:91]
	s_wait_loadcnt 0x4
	s_delay_alu instid0(VALU_DEP_1) | instskip(SKIP_4) | instid1(VALU_DEP_1)
	v_fmac_f64_e32 v[98:99], v[78:79], v[92:93]
	scratch_load_b128 v[76:79], off, off offset:216
	s_wait_dscnt 0x0
	v_fmac_f64_e32 v[98:99], v[80:81], v[94:95]
	s_wait_loadcnt 0x4
	v_fmac_f64_e32 v[98:99], v[82:83], v[96:97]
	scratch_load_b128 v[80:83], off, off offset:232
	ds_load_b128 v[90:93], v2 offset:416
	ds_load_b128 v[94:97], v2 offset:432
	s_wait_dscnt 0x1
	v_fmac_f64_e32 v[98:99], v[84:85], v[90:91]
	s_wait_loadcnt 0x4
	s_delay_alu instid0(VALU_DEP_1) | instskip(SKIP_1) | instid1(VALU_DEP_1)
	v_fmac_f64_e32 v[98:99], v[86:87], v[92:93]
	s_wait_dscnt 0x0
	v_fmac_f64_e32 v[98:99], v[88:89], v[94:95]
	ds_load_b128 v[84:87], v2 offset:448
	ds_load_b128 v[88:91], v2 offset:464
	s_wait_loadcnt 0x3
	v_fmac_f64_e32 v[98:99], v[68:69], v[96:97]
	s_wait_dscnt 0x1
	s_delay_alu instid0(VALU_DEP_1) | instskip(SKIP_1) | instid1(VALU_DEP_1)
	v_fmac_f64_e32 v[98:99], v[70:71], v[84:85]
	s_wait_loadcnt 0x2
	v_fmac_f64_e32 v[98:99], v[72:73], v[86:87]
	ds_load_b128 v[68:71], v2 offset:480
	ds_load_b64 v[72:73], v2 offset:496
	s_wait_dscnt 0x2
	v_fmac_f64_e32 v[98:99], v[74:75], v[88:89]
	s_wait_loadcnt 0x1
	s_delay_alu instid0(VALU_DEP_1) | instskip(SKIP_1) | instid1(VALU_DEP_1)
	v_fmac_f64_e32 v[98:99], v[76:77], v[90:91]
	s_wait_dscnt 0x1
	v_fmac_f64_e32 v[98:99], v[78:79], v[68:69]
	s_wait_loadcnt 0x0
	s_delay_alu instid0(VALU_DEP_1) | instskip(SKIP_1) | instid1(VALU_DEP_1)
	v_fmac_f64_e32 v[98:99], v[80:81], v[70:71]
	s_wait_dscnt 0x0
	v_fmac_f64_e32 v[98:99], v[82:83], v[72:73]
	s_delay_alu instid0(VALU_DEP_1)
	v_add_f64_e64 v[66:67], v[66:67], -v[98:99]
	scratch_store_b64 off, v[66:67], off offset:88
	s_wait_xcnt 0x0
	v_cmpx_lt_u32_e32 10, v0
	s_cbranch_execz .LBB30_175
; %bb.174:
	scratch_load_b64 v[66:67], off, off offset:80
	v_mov_b64_e32 v[68:69], 0
	scratch_store_b64 off, v[68:69], off offset:80
	s_wait_loadcnt 0x0
	ds_store_b64 v1, v[66:67]
.LBB30_175:
	s_wait_xcnt 0x0
	s_or_b32 exec_lo, exec_lo, s0
	s_wait_storecnt_dscnt 0x0
	s_barrier_signal -1
	s_barrier_wait -1
	s_clause 0x5
	scratch_load_b128 v[66:69], off, off offset:80
	scratch_load_b128 v[70:73], off, off offset:96
	;; [unrolled: 1-line block ×6, first 2 shown]
	ds_load_2addr_b64 v[90:93], v2 offset0:43 offset1:44
	ds_load_2addr_b64 v[94:97], v2 offset0:45 offset1:46
	s_mov_b32 s0, exec_lo
	s_wait_loadcnt_dscnt 0x501
	v_fma_f64 v[98:99], v[68:69], v[90:91], 0
	s_wait_loadcnt 0x4
	s_delay_alu instid0(VALU_DEP_1) | instskip(SKIP_4) | instid1(VALU_DEP_1)
	v_fmac_f64_e32 v[98:99], v[70:71], v[92:93]
	scratch_load_b128 v[68:71], off, off offset:176
	s_wait_dscnt 0x0
	v_fmac_f64_e32 v[98:99], v[72:73], v[94:95]
	s_wait_loadcnt 0x4
	v_fmac_f64_e32 v[98:99], v[74:75], v[96:97]
	scratch_load_b128 v[72:75], off, off offset:192
	ds_load_2addr_b64 v[90:93], v2 offset0:47 offset1:48
	ds_load_2addr_b64 v[94:97], v2 offset0:49 offset1:50
	s_wait_dscnt 0x1
	v_fmac_f64_e32 v[98:99], v[76:77], v[90:91]
	s_wait_loadcnt 0x4
	s_delay_alu instid0(VALU_DEP_1) | instskip(SKIP_4) | instid1(VALU_DEP_1)
	v_fmac_f64_e32 v[98:99], v[78:79], v[92:93]
	scratch_load_b128 v[76:79], off, off offset:208
	s_wait_dscnt 0x0
	v_fmac_f64_e32 v[98:99], v[80:81], v[94:95]
	s_wait_loadcnt 0x4
	v_fmac_f64_e32 v[98:99], v[82:83], v[96:97]
	scratch_load_b128 v[80:83], off, off offset:224
	ds_load_2addr_b64 v[90:93], v2 offset0:51 offset1:52
	ds_load_2addr_b64 v[94:97], v2 offset0:53 offset1:54
	s_wait_dscnt 0x1
	v_fmac_f64_e32 v[98:99], v[84:85], v[90:91]
	s_wait_loadcnt 0x4
	s_delay_alu instid0(VALU_DEP_1)
	v_fmac_f64_e32 v[98:99], v[86:87], v[92:93]
	scratch_load_b64 v[92:93], off, off offset:240
	s_wait_dscnt 0x0
	v_fmac_f64_e32 v[98:99], v[88:89], v[94:95]
	ds_load_2addr_b64 v[84:87], v2 offset0:55 offset1:56
	ds_load_2addr_b64 v[88:91], v2 offset0:57 offset1:58
	s_wait_loadcnt 0x4
	v_fmac_f64_e32 v[98:99], v[68:69], v[96:97]
	s_wait_dscnt 0x1
	s_delay_alu instid0(VALU_DEP_1) | instskip(SKIP_1) | instid1(VALU_DEP_1)
	v_fmac_f64_e32 v[98:99], v[70:71], v[84:85]
	s_wait_loadcnt 0x3
	v_fmac_f64_e32 v[98:99], v[72:73], v[86:87]
	s_wait_dscnt 0x0
	s_delay_alu instid0(VALU_DEP_1)
	v_fmac_f64_e32 v[98:99], v[74:75], v[88:89]
	ds_load_2addr_b64 v[68:71], v2 offset0:59 offset1:60
	ds_load_2addr_b64 v[72:75], v2 offset0:61 offset1:62
	s_wait_loadcnt 0x2
	v_fmac_f64_e32 v[98:99], v[76:77], v[90:91]
	s_wait_dscnt 0x1
	s_delay_alu instid0(VALU_DEP_1) | instskip(SKIP_1) | instid1(VALU_DEP_1)
	v_fmac_f64_e32 v[98:99], v[78:79], v[68:69]
	s_wait_loadcnt 0x1
	v_fmac_f64_e32 v[98:99], v[80:81], v[70:71]
	s_wait_dscnt 0x0
	s_delay_alu instid0(VALU_DEP_1) | instskip(SKIP_1) | instid1(VALU_DEP_1)
	v_fmac_f64_e32 v[98:99], v[82:83], v[72:73]
	s_wait_loadcnt 0x0
	v_fmac_f64_e32 v[98:99], v[92:93], v[74:75]
	s_delay_alu instid0(VALU_DEP_1)
	v_add_f64_e64 v[2:3], v[66:67], -v[98:99]
	scratch_store_b64 off, v[2:3], off offset:80
	s_wait_xcnt 0x0
	v_cmpx_lt_u32_e32 9, v0
	s_cbranch_execz .LBB30_177
; %bb.176:
	scratch_load_b64 v[2:3], off, off offset:72
	v_mov_b64_e32 v[66:67], 0
	scratch_store_b64 off, v[66:67], off offset:72
	s_wait_loadcnt 0x0
	ds_store_b64 v1, v[2:3]
.LBB30_177:
	s_wait_xcnt 0x0
	s_or_b32 exec_lo, exec_lo, s0
	s_wait_storecnt_dscnt 0x0
	s_barrier_signal -1
	s_barrier_wait -1
	s_clause 0x5
	scratch_load_b128 v[66:69], off, off offset:72
	scratch_load_b128 v[70:73], off, off offset:88
	scratch_load_b128 v[74:77], off, off offset:104
	scratch_load_b128 v[78:81], off, off offset:120
	scratch_load_b128 v[82:85], off, off offset:136
	scratch_load_b128 v[86:89], off, off offset:152
	v_mov_b32_e32 v2, 0
	ds_load_b128 v[90:93], v2 offset:336
	ds_load_b128 v[94:97], v2 offset:352
	s_mov_b32 s0, exec_lo
	s_wait_loadcnt_dscnt 0x501
	v_fma_f64 v[98:99], v[68:69], v[90:91], 0
	s_wait_loadcnt 0x4
	s_delay_alu instid0(VALU_DEP_1) | instskip(SKIP_4) | instid1(VALU_DEP_1)
	v_fmac_f64_e32 v[98:99], v[70:71], v[92:93]
	scratch_load_b128 v[68:71], off, off offset:168
	s_wait_dscnt 0x0
	v_fmac_f64_e32 v[98:99], v[72:73], v[94:95]
	s_wait_loadcnt 0x4
	v_fmac_f64_e32 v[98:99], v[74:75], v[96:97]
	scratch_load_b128 v[72:75], off, off offset:184
	ds_load_b128 v[90:93], v2 offset:368
	ds_load_b128 v[94:97], v2 offset:384
	s_wait_dscnt 0x1
	v_fmac_f64_e32 v[98:99], v[76:77], v[90:91]
	s_wait_loadcnt 0x4
	s_delay_alu instid0(VALU_DEP_1) | instskip(SKIP_4) | instid1(VALU_DEP_1)
	v_fmac_f64_e32 v[98:99], v[78:79], v[92:93]
	scratch_load_b128 v[76:79], off, off offset:200
	s_wait_dscnt 0x0
	v_fmac_f64_e32 v[98:99], v[80:81], v[94:95]
	s_wait_loadcnt 0x4
	v_fmac_f64_e32 v[98:99], v[82:83], v[96:97]
	scratch_load_b128 v[80:83], off, off offset:216
	ds_load_b128 v[90:93], v2 offset:400
	ds_load_b128 v[94:97], v2 offset:416
	s_wait_dscnt 0x1
	v_fmac_f64_e32 v[98:99], v[84:85], v[90:91]
	s_wait_loadcnt 0x4
	s_delay_alu instid0(VALU_DEP_1)
	v_fmac_f64_e32 v[98:99], v[86:87], v[92:93]
	scratch_load_b128 v[84:87], off, off offset:232
	s_wait_dscnt 0x0
	v_fmac_f64_e32 v[98:99], v[88:89], v[94:95]
	ds_load_b128 v[88:91], v2 offset:432
	ds_load_b128 v[92:95], v2 offset:448
	s_wait_loadcnt 0x4
	v_fmac_f64_e32 v[98:99], v[68:69], v[96:97]
	s_wait_dscnt 0x1
	s_delay_alu instid0(VALU_DEP_1) | instskip(SKIP_1) | instid1(VALU_DEP_1)
	v_fmac_f64_e32 v[98:99], v[70:71], v[88:89]
	s_wait_loadcnt 0x3
	v_fmac_f64_e32 v[98:99], v[72:73], v[90:91]
	s_wait_dscnt 0x0
	s_delay_alu instid0(VALU_DEP_1)
	v_fmac_f64_e32 v[98:99], v[74:75], v[92:93]
	ds_load_b128 v[68:71], v2 offset:464
	ds_load_b128 v[72:75], v2 offset:480
	s_wait_loadcnt 0x2
	v_fmac_f64_e32 v[98:99], v[76:77], v[94:95]
	s_wait_dscnt 0x1
	s_delay_alu instid0(VALU_DEP_1) | instskip(SKIP_4) | instid1(VALU_DEP_1)
	v_fmac_f64_e32 v[98:99], v[78:79], v[68:69]
	ds_load_b64 v[68:69], v2 offset:496
	s_wait_loadcnt 0x1
	v_fmac_f64_e32 v[98:99], v[80:81], v[70:71]
	s_wait_dscnt 0x1
	v_fmac_f64_e32 v[98:99], v[82:83], v[72:73]
	s_wait_loadcnt 0x0
	s_delay_alu instid0(VALU_DEP_1) | instskip(SKIP_1) | instid1(VALU_DEP_1)
	v_fmac_f64_e32 v[98:99], v[84:85], v[74:75]
	s_wait_dscnt 0x0
	v_fmac_f64_e32 v[98:99], v[86:87], v[68:69]
	s_delay_alu instid0(VALU_DEP_1)
	v_add_f64_e64 v[66:67], v[66:67], -v[98:99]
	scratch_store_b64 off, v[66:67], off offset:72
	s_wait_xcnt 0x0
	v_cmpx_lt_u32_e32 8, v0
	s_cbranch_execz .LBB30_179
; %bb.178:
	scratch_load_b64 v[66:67], off, off offset:64
	v_mov_b64_e32 v[68:69], 0
	scratch_store_b64 off, v[68:69], off offset:64
	s_wait_loadcnt 0x0
	ds_store_b64 v1, v[66:67]
.LBB30_179:
	s_wait_xcnt 0x0
	s_or_b32 exec_lo, exec_lo, s0
	s_wait_storecnt_dscnt 0x0
	s_barrier_signal -1
	s_barrier_wait -1
	s_clause 0x5
	scratch_load_b128 v[66:69], off, off offset:64
	scratch_load_b128 v[70:73], off, off offset:80
	;; [unrolled: 1-line block ×6, first 2 shown]
	ds_load_2addr_b64 v[90:93], v2 offset0:41 offset1:42
	ds_load_2addr_b64 v[94:97], v2 offset0:43 offset1:44
	scratch_load_b128 v[98:101], off, off offset:160
	s_mov_b32 s0, exec_lo
	s_wait_loadcnt_dscnt 0x601
	v_fma_f64 v[102:103], v[68:69], v[90:91], 0
	s_wait_loadcnt 0x5
	s_delay_alu instid0(VALU_DEP_1) | instskip(SKIP_4) | instid1(VALU_DEP_1)
	v_fmac_f64_e32 v[102:103], v[70:71], v[92:93]
	scratch_load_b128 v[68:71], off, off offset:176
	s_wait_dscnt 0x0
	v_fmac_f64_e32 v[102:103], v[72:73], v[94:95]
	s_wait_loadcnt 0x5
	v_fmac_f64_e32 v[102:103], v[74:75], v[96:97]
	ds_load_2addr_b64 v[72:75], v2 offset0:45 offset1:46
	ds_load_2addr_b64 v[90:93], v2 offset0:47 offset1:48
	s_wait_dscnt 0x1
	v_fmac_f64_e32 v[102:103], v[76:77], v[72:73]
	s_wait_loadcnt 0x4
	s_delay_alu instid0(VALU_DEP_1)
	v_fmac_f64_e32 v[102:103], v[78:79], v[74:75]
	s_clause 0x1
	scratch_load_b128 v[72:75], off, off offset:192
	scratch_load_b128 v[76:79], off, off offset:208
	s_wait_dscnt 0x0
	v_fmac_f64_e32 v[102:103], v[80:81], v[90:91]
	s_wait_loadcnt 0x5
	s_delay_alu instid0(VALU_DEP_1)
	v_fmac_f64_e32 v[102:103], v[82:83], v[92:93]
	ds_load_2addr_b64 v[80:83], v2 offset0:49 offset1:50
	ds_load_2addr_b64 v[90:93], v2 offset0:51 offset1:52
	s_wait_dscnt 0x1
	v_fmac_f64_e32 v[102:103], v[84:85], v[80:81]
	s_wait_loadcnt 0x4
	s_delay_alu instid0(VALU_DEP_1) | instskip(SKIP_4) | instid1(VALU_DEP_1)
	v_fmac_f64_e32 v[102:103], v[86:87], v[82:83]
	scratch_load_b128 v[80:83], off, off offset:224
	s_wait_dscnt 0x0
	v_fmac_f64_e32 v[102:103], v[88:89], v[90:91]
	s_wait_loadcnt 0x4
	v_fmac_f64_e32 v[102:103], v[98:99], v[92:93]
	scratch_load_b64 v[92:93], off, off offset:240
	ds_load_2addr_b64 v[84:87], v2 offset0:53 offset1:54
	ds_load_2addr_b64 v[88:91], v2 offset0:55 offset1:56
	s_wait_dscnt 0x1
	v_fmac_f64_e32 v[102:103], v[100:101], v[84:85]
	s_wait_loadcnt 0x4
	s_delay_alu instid0(VALU_DEP_1) | instskip(SKIP_1) | instid1(VALU_DEP_1)
	v_fmac_f64_e32 v[102:103], v[68:69], v[86:87]
	s_wait_dscnt 0x0
	v_fmac_f64_e32 v[102:103], v[70:71], v[88:89]
	ds_load_2addr_b64 v[68:71], v2 offset0:57 offset1:58
	ds_load_2addr_b64 v[84:87], v2 offset0:59 offset1:60
	s_wait_loadcnt 0x3
	v_fmac_f64_e32 v[102:103], v[72:73], v[90:91]
	s_wait_dscnt 0x1
	s_delay_alu instid0(VALU_DEP_1) | instskip(SKIP_1) | instid1(VALU_DEP_1)
	v_fmac_f64_e32 v[102:103], v[74:75], v[68:69]
	s_wait_loadcnt 0x2
	v_fmac_f64_e32 v[102:103], v[76:77], v[70:71]
	ds_load_2addr_b64 v[68:71], v2 offset0:61 offset1:62
	s_wait_dscnt 0x1
	v_fmac_f64_e32 v[102:103], v[78:79], v[84:85]
	s_wait_loadcnt 0x1
	s_delay_alu instid0(VALU_DEP_1) | instskip(SKIP_1) | instid1(VALU_DEP_1)
	v_fmac_f64_e32 v[102:103], v[80:81], v[86:87]
	s_wait_dscnt 0x0
	v_fmac_f64_e32 v[102:103], v[82:83], v[68:69]
	s_wait_loadcnt 0x0
	s_delay_alu instid0(VALU_DEP_1) | instskip(NEXT) | instid1(VALU_DEP_1)
	v_fmac_f64_e32 v[102:103], v[92:93], v[70:71]
	v_add_f64_e64 v[2:3], v[66:67], -v[102:103]
	scratch_store_b64 off, v[2:3], off offset:64
	s_wait_xcnt 0x0
	v_cmpx_lt_u32_e32 7, v0
	s_cbranch_execz .LBB30_181
; %bb.180:
	scratch_load_b64 v[2:3], off, off offset:56
	v_mov_b64_e32 v[66:67], 0
	scratch_store_b64 off, v[66:67], off offset:56
	s_wait_loadcnt 0x0
	ds_store_b64 v1, v[2:3]
.LBB30_181:
	s_wait_xcnt 0x0
	s_or_b32 exec_lo, exec_lo, s0
	s_wait_storecnt_dscnt 0x0
	s_barrier_signal -1
	s_barrier_wait -1
	s_clause 0x5
	scratch_load_b128 v[66:69], off, off offset:56
	scratch_load_b128 v[70:73], off, off offset:72
	;; [unrolled: 1-line block ×6, first 2 shown]
	v_mov_b32_e32 v2, 0
	ds_load_b128 v[90:93], v2 offset:320
	ds_load_b128 v[94:97], v2 offset:336
	scratch_load_b128 v[98:101], off, off offset:152
	s_mov_b32 s0, exec_lo
	s_wait_loadcnt_dscnt 0x601
	v_fma_f64 v[102:103], v[68:69], v[90:91], 0
	s_wait_loadcnt 0x5
	s_delay_alu instid0(VALU_DEP_1) | instskip(SKIP_4) | instid1(VALU_DEP_1)
	v_fmac_f64_e32 v[102:103], v[70:71], v[92:93]
	scratch_load_b128 v[68:71], off, off offset:168
	s_wait_dscnt 0x0
	v_fmac_f64_e32 v[102:103], v[72:73], v[94:95]
	s_wait_loadcnt 0x5
	v_fmac_f64_e32 v[102:103], v[74:75], v[96:97]
	ds_load_b128 v[72:75], v2 offset:352
	ds_load_b128 v[90:93], v2 offset:368
	s_wait_dscnt 0x1
	v_fmac_f64_e32 v[102:103], v[76:77], v[72:73]
	s_wait_loadcnt 0x4
	s_delay_alu instid0(VALU_DEP_1)
	v_fmac_f64_e32 v[102:103], v[78:79], v[74:75]
	s_clause 0x1
	scratch_load_b128 v[72:75], off, off offset:184
	scratch_load_b128 v[76:79], off, off offset:200
	s_wait_dscnt 0x0
	v_fmac_f64_e32 v[102:103], v[80:81], v[90:91]
	s_wait_loadcnt 0x5
	s_delay_alu instid0(VALU_DEP_1)
	v_fmac_f64_e32 v[102:103], v[82:83], v[92:93]
	ds_load_b128 v[80:83], v2 offset:384
	ds_load_b128 v[90:93], v2 offset:400
	s_wait_dscnt 0x1
	v_fmac_f64_e32 v[102:103], v[84:85], v[80:81]
	s_wait_loadcnt 0x4
	s_delay_alu instid0(VALU_DEP_1)
	v_fmac_f64_e32 v[102:103], v[86:87], v[82:83]
	s_clause 0x1
	scratch_load_b128 v[80:83], off, off offset:216
	scratch_load_b128 v[84:87], off, off offset:232
	s_wait_dscnt 0x0
	v_fmac_f64_e32 v[102:103], v[88:89], v[90:91]
	s_wait_loadcnt 0x5
	s_delay_alu instid0(VALU_DEP_1)
	v_fmac_f64_e32 v[102:103], v[98:99], v[92:93]
	ds_load_b128 v[88:91], v2 offset:416
	ds_load_b128 v[92:95], v2 offset:432
	s_wait_dscnt 0x1
	v_fmac_f64_e32 v[102:103], v[100:101], v[88:89]
	s_wait_loadcnt 0x4
	s_delay_alu instid0(VALU_DEP_1) | instskip(SKIP_1) | instid1(VALU_DEP_1)
	v_fmac_f64_e32 v[102:103], v[68:69], v[90:91]
	s_wait_dscnt 0x0
	v_fmac_f64_e32 v[102:103], v[70:71], v[92:93]
	ds_load_b128 v[68:71], v2 offset:448
	ds_load_b128 v[88:91], v2 offset:464
	s_wait_loadcnt 0x3
	v_fmac_f64_e32 v[102:103], v[72:73], v[94:95]
	s_wait_dscnt 0x1
	s_delay_alu instid0(VALU_DEP_1) | instskip(SKIP_1) | instid1(VALU_DEP_1)
	v_fmac_f64_e32 v[102:103], v[74:75], v[68:69]
	s_wait_loadcnt 0x2
	v_fmac_f64_e32 v[102:103], v[76:77], v[70:71]
	ds_load_b128 v[68:71], v2 offset:480
	ds_load_b64 v[72:73], v2 offset:496
	s_wait_dscnt 0x2
	v_fmac_f64_e32 v[102:103], v[78:79], v[88:89]
	s_wait_loadcnt 0x1
	s_delay_alu instid0(VALU_DEP_1) | instskip(SKIP_1) | instid1(VALU_DEP_1)
	v_fmac_f64_e32 v[102:103], v[80:81], v[90:91]
	s_wait_dscnt 0x1
	v_fmac_f64_e32 v[102:103], v[82:83], v[68:69]
	s_wait_loadcnt 0x0
	s_delay_alu instid0(VALU_DEP_1) | instskip(SKIP_1) | instid1(VALU_DEP_1)
	v_fmac_f64_e32 v[102:103], v[84:85], v[70:71]
	s_wait_dscnt 0x0
	v_fmac_f64_e32 v[102:103], v[86:87], v[72:73]
	s_delay_alu instid0(VALU_DEP_1)
	v_add_f64_e64 v[66:67], v[66:67], -v[102:103]
	scratch_store_b64 off, v[66:67], off offset:56
	s_wait_xcnt 0x0
	v_cmpx_lt_u32_e32 6, v0
	s_cbranch_execz .LBB30_183
; %bb.182:
	scratch_load_b64 v[66:67], off, off offset:48
	v_mov_b64_e32 v[68:69], 0
	scratch_store_b64 off, v[68:69], off offset:48
	s_wait_loadcnt 0x0
	ds_store_b64 v1, v[66:67]
.LBB30_183:
	s_wait_xcnt 0x0
	s_or_b32 exec_lo, exec_lo, s0
	s_wait_storecnt_dscnt 0x0
	s_barrier_signal -1
	s_barrier_wait -1
	s_clause 0x5
	scratch_load_b128 v[66:69], off, off offset:48
	scratch_load_b128 v[70:73], off, off offset:64
	;; [unrolled: 1-line block ×6, first 2 shown]
	ds_load_2addr_b64 v[90:93], v2 offset0:39 offset1:40
	ds_load_2addr_b64 v[94:97], v2 offset0:41 offset1:42
	scratch_load_b128 v[98:101], off, off offset:144
	s_mov_b32 s0, exec_lo
	s_wait_loadcnt_dscnt 0x601
	v_fma_f64 v[102:103], v[68:69], v[90:91], 0
	s_wait_loadcnt 0x5
	s_delay_alu instid0(VALU_DEP_1) | instskip(SKIP_4) | instid1(VALU_DEP_1)
	v_fmac_f64_e32 v[102:103], v[70:71], v[92:93]
	scratch_load_b128 v[68:71], off, off offset:160
	s_wait_dscnt 0x0
	v_fmac_f64_e32 v[102:103], v[72:73], v[94:95]
	s_wait_loadcnt 0x5
	v_fmac_f64_e32 v[102:103], v[74:75], v[96:97]
	ds_load_2addr_b64 v[72:75], v2 offset0:43 offset1:44
	ds_load_2addr_b64 v[90:93], v2 offset0:45 offset1:46
	s_wait_dscnt 0x1
	v_fmac_f64_e32 v[102:103], v[76:77], v[72:73]
	s_wait_loadcnt 0x4
	s_delay_alu instid0(VALU_DEP_1)
	v_fmac_f64_e32 v[102:103], v[78:79], v[74:75]
	s_clause 0x1
	scratch_load_b128 v[72:75], off, off offset:176
	scratch_load_b128 v[76:79], off, off offset:192
	s_wait_dscnt 0x0
	v_fmac_f64_e32 v[102:103], v[80:81], v[90:91]
	s_wait_loadcnt 0x5
	s_delay_alu instid0(VALU_DEP_1)
	v_fmac_f64_e32 v[102:103], v[82:83], v[92:93]
	ds_load_2addr_b64 v[80:83], v2 offset0:47 offset1:48
	ds_load_2addr_b64 v[90:93], v2 offset0:49 offset1:50
	s_wait_dscnt 0x1
	v_fmac_f64_e32 v[102:103], v[84:85], v[80:81]
	s_wait_loadcnt 0x4
	s_delay_alu instid0(VALU_DEP_1)
	v_fmac_f64_e32 v[102:103], v[86:87], v[82:83]
	s_clause 0x1
	scratch_load_b128 v[80:83], off, off offset:208
	scratch_load_b128 v[84:87], off, off offset:224
	s_wait_dscnt 0x0
	v_fmac_f64_e32 v[102:103], v[88:89], v[90:91]
	s_wait_loadcnt 0x5
	s_delay_alu instid0(VALU_DEP_1)
	v_fmac_f64_e32 v[102:103], v[98:99], v[92:93]
	ds_load_2addr_b64 v[88:91], v2 offset0:51 offset1:52
	ds_load_2addr_b64 v[92:95], v2 offset0:53 offset1:54
	scratch_load_b64 v[96:97], off, off offset:240
	s_wait_dscnt 0x1
	v_fmac_f64_e32 v[102:103], v[100:101], v[88:89]
	s_wait_loadcnt 0x5
	s_delay_alu instid0(VALU_DEP_1) | instskip(SKIP_1) | instid1(VALU_DEP_1)
	v_fmac_f64_e32 v[102:103], v[68:69], v[90:91]
	s_wait_dscnt 0x0
	v_fmac_f64_e32 v[102:103], v[70:71], v[92:93]
	ds_load_2addr_b64 v[68:71], v2 offset0:55 offset1:56
	ds_load_2addr_b64 v[88:91], v2 offset0:57 offset1:58
	s_wait_loadcnt 0x4
	v_fmac_f64_e32 v[102:103], v[72:73], v[94:95]
	s_wait_dscnt 0x1
	s_delay_alu instid0(VALU_DEP_1) | instskip(SKIP_1) | instid1(VALU_DEP_1)
	v_fmac_f64_e32 v[102:103], v[74:75], v[68:69]
	s_wait_loadcnt 0x3
	v_fmac_f64_e32 v[102:103], v[76:77], v[70:71]
	ds_load_2addr_b64 v[68:71], v2 offset0:59 offset1:60
	ds_load_2addr_b64 v[72:75], v2 offset0:61 offset1:62
	s_wait_dscnt 0x2
	v_fmac_f64_e32 v[102:103], v[78:79], v[88:89]
	s_wait_loadcnt 0x2
	s_delay_alu instid0(VALU_DEP_1) | instskip(SKIP_1) | instid1(VALU_DEP_1)
	v_fmac_f64_e32 v[102:103], v[80:81], v[90:91]
	s_wait_dscnt 0x1
	v_fmac_f64_e32 v[102:103], v[82:83], v[68:69]
	s_wait_loadcnt 0x1
	s_delay_alu instid0(VALU_DEP_1) | instskip(SKIP_1) | instid1(VALU_DEP_1)
	v_fmac_f64_e32 v[102:103], v[84:85], v[70:71]
	s_wait_dscnt 0x0
	v_fmac_f64_e32 v[102:103], v[86:87], v[72:73]
	s_wait_loadcnt 0x0
	s_delay_alu instid0(VALU_DEP_1) | instskip(NEXT) | instid1(VALU_DEP_1)
	v_fmac_f64_e32 v[102:103], v[96:97], v[74:75]
	v_add_f64_e64 v[2:3], v[66:67], -v[102:103]
	scratch_store_b64 off, v[2:3], off offset:48
	s_wait_xcnt 0x0
	v_cmpx_lt_u32_e32 5, v0
	s_cbranch_execz .LBB30_185
; %bb.184:
	scratch_load_b64 v[2:3], off, off offset:40
	v_mov_b64_e32 v[66:67], 0
	scratch_store_b64 off, v[66:67], off offset:40
	s_wait_loadcnt 0x0
	ds_store_b64 v1, v[2:3]
.LBB30_185:
	s_wait_xcnt 0x0
	s_or_b32 exec_lo, exec_lo, s0
	s_wait_storecnt_dscnt 0x0
	s_barrier_signal -1
	s_barrier_wait -1
	s_clause 0x5
	scratch_load_b128 v[66:69], off, off offset:40
	scratch_load_b128 v[70:73], off, off offset:56
	;; [unrolled: 1-line block ×6, first 2 shown]
	v_mov_b32_e32 v2, 0
	ds_load_b128 v[90:93], v2 offset:304
	ds_load_b128 v[94:97], v2 offset:320
	scratch_load_b128 v[98:101], off, off offset:136
	s_mov_b32 s0, exec_lo
	s_wait_loadcnt_dscnt 0x601
	v_fma_f64 v[102:103], v[68:69], v[90:91], 0
	s_wait_loadcnt 0x5
	s_delay_alu instid0(VALU_DEP_1) | instskip(SKIP_4) | instid1(VALU_DEP_1)
	v_fmac_f64_e32 v[102:103], v[70:71], v[92:93]
	scratch_load_b128 v[68:71], off, off offset:152
	s_wait_dscnt 0x0
	v_fmac_f64_e32 v[102:103], v[72:73], v[94:95]
	s_wait_loadcnt 0x5
	v_fmac_f64_e32 v[102:103], v[74:75], v[96:97]
	ds_load_b128 v[72:75], v2 offset:336
	ds_load_b128 v[90:93], v2 offset:352
	s_wait_dscnt 0x1
	v_fmac_f64_e32 v[102:103], v[76:77], v[72:73]
	s_wait_loadcnt 0x4
	s_delay_alu instid0(VALU_DEP_1)
	v_fmac_f64_e32 v[102:103], v[78:79], v[74:75]
	s_clause 0x1
	scratch_load_b128 v[72:75], off, off offset:168
	scratch_load_b128 v[76:79], off, off offset:184
	s_wait_dscnt 0x0
	v_fmac_f64_e32 v[102:103], v[80:81], v[90:91]
	s_wait_loadcnt 0x5
	s_delay_alu instid0(VALU_DEP_1)
	v_fmac_f64_e32 v[102:103], v[82:83], v[92:93]
	ds_load_b128 v[80:83], v2 offset:368
	ds_load_b128 v[90:93], v2 offset:384
	s_wait_dscnt 0x1
	v_fmac_f64_e32 v[102:103], v[84:85], v[80:81]
	s_wait_loadcnt 0x4
	s_delay_alu instid0(VALU_DEP_1)
	v_fmac_f64_e32 v[102:103], v[86:87], v[82:83]
	s_clause 0x1
	scratch_load_b128 v[80:83], off, off offset:200
	scratch_load_b128 v[84:87], off, off offset:216
	s_wait_dscnt 0x0
	v_fmac_f64_e32 v[102:103], v[88:89], v[90:91]
	s_wait_loadcnt 0x5
	s_delay_alu instid0(VALU_DEP_1)
	v_fmac_f64_e32 v[102:103], v[98:99], v[92:93]
	ds_load_b128 v[88:91], v2 offset:400
	ds_load_b128 v[92:95], v2 offset:416
	s_wait_dscnt 0x1
	v_fmac_f64_e32 v[102:103], v[100:101], v[88:89]
	s_wait_loadcnt 0x4
	s_delay_alu instid0(VALU_DEP_1) | instskip(SKIP_4) | instid1(VALU_DEP_1)
	v_fmac_f64_e32 v[102:103], v[68:69], v[90:91]
	scratch_load_b128 v[88:91], off, off offset:232
	s_wait_dscnt 0x0
	v_fmac_f64_e32 v[102:103], v[70:71], v[92:93]
	s_wait_loadcnt 0x4
	v_fmac_f64_e32 v[102:103], v[72:73], v[94:95]
	ds_load_b128 v[68:71], v2 offset:432
	ds_load_b128 v[92:95], v2 offset:448
	s_wait_dscnt 0x1
	v_fmac_f64_e32 v[102:103], v[74:75], v[68:69]
	s_wait_loadcnt 0x3
	s_delay_alu instid0(VALU_DEP_1)
	v_fmac_f64_e32 v[102:103], v[76:77], v[70:71]
	ds_load_b128 v[68:71], v2 offset:464
	ds_load_b128 v[72:75], v2 offset:480
	s_wait_dscnt 0x2
	v_fmac_f64_e32 v[102:103], v[78:79], v[92:93]
	s_wait_loadcnt 0x2
	s_delay_alu instid0(VALU_DEP_1) | instskip(SKIP_1) | instid1(VALU_DEP_1)
	v_fmac_f64_e32 v[102:103], v[80:81], v[94:95]
	s_wait_dscnt 0x1
	v_fmac_f64_e32 v[102:103], v[82:83], v[68:69]
	ds_load_b64 v[68:69], v2 offset:496
	s_wait_loadcnt 0x1
	v_fmac_f64_e32 v[102:103], v[84:85], v[70:71]
	s_wait_dscnt 0x1
	s_delay_alu instid0(VALU_DEP_1) | instskip(SKIP_1) | instid1(VALU_DEP_1)
	v_fmac_f64_e32 v[102:103], v[86:87], v[72:73]
	s_wait_loadcnt 0x0
	v_fmac_f64_e32 v[102:103], v[88:89], v[74:75]
	s_wait_dscnt 0x0
	s_delay_alu instid0(VALU_DEP_1) | instskip(NEXT) | instid1(VALU_DEP_1)
	v_fmac_f64_e32 v[102:103], v[90:91], v[68:69]
	v_add_f64_e64 v[66:67], v[66:67], -v[102:103]
	scratch_store_b64 off, v[66:67], off offset:40
	s_wait_xcnt 0x0
	v_cmpx_lt_u32_e32 4, v0
	s_cbranch_execz .LBB30_187
; %bb.186:
	scratch_load_b64 v[66:67], off, off offset:32
	v_mov_b64_e32 v[68:69], 0
	scratch_store_b64 off, v[68:69], off offset:32
	s_wait_loadcnt 0x0
	ds_store_b64 v1, v[66:67]
.LBB30_187:
	s_wait_xcnt 0x0
	s_or_b32 exec_lo, exec_lo, s0
	s_wait_storecnt_dscnt 0x0
	s_barrier_signal -1
	s_barrier_wait -1
	s_clause 0x5
	scratch_load_b128 v[66:69], off, off offset:32
	scratch_load_b128 v[70:73], off, off offset:48
	;; [unrolled: 1-line block ×6, first 2 shown]
	ds_load_2addr_b64 v[90:93], v2 offset0:37 offset1:38
	ds_load_2addr_b64 v[94:97], v2 offset0:39 offset1:40
	scratch_load_b128 v[98:101], off, off offset:128
	s_mov_b32 s0, exec_lo
	s_wait_loadcnt_dscnt 0x601
	v_fma_f64 v[102:103], v[68:69], v[90:91], 0
	s_wait_loadcnt 0x5
	s_delay_alu instid0(VALU_DEP_1) | instskip(SKIP_4) | instid1(VALU_DEP_1)
	v_fmac_f64_e32 v[102:103], v[70:71], v[92:93]
	scratch_load_b128 v[68:71], off, off offset:144
	s_wait_dscnt 0x0
	v_fmac_f64_e32 v[102:103], v[72:73], v[94:95]
	s_wait_loadcnt 0x5
	v_fmac_f64_e32 v[102:103], v[74:75], v[96:97]
	ds_load_2addr_b64 v[72:75], v2 offset0:41 offset1:42
	ds_load_2addr_b64 v[90:93], v2 offset0:43 offset1:44
	scratch_load_b128 v[94:97], off, off offset:160
	s_wait_dscnt 0x1
	v_fmac_f64_e32 v[102:103], v[76:77], v[72:73]
	s_wait_loadcnt 0x5
	s_delay_alu instid0(VALU_DEP_1) | instskip(SKIP_4) | instid1(VALU_DEP_1)
	v_fmac_f64_e32 v[102:103], v[78:79], v[74:75]
	scratch_load_b128 v[72:75], off, off offset:176
	s_wait_dscnt 0x0
	v_fmac_f64_e32 v[102:103], v[80:81], v[90:91]
	s_wait_loadcnt 0x5
	v_fmac_f64_e32 v[102:103], v[82:83], v[92:93]
	ds_load_2addr_b64 v[76:79], v2 offset0:45 offset1:46
	ds_load_2addr_b64 v[80:83], v2 offset0:47 offset1:48
	s_wait_dscnt 0x1
	v_fmac_f64_e32 v[102:103], v[84:85], v[76:77]
	s_wait_loadcnt 0x4
	s_delay_alu instid0(VALU_DEP_1) | instskip(SKIP_4) | instid1(VALU_DEP_1)
	v_fmac_f64_e32 v[102:103], v[86:87], v[78:79]
	scratch_load_b128 v[76:79], off, off offset:192
	s_wait_dscnt 0x0
	v_fmac_f64_e32 v[102:103], v[88:89], v[80:81]
	s_wait_loadcnt 0x4
	v_fmac_f64_e32 v[102:103], v[98:99], v[82:83]
	scratch_load_b128 v[80:83], off, off offset:208
	ds_load_2addr_b64 v[84:87], v2 offset0:49 offset1:50
	ds_load_2addr_b64 v[88:91], v2 offset0:51 offset1:52
	scratch_load_b64 v[92:93], off, off offset:240
	s_wait_dscnt 0x1
	v_fmac_f64_e32 v[102:103], v[100:101], v[84:85]
	s_wait_loadcnt 0x5
	s_delay_alu instid0(VALU_DEP_1) | instskip(SKIP_4) | instid1(VALU_DEP_1)
	v_fmac_f64_e32 v[102:103], v[68:69], v[86:87]
	scratch_load_b128 v[84:87], off, off offset:224
	s_wait_dscnt 0x0
	v_fmac_f64_e32 v[102:103], v[70:71], v[88:89]
	s_wait_loadcnt 0x5
	v_fmac_f64_e32 v[102:103], v[94:95], v[90:91]
	ds_load_2addr_b64 v[68:71], v2 offset0:53 offset1:54
	ds_load_2addr_b64 v[88:91], v2 offset0:55 offset1:56
	s_wait_dscnt 0x1
	v_fmac_f64_e32 v[102:103], v[96:97], v[68:69]
	s_wait_loadcnt 0x4
	s_delay_alu instid0(VALU_DEP_1) | instskip(SKIP_1) | instid1(VALU_DEP_1)
	v_fmac_f64_e32 v[102:103], v[72:73], v[70:71]
	s_wait_dscnt 0x0
	v_fmac_f64_e32 v[102:103], v[74:75], v[88:89]
	ds_load_2addr_b64 v[68:71], v2 offset0:57 offset1:58
	ds_load_2addr_b64 v[72:75], v2 offset0:59 offset1:60
	s_wait_loadcnt 0x3
	v_fmac_f64_e32 v[102:103], v[76:77], v[90:91]
	s_wait_dscnt 0x1
	s_delay_alu instid0(VALU_DEP_1) | instskip(SKIP_1) | instid1(VALU_DEP_1)
	v_fmac_f64_e32 v[102:103], v[78:79], v[68:69]
	s_wait_loadcnt 0x2
	v_fmac_f64_e32 v[102:103], v[80:81], v[70:71]
	ds_load_2addr_b64 v[68:71], v2 offset0:61 offset1:62
	s_wait_dscnt 0x1
	v_fmac_f64_e32 v[102:103], v[82:83], v[72:73]
	s_wait_loadcnt 0x0
	s_delay_alu instid0(VALU_DEP_1) | instskip(SKIP_1) | instid1(VALU_DEP_1)
	v_fmac_f64_e32 v[102:103], v[84:85], v[74:75]
	s_wait_dscnt 0x0
	v_fmac_f64_e32 v[102:103], v[86:87], v[68:69]
	s_delay_alu instid0(VALU_DEP_1) | instskip(NEXT) | instid1(VALU_DEP_1)
	v_fmac_f64_e32 v[102:103], v[92:93], v[70:71]
	v_add_f64_e64 v[2:3], v[66:67], -v[102:103]
	scratch_store_b64 off, v[2:3], off offset:32
	s_wait_xcnt 0x0
	v_cmpx_lt_u32_e32 3, v0
	s_cbranch_execz .LBB30_189
; %bb.188:
	scratch_load_b64 v[2:3], off, off offset:24
	v_mov_b64_e32 v[66:67], 0
	scratch_store_b64 off, v[66:67], off offset:24
	s_wait_loadcnt 0x0
	ds_store_b64 v1, v[2:3]
.LBB30_189:
	s_wait_xcnt 0x0
	s_or_b32 exec_lo, exec_lo, s0
	s_wait_storecnt_dscnt 0x0
	s_barrier_signal -1
	s_barrier_wait -1
	s_clause 0x5
	scratch_load_b128 v[66:69], off, off offset:24
	scratch_load_b128 v[70:73], off, off offset:40
	;; [unrolled: 1-line block ×6, first 2 shown]
	v_mov_b32_e32 v2, 0
	ds_load_b128 v[90:93], v2 offset:288
	ds_load_b128 v[94:97], v2 offset:304
	scratch_load_b128 v[98:101], off, off offset:120
	s_mov_b32 s0, exec_lo
	s_wait_loadcnt_dscnt 0x601
	v_fma_f64 v[102:103], v[68:69], v[90:91], 0
	s_wait_loadcnt 0x5
	s_delay_alu instid0(VALU_DEP_1) | instskip(SKIP_4) | instid1(VALU_DEP_1)
	v_fmac_f64_e32 v[102:103], v[70:71], v[92:93]
	scratch_load_b128 v[68:71], off, off offset:136
	s_wait_dscnt 0x0
	v_fmac_f64_e32 v[102:103], v[72:73], v[94:95]
	s_wait_loadcnt 0x5
	v_fmac_f64_e32 v[102:103], v[74:75], v[96:97]
	ds_load_b128 v[72:75], v2 offset:320
	ds_load_b128 v[90:93], v2 offset:336
	scratch_load_b128 v[94:97], off, off offset:152
	s_wait_dscnt 0x1
	v_fmac_f64_e32 v[102:103], v[76:77], v[72:73]
	s_wait_loadcnt 0x5
	s_delay_alu instid0(VALU_DEP_1) | instskip(SKIP_4) | instid1(VALU_DEP_1)
	v_fmac_f64_e32 v[102:103], v[78:79], v[74:75]
	scratch_load_b128 v[72:75], off, off offset:168
	s_wait_dscnt 0x0
	v_fmac_f64_e32 v[102:103], v[80:81], v[90:91]
	s_wait_loadcnt 0x5
	v_fmac_f64_e32 v[102:103], v[82:83], v[92:93]
	ds_load_b128 v[76:79], v2 offset:352
	ds_load_b128 v[80:83], v2 offset:368
	s_wait_dscnt 0x1
	v_fmac_f64_e32 v[102:103], v[84:85], v[76:77]
	s_wait_loadcnt 0x4
	s_delay_alu instid0(VALU_DEP_1) | instskip(SKIP_4) | instid1(VALU_DEP_1)
	v_fmac_f64_e32 v[102:103], v[86:87], v[78:79]
	scratch_load_b128 v[76:79], off, off offset:184
	s_wait_dscnt 0x0
	v_fmac_f64_e32 v[102:103], v[88:89], v[80:81]
	s_wait_loadcnt 0x4
	v_fmac_f64_e32 v[102:103], v[98:99], v[82:83]
	scratch_load_b128 v[80:83], off, off offset:200
	ds_load_b128 v[84:87], v2 offset:384
	ds_load_b128 v[88:91], v2 offset:400
	s_wait_dscnt 0x1
	v_fmac_f64_e32 v[102:103], v[100:101], v[84:85]
	s_wait_loadcnt 0x4
	s_delay_alu instid0(VALU_DEP_1)
	v_fmac_f64_e32 v[102:103], v[68:69], v[86:87]
	scratch_load_b128 v[84:87], off, off offset:216
	s_wait_dscnt 0x0
	v_fmac_f64_e32 v[102:103], v[70:71], v[88:89]
	scratch_load_b128 v[68:71], off, off offset:232
	s_wait_loadcnt 0x5
	v_fmac_f64_e32 v[102:103], v[94:95], v[90:91]
	ds_load_b128 v[88:91], v2 offset:416
	ds_load_b128 v[92:95], v2 offset:432
	s_wait_dscnt 0x1
	v_fmac_f64_e32 v[102:103], v[96:97], v[88:89]
	s_wait_loadcnt 0x4
	s_delay_alu instid0(VALU_DEP_1) | instskip(SKIP_1) | instid1(VALU_DEP_1)
	v_fmac_f64_e32 v[102:103], v[72:73], v[90:91]
	s_wait_dscnt 0x0
	v_fmac_f64_e32 v[102:103], v[74:75], v[92:93]
	ds_load_b128 v[72:75], v2 offset:448
	ds_load_b128 v[88:91], v2 offset:464
	s_wait_loadcnt 0x3
	v_fmac_f64_e32 v[102:103], v[76:77], v[94:95]
	s_wait_dscnt 0x1
	s_delay_alu instid0(VALU_DEP_1) | instskip(SKIP_1) | instid1(VALU_DEP_1)
	v_fmac_f64_e32 v[102:103], v[78:79], v[72:73]
	s_wait_loadcnt 0x2
	v_fmac_f64_e32 v[102:103], v[80:81], v[74:75]
	ds_load_b128 v[72:75], v2 offset:480
	ds_load_b64 v[76:77], v2 offset:496
	s_wait_dscnt 0x2
	v_fmac_f64_e32 v[102:103], v[82:83], v[88:89]
	s_wait_loadcnt 0x1
	s_delay_alu instid0(VALU_DEP_1) | instskip(SKIP_1) | instid1(VALU_DEP_1)
	v_fmac_f64_e32 v[102:103], v[84:85], v[90:91]
	s_wait_dscnt 0x1
	v_fmac_f64_e32 v[102:103], v[86:87], v[72:73]
	s_wait_loadcnt 0x0
	s_delay_alu instid0(VALU_DEP_1) | instskip(SKIP_1) | instid1(VALU_DEP_1)
	v_fmac_f64_e32 v[102:103], v[68:69], v[74:75]
	s_wait_dscnt 0x0
	v_fmac_f64_e32 v[102:103], v[70:71], v[76:77]
	s_delay_alu instid0(VALU_DEP_1)
	v_add_f64_e64 v[66:67], v[66:67], -v[102:103]
	scratch_store_b64 off, v[66:67], off offset:24
	s_wait_xcnt 0x0
	v_cmpx_lt_u32_e32 2, v0
	s_cbranch_execz .LBB30_191
; %bb.190:
	scratch_load_b64 v[66:67], off, off offset:16
	v_mov_b64_e32 v[68:69], 0
	scratch_store_b64 off, v[68:69], off offset:16
	s_wait_loadcnt 0x0
	ds_store_b64 v1, v[66:67]
.LBB30_191:
	s_wait_xcnt 0x0
	s_or_b32 exec_lo, exec_lo, s0
	s_wait_storecnt_dscnt 0x0
	s_barrier_signal -1
	s_barrier_wait -1
	s_clause 0x5
	scratch_load_b128 v[66:69], off, off offset:16
	scratch_load_b128 v[70:73], off, off offset:32
	;; [unrolled: 1-line block ×6, first 2 shown]
	ds_load_2addr_b64 v[90:93], v2 offset0:35 offset1:36
	ds_load_2addr_b64 v[94:97], v2 offset0:37 offset1:38
	scratch_load_b128 v[98:101], off, off offset:112
	s_mov_b32 s0, exec_lo
	s_wait_loadcnt_dscnt 0x601
	v_fma_f64 v[102:103], v[68:69], v[90:91], 0
	s_wait_loadcnt 0x5
	s_delay_alu instid0(VALU_DEP_1) | instskip(SKIP_4) | instid1(VALU_DEP_1)
	v_fmac_f64_e32 v[102:103], v[70:71], v[92:93]
	scratch_load_b128 v[68:71], off, off offset:128
	s_wait_dscnt 0x0
	v_fmac_f64_e32 v[102:103], v[72:73], v[94:95]
	s_wait_loadcnt 0x5
	v_fmac_f64_e32 v[102:103], v[74:75], v[96:97]
	ds_load_2addr_b64 v[72:75], v2 offset0:39 offset1:40
	ds_load_2addr_b64 v[90:93], v2 offset0:41 offset1:42
	scratch_load_b128 v[94:97], off, off offset:144
	s_wait_dscnt 0x1
	v_fmac_f64_e32 v[102:103], v[76:77], v[72:73]
	s_wait_loadcnt 0x5
	s_delay_alu instid0(VALU_DEP_1) | instskip(SKIP_4) | instid1(VALU_DEP_1)
	v_fmac_f64_e32 v[102:103], v[78:79], v[74:75]
	scratch_load_b128 v[72:75], off, off offset:160
	s_wait_dscnt 0x0
	v_fmac_f64_e32 v[102:103], v[80:81], v[90:91]
	s_wait_loadcnt 0x5
	v_fmac_f64_e32 v[102:103], v[82:83], v[92:93]
	ds_load_2addr_b64 v[76:79], v2 offset0:43 offset1:44
	ds_load_2addr_b64 v[80:83], v2 offset0:45 offset1:46
	s_wait_dscnt 0x1
	v_fmac_f64_e32 v[102:103], v[84:85], v[76:77]
	s_wait_loadcnt 0x4
	s_delay_alu instid0(VALU_DEP_1) | instskip(SKIP_4) | instid1(VALU_DEP_1)
	v_fmac_f64_e32 v[102:103], v[86:87], v[78:79]
	scratch_load_b128 v[76:79], off, off offset:176
	s_wait_dscnt 0x0
	v_fmac_f64_e32 v[102:103], v[88:89], v[80:81]
	s_wait_loadcnt 0x4
	v_fmac_f64_e32 v[102:103], v[98:99], v[82:83]
	scratch_load_b128 v[80:83], off, off offset:192
	ds_load_2addr_b64 v[84:87], v2 offset0:47 offset1:48
	ds_load_2addr_b64 v[88:91], v2 offset0:49 offset1:50
	s_wait_dscnt 0x1
	v_fmac_f64_e32 v[102:103], v[100:101], v[84:85]
	s_wait_loadcnt 0x4
	s_delay_alu instid0(VALU_DEP_1)
	v_fmac_f64_e32 v[102:103], v[68:69], v[86:87]
	scratch_load_b128 v[84:87], off, off offset:208
	s_wait_dscnt 0x0
	v_fmac_f64_e32 v[102:103], v[70:71], v[88:89]
	scratch_load_b128 v[68:71], off, off offset:224
	s_wait_loadcnt 0x5
	v_fmac_f64_e32 v[102:103], v[94:95], v[90:91]
	ds_load_2addr_b64 v[88:91], v2 offset0:51 offset1:52
	ds_load_2addr_b64 v[92:95], v2 offset0:53 offset1:54
	s_wait_dscnt 0x1
	v_fmac_f64_e32 v[102:103], v[96:97], v[88:89]
	scratch_load_b64 v[96:97], off, off offset:240
	s_wait_loadcnt 0x5
	v_fmac_f64_e32 v[102:103], v[72:73], v[90:91]
	s_wait_dscnt 0x0
	s_delay_alu instid0(VALU_DEP_1)
	v_fmac_f64_e32 v[102:103], v[74:75], v[92:93]
	ds_load_2addr_b64 v[72:75], v2 offset0:55 offset1:56
	ds_load_2addr_b64 v[88:91], v2 offset0:57 offset1:58
	s_wait_loadcnt 0x4
	v_fmac_f64_e32 v[102:103], v[76:77], v[94:95]
	s_wait_dscnt 0x1
	s_delay_alu instid0(VALU_DEP_1) | instskip(SKIP_1) | instid1(VALU_DEP_1)
	v_fmac_f64_e32 v[102:103], v[78:79], v[72:73]
	s_wait_loadcnt 0x3
	v_fmac_f64_e32 v[102:103], v[80:81], v[74:75]
	ds_load_2addr_b64 v[72:75], v2 offset0:59 offset1:60
	ds_load_2addr_b64 v[76:79], v2 offset0:61 offset1:62
	s_wait_dscnt 0x2
	v_fmac_f64_e32 v[102:103], v[82:83], v[88:89]
	s_wait_loadcnt 0x2
	s_delay_alu instid0(VALU_DEP_1) | instskip(SKIP_1) | instid1(VALU_DEP_1)
	v_fmac_f64_e32 v[102:103], v[84:85], v[90:91]
	s_wait_dscnt 0x1
	v_fmac_f64_e32 v[102:103], v[86:87], v[72:73]
	s_wait_loadcnt 0x1
	s_delay_alu instid0(VALU_DEP_1) | instskip(SKIP_1) | instid1(VALU_DEP_1)
	v_fmac_f64_e32 v[102:103], v[68:69], v[74:75]
	s_wait_dscnt 0x0
	v_fmac_f64_e32 v[102:103], v[70:71], v[76:77]
	s_wait_loadcnt 0x0
	s_delay_alu instid0(VALU_DEP_1) | instskip(NEXT) | instid1(VALU_DEP_1)
	v_fmac_f64_e32 v[102:103], v[96:97], v[78:79]
	v_add_f64_e64 v[2:3], v[66:67], -v[102:103]
	scratch_store_b64 off, v[2:3], off offset:16
	s_wait_xcnt 0x0
	v_cmpx_lt_u32_e32 1, v0
	s_cbranch_execz .LBB30_193
; %bb.192:
	scratch_load_b64 v[2:3], off, off offset:8
	v_mov_b64_e32 v[66:67], 0
	scratch_store_b64 off, v[66:67], off offset:8
	s_wait_loadcnt 0x0
	ds_store_b64 v1, v[2:3]
.LBB30_193:
	s_wait_xcnt 0x0
	s_or_b32 exec_lo, exec_lo, s0
	s_wait_storecnt_dscnt 0x0
	s_barrier_signal -1
	s_barrier_wait -1
	s_clause 0x3
	scratch_load_b128 v[68:71], off, off offset:8
	scratch_load_b128 v[72:75], off, off offset:24
	;; [unrolled: 1-line block ×4, first 2 shown]
	v_dual_mov_b32 v66, 0 :: v_dual_ashrrev_i32 v9, 31, v8
	ds_load_b128 v[84:87], v66 offset:272
	ds_load_b128 v[88:91], v66 offset:288
	scratch_load_b128 v[92:95], off, off offset:72
	v_dual_ashrrev_i32 v11, 31, v10 :: v_dual_ashrrev_i32 v13, 31, v12
	v_dual_ashrrev_i32 v15, 31, v14 :: v_dual_ashrrev_i32 v21, 31, v20
	;; [unrolled: 1-line block ×13, first 2 shown]
	v_ashrrev_i32_e32 v63, 31, v62
	s_mov_b32 s0, exec_lo
	v_ashrrev_i32_e32 v17, 31, v16
	s_wait_loadcnt_dscnt 0x401
	v_fma_f64 v[2:3], v[70:71], v[84:85], 0
	s_wait_loadcnt 0x3
	s_delay_alu instid0(VALU_DEP_1) | instskip(SKIP_4) | instid1(VALU_DEP_1)
	v_fmac_f64_e32 v[2:3], v[72:73], v[86:87]
	scratch_load_b128 v[70:73], off, off offset:88
	s_wait_dscnt 0x0
	v_fmac_f64_e32 v[2:3], v[74:75], v[88:89]
	s_wait_loadcnt 0x3
	v_fmac_f64_e32 v[2:3], v[76:77], v[90:91]
	ds_load_b128 v[74:77], v66 offset:304
	ds_load_b128 v[84:87], v66 offset:320
	scratch_load_b128 v[88:91], off, off offset:104
	s_wait_dscnt 0x1
	v_fmac_f64_e32 v[2:3], v[78:79], v[74:75]
	s_wait_loadcnt 0x3
	s_delay_alu instid0(VALU_DEP_1)
	v_fmac_f64_e32 v[2:3], v[80:81], v[76:77]
	scratch_load_b128 v[74:77], off, off offset:120
	s_wait_dscnt 0x0
	v_fmac_f64_e32 v[2:3], v[82:83], v[84:85]
	ds_load_b128 v[78:81], v66 offset:336
	ds_load_b128 v[82:85], v66 offset:352
	s_wait_loadcnt 0x3
	v_fmac_f64_e32 v[2:3], v[92:93], v[86:87]
	s_wait_dscnt 0x1
	s_delay_alu instid0(VALU_DEP_1) | instskip(SKIP_4) | instid1(VALU_DEP_1)
	v_fmac_f64_e32 v[2:3], v[94:95], v[78:79]
	scratch_load_b128 v[92:95], off, off offset:136
	s_wait_loadcnt 0x3
	v_fmac_f64_e32 v[2:3], v[70:71], v[80:81]
	s_wait_dscnt 0x0
	v_fmac_f64_e32 v[2:3], v[72:73], v[82:83]
	scratch_load_b128 v[70:73], off, off offset:152
	s_wait_loadcnt 0x3
	v_fmac_f64_e32 v[2:3], v[88:89], v[84:85]
	ds_load_b128 v[78:81], v66 offset:368
	ds_load_b128 v[82:85], v66 offset:384
	scratch_load_b128 v[86:89], off, off offset:168
	s_wait_dscnt 0x1
	v_fmac_f64_e32 v[2:3], v[90:91], v[78:79]
	s_wait_loadcnt 0x3
	s_delay_alu instid0(VALU_DEP_1) | instskip(SKIP_1) | instid1(VALU_DEP_1)
	v_fmac_f64_e32 v[2:3], v[74:75], v[80:81]
	s_wait_dscnt 0x0
	v_fmac_f64_e32 v[2:3], v[76:77], v[82:83]
	scratch_load_b128 v[74:77], off, off offset:184
	s_wait_loadcnt 0x3
	v_fmac_f64_e32 v[2:3], v[92:93], v[84:85]
	ds_load_b128 v[78:81], v66 offset:400
	ds_load_b128 v[82:85], v66 offset:416
	scratch_load_b128 v[90:93], off, off offset:200
	s_wait_dscnt 0x1
	v_fmac_f64_e32 v[2:3], v[94:95], v[78:79]
	s_wait_loadcnt 0x3
	s_delay_alu instid0(VALU_DEP_1) | instskip(SKIP_1) | instid1(VALU_DEP_1)
	v_fmac_f64_e32 v[2:3], v[70:71], v[80:81]
	s_wait_dscnt 0x0
	v_fmac_f64_e32 v[2:3], v[72:73], v[82:83]
	scratch_load_b128 v[70:73], off, off offset:216
	s_wait_loadcnt 0x3
	v_fmac_f64_e32 v[2:3], v[86:87], v[84:85]
	ds_load_b128 v[78:81], v66 offset:432
	ds_load_b128 v[82:85], v66 offset:448
	s_wait_dscnt 0x1
	v_fmac_f64_e32 v[2:3], v[88:89], v[78:79]
	scratch_load_b128 v[86:89], off, off offset:232
	s_wait_loadcnt 0x3
	v_fmac_f64_e32 v[2:3], v[74:75], v[80:81]
	s_wait_dscnt 0x0
	s_delay_alu instid0(VALU_DEP_1)
	v_fmac_f64_e32 v[2:3], v[76:77], v[82:83]
	ds_load_b128 v[74:77], v66 offset:464
	ds_load_b128 v[78:81], v66 offset:480
	s_wait_loadcnt 0x2
	v_fmac_f64_e32 v[2:3], v[90:91], v[84:85]
	s_wait_dscnt 0x1
	s_delay_alu instid0(VALU_DEP_1) | instskip(SKIP_1) | instid1(VALU_DEP_1)
	v_fmac_f64_e32 v[2:3], v[92:93], v[74:75]
	s_wait_loadcnt 0x1
	v_fmac_f64_e32 v[2:3], v[70:71], v[76:77]
	ds_load_b64 v[70:71], v66 offset:496
	s_wait_dscnt 0x1
	v_fmac_f64_e32 v[2:3], v[72:73], v[78:79]
	s_wait_loadcnt 0x0
	s_delay_alu instid0(VALU_DEP_1) | instskip(SKIP_1) | instid1(VALU_DEP_1)
	v_fmac_f64_e32 v[2:3], v[86:87], v[80:81]
	s_wait_dscnt 0x0
	v_fmac_f64_e32 v[2:3], v[88:89], v[70:71]
	s_delay_alu instid0(VALU_DEP_1)
	v_add_f64_e64 v[2:3], v[68:69], -v[2:3]
	scratch_store_b64 off, v[2:3], off offset:8
	s_wait_xcnt 0x0
	v_cmpx_ne_u32_e32 0, v0
	s_cbranch_execz .LBB30_195
; %bb.194:
	scratch_load_b64 v[2:3], off, off
	v_mov_b64_e32 v[68:69], 0
	scratch_store_b64 off, v[68:69], off
	s_wait_loadcnt 0x0
	ds_store_b64 v1, v[2:3]
.LBB30_195:
	s_wait_xcnt 0x0
	s_or_b32 exec_lo, exec_lo, s0
	s_wait_storecnt_dscnt 0x0
	s_barrier_signal -1
	s_barrier_wait -1
	s_clause 0x5
	scratch_load_b128 v[68:71], off, off
	scratch_load_b128 v[0:3], off, off offset:16
	scratch_load_b128 v[72:75], off, off offset:32
	;; [unrolled: 1-line block ×5, first 2 shown]
	ds_load_2addr_b64 v[88:91], v66 offset0:33 offset1:34
	scratch_load_b128 v[92:95], off, off offset:96
	s_and_b32 vcc_lo, exec_lo, s18
	scratch_load_b128 v[96:99], off, off offset:208
	s_wait_loadcnt_dscnt 0x700
	v_fma_f64 v[100:101], v[70:71], v[88:89], 0
	s_wait_loadcnt 0x6
	s_delay_alu instid0(VALU_DEP_1)
	v_fmac_f64_e32 v[100:101], v[0:1], v[90:91]
	ds_load_2addr_b64 v[88:91], v66 offset0:35 offset1:36
	s_wait_dscnt 0x0
	v_fmac_f64_e32 v[100:101], v[2:3], v[88:89]
	scratch_load_b128 v[0:3], off, off offset:112
	s_wait_loadcnt 0x6
	v_fmac_f64_e32 v[100:101], v[72:73], v[90:91]
	ds_load_2addr_b64 v[70:73], v66 offset0:37 offset1:38
	scratch_load_b128 v[88:91], off, off offset:128
	s_wait_dscnt 0x0
	v_fmac_f64_e32 v[100:101], v[74:75], v[70:71]
	s_wait_loadcnt 0x6
	s_delay_alu instid0(VALU_DEP_1)
	v_fmac_f64_e32 v[100:101], v[76:77], v[72:73]
	ds_load_2addr_b64 v[70:73], v66 offset0:39 offset1:40
	scratch_load_b128 v[74:77], off, off offset:144
	s_wait_dscnt 0x0
	v_fmac_f64_e32 v[100:101], v[78:79], v[70:71]
	s_wait_loadcnt 0x6
	s_delay_alu instid0(VALU_DEP_1)
	v_fmac_f64_e32 v[100:101], v[80:81], v[72:73]
	ds_load_2addr_b64 v[70:73], v66 offset0:41 offset1:42
	scratch_load_b128 v[78:81], off, off offset:160
	s_wait_dscnt 0x0
	v_fmac_f64_e32 v[100:101], v[82:83], v[70:71]
	s_wait_loadcnt 0x6
	s_delay_alu instid0(VALU_DEP_1)
	v_fmac_f64_e32 v[100:101], v[84:85], v[72:73]
	ds_load_2addr_b64 v[70:73], v66 offset0:43 offset1:44
	scratch_load_b128 v[82:85], off, off offset:176
	s_wait_dscnt 0x0
	v_fmac_f64_e32 v[100:101], v[86:87], v[70:71]
	s_wait_loadcnt 0x6
	s_delay_alu instid0(VALU_DEP_1)
	v_fmac_f64_e32 v[100:101], v[92:93], v[72:73]
	ds_load_2addr_b64 v[70:73], v66 offset0:45 offset1:46
	s_wait_dscnt 0x0
	v_fmac_f64_e32 v[100:101], v[94:95], v[70:71]
	scratch_load_b128 v[92:95], off, off offset:192
	s_wait_loadcnt 0x5
	v_fmac_f64_e32 v[100:101], v[0:1], v[72:73]
	ds_load_2addr_b64 v[70:73], v66 offset0:47 offset1:48
	s_wait_dscnt 0x0
	v_fmac_f64_e32 v[100:101], v[2:3], v[70:71]
	scratch_load_b128 v[0:3], off, off offset:224
	s_wait_loadcnt 0x5
	v_fmac_f64_e32 v[100:101], v[88:89], v[72:73]
	ds_load_2addr_b64 v[70:73], v66 offset0:49 offset1:50
	s_wait_dscnt 0x0
	v_fmac_f64_e32 v[100:101], v[90:91], v[70:71]
	s_wait_loadcnt 0x4
	s_delay_alu instid0(VALU_DEP_1)
	v_fmac_f64_e32 v[100:101], v[74:75], v[72:73]
	ds_load_2addr_b64 v[70:73], v66 offset0:51 offset1:52
	scratch_load_b64 v[74:75], off, off offset:240
	s_wait_dscnt 0x0
	v_fmac_f64_e32 v[100:101], v[76:77], v[70:71]
	s_wait_loadcnt 0x4
	s_delay_alu instid0(VALU_DEP_1) | instskip(SKIP_4) | instid1(VALU_DEP_1)
	v_fmac_f64_e32 v[100:101], v[78:79], v[72:73]
	ds_load_2addr_b64 v[70:73], v66 offset0:53 offset1:54
	s_wait_dscnt 0x0
	v_fmac_f64_e32 v[100:101], v[80:81], v[70:71]
	s_wait_loadcnt 0x3
	v_fmac_f64_e32 v[100:101], v[82:83], v[72:73]
	ds_load_2addr_b64 v[70:73], v66 offset0:55 offset1:56
	s_wait_dscnt 0x0
	v_fmac_f64_e32 v[100:101], v[84:85], v[70:71]
	s_wait_loadcnt 0x2
	s_delay_alu instid0(VALU_DEP_1) | instskip(SKIP_3) | instid1(VALU_DEP_1)
	v_fmac_f64_e32 v[100:101], v[92:93], v[72:73]
	ds_load_2addr_b64 v[70:73], v66 offset0:57 offset1:58
	s_wait_dscnt 0x0
	v_fmac_f64_e32 v[100:101], v[94:95], v[70:71]
	v_fmac_f64_e32 v[100:101], v[96:97], v[72:73]
	ds_load_2addr_b64 v[70:73], v66 offset0:59 offset1:60
	s_wait_dscnt 0x0
	v_fmac_f64_e32 v[100:101], v[98:99], v[70:71]
	s_wait_loadcnt 0x1
	s_delay_alu instid0(VALU_DEP_1) | instskip(SKIP_4) | instid1(VALU_DEP_1)
	v_fmac_f64_e32 v[100:101], v[0:1], v[72:73]
	ds_load_2addr_b64 v[70:73], v66 offset0:61 offset1:62
	s_wait_dscnt 0x0
	v_fmac_f64_e32 v[100:101], v[2:3], v[70:71]
	s_wait_loadcnt 0x0
	v_fmac_f64_e32 v[100:101], v[74:75], v[72:73]
	s_delay_alu instid0(VALU_DEP_1)
	v_add_f64_e64 v[78:79], v[68:69], -v[100:101]
	scratch_store_b64 off, v[78:79], off
	s_cbranch_vccz .LBB30_256
; %bb.196:
	v_mov_b32_e32 v0, 0
	global_load_b32 v1, v0, s[2:3] offset:116
	s_wait_loadcnt 0x0
	v_cmp_ne_u32_e32 vcc_lo, 30, v1
	s_cbranch_vccz .LBB30_198
; %bb.197:
	v_lshlrev_b32_e32 v1, 3, v1
	scratch_load_b64 v[66:67], v1, off offset:-8
	s_wait_loadcnt 0x0
	scratch_store_b64 off, v[66:67], off offset:232
	scratch_store_b64 v1, v[2:3], off offset:-8
.LBB30_198:
	global_load_b32 v0, v0, s[2:3] offset:112
	s_wait_loadcnt 0x0
	v_cmp_eq_u32_e32 vcc_lo, 29, v0
	s_cbranch_vccnz .LBB30_200
; %bb.199:
	s_wait_xcnt 0x0
	v_lshlrev_b32_e32 v0, 3, v0
	s_delay_alu instid0(VALU_DEP_1)
	v_mov_b32_e32 v66, v0
	scratch_load_b64 v[0:1], v66, off offset:-8
	scratch_load_b64 v[2:3], off, off offset:224
	s_wait_loadcnt 0x1
	scratch_store_b64 off, v[0:1], off offset:224
	s_wait_loadcnt 0x0
	scratch_store_b64 v66, v[2:3], off offset:-8
.LBB30_200:
	s_wait_xcnt 0x0
	v_mov_b32_e32 v0, 0
	global_load_b32 v1, v0, s[2:3] offset:108
	s_wait_loadcnt 0x0
	v_cmp_eq_u32_e32 vcc_lo, 28, v1
	s_cbranch_vccnz .LBB30_202
; %bb.201:
	v_lshlrev_b32_e32 v1, 3, v1
	scratch_load_b64 v[2:3], v1, off offset:-8
	scratch_load_b64 v[66:67], off, off offset:216
	s_wait_loadcnt 0x1
	scratch_store_b64 off, v[2:3], off offset:216
	s_wait_loadcnt 0x0
	scratch_store_b64 v1, v[66:67], off offset:-8
.LBB30_202:
	global_load_b32 v0, v0, s[2:3] offset:104
	s_wait_loadcnt 0x0
	v_cmp_eq_u32_e32 vcc_lo, 27, v0
	s_cbranch_vccnz .LBB30_204
; %bb.203:
	s_wait_xcnt 0x0
	v_lshlrev_b32_e32 v0, 3, v0
	s_delay_alu instid0(VALU_DEP_1)
	v_mov_b32_e32 v66, v0
	scratch_load_b64 v[0:1], v66, off offset:-8
	scratch_load_b64 v[2:3], off, off offset:208
	s_wait_loadcnt 0x1
	scratch_store_b64 off, v[0:1], off offset:208
	s_wait_loadcnt 0x0
	scratch_store_b64 v66, v[2:3], off offset:-8
.LBB30_204:
	s_wait_xcnt 0x0
	v_mov_b32_e32 v0, 0
	global_load_b32 v1, v0, s[2:3] offset:100
	s_wait_loadcnt 0x0
	v_cmp_eq_u32_e32 vcc_lo, 26, v1
	s_cbranch_vccnz .LBB30_206
; %bb.205:
	v_lshlrev_b32_e32 v1, 3, v1
	scratch_load_b64 v[2:3], v1, off offset:-8
	scratch_load_b64 v[66:67], off, off offset:200
	s_wait_loadcnt 0x1
	scratch_store_b64 off, v[2:3], off offset:200
	s_wait_loadcnt 0x0
	scratch_store_b64 v1, v[66:67], off offset:-8
.LBB30_206:
	;; [unrolled: 31-line block ×14, first 2 shown]
	global_load_b32 v0, v0, s[2:3]
	scratch_load_b64 v[78:79], off, off
	s_wait_loadcnt 0x1
	v_cmp_eq_u32_e32 vcc_lo, 1, v0
	s_cbranch_vccnz .LBB30_256
; %bb.255:
	s_wait_xcnt 0x1
	v_lshlrev_b32_e32 v0, 3, v0
	s_delay_alu instid0(VALU_DEP_1)
	v_mov_b32_e32 v2, v0
	scratch_load_b64 v[0:1], v2, off offset:-8
	s_wait_loadcnt 0x0
	scratch_store_b64 off, v[0:1], off
	scratch_store_b64 v2, v[78:79], off offset:-8
	scratch_load_b64 v[78:79], off, off
.LBB30_256:
	v_lshl_add_u64 v[80:81], v[8:9], 3, s[4:5]
	v_lshl_add_u64 v[74:75], v[10:11], 3, s[4:5]
	;; [unrolled: 1-line block ×27, first 2 shown]
	s_wait_xcnt 0x1
	v_lshl_add_u64 v[0:1], v[62:63], 3, s[4:5]
	s_clause 0x5
	scratch_load_b128 v[48:51], off, off offset:8
	scratch_load_b128 v[52:55], off, off offset:24
	;; [unrolled: 1-line block ×6, first 2 shown]
	s_wait_loadcnt 0x6
	global_store_b64 v[6:7], v[78:79], off
	s_clause 0x1
	scratch_load_b128 v[90:93], off, off offset:104
	scratch_load_b128 v[94:97], off, off offset:120
	v_lshl_add_u64 v[2:3], v[64:65], 3, s[4:5]
	s_wait_loadcnt 0x7
	s_clause 0x1
	global_store_b64 v[4:5], v[48:49], off
	global_store_b64 v[80:81], v[50:51], off
	s_clause 0x1
	scratch_load_b128 v[4:7], off, off offset:136
	scratch_load_b128 v[48:51], off, off offset:152
	s_wait_loadcnt 0x8
	s_clause 0x1
	global_store_b64 v[74:75], v[52:53], off
	global_store_b64 v[76:77], v[54:55], off
	s_clause 0x1
	scratch_load_b128 v[52:55], off, off offset:168
	scratch_load_b128 v[74:77], off, off offset:184
	;; [unrolled: 7-line block ×3, first 2 shown]
	s_wait_loadcnt 0xa
	s_clause 0x1
	global_store_b64 v[66:67], v[60:61], off
	global_store_b64 v[68:69], v[62:63], off
	scratch_load_b128 v[60:63], off, off offset:232
	s_wait_loadcnt 0xa
	s_clause 0x1
	global_store_b64 v[8:9], v[82:83], off
	global_store_b64 v[10:11], v[84:85], off
	s_wait_loadcnt 0x9
	s_clause 0x1
	global_store_b64 v[12:13], v[86:87], off
	global_store_b64 v[14:15], v[88:89], off
	s_wait_loadcnt 0x8
	s_clause 0x1
	global_store_b64 v[16:17], v[90:91], off
	global_store_b64 v[18:19], v[92:93], off
	s_wait_loadcnt 0x7
	s_clause 0x1
	global_store_b64 v[20:21], v[94:95], off
	global_store_b64 v[22:23], v[96:97], off
	s_wait_loadcnt 0x6
	s_clause 0x1
	global_store_b64 v[24:25], v[4:5], off
	global_store_b64 v[26:27], v[6:7], off
	s_wait_loadcnt 0x5
	s_clause 0x1
	global_store_b64 v[28:29], v[48:49], off
	global_store_b64 v[30:31], v[50:51], off
	s_wait_loadcnt 0x4
	s_clause 0x1
	global_store_b64 v[32:33], v[52:53], off
	global_store_b64 v[34:35], v[54:55], off
	s_wait_loadcnt 0x3
	s_clause 0x1
	global_store_b64 v[36:37], v[74:75], off
	global_store_b64 v[38:39], v[76:77], off
	s_wait_loadcnt 0x2
	s_clause 0x1
	global_store_b64 v[40:41], v[56:57], off
	global_store_b64 v[42:43], v[58:59], off
	s_wait_loadcnt 0x1
	s_clause 0x1
	global_store_b64 v[44:45], v[70:71], off
	global_store_b64 v[46:47], v[72:73], off
	s_wait_loadcnt 0x0
	s_clause 0x1
	global_store_b64 v[0:1], v[60:61], off
	global_store_b64 v[2:3], v[62:63], off
	s_sendmsg sendmsg(MSG_DEALLOC_VGPRS)
	s_endpgm
	.section	.rodata,"a",@progbits
	.p2align	6, 0x0
	.amdhsa_kernel _ZN9rocsolver6v33100L18getri_kernel_smallILi31EdPdEEvT1_iilPiilS4_bb
		.amdhsa_group_segment_fixed_size 504
		.amdhsa_private_segment_fixed_size 256
		.amdhsa_kernarg_size 60
		.amdhsa_user_sgpr_count 2
		.amdhsa_user_sgpr_dispatch_ptr 0
		.amdhsa_user_sgpr_queue_ptr 0
		.amdhsa_user_sgpr_kernarg_segment_ptr 1
		.amdhsa_user_sgpr_dispatch_id 0
		.amdhsa_user_sgpr_kernarg_preload_length 0
		.amdhsa_user_sgpr_kernarg_preload_offset 0
		.amdhsa_user_sgpr_private_segment_size 0
		.amdhsa_wavefront_size32 1
		.amdhsa_uses_dynamic_stack 0
		.amdhsa_enable_private_segment 1
		.amdhsa_system_sgpr_workgroup_id_x 1
		.amdhsa_system_sgpr_workgroup_id_y 0
		.amdhsa_system_sgpr_workgroup_id_z 0
		.amdhsa_system_sgpr_workgroup_info 0
		.amdhsa_system_vgpr_workitem_id 0
		.amdhsa_next_free_vgpr 104
		.amdhsa_next_free_sgpr 19
		.amdhsa_named_barrier_count 0
		.amdhsa_reserve_vcc 1
		.amdhsa_float_round_mode_32 0
		.amdhsa_float_round_mode_16_64 0
		.amdhsa_float_denorm_mode_32 3
		.amdhsa_float_denorm_mode_16_64 3
		.amdhsa_fp16_overflow 0
		.amdhsa_memory_ordered 1
		.amdhsa_forward_progress 1
		.amdhsa_inst_pref_size 188
		.amdhsa_round_robin_scheduling 0
		.amdhsa_exception_fp_ieee_invalid_op 0
		.amdhsa_exception_fp_denorm_src 0
		.amdhsa_exception_fp_ieee_div_zero 0
		.amdhsa_exception_fp_ieee_overflow 0
		.amdhsa_exception_fp_ieee_underflow 0
		.amdhsa_exception_fp_ieee_inexact 0
		.amdhsa_exception_int_div_zero 0
	.end_amdhsa_kernel
	.section	.text._ZN9rocsolver6v33100L18getri_kernel_smallILi31EdPdEEvT1_iilPiilS4_bb,"axG",@progbits,_ZN9rocsolver6v33100L18getri_kernel_smallILi31EdPdEEvT1_iilPiilS4_bb,comdat
.Lfunc_end30:
	.size	_ZN9rocsolver6v33100L18getri_kernel_smallILi31EdPdEEvT1_iilPiilS4_bb, .Lfunc_end30-_ZN9rocsolver6v33100L18getri_kernel_smallILi31EdPdEEvT1_iilPiilS4_bb
                                        ; -- End function
	.set _ZN9rocsolver6v33100L18getri_kernel_smallILi31EdPdEEvT1_iilPiilS4_bb.num_vgpr, 104
	.set _ZN9rocsolver6v33100L18getri_kernel_smallILi31EdPdEEvT1_iilPiilS4_bb.num_agpr, 0
	.set _ZN9rocsolver6v33100L18getri_kernel_smallILi31EdPdEEvT1_iilPiilS4_bb.numbered_sgpr, 19
	.set _ZN9rocsolver6v33100L18getri_kernel_smallILi31EdPdEEvT1_iilPiilS4_bb.num_named_barrier, 0
	.set _ZN9rocsolver6v33100L18getri_kernel_smallILi31EdPdEEvT1_iilPiilS4_bb.private_seg_size, 256
	.set _ZN9rocsolver6v33100L18getri_kernel_smallILi31EdPdEEvT1_iilPiilS4_bb.uses_vcc, 1
	.set _ZN9rocsolver6v33100L18getri_kernel_smallILi31EdPdEEvT1_iilPiilS4_bb.uses_flat_scratch, 1
	.set _ZN9rocsolver6v33100L18getri_kernel_smallILi31EdPdEEvT1_iilPiilS4_bb.has_dyn_sized_stack, 0
	.set _ZN9rocsolver6v33100L18getri_kernel_smallILi31EdPdEEvT1_iilPiilS4_bb.has_recursion, 0
	.set _ZN9rocsolver6v33100L18getri_kernel_smallILi31EdPdEEvT1_iilPiilS4_bb.has_indirect_call, 0
	.section	.AMDGPU.csdata,"",@progbits
; Kernel info:
; codeLenInByte = 24016
; TotalNumSgprs: 21
; NumVgprs: 104
; ScratchSize: 256
; MemoryBound: 0
; FloatMode: 240
; IeeeMode: 1
; LDSByteSize: 504 bytes/workgroup (compile time only)
; SGPRBlocks: 0
; VGPRBlocks: 6
; NumSGPRsForWavesPerEU: 21
; NumVGPRsForWavesPerEU: 104
; NamedBarCnt: 0
; Occupancy: 9
; WaveLimiterHint : 1
; COMPUTE_PGM_RSRC2:SCRATCH_EN: 1
; COMPUTE_PGM_RSRC2:USER_SGPR: 2
; COMPUTE_PGM_RSRC2:TRAP_HANDLER: 0
; COMPUTE_PGM_RSRC2:TGID_X_EN: 1
; COMPUTE_PGM_RSRC2:TGID_Y_EN: 0
; COMPUTE_PGM_RSRC2:TGID_Z_EN: 0
; COMPUTE_PGM_RSRC2:TIDIG_COMP_CNT: 0
	.section	.text._ZN9rocsolver6v33100L18getri_kernel_smallILi32EdPdEEvT1_iilPiilS4_bb,"axG",@progbits,_ZN9rocsolver6v33100L18getri_kernel_smallILi32EdPdEEvT1_iilPiilS4_bb,comdat
	.globl	_ZN9rocsolver6v33100L18getri_kernel_smallILi32EdPdEEvT1_iilPiilS4_bb ; -- Begin function _ZN9rocsolver6v33100L18getri_kernel_smallILi32EdPdEEvT1_iilPiilS4_bb
	.p2align	8
	.type	_ZN9rocsolver6v33100L18getri_kernel_smallILi32EdPdEEvT1_iilPiilS4_bb,@function
_ZN9rocsolver6v33100L18getri_kernel_smallILi32EdPdEEvT1_iilPiilS4_bb: ; @_ZN9rocsolver6v33100L18getri_kernel_smallILi32EdPdEEvT1_iilPiilS4_bb
; %bb.0:
	s_mov_b32 s2, exec_lo
	v_cmpx_gt_u32_e32 32, v0
	s_cbranch_execz .LBB31_138
; %bb.1:
	s_clause 0x2
	s_load_b32 s2, s[0:1], 0x38
	s_load_b128 s[12:15], s[0:1], 0x10
	s_load_b128 s[4:7], s[0:1], 0x28
	s_getreg_b32 s9, hwreg(HW_REG_IB_STS2, 6, 4)
	s_wait_kmcnt 0x0
	s_bitcmp1_b32 s2, 8
	s_cselect_b32 s18, -1, 0
	s_bfe_u32 s3, ttmp6, 0x4000c
	s_and_b32 s8, ttmp6, 15
	s_add_co_i32 s3, s3, 1
	s_delay_alu instid0(SALU_CYCLE_1) | instskip(NEXT) | instid1(SALU_CYCLE_1)
	s_mul_i32 s3, ttmp9, s3
	s_add_co_i32 s8, s8, s3
	s_cmp_eq_u32 s9, 0
	s_cselect_b32 s16, ttmp9, s8
	s_bfe_u32 s2, s2, 0x10008
	s_ashr_i32 s17, s16, 31
	s_cmp_eq_u32 s2, 0
                                        ; implicit-def: $sgpr2_sgpr3
	s_cbranch_scc1 .LBB31_3
; %bb.2:
	s_load_b32 s2, s[0:1], 0x20
	s_mul_u64 s[4:5], s[4:5], s[16:17]
	s_delay_alu instid0(SALU_CYCLE_1) | instskip(NEXT) | instid1(SALU_CYCLE_1)
	s_lshl_b64 s[4:5], s[4:5], 2
	s_add_nc_u64 s[4:5], s[14:15], s[4:5]
	s_wait_kmcnt 0x0
	s_ashr_i32 s3, s2, 31
	s_delay_alu instid0(SALU_CYCLE_1) | instskip(NEXT) | instid1(SALU_CYCLE_1)
	s_lshl_b64 s[2:3], s[2:3], 2
	s_add_nc_u64 s[2:3], s[4:5], s[2:3]
.LBB31_3:
	s_clause 0x1
	s_load_b128 s[8:11], s[0:1], 0x0
	s_load_b32 s14, s[0:1], 0x38
	s_wait_xcnt 0x0
	s_mul_u64 s[0:1], s[12:13], s[16:17]
	v_lshlrev_b32_e32 v2, 3, v0
	s_lshl_b64 s[0:1], s[0:1], 3
	v_mov_b32_e32 v3, 0
	s_wait_kmcnt 0x0
	v_add3_u32 v8, s11, s11, v0
	s_ashr_i32 s5, s10, 31
	s_mov_b32 s4, s10
	s_add_nc_u64 s[0:1], s[8:9], s[0:1]
	s_lshl_b64 s[4:5], s[4:5], 3
	v_add_nc_u32_e32 v10, s11, v8
	s_add_nc_u64 s[4:5], s[0:1], s[4:5]
	s_ashr_i32 s1, s11, 31
	s_mov_b32 s0, s11
	s_bitcmp0_b32 s14, 0
	v_add_nc_u32_e32 v12, s11, v10
	v_add_nc_u64_e32 v[4:5], s[4:5], v[2:3]
	s_delay_alu instid0(VALU_DEP_2) | instskip(NEXT) | instid1(VALU_DEP_2)
	v_add_nc_u32_e32 v14, s11, v12
	v_lshl_add_u64 v[6:7], s[0:1], 3, v[4:5]
	s_mov_b32 s1, -1
	s_delay_alu instid0(VALU_DEP_2)
	v_add_nc_u32_e32 v16, s11, v14
	s_clause 0x5
	global_load_b64 v[52:53], v0, s[4:5] scale_offset
	global_load_b64 v[54:55], v[6:7], off
	global_load_b64 v[56:57], v8, s[4:5] scale_offset
	global_load_b64 v[58:59], v10, s[4:5] scale_offset
	;; [unrolled: 1-line block ×4, first 2 shown]
	v_add_nc_u32_e32 v18, s11, v16
	s_delay_alu instid0(VALU_DEP_1) | instskip(NEXT) | instid1(VALU_DEP_1)
	v_add_nc_u32_e32 v20, s11, v18
	v_add_nc_u32_e32 v22, s11, v20
	s_delay_alu instid0(VALU_DEP_1) | instskip(NEXT) | instid1(VALU_DEP_1)
	v_add_nc_u32_e32 v24, s11, v22
	v_add_nc_u32_e32 v26, s11, v24
	s_delay_alu instid0(VALU_DEP_1)
	v_add_nc_u32_e32 v28, s11, v26
	s_clause 0x3
	global_load_b64 v[64:65], v16, s[4:5] scale_offset
	global_load_b64 v[66:67], v18, s[4:5] scale_offset
	;; [unrolled: 1-line block ×4, first 2 shown]
	v_add_nc_u32_e32 v30, s11, v28
	s_delay_alu instid0(VALU_DEP_1) | instskip(NEXT) | instid1(VALU_DEP_1)
	v_add_nc_u32_e32 v32, s11, v30
	v_add_nc_u32_e32 v34, s11, v32
	s_delay_alu instid0(VALU_DEP_1)
	v_add_nc_u32_e32 v36, s11, v34
	s_clause 0x3
	global_load_b64 v[72:73], v24, s[4:5] scale_offset
	global_load_b64 v[74:75], v26, s[4:5] scale_offset
	global_load_b64 v[76:77], v28, s[4:5] scale_offset
	global_load_b64 v[78:79], v30, s[4:5] scale_offset
	v_add_nc_u32_e32 v38, s11, v36
	s_delay_alu instid0(VALU_DEP_1)
	v_add_nc_u32_e32 v40, s11, v38
	s_clause 0x3
	global_load_b64 v[80:81], v32, s[4:5] scale_offset
	global_load_b64 v[82:83], v34, s[4:5] scale_offset
	;; [unrolled: 1-line block ×4, first 2 shown]
	v_add_nc_u32_e32 v42, s11, v40
	s_delay_alu instid0(VALU_DEP_1) | instskip(NEXT) | instid1(VALU_DEP_1)
	v_add_nc_u32_e32 v44, s11, v42
	v_add_nc_u32_e32 v46, s11, v44
	s_delay_alu instid0(VALU_DEP_1)
	v_add_nc_u32_e32 v48, s11, v46
	s_clause 0x1
	global_load_b64 v[88:89], v40, s[4:5] scale_offset
	global_load_b64 v[90:91], v42, s[4:5] scale_offset
	v_add_nc_u32_e32 v50, s11, v48
	s_wait_loadcnt 0x12
	scratch_store_b128 off, v[52:55], off
	s_wait_loadcnt 0x10
	scratch_store_b128 off, v[56:59], off offset:16
	s_wait_xcnt 0x1
	v_add_nc_u32_e32 v52, s11, v50
	s_wait_loadcnt 0xe
	scratch_store_b128 off, v[60:63], off offset:32
	v_add_nc_u32_e32 v54, s11, v52
	s_wait_xcnt 0x1
	s_delay_alu instid0(VALU_DEP_1) | instskip(NEXT) | instid1(VALU_DEP_1)
	v_add_nc_u32_e32 v56, s11, v54
	v_add_nc_u32_e32 v58, s11, v56
	s_wait_xcnt 0x0
	s_delay_alu instid0(VALU_DEP_1)
	v_add_nc_u32_e32 v60, s11, v58
	s_wait_loadcnt 0xc
	scratch_store_b128 off, v[64:67], off offset:48
	s_clause 0x1
	global_load_b64 v[92:93], v44, s[4:5] scale_offset
	global_load_b64 v[94:95], v46, s[4:5] scale_offset
	s_wait_loadcnt 0xc
	scratch_store_b128 off, v[68:71], off offset:64
	v_add_nc_u32_e32 v62, s11, v60
	s_wait_loadcnt 0xa
	scratch_store_b128 off, v[72:75], off offset:80
	s_wait_loadcnt 0x8
	scratch_store_b128 off, v[76:79], off offset:96
	s_wait_xcnt 0x5
	v_add_nc_u32_e32 v64, s11, v62
	s_clause 0x3
	global_load_b64 v[68:69], v48, s[4:5] scale_offset
	global_load_b64 v[70:71], v50, s[4:5] scale_offset
	global_load_b64 v[72:73], v52, s[4:5] scale_offset
	global_load_b64 v[74:75], v54, s[4:5] scale_offset
	s_wait_loadcnt 0xa
	scratch_store_b128 off, v[80:83], off offset:112
	s_wait_loadcnt 0x8
	scratch_store_b128 off, v[84:87], off offset:128
	v_add_nc_u32_e32 v66, s11, v64
	s_clause 0x3
	global_load_b64 v[76:77], v56, s[4:5] scale_offset
	global_load_b64 v[78:79], v58, s[4:5] scale_offset
	;; [unrolled: 1-line block ×4, first 2 shown]
	s_wait_loadcnt 0xa
	scratch_store_b128 off, v[88:91], off offset:144
	s_clause 0x1
	global_load_b64 v[84:85], v64, s[4:5] scale_offset
	global_load_b64 v[86:87], v66, s[4:5] scale_offset
	s_wait_loadcnt 0xa
	scratch_store_b128 off, v[92:95], off offset:160
	s_wait_loadcnt 0x8
	scratch_store_b128 off, v[68:71], off offset:176
	;; [unrolled: 2-line block ×6, first 2 shown]
	s_cbranch_scc1 .LBB31_136
; %bb.4:
	v_cmp_eq_u32_e64 s0, 0, v0
	s_wait_xcnt 0x0
	s_and_saveexec_b32 s1, s0
; %bb.5:
	v_mov_b32_e32 v1, 0
	ds_store_b32 v1, v1 offset:512
; %bb.6:
	s_or_b32 exec_lo, exec_lo, s1
	s_wait_storecnt_dscnt 0x0
	s_barrier_signal -1
	s_barrier_wait -1
	scratch_load_b64 v[68:69], v0, off scale_offset
	s_mov_b32 s8, exec_lo
	s_wait_loadcnt 0x0
	v_cmpx_eq_f64_e32 0, v[68:69]
	s_cbranch_execz .LBB31_10
; %bb.7:
	v_mov_b32_e32 v1, 0
	s_mov_b32 s9, 0
	ds_load_b32 v3, v1 offset:512
	s_wait_dscnt 0x0
	v_readfirstlane_b32 s1, v3
	v_add_nc_u32_e32 v3, 1, v0
	s_cmp_eq_u32 s1, 0
	s_delay_alu instid0(VALU_DEP_1) | instskip(SKIP_1) | instid1(SALU_CYCLE_1)
	v_cmp_gt_i32_e32 vcc_lo, s1, v3
	s_cselect_b32 s10, -1, 0
	s_or_b32 s10, s10, vcc_lo
	s_delay_alu instid0(SALU_CYCLE_1)
	s_and_b32 exec_lo, exec_lo, s10
	s_cbranch_execz .LBB31_10
; %bb.8:
	v_mov_b32_e32 v9, s1
.LBB31_9:                               ; =>This Inner Loop Header: Depth=1
	ds_cmpstore_rtn_b32 v9, v1, v3, v9 offset:512
	s_wait_dscnt 0x0
	v_cmp_ne_u32_e32 vcc_lo, 0, v9
	v_cmp_le_i32_e64 s1, v9, v3
	s_and_b32 s1, vcc_lo, s1
	s_delay_alu instid0(SALU_CYCLE_1) | instskip(NEXT) | instid1(SALU_CYCLE_1)
	s_and_b32 s1, exec_lo, s1
	s_or_b32 s9, s1, s9
	s_delay_alu instid0(SALU_CYCLE_1)
	s_and_not1_b32 exec_lo, exec_lo, s9
	s_cbranch_execnz .LBB31_9
.LBB31_10:
	s_or_b32 exec_lo, exec_lo, s8
	v_mov_b32_e32 v1, 0
	s_barrier_signal -1
	s_barrier_wait -1
	ds_load_b32 v3, v1 offset:512
	s_and_saveexec_b32 s1, s0
	s_cbranch_execz .LBB31_12
; %bb.11:
	s_lshl_b64 s[8:9], s[16:17], 2
	s_delay_alu instid0(SALU_CYCLE_1)
	s_add_nc_u64 s[8:9], s[6:7], s[8:9]
	s_wait_dscnt 0x0
	global_store_b32 v1, v3, s[8:9]
.LBB31_12:
	s_wait_xcnt 0x0
	s_or_b32 exec_lo, exec_lo, s1
	s_wait_dscnt 0x0
	v_cmp_ne_u32_e32 vcc_lo, 0, v3
	s_mov_b32 s1, 0
	s_cbranch_vccnz .LBB31_136
; %bb.13:
	v_lshl_add_u32 v3, v0, 3, 0
	v_add_nc_u32_e32 v1, 0x100, v2
	scratch_load_b64 v[68:69], v3, off
	s_wait_loadcnt 0x0
	v_div_scale_f64 v[70:71], null, v[68:69], v[68:69], 1.0
	v_div_scale_f64 v[76:77], vcc_lo, 1.0, v[68:69], 1.0
	s_delay_alu instid0(VALU_DEP_2) | instskip(SKIP_1) | instid1(TRANS32_DEP_1)
	v_rcp_f64_e32 v[72:73], v[70:71]
	v_nop
	v_fma_f64 v[74:75], -v[70:71], v[72:73], 1.0
	s_delay_alu instid0(VALU_DEP_1) | instskip(NEXT) | instid1(VALU_DEP_1)
	v_fmac_f64_e32 v[72:73], v[72:73], v[74:75]
	v_fma_f64 v[74:75], -v[70:71], v[72:73], 1.0
	s_delay_alu instid0(VALU_DEP_1) | instskip(NEXT) | instid1(VALU_DEP_1)
	v_fmac_f64_e32 v[72:73], v[72:73], v[74:75]
	v_mul_f64_e32 v[74:75], v[76:77], v[72:73]
	s_delay_alu instid0(VALU_DEP_1) | instskip(NEXT) | instid1(VALU_DEP_1)
	v_fma_f64 v[70:71], -v[70:71], v[74:75], v[76:77]
	v_div_fmas_f64 v[70:71], v[70:71], v[72:73], v[74:75]
	s_delay_alu instid0(VALU_DEP_1)
	v_div_fixup_f64 v[68:69], v[70:71], v[68:69], 1.0
	scratch_store_b64 v3, v[68:69], off
	scratch_load_b64 v[70:71], off, off offset:8
	s_wait_xcnt 0x1
	v_xor_b32_e32 v69, 0x80000000, v69
	s_wait_loadcnt 0x0
	ds_store_2addr_b64 v2, v[68:69], v[70:71] offset1:32
	s_wait_storecnt_dscnt 0x0
	s_barrier_signal -1
	s_barrier_wait -1
	s_wait_xcnt 0x0
	s_and_saveexec_b32 s1, s0
	s_cbranch_execz .LBB31_15
; %bb.14:
	scratch_load_b64 v[68:69], v3, off
	ds_load_b64 v[70:71], v1
	s_wait_loadcnt_dscnt 0x0
	v_fma_f64 v[68:69], v[68:69], v[70:71], 0
	v_mov_b32_e32 v9, 0
	ds_load_b64 v[72:73], v9 offset:8
	s_wait_dscnt 0x0
	v_mul_f64_e32 v[68:69], v[68:69], v[72:73]
	scratch_store_b64 off, v[68:69], off offset:8
.LBB31_15:
	s_wait_xcnt 0x0
	s_or_b32 exec_lo, exec_lo, s1
	s_wait_storecnt 0x0
	s_barrier_signal -1
	s_barrier_wait -1
	scratch_load_b64 v[68:69], off, off offset:16
	s_mov_b32 s1, exec_lo
	s_wait_loadcnt 0x0
	ds_store_b64 v1, v[68:69]
	s_wait_dscnt 0x0
	s_barrier_signal -1
	s_barrier_wait -1
	v_cmpx_gt_u32_e32 2, v0
	s_cbranch_execz .LBB31_19
; %bb.16:
	scratch_load_b64 v[68:69], v3, off
	ds_load_b64 v[70:71], v1
	s_wait_loadcnt_dscnt 0x0
	v_fma_f64 v[68:69], v[68:69], v[70:71], 0
	s_and_saveexec_b32 s8, s0
	s_cbranch_execz .LBB31_18
; %bb.17:
	scratch_load_b64 v[70:71], off, off offset:8
	v_mov_b32_e32 v3, 0
	ds_load_b64 v[72:73], v3 offset:264
	s_wait_loadcnt_dscnt 0x0
	v_fmac_f64_e32 v[68:69], v[70:71], v[72:73]
.LBB31_18:
	s_or_b32 exec_lo, exec_lo, s8
	v_mov_b32_e32 v3, 0
	ds_load_b64 v[70:71], v3 offset:16
	s_wait_dscnt 0x0
	v_mul_f64_e32 v[68:69], v[68:69], v[70:71]
	scratch_store_b64 off, v[68:69], off offset:16
.LBB31_19:
	s_wait_xcnt 0x0
	s_or_b32 exec_lo, exec_lo, s1
	s_wait_storecnt 0x0
	s_barrier_signal -1
	s_barrier_wait -1
	scratch_load_b64 v[68:69], off, off offset:24
	v_add_nc_u32_e32 v3, -1, v0
	s_mov_b32 s0, exec_lo
	s_wait_loadcnt 0x0
	ds_store_b64 v1, v[68:69]
	s_wait_dscnt 0x0
	s_barrier_signal -1
	s_barrier_wait -1
	v_cmpx_gt_u32_e32 3, v0
	s_cbranch_execz .LBB31_23
; %bb.20:
	v_mov_b64_e32 v[68:69], 0
	v_dual_add_nc_u32 v9, -1, v0 :: v_dual_mov_b32 v13, v2
	v_add_nc_u32_e32 v11, 0x100, v2
	s_mov_b32 s1, 0
.LBB31_21:                              ; =>This Inner Loop Header: Depth=1
	scratch_load_b64 v[70:71], v13, off
	ds_load_b64 v[72:73], v11
	v_dual_add_nc_u32 v9, 1, v9 :: v_dual_add_nc_u32 v11, 8, v11
	s_wait_xcnt 0x0
	v_add_nc_u32_e32 v13, 8, v13
	s_delay_alu instid0(VALU_DEP_2)
	v_cmp_lt_u32_e32 vcc_lo, 1, v9
	s_or_b32 s1, vcc_lo, s1
	s_wait_loadcnt_dscnt 0x0
	v_fmac_f64_e32 v[68:69], v[70:71], v[72:73]
	s_and_not1_b32 exec_lo, exec_lo, s1
	s_cbranch_execnz .LBB31_21
; %bb.22:
	s_or_b32 exec_lo, exec_lo, s1
	v_mov_b32_e32 v9, 0
	ds_load_b64 v[70:71], v9 offset:24
	s_wait_dscnt 0x0
	v_mul_f64_e32 v[68:69], v[68:69], v[70:71]
	scratch_store_b64 off, v[68:69], off offset:24
.LBB31_23:
	s_wait_xcnt 0x0
	s_or_b32 exec_lo, exec_lo, s0
	s_wait_storecnt 0x0
	s_barrier_signal -1
	s_barrier_wait -1
	scratch_load_b64 v[68:69], off, off offset:32
	s_mov_b32 s0, exec_lo
	s_wait_loadcnt 0x0
	ds_store_b64 v1, v[68:69]
	s_wait_dscnt 0x0
	s_barrier_signal -1
	s_barrier_wait -1
	v_cmpx_gt_u32_e32 4, v0
	s_cbranch_execz .LBB31_27
; %bb.24:
	v_mov_b64_e32 v[68:69], 0
	v_dual_add_nc_u32 v9, -1, v0 :: v_dual_mov_b32 v13, v2
	v_add_nc_u32_e32 v11, 0x100, v2
	s_mov_b32 s1, 0
.LBB31_25:                              ; =>This Inner Loop Header: Depth=1
	scratch_load_b64 v[70:71], v13, off
	ds_load_b64 v[72:73], v11
	v_dual_add_nc_u32 v9, 1, v9 :: v_dual_add_nc_u32 v11, 8, v11
	s_wait_xcnt 0x0
	v_add_nc_u32_e32 v13, 8, v13
	s_delay_alu instid0(VALU_DEP_2)
	v_cmp_lt_u32_e32 vcc_lo, 2, v9
	s_or_b32 s1, vcc_lo, s1
	s_wait_loadcnt_dscnt 0x0
	v_fmac_f64_e32 v[68:69], v[70:71], v[72:73]
	s_and_not1_b32 exec_lo, exec_lo, s1
	s_cbranch_execnz .LBB31_25
; %bb.26:
	s_or_b32 exec_lo, exec_lo, s1
	v_mov_b32_e32 v9, 0
	ds_load_b64 v[70:71], v9 offset:32
	s_wait_dscnt 0x0
	v_mul_f64_e32 v[68:69], v[68:69], v[70:71]
	scratch_store_b64 off, v[68:69], off offset:32
.LBB31_27:
	s_wait_xcnt 0x0
	s_or_b32 exec_lo, exec_lo, s0
	s_wait_storecnt 0x0
	s_barrier_signal -1
	s_barrier_wait -1
	scratch_load_b64 v[68:69], off, off offset:40
	;; [unrolled: 40-line block ×20, first 2 shown]
	s_mov_b32 s0, exec_lo
	s_wait_loadcnt 0x0
	ds_store_b64 v1, v[68:69]
	s_wait_dscnt 0x0
	s_barrier_signal -1
	s_barrier_wait -1
	v_cmpx_gt_u32_e32 23, v0
	s_cbranch_execz .LBB31_103
; %bb.100:
	v_mov_b64_e32 v[68:69], 0
	v_dual_add_nc_u32 v9, -1, v0 :: v_dual_mov_b32 v13, v2
	v_add_nc_u32_e32 v11, 0x100, v2
	s_mov_b32 s1, 0
.LBB31_101:                             ; =>This Inner Loop Header: Depth=1
	scratch_load_b64 v[70:71], v13, off
	ds_load_b64 v[72:73], v11
	v_dual_add_nc_u32 v9, 1, v9 :: v_dual_add_nc_u32 v11, 8, v11
	s_wait_xcnt 0x0
	v_add_nc_u32_e32 v13, 8, v13
	s_delay_alu instid0(VALU_DEP_2)
	v_cmp_lt_u32_e32 vcc_lo, 21, v9
	s_or_b32 s1, vcc_lo, s1
	s_wait_loadcnt_dscnt 0x0
	v_fmac_f64_e32 v[68:69], v[70:71], v[72:73]
	s_and_not1_b32 exec_lo, exec_lo, s1
	s_cbranch_execnz .LBB31_101
; %bb.102:
	s_or_b32 exec_lo, exec_lo, s1
	v_mov_b32_e32 v9, 0
	ds_load_b64 v[70:71], v9 offset:184
	s_wait_dscnt 0x0
	v_mul_f64_e32 v[68:69], v[68:69], v[70:71]
	scratch_store_b64 off, v[68:69], off offset:184
.LBB31_103:
	s_wait_xcnt 0x0
	s_or_b32 exec_lo, exec_lo, s0
	s_wait_storecnt 0x0
	s_barrier_signal -1
	s_barrier_wait -1
	scratch_load_b64 v[68:69], off, off offset:192
	s_mov_b32 s0, exec_lo
	s_wait_loadcnt 0x0
	ds_store_b64 v1, v[68:69]
	s_wait_dscnt 0x0
	s_barrier_signal -1
	s_barrier_wait -1
	v_cmpx_gt_u32_e32 24, v0
	s_cbranch_execz .LBB31_107
; %bb.104:
	v_mov_b64_e32 v[68:69], 0
	v_dual_add_nc_u32 v9, -1, v0 :: v_dual_mov_b32 v13, v2
	v_add_nc_u32_e32 v11, 0x100, v2
	s_mov_b32 s1, 0
.LBB31_105:                             ; =>This Inner Loop Header: Depth=1
	scratch_load_b64 v[70:71], v13, off
	ds_load_b64 v[72:73], v11
	v_dual_add_nc_u32 v9, 1, v9 :: v_dual_add_nc_u32 v11, 8, v11
	s_wait_xcnt 0x0
	v_add_nc_u32_e32 v13, 8, v13
	s_delay_alu instid0(VALU_DEP_2)
	v_cmp_lt_u32_e32 vcc_lo, 22, v9
	s_or_b32 s1, vcc_lo, s1
	s_wait_loadcnt_dscnt 0x0
	v_fmac_f64_e32 v[68:69], v[70:71], v[72:73]
	s_and_not1_b32 exec_lo, exec_lo, s1
	s_cbranch_execnz .LBB31_105
; %bb.106:
	s_or_b32 exec_lo, exec_lo, s1
	v_mov_b32_e32 v9, 0
	ds_load_b64 v[70:71], v9 offset:192
	s_wait_dscnt 0x0
	v_mul_f64_e32 v[68:69], v[68:69], v[70:71]
	scratch_store_b64 off, v[68:69], off offset:192
.LBB31_107:
	s_wait_xcnt 0x0
	s_or_b32 exec_lo, exec_lo, s0
	s_wait_storecnt 0x0
	s_barrier_signal -1
	s_barrier_wait -1
	scratch_load_b64 v[68:69], off, off offset:200
	;; [unrolled: 40-line block ×8, first 2 shown]
	s_mov_b32 s0, exec_lo
	s_wait_loadcnt 0x0
	ds_store_b64 v1, v[68:69]
	s_wait_dscnt 0x0
	s_barrier_signal -1
	s_barrier_wait -1
	v_cmpx_ne_u32_e32 31, v0
	s_cbranch_execz .LBB31_135
; %bb.132:
	v_mov_b64_e32 v[68:69], 0
	s_mov_b32 s1, 0
.LBB31_133:                             ; =>This Inner Loop Header: Depth=1
	scratch_load_b64 v[70:71], v2, off
	ds_load_b64 v[72:73], v1
	v_dual_add_nc_u32 v3, 1, v3 :: v_dual_add_nc_u32 v1, 8, v1
	s_wait_xcnt 0x0
	v_add_nc_u32_e32 v2, 8, v2
	s_delay_alu instid0(VALU_DEP_2)
	v_cmp_lt_u32_e32 vcc_lo, 29, v3
	s_or_b32 s1, vcc_lo, s1
	s_wait_loadcnt_dscnt 0x0
	v_fmac_f64_e32 v[68:69], v[70:71], v[72:73]
	s_and_not1_b32 exec_lo, exec_lo, s1
	s_cbranch_execnz .LBB31_133
; %bb.134:
	s_or_b32 exec_lo, exec_lo, s1
	v_mov_b32_e32 v1, 0
	ds_load_b64 v[2:3], v1 offset:248
	s_wait_dscnt 0x0
	v_mul_f64_e32 v[2:3], v[68:69], v[2:3]
	scratch_store_b64 off, v[2:3], off offset:248
.LBB31_135:
	s_wait_xcnt 0x0
	s_or_b32 exec_lo, exec_lo, s0
	s_mov_b32 s1, -1
	s_wait_storecnt 0x0
	s_barrier_signal -1
	s_barrier_wait -1
.LBB31_136:
	s_and_b32 vcc_lo, exec_lo, s1
	s_cbranch_vccz .LBB31_138
; %bb.137:
	v_mov_b32_e32 v1, 0
	s_lshl_b64 s[0:1], s[16:17], 2
	s_delay_alu instid0(SALU_CYCLE_1)
	s_add_nc_u64 s[0:1], s[6:7], s[0:1]
	global_load_b32 v1, v1, s[0:1]
	s_wait_loadcnt 0x0
	v_cmp_ne_u32_e32 vcc_lo, 0, v1
	s_cbranch_vccz .LBB31_139
.LBB31_138:
	s_sendmsg sendmsg(MSG_DEALLOC_VGPRS)
	s_endpgm
.LBB31_139:
	s_wait_xcnt 0x0
	v_lshl_add_u32 v1, v0, 3, 0x100
	s_mov_b32 s0, exec_lo
	v_cmpx_eq_u32_e32 31, v0
	s_cbranch_execz .LBB31_141
; %bb.140:
	scratch_load_b64 v[2:3], off, off offset:240
	v_mov_b64_e32 v[68:69], 0
	scratch_store_b64 off, v[68:69], off offset:240
	s_wait_loadcnt 0x0
	ds_store_b64 v1, v[2:3]
.LBB31_141:
	s_wait_xcnt 0x0
	s_or_b32 exec_lo, exec_lo, s0
	s_wait_storecnt_dscnt 0x0
	s_barrier_signal -1
	s_barrier_wait -1
	scratch_load_b128 v[68:71], off, off offset:240
	v_mov_b32_e32 v2, 0
	s_mov_b32 s0, exec_lo
	ds_load_b64 v[72:73], v2 offset:504
	s_wait_loadcnt_dscnt 0x0
	v_fma_f64 v[70:71], v[70:71], v[72:73], 0
	s_delay_alu instid0(VALU_DEP_1)
	v_add_f64_e64 v[68:69], v[68:69], -v[70:71]
	scratch_store_b64 off, v[68:69], off offset:240
	s_wait_xcnt 0x0
	v_cmpx_lt_u32_e32 29, v0
	s_cbranch_execz .LBB31_143
; %bb.142:
	scratch_load_b64 v[68:69], off, off offset:232
	v_mov_b64_e32 v[70:71], 0
	scratch_store_b64 off, v[70:71], off offset:232
	s_wait_loadcnt 0x0
	ds_store_b64 v1, v[68:69]
.LBB31_143:
	s_wait_xcnt 0x0
	s_or_b32 exec_lo, exec_lo, s0
	s_wait_storecnt_dscnt 0x0
	s_barrier_signal -1
	s_barrier_wait -1
	s_clause 0x1
	scratch_load_b128 v[68:71], off, off offset:232
	scratch_load_b64 v[76:77], off, off offset:248
	ds_load_b128 v[72:75], v2 offset:496
	s_mov_b32 s0, exec_lo
	s_wait_loadcnt_dscnt 0x100
	v_fma_f64 v[2:3], v[70:71], v[72:73], 0
	s_wait_loadcnt 0x0
	s_delay_alu instid0(VALU_DEP_1) | instskip(NEXT) | instid1(VALU_DEP_1)
	v_fmac_f64_e32 v[2:3], v[76:77], v[74:75]
	v_add_f64_e64 v[2:3], v[68:69], -v[2:3]
	scratch_store_b64 off, v[2:3], off offset:232
	s_wait_xcnt 0x0
	v_cmpx_lt_u32_e32 28, v0
	s_cbranch_execz .LBB31_145
; %bb.144:
	scratch_load_b64 v[2:3], off, off offset:224
	v_mov_b64_e32 v[68:69], 0
	scratch_store_b64 off, v[68:69], off offset:224
	s_wait_loadcnt 0x0
	ds_store_b64 v1, v[2:3]
.LBB31_145:
	s_wait_xcnt 0x0
	s_or_b32 exec_lo, exec_lo, s0
	s_wait_storecnt_dscnt 0x0
	s_barrier_signal -1
	s_barrier_wait -1
	s_clause 0x1
	scratch_load_b128 v[68:71], off, off offset:224
	scratch_load_b128 v[72:75], off, off offset:240
	v_mov_b32_e32 v2, 0
	ds_load_2addr_b64 v[76:79], v2 offset0:61 offset1:62
	ds_load_b64 v[80:81], v2 offset:504
	s_mov_b32 s0, exec_lo
	s_wait_loadcnt_dscnt 0x101
	v_fma_f64 v[70:71], v[70:71], v[76:77], 0
	s_wait_loadcnt 0x0
	s_delay_alu instid0(VALU_DEP_1) | instskip(SKIP_1) | instid1(VALU_DEP_1)
	v_fmac_f64_e32 v[70:71], v[72:73], v[78:79]
	s_wait_dscnt 0x0
	v_fmac_f64_e32 v[70:71], v[74:75], v[80:81]
	s_delay_alu instid0(VALU_DEP_1)
	v_add_f64_e64 v[68:69], v[68:69], -v[70:71]
	scratch_store_b64 off, v[68:69], off offset:224
	s_wait_xcnt 0x0
	v_cmpx_lt_u32_e32 27, v0
	s_cbranch_execz .LBB31_147
; %bb.146:
	scratch_load_b64 v[68:69], off, off offset:216
	v_mov_b64_e32 v[70:71], 0
	scratch_store_b64 off, v[70:71], off offset:216
	s_wait_loadcnt 0x0
	ds_store_b64 v1, v[68:69]
.LBB31_147:
	s_wait_xcnt 0x0
	s_or_b32 exec_lo, exec_lo, s0
	s_wait_storecnt_dscnt 0x0
	s_barrier_signal -1
	s_barrier_wait -1
	s_clause 0x2
	scratch_load_b128 v[68:71], off, off offset:216
	scratch_load_b128 v[72:75], off, off offset:232
	scratch_load_b64 v[84:85], off, off offset:248
	ds_load_b128 v[76:79], v2 offset:480
	ds_load_b128 v[80:83], v2 offset:496
	s_mov_b32 s0, exec_lo
	s_wait_loadcnt_dscnt 0x201
	v_fma_f64 v[2:3], v[70:71], v[76:77], 0
	s_wait_loadcnt 0x1
	s_delay_alu instid0(VALU_DEP_1) | instskip(SKIP_1) | instid1(VALU_DEP_1)
	v_fmac_f64_e32 v[2:3], v[72:73], v[78:79]
	s_wait_dscnt 0x0
	v_fmac_f64_e32 v[2:3], v[74:75], v[80:81]
	s_wait_loadcnt 0x0
	s_delay_alu instid0(VALU_DEP_1) | instskip(NEXT) | instid1(VALU_DEP_1)
	v_fmac_f64_e32 v[2:3], v[84:85], v[82:83]
	v_add_f64_e64 v[2:3], v[68:69], -v[2:3]
	scratch_store_b64 off, v[2:3], off offset:216
	s_wait_xcnt 0x0
	v_cmpx_lt_u32_e32 26, v0
	s_cbranch_execz .LBB31_149
; %bb.148:
	scratch_load_b64 v[2:3], off, off offset:208
	v_mov_b64_e32 v[68:69], 0
	scratch_store_b64 off, v[68:69], off offset:208
	s_wait_loadcnt 0x0
	ds_store_b64 v1, v[2:3]
.LBB31_149:
	s_wait_xcnt 0x0
	s_or_b32 exec_lo, exec_lo, s0
	s_wait_storecnt_dscnt 0x0
	s_barrier_signal -1
	s_barrier_wait -1
	s_clause 0x2
	scratch_load_b128 v[68:71], off, off offset:208
	scratch_load_b128 v[72:75], off, off offset:224
	;; [unrolled: 1-line block ×3, first 2 shown]
	v_mov_b32_e32 v2, 0
	ds_load_2addr_b64 v[80:83], v2 offset0:59 offset1:60
	ds_load_2addr_b64 v[84:87], v2 offset0:61 offset1:62
	s_mov_b32 s0, exec_lo
	s_wait_loadcnt_dscnt 0x201
	v_fma_f64 v[70:71], v[70:71], v[80:81], 0
	s_wait_loadcnt 0x1
	s_delay_alu instid0(VALU_DEP_1) | instskip(SKIP_4) | instid1(VALU_DEP_1)
	v_fmac_f64_e32 v[70:71], v[72:73], v[82:83]
	ds_load_b64 v[72:73], v2 offset:504
	s_wait_dscnt 0x1
	v_fmac_f64_e32 v[70:71], v[74:75], v[84:85]
	s_wait_loadcnt 0x0
	v_fmac_f64_e32 v[70:71], v[76:77], v[86:87]
	s_wait_dscnt 0x0
	s_delay_alu instid0(VALU_DEP_1) | instskip(NEXT) | instid1(VALU_DEP_1)
	v_fmac_f64_e32 v[70:71], v[78:79], v[72:73]
	v_add_f64_e64 v[68:69], v[68:69], -v[70:71]
	scratch_store_b64 off, v[68:69], off offset:208
	s_wait_xcnt 0x0
	v_cmpx_lt_u32_e32 25, v0
	s_cbranch_execz .LBB31_151
; %bb.150:
	scratch_load_b64 v[68:69], off, off offset:200
	v_mov_b64_e32 v[70:71], 0
	scratch_store_b64 off, v[70:71], off offset:200
	s_wait_loadcnt 0x0
	ds_store_b64 v1, v[68:69]
.LBB31_151:
	s_wait_xcnt 0x0
	s_or_b32 exec_lo, exec_lo, s0
	s_wait_storecnt_dscnt 0x0
	s_barrier_signal -1
	s_barrier_wait -1
	s_clause 0x3
	scratch_load_b128 v[68:71], off, off offset:200
	scratch_load_b128 v[72:75], off, off offset:216
	;; [unrolled: 1-line block ×3, first 2 shown]
	scratch_load_b64 v[88:89], off, off offset:248
	ds_load_b128 v[80:83], v2 offset:464
	ds_load_b128 v[84:87], v2 offset:480
	s_mov_b32 s0, exec_lo
	s_wait_loadcnt_dscnt 0x301
	v_fma_f64 v[80:81], v[70:71], v[80:81], 0
	s_wait_loadcnt 0x2
	s_delay_alu instid0(VALU_DEP_1) | instskip(SKIP_4) | instid1(VALU_DEP_1)
	v_fmac_f64_e32 v[80:81], v[72:73], v[82:83]
	ds_load_b128 v[70:73], v2 offset:496
	s_wait_dscnt 0x1
	v_fmac_f64_e32 v[80:81], v[74:75], v[84:85]
	s_wait_loadcnt 0x1
	v_fmac_f64_e32 v[80:81], v[76:77], v[86:87]
	s_wait_dscnt 0x0
	s_delay_alu instid0(VALU_DEP_1) | instskip(SKIP_1) | instid1(VALU_DEP_1)
	v_fmac_f64_e32 v[80:81], v[78:79], v[70:71]
	s_wait_loadcnt 0x0
	v_fmac_f64_e32 v[80:81], v[88:89], v[72:73]
	s_delay_alu instid0(VALU_DEP_1)
	v_add_f64_e64 v[2:3], v[68:69], -v[80:81]
	scratch_store_b64 off, v[2:3], off offset:200
	s_wait_xcnt 0x0
	v_cmpx_lt_u32_e32 24, v0
	s_cbranch_execz .LBB31_153
; %bb.152:
	scratch_load_b64 v[2:3], off, off offset:192
	v_mov_b64_e32 v[68:69], 0
	scratch_store_b64 off, v[68:69], off offset:192
	s_wait_loadcnt 0x0
	ds_store_b64 v1, v[2:3]
.LBB31_153:
	s_wait_xcnt 0x0
	s_or_b32 exec_lo, exec_lo, s0
	s_wait_storecnt_dscnt 0x0
	s_barrier_signal -1
	s_barrier_wait -1
	s_clause 0x3
	scratch_load_b128 v[68:71], off, off offset:192
	scratch_load_b128 v[72:75], off, off offset:208
	;; [unrolled: 1-line block ×4, first 2 shown]
	v_mov_b32_e32 v2, 0
	ds_load_2addr_b64 v[84:87], v2 offset0:57 offset1:58
	ds_load_2addr_b64 v[88:91], v2 offset0:59 offset1:60
	s_mov_b32 s0, exec_lo
	s_wait_loadcnt_dscnt 0x301
	v_fma_f64 v[84:85], v[70:71], v[84:85], 0
	s_wait_loadcnt 0x2
	s_delay_alu instid0(VALU_DEP_1) | instskip(SKIP_1) | instid1(VALU_DEP_1)
	v_fmac_f64_e32 v[84:85], v[72:73], v[86:87]
	s_wait_dscnt 0x0
	v_fmac_f64_e32 v[84:85], v[74:75], v[88:89]
	ds_load_2addr_b64 v[70:73], v2 offset0:61 offset1:62
	ds_load_b64 v[74:75], v2 offset:504
	s_wait_loadcnt 0x1
	v_fmac_f64_e32 v[84:85], v[76:77], v[90:91]
	s_wait_dscnt 0x1
	s_delay_alu instid0(VALU_DEP_1) | instskip(SKIP_1) | instid1(VALU_DEP_1)
	v_fmac_f64_e32 v[84:85], v[78:79], v[70:71]
	s_wait_loadcnt 0x0
	v_fmac_f64_e32 v[84:85], v[80:81], v[72:73]
	s_wait_dscnt 0x0
	s_delay_alu instid0(VALU_DEP_1) | instskip(NEXT) | instid1(VALU_DEP_1)
	v_fmac_f64_e32 v[84:85], v[82:83], v[74:75]
	v_add_f64_e64 v[68:69], v[68:69], -v[84:85]
	scratch_store_b64 off, v[68:69], off offset:192
	s_wait_xcnt 0x0
	v_cmpx_lt_u32_e32 23, v0
	s_cbranch_execz .LBB31_155
; %bb.154:
	scratch_load_b64 v[68:69], off, off offset:184
	v_mov_b64_e32 v[70:71], 0
	scratch_store_b64 off, v[70:71], off offset:184
	s_wait_loadcnt 0x0
	ds_store_b64 v1, v[68:69]
.LBB31_155:
	s_wait_xcnt 0x0
	s_or_b32 exec_lo, exec_lo, s0
	s_wait_storecnt_dscnt 0x0
	s_barrier_signal -1
	s_barrier_wait -1
	s_clause 0x4
	scratch_load_b128 v[68:71], off, off offset:184
	scratch_load_b128 v[72:75], off, off offset:200
	;; [unrolled: 1-line block ×4, first 2 shown]
	scratch_load_b64 v[92:93], off, off offset:248
	ds_load_b128 v[84:87], v2 offset:448
	ds_load_b128 v[88:91], v2 offset:464
	s_mov_b32 s0, exec_lo
	s_wait_loadcnt_dscnt 0x401
	v_fma_f64 v[84:85], v[70:71], v[84:85], 0
	s_wait_loadcnt 0x3
	s_delay_alu instid0(VALU_DEP_1) | instskip(SKIP_1) | instid1(VALU_DEP_1)
	v_fmac_f64_e32 v[84:85], v[72:73], v[86:87]
	s_wait_dscnt 0x0
	v_fmac_f64_e32 v[84:85], v[74:75], v[88:89]
	s_wait_loadcnt 0x2
	s_delay_alu instid0(VALU_DEP_1)
	v_fmac_f64_e32 v[84:85], v[76:77], v[90:91]
	ds_load_b128 v[70:73], v2 offset:480
	ds_load_b128 v[74:77], v2 offset:496
	s_wait_dscnt 0x1
	v_fmac_f64_e32 v[84:85], v[78:79], v[70:71]
	s_wait_loadcnt 0x1
	s_delay_alu instid0(VALU_DEP_1) | instskip(SKIP_1) | instid1(VALU_DEP_1)
	v_fmac_f64_e32 v[84:85], v[80:81], v[72:73]
	s_wait_dscnt 0x0
	v_fmac_f64_e32 v[84:85], v[82:83], v[74:75]
	s_wait_loadcnt 0x0
	s_delay_alu instid0(VALU_DEP_1) | instskip(NEXT) | instid1(VALU_DEP_1)
	v_fmac_f64_e32 v[84:85], v[92:93], v[76:77]
	v_add_f64_e64 v[2:3], v[68:69], -v[84:85]
	scratch_store_b64 off, v[2:3], off offset:184
	s_wait_xcnt 0x0
	v_cmpx_lt_u32_e32 22, v0
	s_cbranch_execz .LBB31_157
; %bb.156:
	scratch_load_b64 v[2:3], off, off offset:176
	v_mov_b64_e32 v[68:69], 0
	scratch_store_b64 off, v[68:69], off offset:176
	s_wait_loadcnt 0x0
	ds_store_b64 v1, v[2:3]
.LBB31_157:
	s_wait_xcnt 0x0
	s_or_b32 exec_lo, exec_lo, s0
	s_wait_storecnt_dscnt 0x0
	s_barrier_signal -1
	s_barrier_wait -1
	s_clause 0x4
	scratch_load_b128 v[68:71], off, off offset:176
	scratch_load_b128 v[72:75], off, off offset:192
	scratch_load_b128 v[76:79], off, off offset:208
	scratch_load_b128 v[80:83], off, off offset:224
	scratch_load_b128 v[84:87], off, off offset:240
	v_mov_b32_e32 v2, 0
	ds_load_2addr_b64 v[88:91], v2 offset0:55 offset1:56
	ds_load_2addr_b64 v[92:95], v2 offset0:57 offset1:58
	s_mov_b32 s0, exec_lo
	s_wait_loadcnt_dscnt 0x401
	v_fma_f64 v[88:89], v[70:71], v[88:89], 0
	s_wait_loadcnt 0x3
	s_delay_alu instid0(VALU_DEP_1) | instskip(SKIP_1) | instid1(VALU_DEP_1)
	v_fmac_f64_e32 v[88:89], v[72:73], v[90:91]
	s_wait_dscnt 0x0
	v_fmac_f64_e32 v[88:89], v[74:75], v[92:93]
	s_wait_loadcnt 0x2
	s_delay_alu instid0(VALU_DEP_1)
	v_fmac_f64_e32 v[88:89], v[76:77], v[94:95]
	ds_load_2addr_b64 v[70:73], v2 offset0:59 offset1:60
	ds_load_2addr_b64 v[74:77], v2 offset0:61 offset1:62
	s_wait_dscnt 0x1
	v_fmac_f64_e32 v[88:89], v[78:79], v[70:71]
	ds_load_b64 v[70:71], v2 offset:504
	s_wait_loadcnt 0x1
	v_fmac_f64_e32 v[88:89], v[80:81], v[72:73]
	s_wait_dscnt 0x1
	s_delay_alu instid0(VALU_DEP_1) | instskip(SKIP_1) | instid1(VALU_DEP_1)
	v_fmac_f64_e32 v[88:89], v[82:83], v[74:75]
	s_wait_loadcnt 0x0
	v_fmac_f64_e32 v[88:89], v[84:85], v[76:77]
	s_wait_dscnt 0x0
	s_delay_alu instid0(VALU_DEP_1) | instskip(NEXT) | instid1(VALU_DEP_1)
	v_fmac_f64_e32 v[88:89], v[86:87], v[70:71]
	v_add_f64_e64 v[68:69], v[68:69], -v[88:89]
	scratch_store_b64 off, v[68:69], off offset:176
	s_wait_xcnt 0x0
	v_cmpx_lt_u32_e32 21, v0
	s_cbranch_execz .LBB31_159
; %bb.158:
	scratch_load_b64 v[68:69], off, off offset:168
	v_mov_b64_e32 v[70:71], 0
	scratch_store_b64 off, v[70:71], off offset:168
	s_wait_loadcnt 0x0
	ds_store_b64 v1, v[68:69]
.LBB31_159:
	s_wait_xcnt 0x0
	s_or_b32 exec_lo, exec_lo, s0
	s_wait_storecnt_dscnt 0x0
	s_barrier_signal -1
	s_barrier_wait -1
	s_clause 0x5
	scratch_load_b128 v[68:71], off, off offset:168
	scratch_load_b128 v[72:75], off, off offset:184
	;; [unrolled: 1-line block ×5, first 2 shown]
	scratch_load_b64 v[96:97], off, off offset:248
	ds_load_b128 v[88:91], v2 offset:432
	ds_load_b128 v[92:95], v2 offset:448
	s_mov_b32 s0, exec_lo
	s_wait_loadcnt_dscnt 0x501
	v_fma_f64 v[88:89], v[70:71], v[88:89], 0
	s_wait_loadcnt 0x4
	s_delay_alu instid0(VALU_DEP_1) | instskip(SKIP_1) | instid1(VALU_DEP_1)
	v_fmac_f64_e32 v[88:89], v[72:73], v[90:91]
	s_wait_dscnt 0x0
	v_fmac_f64_e32 v[88:89], v[74:75], v[92:93]
	s_wait_loadcnt 0x3
	s_delay_alu instid0(VALU_DEP_1)
	v_fmac_f64_e32 v[88:89], v[76:77], v[94:95]
	ds_load_b128 v[70:73], v2 offset:464
	ds_load_b128 v[74:77], v2 offset:480
	s_wait_dscnt 0x1
	v_fmac_f64_e32 v[88:89], v[78:79], v[70:71]
	s_wait_loadcnt 0x2
	s_delay_alu instid0(VALU_DEP_1) | instskip(SKIP_4) | instid1(VALU_DEP_1)
	v_fmac_f64_e32 v[88:89], v[80:81], v[72:73]
	ds_load_b128 v[70:73], v2 offset:496
	s_wait_dscnt 0x1
	v_fmac_f64_e32 v[88:89], v[82:83], v[74:75]
	s_wait_loadcnt 0x1
	v_fmac_f64_e32 v[88:89], v[84:85], v[76:77]
	s_wait_dscnt 0x0
	s_delay_alu instid0(VALU_DEP_1) | instskip(SKIP_1) | instid1(VALU_DEP_1)
	v_fmac_f64_e32 v[88:89], v[86:87], v[70:71]
	s_wait_loadcnt 0x0
	v_fmac_f64_e32 v[88:89], v[96:97], v[72:73]
	s_delay_alu instid0(VALU_DEP_1)
	v_add_f64_e64 v[2:3], v[68:69], -v[88:89]
	scratch_store_b64 off, v[2:3], off offset:168
	s_wait_xcnt 0x0
	v_cmpx_lt_u32_e32 20, v0
	s_cbranch_execz .LBB31_161
; %bb.160:
	scratch_load_b64 v[2:3], off, off offset:160
	v_mov_b64_e32 v[68:69], 0
	scratch_store_b64 off, v[68:69], off offset:160
	s_wait_loadcnt 0x0
	ds_store_b64 v1, v[2:3]
.LBB31_161:
	s_wait_xcnt 0x0
	s_or_b32 exec_lo, exec_lo, s0
	s_wait_storecnt_dscnt 0x0
	s_barrier_signal -1
	s_barrier_wait -1
	s_clause 0x5
	scratch_load_b128 v[68:71], off, off offset:160
	scratch_load_b128 v[72:75], off, off offset:176
	scratch_load_b128 v[76:79], off, off offset:192
	scratch_load_b128 v[80:83], off, off offset:208
	scratch_load_b128 v[84:87], off, off offset:224
	scratch_load_b128 v[88:91], off, off offset:240
	v_mov_b32_e32 v2, 0
	ds_load_2addr_b64 v[92:95], v2 offset0:53 offset1:54
	ds_load_2addr_b64 v[96:99], v2 offset0:55 offset1:56
	s_mov_b32 s0, exec_lo
	s_wait_loadcnt_dscnt 0x501
	v_fma_f64 v[92:93], v[70:71], v[92:93], 0
	s_wait_loadcnt 0x4
	s_delay_alu instid0(VALU_DEP_1) | instskip(SKIP_1) | instid1(VALU_DEP_1)
	v_fmac_f64_e32 v[92:93], v[72:73], v[94:95]
	s_wait_dscnt 0x0
	v_fmac_f64_e32 v[92:93], v[74:75], v[96:97]
	s_wait_loadcnt 0x3
	s_delay_alu instid0(VALU_DEP_1)
	v_fmac_f64_e32 v[92:93], v[76:77], v[98:99]
	ds_load_2addr_b64 v[70:73], v2 offset0:57 offset1:58
	ds_load_2addr_b64 v[74:77], v2 offset0:59 offset1:60
	s_wait_dscnt 0x1
	v_fmac_f64_e32 v[92:93], v[78:79], v[70:71]
	s_wait_loadcnt 0x2
	s_delay_alu instid0(VALU_DEP_1) | instskip(SKIP_1) | instid1(VALU_DEP_1)
	v_fmac_f64_e32 v[92:93], v[80:81], v[72:73]
	s_wait_dscnt 0x0
	v_fmac_f64_e32 v[92:93], v[82:83], v[74:75]
	ds_load_2addr_b64 v[70:73], v2 offset0:61 offset1:62
	ds_load_b64 v[74:75], v2 offset:504
	s_wait_loadcnt 0x1
	v_fmac_f64_e32 v[92:93], v[84:85], v[76:77]
	s_wait_dscnt 0x1
	s_delay_alu instid0(VALU_DEP_1) | instskip(SKIP_1) | instid1(VALU_DEP_1)
	v_fmac_f64_e32 v[92:93], v[86:87], v[70:71]
	s_wait_loadcnt 0x0
	v_fmac_f64_e32 v[92:93], v[88:89], v[72:73]
	s_wait_dscnt 0x0
	s_delay_alu instid0(VALU_DEP_1) | instskip(NEXT) | instid1(VALU_DEP_1)
	v_fmac_f64_e32 v[92:93], v[90:91], v[74:75]
	v_add_f64_e64 v[68:69], v[68:69], -v[92:93]
	scratch_store_b64 off, v[68:69], off offset:160
	s_wait_xcnt 0x0
	v_cmpx_lt_u32_e32 19, v0
	s_cbranch_execz .LBB31_163
; %bb.162:
	scratch_load_b64 v[68:69], off, off offset:152
	v_mov_b64_e32 v[70:71], 0
	scratch_store_b64 off, v[70:71], off offset:152
	s_wait_loadcnt 0x0
	ds_store_b64 v1, v[68:69]
.LBB31_163:
	s_wait_xcnt 0x0
	s_or_b32 exec_lo, exec_lo, s0
	s_wait_storecnt_dscnt 0x0
	s_barrier_signal -1
	s_barrier_wait -1
	s_clause 0x5
	scratch_load_b128 v[68:71], off, off offset:152
	scratch_load_b128 v[72:75], off, off offset:168
	;; [unrolled: 1-line block ×6, first 2 shown]
	ds_load_b128 v[92:95], v2 offset:416
	ds_load_b128 v[96:99], v2 offset:432
	s_mov_b32 s0, exec_lo
	s_wait_loadcnt_dscnt 0x501
	v_fma_f64 v[92:93], v[70:71], v[92:93], 0
	s_wait_loadcnt 0x4
	s_delay_alu instid0(VALU_DEP_1) | instskip(SKIP_4) | instid1(VALU_DEP_1)
	v_fmac_f64_e32 v[92:93], v[72:73], v[94:95]
	scratch_load_b64 v[94:95], off, off offset:248
	s_wait_dscnt 0x0
	v_fmac_f64_e32 v[92:93], v[74:75], v[96:97]
	s_wait_loadcnt 0x4
	v_fmac_f64_e32 v[92:93], v[76:77], v[98:99]
	ds_load_b128 v[70:73], v2 offset:448
	ds_load_b128 v[74:77], v2 offset:464
	s_wait_dscnt 0x1
	v_fmac_f64_e32 v[92:93], v[78:79], v[70:71]
	s_wait_loadcnt 0x3
	s_delay_alu instid0(VALU_DEP_1) | instskip(SKIP_1) | instid1(VALU_DEP_1)
	v_fmac_f64_e32 v[92:93], v[80:81], v[72:73]
	s_wait_dscnt 0x0
	v_fmac_f64_e32 v[92:93], v[82:83], v[74:75]
	s_wait_loadcnt 0x2
	s_delay_alu instid0(VALU_DEP_1)
	v_fmac_f64_e32 v[92:93], v[84:85], v[76:77]
	ds_load_b128 v[70:73], v2 offset:480
	ds_load_b128 v[74:77], v2 offset:496
	s_wait_dscnt 0x1
	v_fmac_f64_e32 v[92:93], v[86:87], v[70:71]
	s_wait_loadcnt 0x1
	s_delay_alu instid0(VALU_DEP_1) | instskip(SKIP_1) | instid1(VALU_DEP_1)
	v_fmac_f64_e32 v[92:93], v[88:89], v[72:73]
	s_wait_dscnt 0x0
	v_fmac_f64_e32 v[92:93], v[90:91], v[74:75]
	s_wait_loadcnt 0x0
	s_delay_alu instid0(VALU_DEP_1) | instskip(NEXT) | instid1(VALU_DEP_1)
	v_fmac_f64_e32 v[92:93], v[94:95], v[76:77]
	v_add_f64_e64 v[2:3], v[68:69], -v[92:93]
	scratch_store_b64 off, v[2:3], off offset:152
	s_wait_xcnt 0x0
	v_cmpx_lt_u32_e32 18, v0
	s_cbranch_execz .LBB31_165
; %bb.164:
	scratch_load_b64 v[2:3], off, off offset:144
	v_mov_b64_e32 v[68:69], 0
	scratch_store_b64 off, v[68:69], off offset:144
	s_wait_loadcnt 0x0
	ds_store_b64 v1, v[2:3]
.LBB31_165:
	s_wait_xcnt 0x0
	s_or_b32 exec_lo, exec_lo, s0
	s_wait_storecnt_dscnt 0x0
	s_barrier_signal -1
	s_barrier_wait -1
	s_clause 0x5
	scratch_load_b128 v[68:71], off, off offset:144
	scratch_load_b128 v[72:75], off, off offset:160
	;; [unrolled: 1-line block ×6, first 2 shown]
	v_mov_b32_e32 v2, 0
	ds_load_2addr_b64 v[92:95], v2 offset0:51 offset1:52
	ds_load_2addr_b64 v[96:99], v2 offset0:53 offset1:54
	s_mov_b32 s0, exec_lo
	s_wait_loadcnt_dscnt 0x501
	v_fma_f64 v[100:101], v[70:71], v[92:93], 0
	s_wait_loadcnt 0x4
	s_delay_alu instid0(VALU_DEP_1) | instskip(SKIP_4) | instid1(VALU_DEP_1)
	v_fmac_f64_e32 v[100:101], v[72:73], v[94:95]
	scratch_load_b128 v[70:73], off, off offset:240
	s_wait_dscnt 0x0
	v_fmac_f64_e32 v[100:101], v[74:75], v[96:97]
	s_wait_loadcnt 0x4
	v_fmac_f64_e32 v[100:101], v[76:77], v[98:99]
	ds_load_2addr_b64 v[74:77], v2 offset0:55 offset1:56
	ds_load_2addr_b64 v[92:95], v2 offset0:57 offset1:58
	s_wait_dscnt 0x1
	v_fmac_f64_e32 v[100:101], v[78:79], v[74:75]
	s_wait_loadcnt 0x3
	s_delay_alu instid0(VALU_DEP_1)
	v_fmac_f64_e32 v[100:101], v[80:81], v[76:77]
	ds_load_2addr_b64 v[74:77], v2 offset0:59 offset1:60
	ds_load_2addr_b64 v[78:81], v2 offset0:61 offset1:62
	s_wait_dscnt 0x2
	v_fmac_f64_e32 v[100:101], v[82:83], v[92:93]
	s_wait_loadcnt 0x2
	s_delay_alu instid0(VALU_DEP_1) | instskip(SKIP_1) | instid1(VALU_DEP_1)
	v_fmac_f64_e32 v[100:101], v[84:85], v[94:95]
	s_wait_dscnt 0x1
	v_fmac_f64_e32 v[100:101], v[86:87], v[74:75]
	s_wait_loadcnt 0x1
	s_delay_alu instid0(VALU_DEP_1) | instskip(SKIP_1) | instid1(VALU_DEP_1)
	v_fmac_f64_e32 v[100:101], v[88:89], v[76:77]
	s_wait_dscnt 0x0
	v_fmac_f64_e32 v[100:101], v[90:91], v[78:79]
	s_wait_loadcnt 0x0
	s_delay_alu instid0(VALU_DEP_1) | instskip(SKIP_3) | instid1(VALU_DEP_1)
	v_fmac_f64_e32 v[100:101], v[70:71], v[80:81]
	ds_load_b64 v[70:71], v2 offset:504
	s_wait_dscnt 0x0
	v_fmac_f64_e32 v[100:101], v[72:73], v[70:71]
	v_add_f64_e64 v[68:69], v[68:69], -v[100:101]
	scratch_store_b64 off, v[68:69], off offset:144
	s_wait_xcnt 0x0
	v_cmpx_lt_u32_e32 17, v0
	s_cbranch_execz .LBB31_167
; %bb.166:
	scratch_load_b64 v[68:69], off, off offset:136
	v_mov_b64_e32 v[70:71], 0
	scratch_store_b64 off, v[70:71], off offset:136
	s_wait_loadcnt 0x0
	ds_store_b64 v1, v[68:69]
.LBB31_167:
	s_wait_xcnt 0x0
	s_or_b32 exec_lo, exec_lo, s0
	s_wait_storecnt_dscnt 0x0
	s_barrier_signal -1
	s_barrier_wait -1
	s_clause 0x5
	scratch_load_b128 v[68:71], off, off offset:136
	scratch_load_b128 v[72:75], off, off offset:152
	;; [unrolled: 1-line block ×6, first 2 shown]
	ds_load_b128 v[92:95], v2 offset:400
	ds_load_b128 v[96:99], v2 offset:416
	s_mov_b32 s0, exec_lo
	s_wait_loadcnt_dscnt 0x501
	v_fma_f64 v[100:101], v[70:71], v[92:93], 0
	s_wait_loadcnt 0x4
	s_delay_alu instid0(VALU_DEP_1)
	v_fmac_f64_e32 v[100:101], v[72:73], v[94:95]
	scratch_load_b128 v[70:73], off, off offset:232
	s_wait_dscnt 0x0
	v_fmac_f64_e32 v[100:101], v[74:75], v[96:97]
	scratch_load_b64 v[96:97], off, off offset:248
	s_wait_loadcnt 0x5
	v_fmac_f64_e32 v[100:101], v[76:77], v[98:99]
	ds_load_b128 v[74:77], v2 offset:432
	ds_load_b128 v[92:95], v2 offset:448
	s_wait_dscnt 0x1
	v_fmac_f64_e32 v[100:101], v[78:79], v[74:75]
	s_wait_loadcnt 0x4
	s_delay_alu instid0(VALU_DEP_1)
	v_fmac_f64_e32 v[100:101], v[80:81], v[76:77]
	ds_load_b128 v[74:77], v2 offset:464
	ds_load_b128 v[78:81], v2 offset:480
	s_wait_dscnt 0x2
	v_fmac_f64_e32 v[100:101], v[82:83], v[92:93]
	s_wait_loadcnt 0x3
	s_delay_alu instid0(VALU_DEP_1) | instskip(SKIP_1) | instid1(VALU_DEP_1)
	v_fmac_f64_e32 v[100:101], v[84:85], v[94:95]
	s_wait_dscnt 0x1
	v_fmac_f64_e32 v[100:101], v[86:87], v[74:75]
	s_wait_loadcnt 0x2
	s_delay_alu instid0(VALU_DEP_1) | instskip(SKIP_4) | instid1(VALU_DEP_1)
	v_fmac_f64_e32 v[100:101], v[88:89], v[76:77]
	ds_load_b128 v[74:77], v2 offset:496
	s_wait_dscnt 0x1
	v_fmac_f64_e32 v[100:101], v[90:91], v[78:79]
	s_wait_loadcnt 0x1
	v_fmac_f64_e32 v[100:101], v[70:71], v[80:81]
	s_wait_dscnt 0x0
	s_delay_alu instid0(VALU_DEP_1) | instskip(SKIP_1) | instid1(VALU_DEP_1)
	v_fmac_f64_e32 v[100:101], v[72:73], v[74:75]
	s_wait_loadcnt 0x0
	v_fmac_f64_e32 v[100:101], v[96:97], v[76:77]
	s_delay_alu instid0(VALU_DEP_1)
	v_add_f64_e64 v[2:3], v[68:69], -v[100:101]
	scratch_store_b64 off, v[2:3], off offset:136
	s_wait_xcnt 0x0
	v_cmpx_lt_u32_e32 16, v0
	s_cbranch_execz .LBB31_169
; %bb.168:
	scratch_load_b64 v[2:3], off, off offset:128
	v_mov_b64_e32 v[68:69], 0
	scratch_store_b64 off, v[68:69], off offset:128
	s_wait_loadcnt 0x0
	ds_store_b64 v1, v[2:3]
.LBB31_169:
	s_wait_xcnt 0x0
	s_or_b32 exec_lo, exec_lo, s0
	s_wait_storecnt_dscnt 0x0
	s_barrier_signal -1
	s_barrier_wait -1
	s_clause 0x5
	scratch_load_b128 v[68:71], off, off offset:128
	scratch_load_b128 v[72:75], off, off offset:144
	;; [unrolled: 1-line block ×6, first 2 shown]
	v_mov_b32_e32 v2, 0
	ds_load_2addr_b64 v[92:95], v2 offset0:49 offset1:50
	ds_load_2addr_b64 v[96:99], v2 offset0:51 offset1:52
	s_mov_b32 s0, exec_lo
	s_wait_loadcnt_dscnt 0x501
	v_fma_f64 v[100:101], v[70:71], v[92:93], 0
	s_wait_loadcnt 0x4
	s_delay_alu instid0(VALU_DEP_1) | instskip(SKIP_4) | instid1(VALU_DEP_1)
	v_fmac_f64_e32 v[100:101], v[72:73], v[94:95]
	scratch_load_b128 v[70:73], off, off offset:224
	s_wait_dscnt 0x0
	v_fmac_f64_e32 v[100:101], v[74:75], v[96:97]
	s_wait_loadcnt 0x4
	v_fmac_f64_e32 v[100:101], v[76:77], v[98:99]
	scratch_load_b128 v[74:77], off, off offset:240
	ds_load_2addr_b64 v[92:95], v2 offset0:53 offset1:54
	ds_load_2addr_b64 v[96:99], v2 offset0:55 offset1:56
	s_wait_dscnt 0x1
	v_fmac_f64_e32 v[100:101], v[78:79], v[92:93]
	s_wait_loadcnt 0x4
	s_delay_alu instid0(VALU_DEP_1) | instskip(SKIP_1) | instid1(VALU_DEP_1)
	v_fmac_f64_e32 v[100:101], v[80:81], v[94:95]
	s_wait_dscnt 0x0
	v_fmac_f64_e32 v[100:101], v[82:83], v[96:97]
	s_wait_loadcnt 0x3
	s_delay_alu instid0(VALU_DEP_1)
	v_fmac_f64_e32 v[100:101], v[84:85], v[98:99]
	ds_load_2addr_b64 v[78:81], v2 offset0:57 offset1:58
	ds_load_2addr_b64 v[82:85], v2 offset0:59 offset1:60
	s_wait_dscnt 0x1
	v_fmac_f64_e32 v[100:101], v[86:87], v[78:79]
	s_wait_loadcnt 0x2
	s_delay_alu instid0(VALU_DEP_1) | instskip(SKIP_1) | instid1(VALU_DEP_1)
	v_fmac_f64_e32 v[100:101], v[88:89], v[80:81]
	s_wait_dscnt 0x0
	v_fmac_f64_e32 v[100:101], v[90:91], v[82:83]
	s_wait_loadcnt 0x1
	s_delay_alu instid0(VALU_DEP_1)
	v_fmac_f64_e32 v[100:101], v[70:71], v[84:85]
	ds_load_2addr_b64 v[78:81], v2 offset0:61 offset1:62
	ds_load_b64 v[70:71], v2 offset:504
	s_wait_dscnt 0x1
	v_fmac_f64_e32 v[100:101], v[72:73], v[78:79]
	s_wait_loadcnt 0x0
	s_delay_alu instid0(VALU_DEP_1) | instskip(SKIP_1) | instid1(VALU_DEP_1)
	v_fmac_f64_e32 v[100:101], v[74:75], v[80:81]
	s_wait_dscnt 0x0
	v_fmac_f64_e32 v[100:101], v[76:77], v[70:71]
	s_delay_alu instid0(VALU_DEP_1)
	v_add_f64_e64 v[68:69], v[68:69], -v[100:101]
	scratch_store_b64 off, v[68:69], off offset:128
	s_wait_xcnt 0x0
	v_cmpx_lt_u32_e32 15, v0
	s_cbranch_execz .LBB31_171
; %bb.170:
	scratch_load_b64 v[68:69], off, off offset:120
	v_mov_b64_e32 v[70:71], 0
	scratch_store_b64 off, v[70:71], off offset:120
	s_wait_loadcnt 0x0
	ds_store_b64 v1, v[68:69]
.LBB31_171:
	s_wait_xcnt 0x0
	s_or_b32 exec_lo, exec_lo, s0
	s_wait_storecnt_dscnt 0x0
	s_barrier_signal -1
	s_barrier_wait -1
	s_clause 0x5
	scratch_load_b128 v[68:71], off, off offset:120
	scratch_load_b128 v[72:75], off, off offset:136
	scratch_load_b128 v[76:79], off, off offset:152
	scratch_load_b128 v[80:83], off, off offset:168
	scratch_load_b128 v[84:87], off, off offset:184
	scratch_load_b128 v[88:91], off, off offset:200
	ds_load_b128 v[92:95], v2 offset:384
	ds_load_b128 v[96:99], v2 offset:400
	s_mov_b32 s0, exec_lo
	s_wait_loadcnt_dscnt 0x501
	v_fma_f64 v[100:101], v[70:71], v[92:93], 0
	s_wait_loadcnt 0x4
	s_delay_alu instid0(VALU_DEP_1) | instskip(SKIP_4) | instid1(VALU_DEP_1)
	v_fmac_f64_e32 v[100:101], v[72:73], v[94:95]
	scratch_load_b128 v[70:73], off, off offset:216
	s_wait_dscnt 0x0
	v_fmac_f64_e32 v[100:101], v[74:75], v[96:97]
	s_wait_loadcnt 0x4
	v_fmac_f64_e32 v[100:101], v[76:77], v[98:99]
	scratch_load_b128 v[74:77], off, off offset:232
	ds_load_b128 v[92:95], v2 offset:416
	ds_load_b128 v[96:99], v2 offset:432
	s_wait_dscnt 0x1
	v_fmac_f64_e32 v[100:101], v[78:79], v[92:93]
	scratch_load_b64 v[92:93], off, off offset:248
	s_wait_loadcnt 0x5
	v_fmac_f64_e32 v[100:101], v[80:81], v[94:95]
	s_wait_dscnt 0x0
	s_delay_alu instid0(VALU_DEP_1) | instskip(SKIP_1) | instid1(VALU_DEP_1)
	v_fmac_f64_e32 v[100:101], v[82:83], v[96:97]
	s_wait_loadcnt 0x4
	v_fmac_f64_e32 v[100:101], v[84:85], v[98:99]
	ds_load_b128 v[78:81], v2 offset:448
	ds_load_b128 v[82:85], v2 offset:464
	s_wait_dscnt 0x1
	v_fmac_f64_e32 v[100:101], v[86:87], v[78:79]
	s_wait_loadcnt 0x3
	s_delay_alu instid0(VALU_DEP_1) | instskip(SKIP_1) | instid1(VALU_DEP_1)
	v_fmac_f64_e32 v[100:101], v[88:89], v[80:81]
	s_wait_dscnt 0x0
	v_fmac_f64_e32 v[100:101], v[90:91], v[82:83]
	s_wait_loadcnt 0x2
	s_delay_alu instid0(VALU_DEP_1)
	v_fmac_f64_e32 v[100:101], v[70:71], v[84:85]
	ds_load_b128 v[78:81], v2 offset:480
	ds_load_b128 v[82:85], v2 offset:496
	s_wait_dscnt 0x1
	v_fmac_f64_e32 v[100:101], v[72:73], v[78:79]
	s_wait_loadcnt 0x1
	s_delay_alu instid0(VALU_DEP_1) | instskip(SKIP_1) | instid1(VALU_DEP_1)
	v_fmac_f64_e32 v[100:101], v[74:75], v[80:81]
	s_wait_dscnt 0x0
	v_fmac_f64_e32 v[100:101], v[76:77], v[82:83]
	s_wait_loadcnt 0x0
	s_delay_alu instid0(VALU_DEP_1) | instskip(NEXT) | instid1(VALU_DEP_1)
	v_fmac_f64_e32 v[100:101], v[92:93], v[84:85]
	v_add_f64_e64 v[2:3], v[68:69], -v[100:101]
	scratch_store_b64 off, v[2:3], off offset:120
	s_wait_xcnt 0x0
	v_cmpx_lt_u32_e32 14, v0
	s_cbranch_execz .LBB31_173
; %bb.172:
	scratch_load_b64 v[2:3], off, off offset:112
	v_mov_b64_e32 v[68:69], 0
	scratch_store_b64 off, v[68:69], off offset:112
	s_wait_loadcnt 0x0
	ds_store_b64 v1, v[2:3]
.LBB31_173:
	s_wait_xcnt 0x0
	s_or_b32 exec_lo, exec_lo, s0
	s_wait_storecnt_dscnt 0x0
	s_barrier_signal -1
	s_barrier_wait -1
	s_clause 0x5
	scratch_load_b128 v[68:71], off, off offset:112
	scratch_load_b128 v[72:75], off, off offset:128
	;; [unrolled: 1-line block ×6, first 2 shown]
	v_mov_b32_e32 v2, 0
	ds_load_2addr_b64 v[92:95], v2 offset0:47 offset1:48
	ds_load_2addr_b64 v[96:99], v2 offset0:49 offset1:50
	s_mov_b32 s0, exec_lo
	s_wait_loadcnt_dscnt 0x501
	v_fma_f64 v[100:101], v[70:71], v[92:93], 0
	s_wait_loadcnt 0x4
	s_delay_alu instid0(VALU_DEP_1) | instskip(SKIP_4) | instid1(VALU_DEP_1)
	v_fmac_f64_e32 v[100:101], v[72:73], v[94:95]
	scratch_load_b128 v[70:73], off, off offset:208
	s_wait_dscnt 0x0
	v_fmac_f64_e32 v[100:101], v[74:75], v[96:97]
	s_wait_loadcnt 0x4
	v_fmac_f64_e32 v[100:101], v[76:77], v[98:99]
	scratch_load_b128 v[74:77], off, off offset:224
	ds_load_2addr_b64 v[92:95], v2 offset0:51 offset1:52
	ds_load_2addr_b64 v[96:99], v2 offset0:53 offset1:54
	s_wait_dscnt 0x1
	v_fmac_f64_e32 v[100:101], v[78:79], v[92:93]
	s_wait_loadcnt 0x4
	s_delay_alu instid0(VALU_DEP_1) | instskip(SKIP_4) | instid1(VALU_DEP_1)
	v_fmac_f64_e32 v[100:101], v[80:81], v[94:95]
	scratch_load_b128 v[78:81], off, off offset:240
	s_wait_dscnt 0x0
	v_fmac_f64_e32 v[100:101], v[82:83], v[96:97]
	s_wait_loadcnt 0x4
	v_fmac_f64_e32 v[100:101], v[84:85], v[98:99]
	ds_load_2addr_b64 v[82:85], v2 offset0:55 offset1:56
	ds_load_2addr_b64 v[92:95], v2 offset0:57 offset1:58
	s_wait_dscnt 0x1
	v_fmac_f64_e32 v[100:101], v[86:87], v[82:83]
	s_wait_loadcnt 0x3
	s_delay_alu instid0(VALU_DEP_1)
	v_fmac_f64_e32 v[100:101], v[88:89], v[84:85]
	ds_load_2addr_b64 v[82:85], v2 offset0:59 offset1:60
	ds_load_2addr_b64 v[86:89], v2 offset0:61 offset1:62
	s_wait_dscnt 0x2
	v_fmac_f64_e32 v[100:101], v[90:91], v[92:93]
	s_wait_loadcnt 0x2
	s_delay_alu instid0(VALU_DEP_1) | instskip(SKIP_4) | instid1(VALU_DEP_1)
	v_fmac_f64_e32 v[100:101], v[70:71], v[94:95]
	ds_load_b64 v[70:71], v2 offset:504
	s_wait_dscnt 0x2
	v_fmac_f64_e32 v[100:101], v[72:73], v[82:83]
	s_wait_loadcnt 0x1
	v_fmac_f64_e32 v[100:101], v[74:75], v[84:85]
	s_wait_dscnt 0x1
	s_delay_alu instid0(VALU_DEP_1) | instskip(SKIP_1) | instid1(VALU_DEP_1)
	v_fmac_f64_e32 v[100:101], v[76:77], v[86:87]
	s_wait_loadcnt 0x0
	v_fmac_f64_e32 v[100:101], v[78:79], v[88:89]
	s_wait_dscnt 0x0
	s_delay_alu instid0(VALU_DEP_1) | instskip(NEXT) | instid1(VALU_DEP_1)
	v_fmac_f64_e32 v[100:101], v[80:81], v[70:71]
	v_add_f64_e64 v[68:69], v[68:69], -v[100:101]
	scratch_store_b64 off, v[68:69], off offset:112
	s_wait_xcnt 0x0
	v_cmpx_lt_u32_e32 13, v0
	s_cbranch_execz .LBB31_175
; %bb.174:
	scratch_load_b64 v[68:69], off, off offset:104
	v_mov_b64_e32 v[70:71], 0
	scratch_store_b64 off, v[70:71], off offset:104
	s_wait_loadcnt 0x0
	ds_store_b64 v1, v[68:69]
.LBB31_175:
	s_wait_xcnt 0x0
	s_or_b32 exec_lo, exec_lo, s0
	s_wait_storecnt_dscnt 0x0
	s_barrier_signal -1
	s_barrier_wait -1
	s_clause 0x5
	scratch_load_b128 v[68:71], off, off offset:104
	scratch_load_b128 v[72:75], off, off offset:120
	;; [unrolled: 1-line block ×6, first 2 shown]
	ds_load_b128 v[92:95], v2 offset:368
	ds_load_b128 v[96:99], v2 offset:384
	s_mov_b32 s0, exec_lo
	s_wait_loadcnt_dscnt 0x501
	v_fma_f64 v[100:101], v[70:71], v[92:93], 0
	s_wait_loadcnt 0x4
	s_delay_alu instid0(VALU_DEP_1) | instskip(SKIP_4) | instid1(VALU_DEP_1)
	v_fmac_f64_e32 v[100:101], v[72:73], v[94:95]
	scratch_load_b128 v[70:73], off, off offset:200
	s_wait_dscnt 0x0
	v_fmac_f64_e32 v[100:101], v[74:75], v[96:97]
	s_wait_loadcnt 0x4
	v_fmac_f64_e32 v[100:101], v[76:77], v[98:99]
	scratch_load_b128 v[74:77], off, off offset:216
	ds_load_b128 v[92:95], v2 offset:400
	ds_load_b128 v[96:99], v2 offset:416
	s_wait_dscnt 0x1
	v_fmac_f64_e32 v[100:101], v[78:79], v[92:93]
	s_wait_loadcnt 0x4
	s_delay_alu instid0(VALU_DEP_1)
	v_fmac_f64_e32 v[100:101], v[80:81], v[94:95]
	scratch_load_b128 v[78:81], off, off offset:232
	s_wait_dscnt 0x0
	v_fmac_f64_e32 v[100:101], v[82:83], v[96:97]
	scratch_load_b64 v[96:97], off, off offset:248
	s_wait_loadcnt 0x5
	v_fmac_f64_e32 v[100:101], v[84:85], v[98:99]
	ds_load_b128 v[82:85], v2 offset:432
	ds_load_b128 v[92:95], v2 offset:448
	s_wait_dscnt 0x1
	v_fmac_f64_e32 v[100:101], v[86:87], v[82:83]
	s_wait_loadcnt 0x4
	s_delay_alu instid0(VALU_DEP_1)
	v_fmac_f64_e32 v[100:101], v[88:89], v[84:85]
	ds_load_b128 v[82:85], v2 offset:464
	ds_load_b128 v[86:89], v2 offset:480
	s_wait_dscnt 0x2
	v_fmac_f64_e32 v[100:101], v[90:91], v[92:93]
	s_wait_loadcnt 0x3
	s_delay_alu instid0(VALU_DEP_1) | instskip(SKIP_1) | instid1(VALU_DEP_1)
	v_fmac_f64_e32 v[100:101], v[70:71], v[94:95]
	s_wait_dscnt 0x1
	v_fmac_f64_e32 v[100:101], v[72:73], v[82:83]
	ds_load_b128 v[70:73], v2 offset:496
	s_wait_loadcnt 0x2
	v_fmac_f64_e32 v[100:101], v[74:75], v[84:85]
	s_wait_dscnt 0x1
	s_delay_alu instid0(VALU_DEP_1) | instskip(SKIP_1) | instid1(VALU_DEP_1)
	v_fmac_f64_e32 v[100:101], v[76:77], v[86:87]
	s_wait_loadcnt 0x1
	v_fmac_f64_e32 v[100:101], v[78:79], v[88:89]
	s_wait_dscnt 0x0
	s_delay_alu instid0(VALU_DEP_1) | instskip(SKIP_1) | instid1(VALU_DEP_1)
	v_fmac_f64_e32 v[100:101], v[80:81], v[70:71]
	s_wait_loadcnt 0x0
	v_fmac_f64_e32 v[100:101], v[96:97], v[72:73]
	s_delay_alu instid0(VALU_DEP_1)
	v_add_f64_e64 v[2:3], v[68:69], -v[100:101]
	scratch_store_b64 off, v[2:3], off offset:104
	s_wait_xcnt 0x0
	v_cmpx_lt_u32_e32 12, v0
	s_cbranch_execz .LBB31_177
; %bb.176:
	scratch_load_b64 v[2:3], off, off offset:96
	v_mov_b64_e32 v[68:69], 0
	scratch_store_b64 off, v[68:69], off offset:96
	s_wait_loadcnt 0x0
	ds_store_b64 v1, v[2:3]
.LBB31_177:
	s_wait_xcnt 0x0
	s_or_b32 exec_lo, exec_lo, s0
	s_wait_storecnt_dscnt 0x0
	s_barrier_signal -1
	s_barrier_wait -1
	s_clause 0x5
	scratch_load_b128 v[68:71], off, off offset:96
	scratch_load_b128 v[72:75], off, off offset:112
	;; [unrolled: 1-line block ×6, first 2 shown]
	v_mov_b32_e32 v2, 0
	ds_load_2addr_b64 v[92:95], v2 offset0:45 offset1:46
	ds_load_2addr_b64 v[96:99], v2 offset0:47 offset1:48
	s_mov_b32 s0, exec_lo
	s_wait_loadcnt_dscnt 0x501
	v_fma_f64 v[100:101], v[70:71], v[92:93], 0
	s_wait_loadcnt 0x4
	s_delay_alu instid0(VALU_DEP_1) | instskip(SKIP_4) | instid1(VALU_DEP_1)
	v_fmac_f64_e32 v[100:101], v[72:73], v[94:95]
	scratch_load_b128 v[70:73], off, off offset:192
	s_wait_dscnt 0x0
	v_fmac_f64_e32 v[100:101], v[74:75], v[96:97]
	s_wait_loadcnt 0x4
	v_fmac_f64_e32 v[100:101], v[76:77], v[98:99]
	scratch_load_b128 v[74:77], off, off offset:208
	ds_load_2addr_b64 v[92:95], v2 offset0:49 offset1:50
	ds_load_2addr_b64 v[96:99], v2 offset0:51 offset1:52
	s_wait_dscnt 0x1
	v_fmac_f64_e32 v[100:101], v[78:79], v[92:93]
	s_wait_loadcnt 0x4
	s_delay_alu instid0(VALU_DEP_1) | instskip(SKIP_4) | instid1(VALU_DEP_1)
	v_fmac_f64_e32 v[100:101], v[80:81], v[94:95]
	scratch_load_b128 v[78:81], off, off offset:224
	s_wait_dscnt 0x0
	v_fmac_f64_e32 v[100:101], v[82:83], v[96:97]
	s_wait_loadcnt 0x4
	v_fmac_f64_e32 v[100:101], v[84:85], v[98:99]
	scratch_load_b128 v[82:85], off, off offset:240
	ds_load_2addr_b64 v[92:95], v2 offset0:53 offset1:54
	ds_load_2addr_b64 v[96:99], v2 offset0:55 offset1:56
	s_wait_dscnt 0x1
	v_fmac_f64_e32 v[100:101], v[86:87], v[92:93]
	s_wait_loadcnt 0x4
	s_delay_alu instid0(VALU_DEP_1) | instskip(SKIP_1) | instid1(VALU_DEP_1)
	v_fmac_f64_e32 v[100:101], v[88:89], v[94:95]
	s_wait_dscnt 0x0
	v_fmac_f64_e32 v[100:101], v[90:91], v[96:97]
	ds_load_2addr_b64 v[86:89], v2 offset0:57 offset1:58
	ds_load_2addr_b64 v[90:93], v2 offset0:59 offset1:60
	s_wait_loadcnt 0x3
	v_fmac_f64_e32 v[100:101], v[70:71], v[98:99]
	s_wait_dscnt 0x1
	s_delay_alu instid0(VALU_DEP_1) | instskip(SKIP_1) | instid1(VALU_DEP_1)
	v_fmac_f64_e32 v[100:101], v[72:73], v[86:87]
	s_wait_loadcnt 0x2
	v_fmac_f64_e32 v[100:101], v[74:75], v[88:89]
	ds_load_2addr_b64 v[70:73], v2 offset0:61 offset1:62
	ds_load_b64 v[74:75], v2 offset:504
	s_wait_dscnt 0x2
	v_fmac_f64_e32 v[100:101], v[76:77], v[90:91]
	s_wait_loadcnt 0x1
	s_delay_alu instid0(VALU_DEP_1) | instskip(SKIP_1) | instid1(VALU_DEP_1)
	v_fmac_f64_e32 v[100:101], v[78:79], v[92:93]
	s_wait_dscnt 0x1
	v_fmac_f64_e32 v[100:101], v[80:81], v[70:71]
	s_wait_loadcnt 0x0
	s_delay_alu instid0(VALU_DEP_1) | instskip(SKIP_1) | instid1(VALU_DEP_1)
	v_fmac_f64_e32 v[100:101], v[82:83], v[72:73]
	s_wait_dscnt 0x0
	v_fmac_f64_e32 v[100:101], v[84:85], v[74:75]
	s_delay_alu instid0(VALU_DEP_1)
	v_add_f64_e64 v[68:69], v[68:69], -v[100:101]
	scratch_store_b64 off, v[68:69], off offset:96
	s_wait_xcnt 0x0
	v_cmpx_lt_u32_e32 11, v0
	s_cbranch_execz .LBB31_179
; %bb.178:
	scratch_load_b64 v[68:69], off, off offset:88
	v_mov_b64_e32 v[70:71], 0
	scratch_store_b64 off, v[70:71], off offset:88
	s_wait_loadcnt 0x0
	ds_store_b64 v1, v[68:69]
.LBB31_179:
	s_wait_xcnt 0x0
	s_or_b32 exec_lo, exec_lo, s0
	s_wait_storecnt_dscnt 0x0
	s_barrier_signal -1
	s_barrier_wait -1
	s_clause 0x5
	scratch_load_b128 v[68:71], off, off offset:88
	scratch_load_b128 v[72:75], off, off offset:104
	;; [unrolled: 1-line block ×6, first 2 shown]
	ds_load_b128 v[92:95], v2 offset:352
	ds_load_b128 v[96:99], v2 offset:368
	s_mov_b32 s0, exec_lo
	s_wait_loadcnt_dscnt 0x501
	v_fma_f64 v[100:101], v[70:71], v[92:93], 0
	s_wait_loadcnt 0x4
	s_delay_alu instid0(VALU_DEP_1) | instskip(SKIP_4) | instid1(VALU_DEP_1)
	v_fmac_f64_e32 v[100:101], v[72:73], v[94:95]
	scratch_load_b128 v[70:73], off, off offset:184
	s_wait_dscnt 0x0
	v_fmac_f64_e32 v[100:101], v[74:75], v[96:97]
	s_wait_loadcnt 0x4
	v_fmac_f64_e32 v[100:101], v[76:77], v[98:99]
	scratch_load_b128 v[74:77], off, off offset:200
	ds_load_b128 v[92:95], v2 offset:384
	ds_load_b128 v[96:99], v2 offset:400
	s_wait_dscnt 0x1
	v_fmac_f64_e32 v[100:101], v[78:79], v[92:93]
	s_wait_loadcnt 0x4
	s_delay_alu instid0(VALU_DEP_1) | instskip(SKIP_4) | instid1(VALU_DEP_1)
	v_fmac_f64_e32 v[100:101], v[80:81], v[94:95]
	scratch_load_b128 v[78:81], off, off offset:216
	s_wait_dscnt 0x0
	v_fmac_f64_e32 v[100:101], v[82:83], v[96:97]
	s_wait_loadcnt 0x4
	v_fmac_f64_e32 v[100:101], v[84:85], v[98:99]
	scratch_load_b128 v[82:85], off, off offset:232
	ds_load_b128 v[92:95], v2 offset:416
	ds_load_b128 v[96:99], v2 offset:432
	s_wait_dscnt 0x1
	v_fmac_f64_e32 v[100:101], v[86:87], v[92:93]
	s_wait_loadcnt 0x4
	s_delay_alu instid0(VALU_DEP_1)
	v_fmac_f64_e32 v[100:101], v[88:89], v[94:95]
	scratch_load_b64 v[94:95], off, off offset:248
	s_wait_dscnt 0x0
	v_fmac_f64_e32 v[100:101], v[90:91], v[96:97]
	ds_load_b128 v[86:89], v2 offset:448
	ds_load_b128 v[90:93], v2 offset:464
	s_wait_loadcnt 0x4
	v_fmac_f64_e32 v[100:101], v[70:71], v[98:99]
	s_wait_dscnt 0x1
	s_delay_alu instid0(VALU_DEP_1) | instskip(SKIP_1) | instid1(VALU_DEP_1)
	v_fmac_f64_e32 v[100:101], v[72:73], v[86:87]
	s_wait_loadcnt 0x3
	v_fmac_f64_e32 v[100:101], v[74:75], v[88:89]
	s_wait_dscnt 0x0
	s_delay_alu instid0(VALU_DEP_1)
	v_fmac_f64_e32 v[100:101], v[76:77], v[90:91]
	ds_load_b128 v[70:73], v2 offset:480
	ds_load_b128 v[74:77], v2 offset:496
	s_wait_loadcnt 0x2
	v_fmac_f64_e32 v[100:101], v[78:79], v[92:93]
	s_wait_dscnt 0x1
	s_delay_alu instid0(VALU_DEP_1) | instskip(SKIP_1) | instid1(VALU_DEP_1)
	v_fmac_f64_e32 v[100:101], v[80:81], v[70:71]
	s_wait_loadcnt 0x1
	v_fmac_f64_e32 v[100:101], v[82:83], v[72:73]
	s_wait_dscnt 0x0
	s_delay_alu instid0(VALU_DEP_1) | instskip(SKIP_1) | instid1(VALU_DEP_1)
	v_fmac_f64_e32 v[100:101], v[84:85], v[74:75]
	s_wait_loadcnt 0x0
	v_fmac_f64_e32 v[100:101], v[94:95], v[76:77]
	s_delay_alu instid0(VALU_DEP_1)
	v_add_f64_e64 v[2:3], v[68:69], -v[100:101]
	scratch_store_b64 off, v[2:3], off offset:88
	s_wait_xcnt 0x0
	v_cmpx_lt_u32_e32 10, v0
	s_cbranch_execz .LBB31_181
; %bb.180:
	scratch_load_b64 v[2:3], off, off offset:80
	v_mov_b64_e32 v[68:69], 0
	scratch_store_b64 off, v[68:69], off offset:80
	s_wait_loadcnt 0x0
	ds_store_b64 v1, v[2:3]
.LBB31_181:
	s_wait_xcnt 0x0
	s_or_b32 exec_lo, exec_lo, s0
	s_wait_storecnt_dscnt 0x0
	s_barrier_signal -1
	s_barrier_wait -1
	s_clause 0x5
	scratch_load_b128 v[68:71], off, off offset:80
	scratch_load_b128 v[72:75], off, off offset:96
	;; [unrolled: 1-line block ×6, first 2 shown]
	v_mov_b32_e32 v2, 0
	ds_load_2addr_b64 v[92:95], v2 offset0:43 offset1:44
	ds_load_2addr_b64 v[96:99], v2 offset0:45 offset1:46
	s_mov_b32 s0, exec_lo
	s_wait_loadcnt_dscnt 0x501
	v_fma_f64 v[100:101], v[70:71], v[92:93], 0
	s_wait_loadcnt 0x4
	s_delay_alu instid0(VALU_DEP_1) | instskip(SKIP_4) | instid1(VALU_DEP_1)
	v_fmac_f64_e32 v[100:101], v[72:73], v[94:95]
	scratch_load_b128 v[70:73], off, off offset:176
	s_wait_dscnt 0x0
	v_fmac_f64_e32 v[100:101], v[74:75], v[96:97]
	s_wait_loadcnt 0x4
	v_fmac_f64_e32 v[100:101], v[76:77], v[98:99]
	scratch_load_b128 v[74:77], off, off offset:192
	ds_load_2addr_b64 v[92:95], v2 offset0:47 offset1:48
	ds_load_2addr_b64 v[96:99], v2 offset0:49 offset1:50
	s_wait_dscnt 0x1
	v_fmac_f64_e32 v[100:101], v[78:79], v[92:93]
	s_wait_loadcnt 0x4
	s_delay_alu instid0(VALU_DEP_1) | instskip(SKIP_4) | instid1(VALU_DEP_1)
	v_fmac_f64_e32 v[100:101], v[80:81], v[94:95]
	scratch_load_b128 v[78:81], off, off offset:208
	s_wait_dscnt 0x0
	v_fmac_f64_e32 v[100:101], v[82:83], v[96:97]
	s_wait_loadcnt 0x4
	v_fmac_f64_e32 v[100:101], v[84:85], v[98:99]
	scratch_load_b128 v[82:85], off, off offset:224
	ds_load_2addr_b64 v[92:95], v2 offset0:51 offset1:52
	ds_load_2addr_b64 v[96:99], v2 offset0:53 offset1:54
	s_wait_dscnt 0x1
	v_fmac_f64_e32 v[100:101], v[86:87], v[92:93]
	s_wait_loadcnt 0x4
	s_delay_alu instid0(VALU_DEP_1)
	v_fmac_f64_e32 v[100:101], v[88:89], v[94:95]
	scratch_load_b128 v[86:89], off, off offset:240
	s_wait_dscnt 0x0
	v_fmac_f64_e32 v[100:101], v[90:91], v[96:97]
	ds_load_2addr_b64 v[90:93], v2 offset0:55 offset1:56
	ds_load_2addr_b64 v[94:97], v2 offset0:57 offset1:58
	s_wait_loadcnt 0x4
	v_fmac_f64_e32 v[100:101], v[70:71], v[98:99]
	s_wait_dscnt 0x1
	s_delay_alu instid0(VALU_DEP_1) | instskip(SKIP_1) | instid1(VALU_DEP_1)
	v_fmac_f64_e32 v[100:101], v[72:73], v[90:91]
	s_wait_loadcnt 0x3
	v_fmac_f64_e32 v[100:101], v[74:75], v[92:93]
	s_wait_dscnt 0x0
	s_delay_alu instid0(VALU_DEP_1)
	v_fmac_f64_e32 v[100:101], v[76:77], v[94:95]
	ds_load_2addr_b64 v[70:73], v2 offset0:59 offset1:60
	ds_load_2addr_b64 v[74:77], v2 offset0:61 offset1:62
	s_wait_loadcnt 0x2
	v_fmac_f64_e32 v[100:101], v[78:79], v[96:97]
	s_wait_dscnt 0x1
	s_delay_alu instid0(VALU_DEP_1) | instskip(SKIP_4) | instid1(VALU_DEP_1)
	v_fmac_f64_e32 v[100:101], v[80:81], v[70:71]
	ds_load_b64 v[70:71], v2 offset:504
	s_wait_loadcnt 0x1
	v_fmac_f64_e32 v[100:101], v[82:83], v[72:73]
	s_wait_dscnt 0x1
	v_fmac_f64_e32 v[100:101], v[84:85], v[74:75]
	s_wait_loadcnt 0x0
	s_delay_alu instid0(VALU_DEP_1) | instskip(SKIP_1) | instid1(VALU_DEP_1)
	v_fmac_f64_e32 v[100:101], v[86:87], v[76:77]
	s_wait_dscnt 0x0
	v_fmac_f64_e32 v[100:101], v[88:89], v[70:71]
	s_delay_alu instid0(VALU_DEP_1)
	v_add_f64_e64 v[68:69], v[68:69], -v[100:101]
	scratch_store_b64 off, v[68:69], off offset:80
	s_wait_xcnt 0x0
	v_cmpx_lt_u32_e32 9, v0
	s_cbranch_execz .LBB31_183
; %bb.182:
	scratch_load_b64 v[68:69], off, off offset:72
	v_mov_b64_e32 v[70:71], 0
	scratch_store_b64 off, v[70:71], off offset:72
	s_wait_loadcnt 0x0
	ds_store_b64 v1, v[68:69]
.LBB31_183:
	s_wait_xcnt 0x0
	s_or_b32 exec_lo, exec_lo, s0
	s_wait_storecnt_dscnt 0x0
	s_barrier_signal -1
	s_barrier_wait -1
	s_clause 0x5
	scratch_load_b128 v[68:71], off, off offset:72
	scratch_load_b128 v[72:75], off, off offset:88
	scratch_load_b128 v[76:79], off, off offset:104
	scratch_load_b128 v[80:83], off, off offset:120
	scratch_load_b128 v[84:87], off, off offset:136
	scratch_load_b128 v[88:91], off, off offset:152
	ds_load_b128 v[92:95], v2 offset:336
	ds_load_b128 v[96:99], v2 offset:352
	scratch_load_b128 v[100:103], off, off offset:168
	s_mov_b32 s0, exec_lo
	s_wait_loadcnt_dscnt 0x601
	v_fma_f64 v[104:105], v[70:71], v[92:93], 0
	s_wait_loadcnt 0x5
	s_delay_alu instid0(VALU_DEP_1) | instskip(SKIP_4) | instid1(VALU_DEP_1)
	v_fmac_f64_e32 v[104:105], v[72:73], v[94:95]
	scratch_load_b128 v[70:73], off, off offset:184
	s_wait_dscnt 0x0
	v_fmac_f64_e32 v[104:105], v[74:75], v[96:97]
	s_wait_loadcnt 0x5
	v_fmac_f64_e32 v[104:105], v[76:77], v[98:99]
	ds_load_b128 v[74:77], v2 offset:368
	ds_load_b128 v[92:95], v2 offset:384
	s_wait_dscnt 0x1
	v_fmac_f64_e32 v[104:105], v[78:79], v[74:75]
	s_wait_loadcnt 0x4
	s_delay_alu instid0(VALU_DEP_1)
	v_fmac_f64_e32 v[104:105], v[80:81], v[76:77]
	s_clause 0x1
	scratch_load_b128 v[74:77], off, off offset:200
	scratch_load_b128 v[78:81], off, off offset:216
	s_wait_dscnt 0x0
	v_fmac_f64_e32 v[104:105], v[82:83], v[92:93]
	s_wait_loadcnt 0x5
	s_delay_alu instid0(VALU_DEP_1)
	v_fmac_f64_e32 v[104:105], v[84:85], v[94:95]
	ds_load_b128 v[82:85], v2 offset:400
	ds_load_b128 v[92:95], v2 offset:416
	s_wait_dscnt 0x1
	v_fmac_f64_e32 v[104:105], v[86:87], v[82:83]
	s_wait_loadcnt 0x4
	s_delay_alu instid0(VALU_DEP_1) | instskip(SKIP_4) | instid1(VALU_DEP_1)
	v_fmac_f64_e32 v[104:105], v[88:89], v[84:85]
	scratch_load_b128 v[82:85], off, off offset:232
	s_wait_dscnt 0x0
	v_fmac_f64_e32 v[104:105], v[90:91], v[92:93]
	s_wait_loadcnt 0x4
	v_fmac_f64_e32 v[104:105], v[100:101], v[94:95]
	scratch_load_b64 v[94:95], off, off offset:248
	ds_load_b128 v[86:89], v2 offset:432
	ds_load_b128 v[90:93], v2 offset:448
	s_wait_dscnt 0x1
	v_fmac_f64_e32 v[104:105], v[102:103], v[86:87]
	s_wait_loadcnt 0x4
	s_delay_alu instid0(VALU_DEP_1) | instskip(SKIP_1) | instid1(VALU_DEP_1)
	v_fmac_f64_e32 v[104:105], v[70:71], v[88:89]
	s_wait_dscnt 0x0
	v_fmac_f64_e32 v[104:105], v[72:73], v[90:91]
	ds_load_b128 v[70:73], v2 offset:464
	ds_load_b128 v[86:89], v2 offset:480
	s_wait_loadcnt 0x3
	v_fmac_f64_e32 v[104:105], v[74:75], v[92:93]
	s_wait_dscnt 0x1
	s_delay_alu instid0(VALU_DEP_1) | instskip(SKIP_1) | instid1(VALU_DEP_1)
	v_fmac_f64_e32 v[104:105], v[76:77], v[70:71]
	s_wait_loadcnt 0x2
	v_fmac_f64_e32 v[104:105], v[78:79], v[72:73]
	ds_load_b128 v[70:73], v2 offset:496
	s_wait_dscnt 0x1
	v_fmac_f64_e32 v[104:105], v[80:81], v[86:87]
	s_wait_loadcnt 0x1
	s_delay_alu instid0(VALU_DEP_1) | instskip(SKIP_1) | instid1(VALU_DEP_1)
	v_fmac_f64_e32 v[104:105], v[82:83], v[88:89]
	s_wait_dscnt 0x0
	v_fmac_f64_e32 v[104:105], v[84:85], v[70:71]
	s_wait_loadcnt 0x0
	s_delay_alu instid0(VALU_DEP_1) | instskip(NEXT) | instid1(VALU_DEP_1)
	v_fmac_f64_e32 v[104:105], v[94:95], v[72:73]
	v_add_f64_e64 v[2:3], v[68:69], -v[104:105]
	scratch_store_b64 off, v[2:3], off offset:72
	s_wait_xcnt 0x0
	v_cmpx_lt_u32_e32 8, v0
	s_cbranch_execz .LBB31_185
; %bb.184:
	scratch_load_b64 v[2:3], off, off offset:64
	v_mov_b64_e32 v[68:69], 0
	scratch_store_b64 off, v[68:69], off offset:64
	s_wait_loadcnt 0x0
	ds_store_b64 v1, v[2:3]
.LBB31_185:
	s_wait_xcnt 0x0
	s_or_b32 exec_lo, exec_lo, s0
	s_wait_storecnt_dscnt 0x0
	s_barrier_signal -1
	s_barrier_wait -1
	s_clause 0x5
	scratch_load_b128 v[68:71], off, off offset:64
	scratch_load_b128 v[72:75], off, off offset:80
	;; [unrolled: 1-line block ×6, first 2 shown]
	v_mov_b32_e32 v2, 0
	ds_load_2addr_b64 v[92:95], v2 offset0:41 offset1:42
	ds_load_2addr_b64 v[96:99], v2 offset0:43 offset1:44
	scratch_load_b128 v[100:103], off, off offset:160
	s_mov_b32 s0, exec_lo
	s_wait_loadcnt_dscnt 0x601
	v_fma_f64 v[104:105], v[70:71], v[92:93], 0
	s_wait_loadcnt 0x5
	s_delay_alu instid0(VALU_DEP_1) | instskip(SKIP_4) | instid1(VALU_DEP_1)
	v_fmac_f64_e32 v[104:105], v[72:73], v[94:95]
	scratch_load_b128 v[70:73], off, off offset:176
	s_wait_dscnt 0x0
	v_fmac_f64_e32 v[104:105], v[74:75], v[96:97]
	s_wait_loadcnt 0x5
	v_fmac_f64_e32 v[104:105], v[76:77], v[98:99]
	ds_load_2addr_b64 v[74:77], v2 offset0:45 offset1:46
	ds_load_2addr_b64 v[92:95], v2 offset0:47 offset1:48
	s_wait_dscnt 0x1
	v_fmac_f64_e32 v[104:105], v[78:79], v[74:75]
	s_wait_loadcnt 0x4
	s_delay_alu instid0(VALU_DEP_1)
	v_fmac_f64_e32 v[104:105], v[80:81], v[76:77]
	s_clause 0x1
	scratch_load_b128 v[74:77], off, off offset:192
	scratch_load_b128 v[78:81], off, off offset:208
	s_wait_dscnt 0x0
	v_fmac_f64_e32 v[104:105], v[82:83], v[92:93]
	s_wait_loadcnt 0x5
	s_delay_alu instid0(VALU_DEP_1)
	v_fmac_f64_e32 v[104:105], v[84:85], v[94:95]
	ds_load_2addr_b64 v[82:85], v2 offset0:49 offset1:50
	ds_load_2addr_b64 v[92:95], v2 offset0:51 offset1:52
	s_wait_dscnt 0x1
	v_fmac_f64_e32 v[104:105], v[86:87], v[82:83]
	s_wait_loadcnt 0x4
	s_delay_alu instid0(VALU_DEP_1)
	v_fmac_f64_e32 v[104:105], v[88:89], v[84:85]
	s_clause 0x1
	scratch_load_b128 v[82:85], off, off offset:224
	scratch_load_b128 v[86:89], off, off offset:240
	s_wait_dscnt 0x0
	v_fmac_f64_e32 v[104:105], v[90:91], v[92:93]
	s_wait_loadcnt 0x5
	s_delay_alu instid0(VALU_DEP_1)
	v_fmac_f64_e32 v[104:105], v[100:101], v[94:95]
	ds_load_2addr_b64 v[90:93], v2 offset0:53 offset1:54
	ds_load_2addr_b64 v[94:97], v2 offset0:55 offset1:56
	s_wait_dscnt 0x1
	v_fmac_f64_e32 v[104:105], v[102:103], v[90:91]
	s_wait_loadcnt 0x4
	s_delay_alu instid0(VALU_DEP_1) | instskip(SKIP_1) | instid1(VALU_DEP_1)
	v_fmac_f64_e32 v[104:105], v[70:71], v[92:93]
	s_wait_dscnt 0x0
	v_fmac_f64_e32 v[104:105], v[72:73], v[94:95]
	ds_load_2addr_b64 v[70:73], v2 offset0:57 offset1:58
	ds_load_2addr_b64 v[90:93], v2 offset0:59 offset1:60
	s_wait_loadcnt 0x3
	v_fmac_f64_e32 v[104:105], v[74:75], v[96:97]
	s_wait_dscnt 0x1
	s_delay_alu instid0(VALU_DEP_1) | instskip(SKIP_1) | instid1(VALU_DEP_1)
	v_fmac_f64_e32 v[104:105], v[76:77], v[70:71]
	s_wait_loadcnt 0x2
	v_fmac_f64_e32 v[104:105], v[78:79], v[72:73]
	ds_load_2addr_b64 v[70:73], v2 offset0:61 offset1:62
	ds_load_b64 v[74:75], v2 offset:504
	s_wait_dscnt 0x2
	v_fmac_f64_e32 v[104:105], v[80:81], v[90:91]
	s_wait_loadcnt 0x1
	s_delay_alu instid0(VALU_DEP_1) | instskip(SKIP_1) | instid1(VALU_DEP_1)
	v_fmac_f64_e32 v[104:105], v[82:83], v[92:93]
	s_wait_dscnt 0x1
	v_fmac_f64_e32 v[104:105], v[84:85], v[70:71]
	s_wait_loadcnt 0x0
	s_delay_alu instid0(VALU_DEP_1) | instskip(SKIP_1) | instid1(VALU_DEP_1)
	v_fmac_f64_e32 v[104:105], v[86:87], v[72:73]
	s_wait_dscnt 0x0
	v_fmac_f64_e32 v[104:105], v[88:89], v[74:75]
	s_delay_alu instid0(VALU_DEP_1)
	v_add_f64_e64 v[68:69], v[68:69], -v[104:105]
	scratch_store_b64 off, v[68:69], off offset:64
	s_wait_xcnt 0x0
	v_cmpx_lt_u32_e32 7, v0
	s_cbranch_execz .LBB31_187
; %bb.186:
	scratch_load_b64 v[68:69], off, off offset:56
	v_mov_b64_e32 v[70:71], 0
	scratch_store_b64 off, v[70:71], off offset:56
	s_wait_loadcnt 0x0
	ds_store_b64 v1, v[68:69]
.LBB31_187:
	s_wait_xcnt 0x0
	s_or_b32 exec_lo, exec_lo, s0
	s_wait_storecnt_dscnt 0x0
	s_barrier_signal -1
	s_barrier_wait -1
	s_clause 0x5
	scratch_load_b128 v[68:71], off, off offset:56
	scratch_load_b128 v[72:75], off, off offset:72
	;; [unrolled: 1-line block ×6, first 2 shown]
	ds_load_b128 v[92:95], v2 offset:320
	ds_load_b128 v[96:99], v2 offset:336
	scratch_load_b128 v[100:103], off, off offset:152
	s_mov_b32 s0, exec_lo
	s_wait_loadcnt_dscnt 0x601
	v_fma_f64 v[104:105], v[70:71], v[92:93], 0
	s_wait_loadcnt 0x5
	s_delay_alu instid0(VALU_DEP_1) | instskip(SKIP_4) | instid1(VALU_DEP_1)
	v_fmac_f64_e32 v[104:105], v[72:73], v[94:95]
	scratch_load_b128 v[70:73], off, off offset:168
	s_wait_dscnt 0x0
	v_fmac_f64_e32 v[104:105], v[74:75], v[96:97]
	s_wait_loadcnt 0x5
	v_fmac_f64_e32 v[104:105], v[76:77], v[98:99]
	ds_load_b128 v[74:77], v2 offset:352
	ds_load_b128 v[92:95], v2 offset:368
	s_wait_dscnt 0x1
	v_fmac_f64_e32 v[104:105], v[78:79], v[74:75]
	s_wait_loadcnt 0x4
	s_delay_alu instid0(VALU_DEP_1)
	v_fmac_f64_e32 v[104:105], v[80:81], v[76:77]
	s_clause 0x1
	scratch_load_b128 v[74:77], off, off offset:184
	scratch_load_b128 v[78:81], off, off offset:200
	s_wait_dscnt 0x0
	v_fmac_f64_e32 v[104:105], v[82:83], v[92:93]
	s_wait_loadcnt 0x5
	s_delay_alu instid0(VALU_DEP_1)
	v_fmac_f64_e32 v[104:105], v[84:85], v[94:95]
	ds_load_b128 v[82:85], v2 offset:384
	ds_load_b128 v[92:95], v2 offset:400
	s_wait_dscnt 0x1
	v_fmac_f64_e32 v[104:105], v[86:87], v[82:83]
	s_wait_loadcnt 0x4
	s_delay_alu instid0(VALU_DEP_1)
	v_fmac_f64_e32 v[104:105], v[88:89], v[84:85]
	s_clause 0x1
	scratch_load_b128 v[82:85], off, off offset:216
	scratch_load_b128 v[86:89], off, off offset:232
	s_wait_dscnt 0x0
	v_fmac_f64_e32 v[104:105], v[90:91], v[92:93]
	s_wait_loadcnt 0x5
	s_delay_alu instid0(VALU_DEP_1)
	v_fmac_f64_e32 v[104:105], v[100:101], v[94:95]
	ds_load_b128 v[90:93], v2 offset:416
	ds_load_b128 v[94:97], v2 offset:432
	scratch_load_b64 v[98:99], off, off offset:248
	s_wait_dscnt 0x1
	v_fmac_f64_e32 v[104:105], v[102:103], v[90:91]
	s_wait_loadcnt 0x5
	s_delay_alu instid0(VALU_DEP_1) | instskip(SKIP_1) | instid1(VALU_DEP_1)
	v_fmac_f64_e32 v[104:105], v[70:71], v[92:93]
	s_wait_dscnt 0x0
	v_fmac_f64_e32 v[104:105], v[72:73], v[94:95]
	ds_load_b128 v[70:73], v2 offset:448
	ds_load_b128 v[90:93], v2 offset:464
	s_wait_loadcnt 0x4
	v_fmac_f64_e32 v[104:105], v[74:75], v[96:97]
	s_wait_dscnt 0x1
	s_delay_alu instid0(VALU_DEP_1) | instskip(SKIP_1) | instid1(VALU_DEP_1)
	v_fmac_f64_e32 v[104:105], v[76:77], v[70:71]
	s_wait_loadcnt 0x3
	v_fmac_f64_e32 v[104:105], v[78:79], v[72:73]
	ds_load_b128 v[70:73], v2 offset:480
	ds_load_b128 v[74:77], v2 offset:496
	s_wait_dscnt 0x2
	v_fmac_f64_e32 v[104:105], v[80:81], v[90:91]
	s_wait_loadcnt 0x2
	s_delay_alu instid0(VALU_DEP_1) | instskip(SKIP_1) | instid1(VALU_DEP_1)
	v_fmac_f64_e32 v[104:105], v[82:83], v[92:93]
	s_wait_dscnt 0x1
	v_fmac_f64_e32 v[104:105], v[84:85], v[70:71]
	s_wait_loadcnt 0x1
	s_delay_alu instid0(VALU_DEP_1) | instskip(SKIP_1) | instid1(VALU_DEP_1)
	v_fmac_f64_e32 v[104:105], v[86:87], v[72:73]
	s_wait_dscnt 0x0
	v_fmac_f64_e32 v[104:105], v[88:89], v[74:75]
	s_wait_loadcnt 0x0
	s_delay_alu instid0(VALU_DEP_1) | instskip(NEXT) | instid1(VALU_DEP_1)
	v_fmac_f64_e32 v[104:105], v[98:99], v[76:77]
	v_add_f64_e64 v[2:3], v[68:69], -v[104:105]
	scratch_store_b64 off, v[2:3], off offset:56
	s_wait_xcnt 0x0
	v_cmpx_lt_u32_e32 6, v0
	s_cbranch_execz .LBB31_189
; %bb.188:
	scratch_load_b64 v[2:3], off, off offset:48
	v_mov_b64_e32 v[68:69], 0
	scratch_store_b64 off, v[68:69], off offset:48
	s_wait_loadcnt 0x0
	ds_store_b64 v1, v[2:3]
.LBB31_189:
	s_wait_xcnt 0x0
	s_or_b32 exec_lo, exec_lo, s0
	s_wait_storecnt_dscnt 0x0
	s_barrier_signal -1
	s_barrier_wait -1
	s_clause 0x5
	scratch_load_b128 v[68:71], off, off offset:48
	scratch_load_b128 v[72:75], off, off offset:64
	;; [unrolled: 1-line block ×6, first 2 shown]
	v_mov_b32_e32 v2, 0
	ds_load_2addr_b64 v[92:95], v2 offset0:39 offset1:40
	ds_load_2addr_b64 v[96:99], v2 offset0:41 offset1:42
	scratch_load_b128 v[100:103], off, off offset:144
	s_mov_b32 s0, exec_lo
	s_wait_loadcnt_dscnt 0x601
	v_fma_f64 v[104:105], v[70:71], v[92:93], 0
	s_wait_loadcnt 0x5
	s_delay_alu instid0(VALU_DEP_1) | instskip(SKIP_4) | instid1(VALU_DEP_1)
	v_fmac_f64_e32 v[104:105], v[72:73], v[94:95]
	scratch_load_b128 v[70:73], off, off offset:160
	s_wait_dscnt 0x0
	v_fmac_f64_e32 v[104:105], v[74:75], v[96:97]
	s_wait_loadcnt 0x5
	v_fmac_f64_e32 v[104:105], v[76:77], v[98:99]
	ds_load_2addr_b64 v[74:77], v2 offset0:43 offset1:44
	ds_load_2addr_b64 v[92:95], v2 offset0:45 offset1:46
	s_wait_dscnt 0x1
	v_fmac_f64_e32 v[104:105], v[78:79], v[74:75]
	s_wait_loadcnt 0x4
	s_delay_alu instid0(VALU_DEP_1)
	v_fmac_f64_e32 v[104:105], v[80:81], v[76:77]
	s_clause 0x1
	scratch_load_b128 v[74:77], off, off offset:176
	scratch_load_b128 v[78:81], off, off offset:192
	s_wait_dscnt 0x0
	v_fmac_f64_e32 v[104:105], v[82:83], v[92:93]
	s_wait_loadcnt 0x5
	s_delay_alu instid0(VALU_DEP_1)
	v_fmac_f64_e32 v[104:105], v[84:85], v[94:95]
	ds_load_2addr_b64 v[82:85], v2 offset0:47 offset1:48
	ds_load_2addr_b64 v[92:95], v2 offset0:49 offset1:50
	s_wait_dscnt 0x1
	v_fmac_f64_e32 v[104:105], v[86:87], v[82:83]
	s_wait_loadcnt 0x4
	s_delay_alu instid0(VALU_DEP_1)
	v_fmac_f64_e32 v[104:105], v[88:89], v[84:85]
	s_clause 0x1
	scratch_load_b128 v[82:85], off, off offset:208
	scratch_load_b128 v[86:89], off, off offset:224
	s_wait_dscnt 0x0
	v_fmac_f64_e32 v[104:105], v[90:91], v[92:93]
	s_wait_loadcnt 0x5
	s_delay_alu instid0(VALU_DEP_1)
	v_fmac_f64_e32 v[104:105], v[100:101], v[94:95]
	ds_load_2addr_b64 v[90:93], v2 offset0:51 offset1:52
	ds_load_2addr_b64 v[94:97], v2 offset0:53 offset1:54
	s_wait_dscnt 0x1
	v_fmac_f64_e32 v[104:105], v[102:103], v[90:91]
	s_wait_loadcnt 0x4
	s_delay_alu instid0(VALU_DEP_1) | instskip(SKIP_4) | instid1(VALU_DEP_1)
	v_fmac_f64_e32 v[104:105], v[70:71], v[92:93]
	scratch_load_b128 v[90:93], off, off offset:240
	s_wait_dscnt 0x0
	v_fmac_f64_e32 v[104:105], v[72:73], v[94:95]
	s_wait_loadcnt 0x4
	v_fmac_f64_e32 v[104:105], v[74:75], v[96:97]
	ds_load_2addr_b64 v[70:73], v2 offset0:55 offset1:56
	ds_load_2addr_b64 v[94:97], v2 offset0:57 offset1:58
	s_wait_dscnt 0x1
	v_fmac_f64_e32 v[104:105], v[76:77], v[70:71]
	s_wait_loadcnt 0x3
	s_delay_alu instid0(VALU_DEP_1)
	v_fmac_f64_e32 v[104:105], v[78:79], v[72:73]
	ds_load_2addr_b64 v[70:73], v2 offset0:59 offset1:60
	ds_load_2addr_b64 v[74:77], v2 offset0:61 offset1:62
	s_wait_dscnt 0x2
	v_fmac_f64_e32 v[104:105], v[80:81], v[94:95]
	s_wait_loadcnt 0x2
	s_delay_alu instid0(VALU_DEP_1) | instskip(SKIP_1) | instid1(VALU_DEP_1)
	v_fmac_f64_e32 v[104:105], v[82:83], v[96:97]
	s_wait_dscnt 0x1
	v_fmac_f64_e32 v[104:105], v[84:85], v[70:71]
	ds_load_b64 v[70:71], v2 offset:504
	s_wait_loadcnt 0x1
	v_fmac_f64_e32 v[104:105], v[86:87], v[72:73]
	s_wait_dscnt 0x1
	s_delay_alu instid0(VALU_DEP_1) | instskip(SKIP_1) | instid1(VALU_DEP_1)
	v_fmac_f64_e32 v[104:105], v[88:89], v[74:75]
	s_wait_loadcnt 0x0
	v_fmac_f64_e32 v[104:105], v[90:91], v[76:77]
	s_wait_dscnt 0x0
	s_delay_alu instid0(VALU_DEP_1) | instskip(NEXT) | instid1(VALU_DEP_1)
	v_fmac_f64_e32 v[104:105], v[92:93], v[70:71]
	v_add_f64_e64 v[68:69], v[68:69], -v[104:105]
	scratch_store_b64 off, v[68:69], off offset:48
	s_wait_xcnt 0x0
	v_cmpx_lt_u32_e32 5, v0
	s_cbranch_execz .LBB31_191
; %bb.190:
	scratch_load_b64 v[68:69], off, off offset:40
	v_mov_b64_e32 v[70:71], 0
	scratch_store_b64 off, v[70:71], off offset:40
	s_wait_loadcnt 0x0
	ds_store_b64 v1, v[68:69]
.LBB31_191:
	s_wait_xcnt 0x0
	s_or_b32 exec_lo, exec_lo, s0
	s_wait_storecnt_dscnt 0x0
	s_barrier_signal -1
	s_barrier_wait -1
	s_clause 0x5
	scratch_load_b128 v[68:71], off, off offset:40
	scratch_load_b128 v[72:75], off, off offset:56
	;; [unrolled: 1-line block ×6, first 2 shown]
	ds_load_b128 v[92:95], v2 offset:304
	ds_load_b128 v[96:99], v2 offset:320
	scratch_load_b128 v[100:103], off, off offset:136
	s_mov_b32 s0, exec_lo
	s_wait_loadcnt_dscnt 0x601
	v_fma_f64 v[104:105], v[70:71], v[92:93], 0
	s_wait_loadcnt 0x5
	s_delay_alu instid0(VALU_DEP_1) | instskip(SKIP_4) | instid1(VALU_DEP_1)
	v_fmac_f64_e32 v[104:105], v[72:73], v[94:95]
	scratch_load_b128 v[70:73], off, off offset:152
	s_wait_dscnt 0x0
	v_fmac_f64_e32 v[104:105], v[74:75], v[96:97]
	s_wait_loadcnt 0x5
	v_fmac_f64_e32 v[104:105], v[76:77], v[98:99]
	ds_load_b128 v[74:77], v2 offset:336
	ds_load_b128 v[92:95], v2 offset:352
	scratch_load_b128 v[96:99], off, off offset:168
	s_wait_dscnt 0x1
	v_fmac_f64_e32 v[104:105], v[78:79], v[74:75]
	s_wait_loadcnt 0x5
	s_delay_alu instid0(VALU_DEP_1) | instskip(SKIP_4) | instid1(VALU_DEP_1)
	v_fmac_f64_e32 v[104:105], v[80:81], v[76:77]
	scratch_load_b128 v[74:77], off, off offset:184
	s_wait_dscnt 0x0
	v_fmac_f64_e32 v[104:105], v[82:83], v[92:93]
	s_wait_loadcnt 0x5
	v_fmac_f64_e32 v[104:105], v[84:85], v[94:95]
	ds_load_b128 v[78:81], v2 offset:368
	ds_load_b128 v[82:85], v2 offset:384
	s_wait_dscnt 0x1
	v_fmac_f64_e32 v[104:105], v[86:87], v[78:79]
	s_wait_loadcnt 0x4
	s_delay_alu instid0(VALU_DEP_1) | instskip(SKIP_4) | instid1(VALU_DEP_1)
	v_fmac_f64_e32 v[104:105], v[88:89], v[80:81]
	scratch_load_b128 v[78:81], off, off offset:200
	s_wait_dscnt 0x0
	v_fmac_f64_e32 v[104:105], v[90:91], v[82:83]
	s_wait_loadcnt 0x4
	v_fmac_f64_e32 v[104:105], v[100:101], v[84:85]
	scratch_load_b128 v[82:85], off, off offset:216
	ds_load_b128 v[86:89], v2 offset:400
	ds_load_b128 v[90:93], v2 offset:416
	scratch_load_b64 v[94:95], off, off offset:248
	s_wait_dscnt 0x1
	v_fmac_f64_e32 v[104:105], v[102:103], v[86:87]
	s_wait_loadcnt 0x5
	s_delay_alu instid0(VALU_DEP_1) | instskip(SKIP_4) | instid1(VALU_DEP_1)
	v_fmac_f64_e32 v[104:105], v[70:71], v[88:89]
	scratch_load_b128 v[86:89], off, off offset:232
	s_wait_dscnt 0x0
	v_fmac_f64_e32 v[104:105], v[72:73], v[90:91]
	s_wait_loadcnt 0x5
	v_fmac_f64_e32 v[104:105], v[96:97], v[92:93]
	ds_load_b128 v[70:73], v2 offset:432
	ds_load_b128 v[90:93], v2 offset:448
	s_wait_dscnt 0x1
	v_fmac_f64_e32 v[104:105], v[98:99], v[70:71]
	s_wait_loadcnt 0x4
	s_delay_alu instid0(VALU_DEP_1) | instskip(SKIP_1) | instid1(VALU_DEP_1)
	v_fmac_f64_e32 v[104:105], v[74:75], v[72:73]
	s_wait_dscnt 0x0
	v_fmac_f64_e32 v[104:105], v[76:77], v[90:91]
	ds_load_b128 v[70:73], v2 offset:464
	ds_load_b128 v[74:77], v2 offset:480
	s_wait_loadcnt 0x3
	v_fmac_f64_e32 v[104:105], v[78:79], v[92:93]
	s_wait_dscnt 0x1
	s_delay_alu instid0(VALU_DEP_1) | instskip(SKIP_1) | instid1(VALU_DEP_1)
	v_fmac_f64_e32 v[104:105], v[80:81], v[70:71]
	s_wait_loadcnt 0x2
	v_fmac_f64_e32 v[104:105], v[82:83], v[72:73]
	ds_load_b128 v[70:73], v2 offset:496
	s_wait_dscnt 0x1
	v_fmac_f64_e32 v[104:105], v[84:85], v[74:75]
	s_wait_loadcnt 0x0
	s_delay_alu instid0(VALU_DEP_1) | instskip(SKIP_1) | instid1(VALU_DEP_1)
	v_fmac_f64_e32 v[104:105], v[86:87], v[76:77]
	s_wait_dscnt 0x0
	v_fmac_f64_e32 v[104:105], v[88:89], v[70:71]
	s_delay_alu instid0(VALU_DEP_1) | instskip(NEXT) | instid1(VALU_DEP_1)
	v_fmac_f64_e32 v[104:105], v[94:95], v[72:73]
	v_add_f64_e64 v[2:3], v[68:69], -v[104:105]
	scratch_store_b64 off, v[2:3], off offset:40
	s_wait_xcnt 0x0
	v_cmpx_lt_u32_e32 4, v0
	s_cbranch_execz .LBB31_193
; %bb.192:
	scratch_load_b64 v[2:3], off, off offset:32
	v_mov_b64_e32 v[68:69], 0
	scratch_store_b64 off, v[68:69], off offset:32
	s_wait_loadcnt 0x0
	ds_store_b64 v1, v[2:3]
.LBB31_193:
	s_wait_xcnt 0x0
	s_or_b32 exec_lo, exec_lo, s0
	s_wait_storecnt_dscnt 0x0
	s_barrier_signal -1
	s_barrier_wait -1
	s_clause 0x5
	scratch_load_b128 v[68:71], off, off offset:32
	scratch_load_b128 v[72:75], off, off offset:48
	;; [unrolled: 1-line block ×6, first 2 shown]
	v_mov_b32_e32 v2, 0
	ds_load_2addr_b64 v[92:95], v2 offset0:37 offset1:38
	ds_load_2addr_b64 v[96:99], v2 offset0:39 offset1:40
	scratch_load_b128 v[100:103], off, off offset:128
	s_mov_b32 s0, exec_lo
	s_wait_loadcnt_dscnt 0x601
	v_fma_f64 v[104:105], v[70:71], v[92:93], 0
	s_wait_loadcnt 0x5
	s_delay_alu instid0(VALU_DEP_1) | instskip(SKIP_4) | instid1(VALU_DEP_1)
	v_fmac_f64_e32 v[104:105], v[72:73], v[94:95]
	scratch_load_b128 v[70:73], off, off offset:144
	s_wait_dscnt 0x0
	v_fmac_f64_e32 v[104:105], v[74:75], v[96:97]
	s_wait_loadcnt 0x5
	v_fmac_f64_e32 v[104:105], v[76:77], v[98:99]
	ds_load_2addr_b64 v[74:77], v2 offset0:41 offset1:42
	ds_load_2addr_b64 v[92:95], v2 offset0:43 offset1:44
	scratch_load_b128 v[96:99], off, off offset:160
	s_wait_dscnt 0x1
	v_fmac_f64_e32 v[104:105], v[78:79], v[74:75]
	s_wait_loadcnt 0x5
	s_delay_alu instid0(VALU_DEP_1) | instskip(SKIP_4) | instid1(VALU_DEP_1)
	v_fmac_f64_e32 v[104:105], v[80:81], v[76:77]
	scratch_load_b128 v[74:77], off, off offset:176
	s_wait_dscnt 0x0
	v_fmac_f64_e32 v[104:105], v[82:83], v[92:93]
	s_wait_loadcnt 0x5
	v_fmac_f64_e32 v[104:105], v[84:85], v[94:95]
	ds_load_2addr_b64 v[78:81], v2 offset0:45 offset1:46
	ds_load_2addr_b64 v[82:85], v2 offset0:47 offset1:48
	s_wait_dscnt 0x1
	v_fmac_f64_e32 v[104:105], v[86:87], v[78:79]
	s_wait_loadcnt 0x4
	s_delay_alu instid0(VALU_DEP_1) | instskip(SKIP_4) | instid1(VALU_DEP_1)
	v_fmac_f64_e32 v[104:105], v[88:89], v[80:81]
	scratch_load_b128 v[78:81], off, off offset:192
	s_wait_dscnt 0x0
	v_fmac_f64_e32 v[104:105], v[90:91], v[82:83]
	s_wait_loadcnt 0x4
	v_fmac_f64_e32 v[104:105], v[100:101], v[84:85]
	scratch_load_b128 v[82:85], off, off offset:208
	ds_load_2addr_b64 v[86:89], v2 offset0:49 offset1:50
	ds_load_2addr_b64 v[90:93], v2 offset0:51 offset1:52
	s_wait_dscnt 0x1
	v_fmac_f64_e32 v[104:105], v[102:103], v[86:87]
	s_wait_loadcnt 0x4
	s_delay_alu instid0(VALU_DEP_1)
	v_fmac_f64_e32 v[104:105], v[70:71], v[88:89]
	scratch_load_b128 v[86:89], off, off offset:224
	s_wait_dscnt 0x0
	v_fmac_f64_e32 v[104:105], v[72:73], v[90:91]
	scratch_load_b128 v[70:73], off, off offset:240
	s_wait_loadcnt 0x5
	v_fmac_f64_e32 v[104:105], v[96:97], v[92:93]
	ds_load_2addr_b64 v[90:93], v2 offset0:53 offset1:54
	ds_load_2addr_b64 v[94:97], v2 offset0:55 offset1:56
	s_wait_dscnt 0x1
	v_fmac_f64_e32 v[104:105], v[98:99], v[90:91]
	s_wait_loadcnt 0x4
	s_delay_alu instid0(VALU_DEP_1) | instskip(SKIP_1) | instid1(VALU_DEP_1)
	v_fmac_f64_e32 v[104:105], v[74:75], v[92:93]
	s_wait_dscnt 0x0
	v_fmac_f64_e32 v[104:105], v[76:77], v[94:95]
	ds_load_2addr_b64 v[74:77], v2 offset0:57 offset1:58
	ds_load_2addr_b64 v[90:93], v2 offset0:59 offset1:60
	s_wait_loadcnt 0x3
	v_fmac_f64_e32 v[104:105], v[78:79], v[96:97]
	s_wait_dscnt 0x1
	s_delay_alu instid0(VALU_DEP_1) | instskip(SKIP_1) | instid1(VALU_DEP_1)
	v_fmac_f64_e32 v[104:105], v[80:81], v[74:75]
	s_wait_loadcnt 0x2
	v_fmac_f64_e32 v[104:105], v[82:83], v[76:77]
	ds_load_2addr_b64 v[74:77], v2 offset0:61 offset1:62
	ds_load_b64 v[78:79], v2 offset:504
	s_wait_dscnt 0x2
	v_fmac_f64_e32 v[104:105], v[84:85], v[90:91]
	s_wait_loadcnt 0x1
	s_delay_alu instid0(VALU_DEP_1) | instskip(SKIP_1) | instid1(VALU_DEP_1)
	v_fmac_f64_e32 v[104:105], v[86:87], v[92:93]
	s_wait_dscnt 0x1
	v_fmac_f64_e32 v[104:105], v[88:89], v[74:75]
	s_wait_loadcnt 0x0
	s_delay_alu instid0(VALU_DEP_1) | instskip(SKIP_1) | instid1(VALU_DEP_1)
	v_fmac_f64_e32 v[104:105], v[70:71], v[76:77]
	s_wait_dscnt 0x0
	v_fmac_f64_e32 v[104:105], v[72:73], v[78:79]
	s_delay_alu instid0(VALU_DEP_1)
	v_add_f64_e64 v[68:69], v[68:69], -v[104:105]
	scratch_store_b64 off, v[68:69], off offset:32
	s_wait_xcnt 0x0
	v_cmpx_lt_u32_e32 3, v0
	s_cbranch_execz .LBB31_195
; %bb.194:
	scratch_load_b64 v[68:69], off, off offset:24
	v_mov_b64_e32 v[70:71], 0
	scratch_store_b64 off, v[70:71], off offset:24
	s_wait_loadcnt 0x0
	ds_store_b64 v1, v[68:69]
.LBB31_195:
	s_wait_xcnt 0x0
	s_or_b32 exec_lo, exec_lo, s0
	s_wait_storecnt_dscnt 0x0
	s_barrier_signal -1
	s_barrier_wait -1
	s_clause 0x5
	scratch_load_b128 v[68:71], off, off offset:24
	scratch_load_b128 v[72:75], off, off offset:40
	;; [unrolled: 1-line block ×6, first 2 shown]
	ds_load_b128 v[92:95], v2 offset:288
	ds_load_b128 v[96:99], v2 offset:304
	scratch_load_b128 v[100:103], off, off offset:120
	s_mov_b32 s0, exec_lo
	s_wait_loadcnt_dscnt 0x601
	v_fma_f64 v[104:105], v[70:71], v[92:93], 0
	s_wait_loadcnt 0x5
	s_delay_alu instid0(VALU_DEP_1) | instskip(SKIP_4) | instid1(VALU_DEP_1)
	v_fmac_f64_e32 v[104:105], v[72:73], v[94:95]
	scratch_load_b128 v[70:73], off, off offset:136
	s_wait_dscnt 0x0
	v_fmac_f64_e32 v[104:105], v[74:75], v[96:97]
	s_wait_loadcnt 0x5
	v_fmac_f64_e32 v[104:105], v[76:77], v[98:99]
	ds_load_b128 v[74:77], v2 offset:320
	ds_load_b128 v[92:95], v2 offset:336
	scratch_load_b128 v[96:99], off, off offset:152
	s_wait_dscnt 0x1
	v_fmac_f64_e32 v[104:105], v[78:79], v[74:75]
	s_wait_loadcnt 0x5
	s_delay_alu instid0(VALU_DEP_1) | instskip(SKIP_4) | instid1(VALU_DEP_1)
	v_fmac_f64_e32 v[104:105], v[80:81], v[76:77]
	scratch_load_b128 v[74:77], off, off offset:168
	s_wait_dscnt 0x0
	v_fmac_f64_e32 v[104:105], v[82:83], v[92:93]
	s_wait_loadcnt 0x5
	v_fmac_f64_e32 v[104:105], v[84:85], v[94:95]
	ds_load_b128 v[78:81], v2 offset:352
	ds_load_b128 v[82:85], v2 offset:368
	s_wait_dscnt 0x1
	v_fmac_f64_e32 v[104:105], v[86:87], v[78:79]
	s_wait_loadcnt 0x4
	s_delay_alu instid0(VALU_DEP_1) | instskip(SKIP_4) | instid1(VALU_DEP_1)
	v_fmac_f64_e32 v[104:105], v[88:89], v[80:81]
	scratch_load_b128 v[78:81], off, off offset:184
	s_wait_dscnt 0x0
	v_fmac_f64_e32 v[104:105], v[90:91], v[82:83]
	s_wait_loadcnt 0x4
	v_fmac_f64_e32 v[104:105], v[100:101], v[84:85]
	scratch_load_b128 v[82:85], off, off offset:200
	ds_load_b128 v[86:89], v2 offset:384
	ds_load_b128 v[90:93], v2 offset:400
	s_wait_dscnt 0x1
	v_fmac_f64_e32 v[104:105], v[102:103], v[86:87]
	s_wait_loadcnt 0x4
	s_delay_alu instid0(VALU_DEP_1)
	v_fmac_f64_e32 v[104:105], v[70:71], v[88:89]
	scratch_load_b128 v[86:89], off, off offset:216
	s_wait_dscnt 0x0
	v_fmac_f64_e32 v[104:105], v[72:73], v[90:91]
	scratch_load_b128 v[70:73], off, off offset:232
	s_wait_loadcnt 0x5
	v_fmac_f64_e32 v[104:105], v[96:97], v[92:93]
	ds_load_b128 v[90:93], v2 offset:416
	ds_load_b128 v[94:97], v2 offset:432
	s_wait_dscnt 0x1
	v_fmac_f64_e32 v[104:105], v[98:99], v[90:91]
	scratch_load_b64 v[98:99], off, off offset:248
	s_wait_loadcnt 0x5
	v_fmac_f64_e32 v[104:105], v[74:75], v[92:93]
	s_wait_dscnt 0x0
	s_delay_alu instid0(VALU_DEP_1)
	v_fmac_f64_e32 v[104:105], v[76:77], v[94:95]
	ds_load_b128 v[74:77], v2 offset:448
	ds_load_b128 v[90:93], v2 offset:464
	s_wait_loadcnt 0x4
	v_fmac_f64_e32 v[104:105], v[78:79], v[96:97]
	s_wait_dscnt 0x1
	s_delay_alu instid0(VALU_DEP_1) | instskip(SKIP_1) | instid1(VALU_DEP_1)
	v_fmac_f64_e32 v[104:105], v[80:81], v[74:75]
	s_wait_loadcnt 0x3
	v_fmac_f64_e32 v[104:105], v[82:83], v[76:77]
	ds_load_b128 v[74:77], v2 offset:480
	ds_load_b128 v[78:81], v2 offset:496
	s_wait_dscnt 0x2
	v_fmac_f64_e32 v[104:105], v[84:85], v[90:91]
	s_wait_loadcnt 0x2
	s_delay_alu instid0(VALU_DEP_1) | instskip(SKIP_1) | instid1(VALU_DEP_1)
	v_fmac_f64_e32 v[104:105], v[86:87], v[92:93]
	s_wait_dscnt 0x1
	v_fmac_f64_e32 v[104:105], v[88:89], v[74:75]
	s_wait_loadcnt 0x1
	s_delay_alu instid0(VALU_DEP_1) | instskip(SKIP_1) | instid1(VALU_DEP_1)
	v_fmac_f64_e32 v[104:105], v[70:71], v[76:77]
	s_wait_dscnt 0x0
	v_fmac_f64_e32 v[104:105], v[72:73], v[78:79]
	s_wait_loadcnt 0x0
	s_delay_alu instid0(VALU_DEP_1) | instskip(NEXT) | instid1(VALU_DEP_1)
	v_fmac_f64_e32 v[104:105], v[98:99], v[80:81]
	v_add_f64_e64 v[2:3], v[68:69], -v[104:105]
	scratch_store_b64 off, v[2:3], off offset:24
	s_wait_xcnt 0x0
	v_cmpx_lt_u32_e32 2, v0
	s_cbranch_execz .LBB31_197
; %bb.196:
	scratch_load_b64 v[2:3], off, off offset:16
	v_mov_b64_e32 v[68:69], 0
	scratch_store_b64 off, v[68:69], off offset:16
	s_wait_loadcnt 0x0
	ds_store_b64 v1, v[2:3]
.LBB31_197:
	s_wait_xcnt 0x0
	s_or_b32 exec_lo, exec_lo, s0
	s_wait_storecnt_dscnt 0x0
	s_barrier_signal -1
	s_barrier_wait -1
	s_clause 0x5
	scratch_load_b128 v[68:71], off, off offset:16
	scratch_load_b128 v[72:75], off, off offset:32
	;; [unrolled: 1-line block ×6, first 2 shown]
	v_mov_b32_e32 v2, 0
	ds_load_2addr_b64 v[92:95], v2 offset0:35 offset1:36
	ds_load_2addr_b64 v[96:99], v2 offset0:37 offset1:38
	scratch_load_b128 v[100:103], off, off offset:112
	s_mov_b32 s0, exec_lo
	s_wait_loadcnt_dscnt 0x601
	v_fma_f64 v[104:105], v[70:71], v[92:93], 0
	s_wait_loadcnt 0x5
	s_delay_alu instid0(VALU_DEP_1) | instskip(SKIP_4) | instid1(VALU_DEP_1)
	v_fmac_f64_e32 v[104:105], v[72:73], v[94:95]
	scratch_load_b128 v[70:73], off, off offset:128
	s_wait_dscnt 0x0
	v_fmac_f64_e32 v[104:105], v[74:75], v[96:97]
	s_wait_loadcnt 0x5
	v_fmac_f64_e32 v[104:105], v[76:77], v[98:99]
	ds_load_2addr_b64 v[74:77], v2 offset0:39 offset1:40
	ds_load_2addr_b64 v[92:95], v2 offset0:41 offset1:42
	scratch_load_b128 v[96:99], off, off offset:144
	s_wait_dscnt 0x1
	v_fmac_f64_e32 v[104:105], v[78:79], v[74:75]
	s_wait_loadcnt 0x5
	s_delay_alu instid0(VALU_DEP_1) | instskip(SKIP_4) | instid1(VALU_DEP_1)
	v_fmac_f64_e32 v[104:105], v[80:81], v[76:77]
	scratch_load_b128 v[74:77], off, off offset:160
	s_wait_dscnt 0x0
	v_fmac_f64_e32 v[104:105], v[82:83], v[92:93]
	s_wait_loadcnt 0x5
	v_fmac_f64_e32 v[104:105], v[84:85], v[94:95]
	ds_load_2addr_b64 v[78:81], v2 offset0:43 offset1:44
	ds_load_2addr_b64 v[82:85], v2 offset0:45 offset1:46
	s_wait_dscnt 0x1
	v_fmac_f64_e32 v[104:105], v[86:87], v[78:79]
	s_wait_loadcnt 0x4
	s_delay_alu instid0(VALU_DEP_1) | instskip(SKIP_4) | instid1(VALU_DEP_1)
	v_fmac_f64_e32 v[104:105], v[88:89], v[80:81]
	scratch_load_b128 v[78:81], off, off offset:176
	s_wait_dscnt 0x0
	v_fmac_f64_e32 v[104:105], v[90:91], v[82:83]
	s_wait_loadcnt 0x4
	v_fmac_f64_e32 v[104:105], v[100:101], v[84:85]
	scratch_load_b128 v[82:85], off, off offset:192
	ds_load_2addr_b64 v[86:89], v2 offset0:47 offset1:48
	ds_load_2addr_b64 v[90:93], v2 offset0:49 offset1:50
	s_wait_dscnt 0x1
	v_fmac_f64_e32 v[104:105], v[102:103], v[86:87]
	s_wait_loadcnt 0x4
	s_delay_alu instid0(VALU_DEP_1)
	v_fmac_f64_e32 v[104:105], v[70:71], v[88:89]
	scratch_load_b128 v[86:89], off, off offset:208
	s_wait_dscnt 0x0
	v_fmac_f64_e32 v[104:105], v[72:73], v[90:91]
	scratch_load_b128 v[70:73], off, off offset:224
	s_wait_loadcnt 0x5
	v_fmac_f64_e32 v[104:105], v[96:97], v[92:93]
	ds_load_2addr_b64 v[90:93], v2 offset0:51 offset1:52
	ds_load_2addr_b64 v[94:97], v2 offset0:53 offset1:54
	s_wait_dscnt 0x1
	v_fmac_f64_e32 v[104:105], v[98:99], v[90:91]
	s_wait_loadcnt 0x4
	s_delay_alu instid0(VALU_DEP_1) | instskip(SKIP_4) | instid1(VALU_DEP_1)
	v_fmac_f64_e32 v[104:105], v[74:75], v[92:93]
	scratch_load_b128 v[90:93], off, off offset:240
	s_wait_dscnt 0x0
	v_fmac_f64_e32 v[104:105], v[76:77], v[94:95]
	s_wait_loadcnt 0x4
	v_fmac_f64_e32 v[104:105], v[78:79], v[96:97]
	ds_load_2addr_b64 v[74:77], v2 offset0:55 offset1:56
	ds_load_2addr_b64 v[94:97], v2 offset0:57 offset1:58
	s_wait_dscnt 0x1
	v_fmac_f64_e32 v[104:105], v[80:81], v[74:75]
	s_wait_loadcnt 0x3
	s_delay_alu instid0(VALU_DEP_1)
	v_fmac_f64_e32 v[104:105], v[82:83], v[76:77]
	ds_load_2addr_b64 v[74:77], v2 offset0:59 offset1:60
	ds_load_2addr_b64 v[78:81], v2 offset0:61 offset1:62
	s_wait_dscnt 0x2
	v_fmac_f64_e32 v[104:105], v[84:85], v[94:95]
	s_wait_loadcnt 0x2
	s_delay_alu instid0(VALU_DEP_1) | instskip(SKIP_1) | instid1(VALU_DEP_1)
	v_fmac_f64_e32 v[104:105], v[86:87], v[96:97]
	s_wait_dscnt 0x1
	v_fmac_f64_e32 v[104:105], v[88:89], v[74:75]
	s_wait_loadcnt 0x1
	s_delay_alu instid0(VALU_DEP_1) | instskip(SKIP_4) | instid1(VALU_DEP_1)
	v_fmac_f64_e32 v[104:105], v[70:71], v[76:77]
	ds_load_b64 v[70:71], v2 offset:504
	s_wait_dscnt 0x1
	v_fmac_f64_e32 v[104:105], v[72:73], v[78:79]
	s_wait_loadcnt 0x0
	v_fmac_f64_e32 v[104:105], v[90:91], v[80:81]
	s_wait_dscnt 0x0
	s_delay_alu instid0(VALU_DEP_1) | instskip(NEXT) | instid1(VALU_DEP_1)
	v_fmac_f64_e32 v[104:105], v[92:93], v[70:71]
	v_add_f64_e64 v[68:69], v[68:69], -v[104:105]
	scratch_store_b64 off, v[68:69], off offset:16
	s_wait_xcnt 0x0
	v_cmpx_lt_u32_e32 1, v0
	s_cbranch_execz .LBB31_199
; %bb.198:
	scratch_load_b64 v[68:69], off, off offset:8
	v_mov_b64_e32 v[70:71], 0
	scratch_store_b64 off, v[70:71], off offset:8
	s_wait_loadcnt 0x0
	ds_store_b64 v1, v[68:69]
.LBB31_199:
	s_wait_xcnt 0x0
	s_or_b32 exec_lo, exec_lo, s0
	s_wait_storecnt_dscnt 0x0
	s_barrier_signal -1
	s_barrier_wait -1
	s_clause 0x3
	scratch_load_b128 v[68:71], off, off offset:8
	scratch_load_b128 v[72:75], off, off offset:24
	scratch_load_b128 v[76:79], off, off offset:40
	scratch_load_b128 v[80:83], off, off offset:56
	ds_load_b128 v[84:87], v2 offset:272
	ds_load_b128 v[88:91], v2 offset:288
	scratch_load_b128 v[92:95], off, off offset:72
	v_dual_ashrrev_i32 v9, 31, v8 :: v_dual_ashrrev_i32 v11, 31, v10
	v_dual_ashrrev_i32 v13, 31, v12 :: v_dual_ashrrev_i32 v15, 31, v14
	;; [unrolled: 1-line block ×14, first 2 shown]
	v_ashrrev_i32_e32 v65, 31, v64
	s_mov_b32 s0, exec_lo
	v_ashrrev_i32_e32 v19, 31, v18
	s_wait_loadcnt_dscnt 0x401
	v_fma_f64 v[96:97], v[70:71], v[84:85], 0
	s_wait_loadcnt 0x3
	s_delay_alu instid0(VALU_DEP_1) | instskip(SKIP_4) | instid1(VALU_DEP_1)
	v_fmac_f64_e32 v[96:97], v[72:73], v[86:87]
	scratch_load_b128 v[70:73], off, off offset:88
	s_wait_dscnt 0x0
	v_fmac_f64_e32 v[96:97], v[74:75], v[88:89]
	s_wait_loadcnt 0x3
	v_fmac_f64_e32 v[96:97], v[76:77], v[90:91]
	ds_load_b128 v[74:77], v2 offset:304
	ds_load_b128 v[84:87], v2 offset:320
	scratch_load_b128 v[88:91], off, off offset:104
	s_wait_dscnt 0x1
	v_fmac_f64_e32 v[96:97], v[78:79], v[74:75]
	s_wait_loadcnt 0x3
	s_delay_alu instid0(VALU_DEP_1)
	v_fmac_f64_e32 v[96:97], v[80:81], v[76:77]
	scratch_load_b128 v[74:77], off, off offset:120
	s_wait_dscnt 0x0
	v_fmac_f64_e32 v[96:97], v[82:83], v[84:85]
	ds_load_b128 v[78:81], v2 offset:336
	ds_load_b128 v[82:85], v2 offset:352
	s_wait_loadcnt 0x3
	v_fmac_f64_e32 v[96:97], v[92:93], v[86:87]
	s_wait_dscnt 0x1
	s_delay_alu instid0(VALU_DEP_1) | instskip(SKIP_4) | instid1(VALU_DEP_1)
	v_fmac_f64_e32 v[96:97], v[94:95], v[78:79]
	scratch_load_b128 v[92:95], off, off offset:136
	s_wait_loadcnt 0x3
	v_fmac_f64_e32 v[96:97], v[70:71], v[80:81]
	s_wait_dscnt 0x0
	v_fmac_f64_e32 v[96:97], v[72:73], v[82:83]
	scratch_load_b128 v[70:73], off, off offset:152
	s_wait_loadcnt 0x3
	v_fmac_f64_e32 v[96:97], v[88:89], v[84:85]
	ds_load_b128 v[78:81], v2 offset:368
	ds_load_b128 v[82:85], v2 offset:384
	scratch_load_b128 v[86:89], off, off offset:168
	s_wait_dscnt 0x1
	v_fmac_f64_e32 v[96:97], v[90:91], v[78:79]
	s_wait_loadcnt 0x3
	s_delay_alu instid0(VALU_DEP_1) | instskip(SKIP_4) | instid1(VALU_DEP_1)
	v_fmac_f64_e32 v[96:97], v[74:75], v[80:81]
	scratch_load_b128 v[78:81], off, off offset:184
	s_wait_dscnt 0x0
	v_fmac_f64_e32 v[96:97], v[76:77], v[82:83]
	s_wait_loadcnt 0x3
	v_fmac_f64_e32 v[96:97], v[92:93], v[84:85]
	ds_load_b128 v[74:77], v2 offset:400
	ds_load_b128 v[82:85], v2 offset:416
	scratch_load_b128 v[90:93], off, off offset:200
	s_wait_dscnt 0x1
	v_fmac_f64_e32 v[96:97], v[94:95], v[74:75]
	s_wait_loadcnt 0x3
	s_delay_alu instid0(VALU_DEP_1) | instskip(SKIP_1) | instid1(VALU_DEP_1)
	v_fmac_f64_e32 v[96:97], v[70:71], v[76:77]
	s_wait_dscnt 0x0
	v_fmac_f64_e32 v[96:97], v[72:73], v[82:83]
	scratch_load_b128 v[70:73], off, off offset:216
	s_wait_loadcnt 0x3
	v_fmac_f64_e32 v[96:97], v[86:87], v[84:85]
	ds_load_b128 v[74:77], v2 offset:432
	ds_load_b128 v[82:85], v2 offset:448
	scratch_load_b64 v[94:95], off, off offset:248
	s_wait_dscnt 0x1
	v_fmac_f64_e32 v[96:97], v[88:89], v[74:75]
	scratch_load_b128 v[86:89], off, off offset:232
	s_wait_loadcnt 0x4
	v_fmac_f64_e32 v[96:97], v[78:79], v[76:77]
	s_wait_dscnt 0x0
	s_delay_alu instid0(VALU_DEP_1)
	v_fmac_f64_e32 v[96:97], v[80:81], v[82:83]
	ds_load_b128 v[74:77], v2 offset:464
	ds_load_b128 v[78:81], v2 offset:480
	s_wait_loadcnt 0x3
	v_fmac_f64_e32 v[96:97], v[90:91], v[84:85]
	s_wait_dscnt 0x1
	s_delay_alu instid0(VALU_DEP_1) | instskip(SKIP_1) | instid1(VALU_DEP_1)
	v_fmac_f64_e32 v[96:97], v[92:93], v[74:75]
	s_wait_loadcnt 0x2
	v_fmac_f64_e32 v[96:97], v[70:71], v[76:77]
	s_wait_dscnt 0x0
	s_delay_alu instid0(VALU_DEP_1) | instskip(SKIP_4) | instid1(VALU_DEP_1)
	v_fmac_f64_e32 v[96:97], v[72:73], v[78:79]
	ds_load_b128 v[70:73], v2 offset:496
	s_wait_loadcnt 0x0
	v_fmac_f64_e32 v[96:97], v[86:87], v[80:81]
	s_wait_dscnt 0x0
	v_fmac_f64_e32 v[96:97], v[88:89], v[70:71]
	s_delay_alu instid0(VALU_DEP_1) | instskip(NEXT) | instid1(VALU_DEP_1)
	v_fmac_f64_e32 v[96:97], v[94:95], v[72:73]
	v_add_f64_e64 v[2:3], v[68:69], -v[96:97]
	scratch_store_b64 off, v[2:3], off offset:8
	s_wait_xcnt 0x0
	v_cmpx_ne_u32_e32 0, v0
	s_cbranch_execz .LBB31_201
; %bb.200:
	scratch_load_b64 v[2:3], off, off
	v_mov_b64_e32 v[68:69], 0
	scratch_store_b64 off, v[68:69], off
	s_wait_loadcnt 0x0
	ds_store_b64 v1, v[2:3]
.LBB31_201:
	s_wait_xcnt 0x0
	s_or_b32 exec_lo, exec_lo, s0
	s_wait_storecnt_dscnt 0x0
	s_barrier_signal -1
	s_barrier_wait -1
	s_clause 0x5
	scratch_load_b128 v[70:73], off, off
	scratch_load_b128 v[0:3], off, off offset:16
	scratch_load_b128 v[74:77], off, off offset:32
	;; [unrolled: 1-line block ×5, first 2 shown]
	v_mov_b32_e32 v68, 0
	scratch_load_b128 v[94:97], off, off offset:96
	s_and_b32 vcc_lo, exec_lo, s18
	scratch_load_b128 v[98:101], off, off offset:208
	ds_load_2addr_b64 v[90:93], v68 offset0:33 offset1:34
	s_wait_loadcnt_dscnt 0x700
	v_fma_f64 v[102:103], v[72:73], v[90:91], 0
	s_wait_loadcnt 0x6
	s_delay_alu instid0(VALU_DEP_1)
	v_fmac_f64_e32 v[102:103], v[0:1], v[92:93]
	ds_load_2addr_b64 v[90:93], v68 offset0:35 offset1:36
	s_wait_dscnt 0x0
	v_fmac_f64_e32 v[102:103], v[2:3], v[90:91]
	scratch_load_b128 v[0:3], off, off offset:112
	s_wait_loadcnt 0x6
	v_fmac_f64_e32 v[102:103], v[74:75], v[92:93]
	ds_load_2addr_b64 v[72:75], v68 offset0:37 offset1:38
	scratch_load_b128 v[90:93], off, off offset:128
	s_wait_dscnt 0x0
	v_fmac_f64_e32 v[102:103], v[76:77], v[72:73]
	s_wait_loadcnt 0x6
	s_delay_alu instid0(VALU_DEP_1)
	v_fmac_f64_e32 v[102:103], v[78:79], v[74:75]
	ds_load_2addr_b64 v[72:75], v68 offset0:39 offset1:40
	scratch_load_b128 v[76:79], off, off offset:144
	s_wait_dscnt 0x0
	v_fmac_f64_e32 v[102:103], v[80:81], v[72:73]
	s_wait_loadcnt 0x6
	s_delay_alu instid0(VALU_DEP_1)
	;; [unrolled: 7-line block ×4, first 2 shown]
	v_fmac_f64_e32 v[102:103], v[94:95], v[74:75]
	ds_load_2addr_b64 v[72:75], v68 offset0:45 offset1:46
	s_wait_dscnt 0x0
	v_fmac_f64_e32 v[102:103], v[96:97], v[72:73]
	scratch_load_b128 v[94:97], off, off offset:192
	s_wait_loadcnt 0x5
	v_fmac_f64_e32 v[102:103], v[0:1], v[74:75]
	ds_load_2addr_b64 v[72:75], v68 offset0:47 offset1:48
	s_wait_dscnt 0x0
	v_fmac_f64_e32 v[102:103], v[2:3], v[72:73]
	ds_load_2addr_b64 v[0:3], v68 offset0:49 offset1:50
	s_wait_loadcnt 0x4
	v_fmac_f64_e32 v[102:103], v[90:91], v[74:75]
	ds_load_2addr_b64 v[88:91], v68 offset0:51 offset1:52
	scratch_load_b128 v[72:75], off, off offset:224
	s_wait_dscnt 0x1
	v_fmac_f64_e32 v[102:103], v[92:93], v[0:1]
	s_wait_loadcnt 0x4
	s_delay_alu instid0(VALU_DEP_1)
	v_fmac_f64_e32 v[102:103], v[76:77], v[2:3]
	scratch_load_b128 v[0:3], off, off offset:240
	s_wait_dscnt 0x0
	v_fmac_f64_e32 v[102:103], v[78:79], v[88:89]
	ds_load_2addr_b64 v[76:79], v68 offset0:53 offset1:54
	s_wait_loadcnt 0x4
	v_fmac_f64_e32 v[102:103], v[80:81], v[90:91]
	s_wait_dscnt 0x0
	s_delay_alu instid0(VALU_DEP_1) | instskip(SKIP_1) | instid1(VALU_DEP_1)
	v_fmac_f64_e32 v[102:103], v[82:83], v[76:77]
	s_wait_loadcnt 0x3
	v_fmac_f64_e32 v[102:103], v[84:85], v[78:79]
	ds_load_2addr_b64 v[76:79], v68 offset0:55 offset1:56
	s_wait_dscnt 0x0
	v_fmac_f64_e32 v[102:103], v[86:87], v[76:77]
	s_wait_loadcnt 0x2
	s_delay_alu instid0(VALU_DEP_1) | instskip(SKIP_3) | instid1(VALU_DEP_1)
	v_fmac_f64_e32 v[102:103], v[94:95], v[78:79]
	ds_load_2addr_b64 v[76:79], v68 offset0:57 offset1:58
	s_wait_dscnt 0x0
	v_fmac_f64_e32 v[102:103], v[96:97], v[76:77]
	v_fmac_f64_e32 v[102:103], v[98:99], v[78:79]
	ds_load_2addr_b64 v[76:79], v68 offset0:59 offset1:60
	s_wait_dscnt 0x0
	v_fmac_f64_e32 v[102:103], v[100:101], v[76:77]
	s_wait_loadcnt 0x1
	s_delay_alu instid0(VALU_DEP_1)
	v_fmac_f64_e32 v[102:103], v[72:73], v[78:79]
	ds_load_2addr_b64 v[76:79], v68 offset0:61 offset1:62
	ds_load_b64 v[72:73], v68 offset:504
	s_wait_dscnt 0x1
	v_fmac_f64_e32 v[102:103], v[74:75], v[76:77]
	s_wait_loadcnt 0x0
	s_delay_alu instid0(VALU_DEP_1) | instskip(SKIP_1) | instid1(VALU_DEP_1)
	v_fmac_f64_e32 v[102:103], v[0:1], v[78:79]
	s_wait_dscnt 0x0
	v_fmac_f64_e32 v[102:103], v[2:3], v[72:73]
	s_delay_alu instid0(VALU_DEP_1)
	v_add_f64_e64 v[80:81], v[70:71], -v[102:103]
	scratch_store_b64 off, v[80:81], off
	s_cbranch_vccz .LBB31_264
; %bb.202:
	global_load_b32 v2, v68, s[2:3] offset:120
	s_wait_loadcnt 0x0
	v_cmp_ne_u32_e32 vcc_lo, 31, v2
	s_cbranch_vccz .LBB31_204
; %bb.203:
	v_lshlrev_b32_e32 v2, 3, v2
	s_wait_xcnt 0x0
	s_delay_alu instid0(VALU_DEP_1)
	v_mov_b32_e32 v68, v2
	scratch_load_b64 v[2:3], v68, off offset:-8
	s_wait_loadcnt 0x0
	scratch_store_b64 off, v[2:3], off offset:240
	scratch_store_b64 v68, v[0:1], off offset:-8
.LBB31_204:
	s_wait_xcnt 0x0
	v_mov_b32_e32 v0, 0
	global_load_b32 v1, v0, s[2:3] offset:116
	s_wait_loadcnt 0x0
	v_cmp_eq_u32_e32 vcc_lo, 30, v1
	s_cbranch_vccnz .LBB31_206
; %bb.205:
	v_lshlrev_b32_e32 v1, 3, v1
	scratch_load_b64 v[2:3], v1, off offset:-8
	scratch_load_b64 v[68:69], off, off offset:232
	s_wait_loadcnt 0x1
	scratch_store_b64 off, v[2:3], off offset:232
	s_wait_loadcnt 0x0
	scratch_store_b64 v1, v[68:69], off offset:-8
.LBB31_206:
	global_load_b32 v0, v0, s[2:3] offset:112
	s_wait_loadcnt 0x0
	v_cmp_eq_u32_e32 vcc_lo, 29, v0
	s_cbranch_vccnz .LBB31_208
; %bb.207:
	s_wait_xcnt 0x0
	v_lshlrev_b32_e32 v0, 3, v0
	s_delay_alu instid0(VALU_DEP_1)
	v_mov_b32_e32 v68, v0
	scratch_load_b64 v[0:1], v68, off offset:-8
	scratch_load_b64 v[2:3], off, off offset:224
	s_wait_loadcnt 0x1
	scratch_store_b64 off, v[0:1], off offset:224
	s_wait_loadcnt 0x0
	scratch_store_b64 v68, v[2:3], off offset:-8
.LBB31_208:
	s_wait_xcnt 0x0
	v_mov_b32_e32 v0, 0
	global_load_b32 v1, v0, s[2:3] offset:108
	s_wait_loadcnt 0x0
	v_cmp_eq_u32_e32 vcc_lo, 28, v1
	s_cbranch_vccnz .LBB31_210
; %bb.209:
	v_lshlrev_b32_e32 v1, 3, v1
	scratch_load_b64 v[2:3], v1, off offset:-8
	scratch_load_b64 v[68:69], off, off offset:216
	s_wait_loadcnt 0x1
	scratch_store_b64 off, v[2:3], off offset:216
	s_wait_loadcnt 0x0
	scratch_store_b64 v1, v[68:69], off offset:-8
.LBB31_210:
	global_load_b32 v0, v0, s[2:3] offset:104
	s_wait_loadcnt 0x0
	v_cmp_eq_u32_e32 vcc_lo, 27, v0
	s_cbranch_vccnz .LBB31_212
; %bb.211:
	s_wait_xcnt 0x0
	v_lshlrev_b32_e32 v0, 3, v0
	s_delay_alu instid0(VALU_DEP_1)
	v_mov_b32_e32 v68, v0
	scratch_load_b64 v[0:1], v68, off offset:-8
	scratch_load_b64 v[2:3], off, off offset:208
	s_wait_loadcnt 0x1
	scratch_store_b64 off, v[0:1], off offset:208
	s_wait_loadcnt 0x0
	scratch_store_b64 v68, v[2:3], off offset:-8
.LBB31_212:
	;; [unrolled: 31-line block ×14, first 2 shown]
	s_wait_xcnt 0x0
	v_mov_b32_e32 v0, 0
	global_load_b32 v1, v0, s[2:3] offset:4
	s_wait_loadcnt 0x0
	v_cmp_eq_u32_e32 vcc_lo, 2, v1
	s_cbranch_vccnz .LBB31_262
; %bb.261:
	v_lshlrev_b32_e32 v1, 3, v1
	scratch_load_b64 v[2:3], v1, off offset:-8
	scratch_load_b64 v[68:69], off, off offset:8
	s_wait_loadcnt 0x1
	scratch_store_b64 off, v[2:3], off offset:8
	s_wait_loadcnt 0x0
	scratch_store_b64 v1, v[68:69], off offset:-8
.LBB31_262:
	global_load_b32 v0, v0, s[2:3]
	scratch_load_b64 v[80:81], off, off
	s_wait_loadcnt 0x1
	v_cmp_eq_u32_e32 vcc_lo, 1, v0
	s_cbranch_vccnz .LBB31_264
; %bb.263:
	s_wait_xcnt 0x1
	v_lshlrev_b32_e32 v0, 3, v0
	s_delay_alu instid0(VALU_DEP_1)
	v_mov_b32_e32 v2, v0
	scratch_load_b64 v[0:1], v2, off offset:-8
	s_wait_loadcnt 0x0
	scratch_store_b64 off, v[0:1], off
	scratch_store_b64 v2, v[80:81], off offset:-8
	scratch_load_b64 v[80:81], off, off
.LBB31_264:
	v_lshl_add_u64 v[82:83], v[8:9], 3, s[4:5]
	v_lshl_add_u64 v[78:79], v[10:11], 3, s[4:5]
	;; [unrolled: 1-line block ×6, first 2 shown]
	s_wait_xcnt 0x1
	v_lshl_add_u64 v[0:1], v[22:23], 3, s[4:5]
	v_lshl_add_u64 v[2:3], v[24:25], 3, s[4:5]
	;; [unrolled: 1-line block ×20, first 2 shown]
	s_clause 0x5
	scratch_load_b128 v[50:53], off, off offset:8
	scratch_load_b128 v[54:57], off, off offset:24
	;; [unrolled: 1-line block ×6, first 2 shown]
	v_lshl_add_u64 v[76:77], v[12:13], 3, s[4:5]
	s_wait_loadcnt 0x6
	global_store_b64 v[4:5], v[80:81], off
	v_lshl_add_u64 v[12:13], v[30:31], 3, s[4:5]
	v_lshl_add_u64 v[30:31], v[48:49], 3, s[4:5]
	;; [unrolled: 1-line block ×3, first 2 shown]
	scratch_load_b128 v[92:95], off, off offset:104
	s_wait_loadcnt 0x6
	s_clause 0x1
	global_store_b64 v[6:7], v[50:51], off
	global_store_b64 v[82:83], v[52:53], off
	s_wait_loadcnt 0x5
	s_clause 0x1
	global_store_b64 v[78:79], v[54:55], off
	global_store_b64 v[76:77], v[56:57], off
	;; [unrolled: 4-line block ×4, first 2 shown]
	s_clause 0x8
	scratch_load_b128 v[4:7], off, off offset:120
	scratch_load_b128 v[50:53], off, off offset:136
	;; [unrolled: 1-line block ×8, first 2 shown]
	scratch_load_b64 v[66:67], off, off offset:248
	s_wait_loadcnt 0xb
	s_clause 0x1
	global_store_b64 v[0:1], v[84:85], off
	global_store_b64 v[2:3], v[86:87], off
	s_wait_loadcnt 0xa
	s_clause 0x1
	global_store_b64 v[8:9], v[88:89], off
	global_store_b64 v[10:11], v[90:91], off
	;; [unrolled: 4-line block ×11, first 2 shown]
	s_wait_loadcnt 0x0
	global_store_b64 v[48:49], v[66:67], off
	s_sendmsg sendmsg(MSG_DEALLOC_VGPRS)
	s_endpgm
	.section	.rodata,"a",@progbits
	.p2align	6, 0x0
	.amdhsa_kernel _ZN9rocsolver6v33100L18getri_kernel_smallILi32EdPdEEvT1_iilPiilS4_bb
		.amdhsa_group_segment_fixed_size 520
		.amdhsa_private_segment_fixed_size 272
		.amdhsa_kernarg_size 60
		.amdhsa_user_sgpr_count 2
		.amdhsa_user_sgpr_dispatch_ptr 0
		.amdhsa_user_sgpr_queue_ptr 0
		.amdhsa_user_sgpr_kernarg_segment_ptr 1
		.amdhsa_user_sgpr_dispatch_id 0
		.amdhsa_user_sgpr_kernarg_preload_length 0
		.amdhsa_user_sgpr_kernarg_preload_offset 0
		.amdhsa_user_sgpr_private_segment_size 0
		.amdhsa_wavefront_size32 1
		.amdhsa_uses_dynamic_stack 0
		.amdhsa_enable_private_segment 1
		.amdhsa_system_sgpr_workgroup_id_x 1
		.amdhsa_system_sgpr_workgroup_id_y 0
		.amdhsa_system_sgpr_workgroup_id_z 0
		.amdhsa_system_sgpr_workgroup_info 0
		.amdhsa_system_vgpr_workitem_id 0
		.amdhsa_next_free_vgpr 106
		.amdhsa_next_free_sgpr 19
		.amdhsa_named_barrier_count 0
		.amdhsa_reserve_vcc 1
		.amdhsa_float_round_mode_32 0
		.amdhsa_float_round_mode_16_64 0
		.amdhsa_float_denorm_mode_32 3
		.amdhsa_float_denorm_mode_16_64 3
		.amdhsa_fp16_overflow 0
		.amdhsa_memory_ordered 1
		.amdhsa_forward_progress 1
		.amdhsa_inst_pref_size 196
		.amdhsa_round_robin_scheduling 0
		.amdhsa_exception_fp_ieee_invalid_op 0
		.amdhsa_exception_fp_denorm_src 0
		.amdhsa_exception_fp_ieee_div_zero 0
		.amdhsa_exception_fp_ieee_overflow 0
		.amdhsa_exception_fp_ieee_underflow 0
		.amdhsa_exception_fp_ieee_inexact 0
		.amdhsa_exception_int_div_zero 0
	.end_amdhsa_kernel
	.section	.text._ZN9rocsolver6v33100L18getri_kernel_smallILi32EdPdEEvT1_iilPiilS4_bb,"axG",@progbits,_ZN9rocsolver6v33100L18getri_kernel_smallILi32EdPdEEvT1_iilPiilS4_bb,comdat
.Lfunc_end31:
	.size	_ZN9rocsolver6v33100L18getri_kernel_smallILi32EdPdEEvT1_iilPiilS4_bb, .Lfunc_end31-_ZN9rocsolver6v33100L18getri_kernel_smallILi32EdPdEEvT1_iilPiilS4_bb
                                        ; -- End function
	.set _ZN9rocsolver6v33100L18getri_kernel_smallILi32EdPdEEvT1_iilPiilS4_bb.num_vgpr, 106
	.set _ZN9rocsolver6v33100L18getri_kernel_smallILi32EdPdEEvT1_iilPiilS4_bb.num_agpr, 0
	.set _ZN9rocsolver6v33100L18getri_kernel_smallILi32EdPdEEvT1_iilPiilS4_bb.numbered_sgpr, 19
	.set _ZN9rocsolver6v33100L18getri_kernel_smallILi32EdPdEEvT1_iilPiilS4_bb.num_named_barrier, 0
	.set _ZN9rocsolver6v33100L18getri_kernel_smallILi32EdPdEEvT1_iilPiilS4_bb.private_seg_size, 272
	.set _ZN9rocsolver6v33100L18getri_kernel_smallILi32EdPdEEvT1_iilPiilS4_bb.uses_vcc, 1
	.set _ZN9rocsolver6v33100L18getri_kernel_smallILi32EdPdEEvT1_iilPiilS4_bb.uses_flat_scratch, 1
	.set _ZN9rocsolver6v33100L18getri_kernel_smallILi32EdPdEEvT1_iilPiilS4_bb.has_dyn_sized_stack, 0
	.set _ZN9rocsolver6v33100L18getri_kernel_smallILi32EdPdEEvT1_iilPiilS4_bb.has_recursion, 0
	.set _ZN9rocsolver6v33100L18getri_kernel_smallILi32EdPdEEvT1_iilPiilS4_bb.has_indirect_call, 0
	.section	.AMDGPU.csdata,"",@progbits
; Kernel info:
; codeLenInByte = 25088
; TotalNumSgprs: 21
; NumVgprs: 106
; ScratchSize: 272
; MemoryBound: 0
; FloatMode: 240
; IeeeMode: 1
; LDSByteSize: 520 bytes/workgroup (compile time only)
; SGPRBlocks: 0
; VGPRBlocks: 6
; NumSGPRsForWavesPerEU: 21
; NumVGPRsForWavesPerEU: 106
; NamedBarCnt: 0
; Occupancy: 9
; WaveLimiterHint : 1
; COMPUTE_PGM_RSRC2:SCRATCH_EN: 1
; COMPUTE_PGM_RSRC2:USER_SGPR: 2
; COMPUTE_PGM_RSRC2:TRAP_HANDLER: 0
; COMPUTE_PGM_RSRC2:TGID_X_EN: 1
; COMPUTE_PGM_RSRC2:TGID_Y_EN: 0
; COMPUTE_PGM_RSRC2:TGID_Z_EN: 0
; COMPUTE_PGM_RSRC2:TIDIG_COMP_CNT: 0
	.section	.text._ZN9rocsolver6v33100L18getri_kernel_smallILi33EdPdEEvT1_iilPiilS4_bb,"axG",@progbits,_ZN9rocsolver6v33100L18getri_kernel_smallILi33EdPdEEvT1_iilPiilS4_bb,comdat
	.globl	_ZN9rocsolver6v33100L18getri_kernel_smallILi33EdPdEEvT1_iilPiilS4_bb ; -- Begin function _ZN9rocsolver6v33100L18getri_kernel_smallILi33EdPdEEvT1_iilPiilS4_bb
	.p2align	8
	.type	_ZN9rocsolver6v33100L18getri_kernel_smallILi33EdPdEEvT1_iilPiilS4_bb,@function
_ZN9rocsolver6v33100L18getri_kernel_smallILi33EdPdEEvT1_iilPiilS4_bb: ; @_ZN9rocsolver6v33100L18getri_kernel_smallILi33EdPdEEvT1_iilPiilS4_bb
; %bb.0:
	s_mov_b32 s2, exec_lo
	v_cmpx_gt_u32_e32 33, v0
	s_cbranch_execz .LBB32_142
; %bb.1:
	s_clause 0x2
	s_load_b32 s2, s[0:1], 0x38
	s_load_b128 s[12:15], s[0:1], 0x10
	s_load_b128 s[4:7], s[0:1], 0x28
	s_getreg_b32 s9, hwreg(HW_REG_IB_STS2, 6, 4)
	s_wait_kmcnt 0x0
	s_bitcmp1_b32 s2, 8
	s_cselect_b32 s18, -1, 0
	s_bfe_u32 s3, ttmp6, 0x4000c
	s_and_b32 s8, ttmp6, 15
	s_add_co_i32 s3, s3, 1
	s_delay_alu instid0(SALU_CYCLE_1) | instskip(NEXT) | instid1(SALU_CYCLE_1)
	s_mul_i32 s3, ttmp9, s3
	s_add_co_i32 s8, s8, s3
	s_cmp_eq_u32 s9, 0
	s_cselect_b32 s16, ttmp9, s8
	s_bfe_u32 s2, s2, 0x10008
	s_ashr_i32 s17, s16, 31
	s_cmp_eq_u32 s2, 0
                                        ; implicit-def: $sgpr2_sgpr3
	s_cbranch_scc1 .LBB32_3
; %bb.2:
	s_load_b32 s2, s[0:1], 0x20
	s_mul_u64 s[4:5], s[4:5], s[16:17]
	s_delay_alu instid0(SALU_CYCLE_1) | instskip(NEXT) | instid1(SALU_CYCLE_1)
	s_lshl_b64 s[4:5], s[4:5], 2
	s_add_nc_u64 s[4:5], s[14:15], s[4:5]
	s_wait_kmcnt 0x0
	s_ashr_i32 s3, s2, 31
	s_delay_alu instid0(SALU_CYCLE_1) | instskip(NEXT) | instid1(SALU_CYCLE_1)
	s_lshl_b64 s[2:3], s[2:3], 2
	s_add_nc_u64 s[2:3], s[4:5], s[2:3]
.LBB32_3:
	s_clause 0x1
	s_load_b128 s[8:11], s[0:1], 0x0
	s_load_b32 s14, s[0:1], 0x38
	s_wait_xcnt 0x0
	s_mul_u64 s[0:1], s[12:13], s[16:17]
	v_lshlrev_b32_e32 v2, 3, v0
	s_lshl_b64 s[0:1], s[0:1], 3
	v_mov_b32_e32 v3, 0
	s_wait_kmcnt 0x0
	v_add3_u32 v8, s11, s11, v0
	s_ashr_i32 s5, s10, 31
	s_mov_b32 s4, s10
	s_add_nc_u64 s[0:1], s[8:9], s[0:1]
	s_lshl_b64 s[4:5], s[4:5], 3
	v_add_nc_u32_e32 v10, s11, v8
	s_add_nc_u64 s[4:5], s[0:1], s[4:5]
	s_ashr_i32 s1, s11, 31
	s_mov_b32 s0, s11
	s_bitcmp0_b32 s14, 0
	v_add_nc_u32_e32 v12, s11, v10
	v_add_nc_u64_e32 v[6:7], s[4:5], v[2:3]
	s_delay_alu instid0(VALU_DEP_2) | instskip(NEXT) | instid1(VALU_DEP_2)
	v_add_nc_u32_e32 v14, s11, v12
	v_lshl_add_u64 v[4:5], s[0:1], 3, v[6:7]
	s_mov_b32 s1, -1
	s_delay_alu instid0(VALU_DEP_2)
	v_add_nc_u32_e32 v16, s11, v14
	s_clause 0x5
	global_load_b64 v[64:65], v0, s[4:5] scale_offset
	global_load_b64 v[66:67], v[4:5], off
	global_load_b64 v[68:69], v8, s[4:5] scale_offset
	global_load_b64 v[70:71], v10, s[4:5] scale_offset
	;; [unrolled: 1-line block ×4, first 2 shown]
	v_add_nc_u32_e32 v18, s11, v16
	s_delay_alu instid0(VALU_DEP_1) | instskip(NEXT) | instid1(VALU_DEP_1)
	v_add_nc_u32_e32 v20, s11, v18
	v_add_nc_u32_e32 v22, s11, v20
	s_delay_alu instid0(VALU_DEP_1) | instskip(NEXT) | instid1(VALU_DEP_1)
	v_add_nc_u32_e32 v24, s11, v22
	v_add_nc_u32_e32 v26, s11, v24
	s_delay_alu instid0(VALU_DEP_1)
	v_add_nc_u32_e32 v28, s11, v26
	s_clause 0x3
	global_load_b64 v[76:77], v16, s[4:5] scale_offset
	global_load_b64 v[78:79], v18, s[4:5] scale_offset
	;; [unrolled: 1-line block ×4, first 2 shown]
	v_add_nc_u32_e32 v30, s11, v28
	s_delay_alu instid0(VALU_DEP_1) | instskip(NEXT) | instid1(VALU_DEP_1)
	v_add_nc_u32_e32 v32, s11, v30
	v_add_nc_u32_e32 v34, s11, v32
	s_delay_alu instid0(VALU_DEP_1)
	v_add_nc_u32_e32 v36, s11, v34
	s_clause 0x3
	global_load_b64 v[84:85], v24, s[4:5] scale_offset
	global_load_b64 v[86:87], v26, s[4:5] scale_offset
	;; [unrolled: 1-line block ×4, first 2 shown]
	v_add_nc_u32_e32 v38, s11, v36
	s_delay_alu instid0(VALU_DEP_1)
	v_add_nc_u32_e32 v40, s11, v38
	s_clause 0x3
	global_load_b64 v[92:93], v32, s[4:5] scale_offset
	global_load_b64 v[94:95], v34, s[4:5] scale_offset
	;; [unrolled: 1-line block ×4, first 2 shown]
	v_add_nc_u32_e32 v42, s11, v40
	s_delay_alu instid0(VALU_DEP_1) | instskip(NEXT) | instid1(VALU_DEP_1)
	v_add_nc_u32_e32 v44, s11, v42
	v_add_nc_u32_e32 v46, s11, v44
	s_delay_alu instid0(VALU_DEP_1) | instskip(NEXT) | instid1(VALU_DEP_1)
	v_add_nc_u32_e32 v48, s11, v46
	v_add_nc_u32_e32 v50, s11, v48
	s_delay_alu instid0(VALU_DEP_1)
	v_add_nc_u32_e32 v52, s11, v50
	s_clause 0x3
	global_load_b64 v[100:101], v40, s[4:5] scale_offset
	global_load_b64 v[102:103], v42, s[4:5] scale_offset
	;; [unrolled: 1-line block ×4, first 2 shown]
	v_add_nc_u32_e32 v54, s11, v52
	s_delay_alu instid0(VALU_DEP_1) | instskip(NEXT) | instid1(VALU_DEP_1)
	v_add_nc_u32_e32 v56, s11, v54
	v_add_nc_u32_e32 v58, s11, v56
	s_delay_alu instid0(VALU_DEP_1) | instskip(NEXT) | instid1(VALU_DEP_1)
	v_add_nc_u32_e32 v60, s11, v58
	v_add_nc_u32_e32 v62, s11, v60
	s_wait_loadcnt 0x14
	scratch_store_b128 off, v[64:67], off
	s_wait_xcnt 0x0
	v_add_nc_u32_e32 v64, s11, v62
	s_wait_loadcnt 0x12
	scratch_store_b128 off, v[68:71], off offset:16
	s_wait_loadcnt 0x10
	scratch_store_b128 off, v[72:75], off offset:32
	s_clause 0x3
	global_load_b64 v[70:71], v48, s[4:5] scale_offset
	global_load_b64 v[72:73], v50, s[4:5] scale_offset
	;; [unrolled: 1-line block ×4, first 2 shown]
	s_wait_loadcnt 0x12
	scratch_store_b128 off, v[76:79], off offset:48
	s_wait_loadcnt 0x10
	scratch_store_b128 off, v[80:83], off offset:64
	v_add_nc_u32_e32 v66, s11, v64
	s_clause 0x3
	global_load_b64 v[74:75], v56, s[4:5] scale_offset
	global_load_b64 v[76:77], v58, s[4:5] scale_offset
	;; [unrolled: 1-line block ×4, first 2 shown]
	v_add_nc_u32_e32 v68, s11, v66
	s_wait_loadcnt 0x12
	scratch_store_b128 off, v[84:87], off offset:80
	s_wait_loadcnt 0x10
	scratch_store_b128 off, v[88:91], off offset:96
	s_clause 0x2
	global_load_b64 v[82:83], v64, s[4:5] scale_offset
	global_load_b64 v[84:85], v66, s[4:5] scale_offset
	;; [unrolled: 1-line block ×3, first 2 shown]
	s_wait_loadcnt 0x11
	scratch_store_b128 off, v[92:95], off offset:112
	s_wait_loadcnt 0xf
	scratch_store_b128 off, v[96:99], off offset:128
	;; [unrolled: 2-line block ×9, first 2 shown]
	s_wait_loadcnt 0x0
	scratch_store_b64 off, v[86:87], off offset:256
	s_cbranch_scc1 .LBB32_140
; %bb.4:
	v_cmp_eq_u32_e64 s0, 0, v0
	s_wait_xcnt 0x0
	s_and_saveexec_b32 s1, s0
; %bb.5:
	v_mov_b32_e32 v1, 0
	ds_store_b32 v1, v1 offset:264
; %bb.6:
	s_or_b32 exec_lo, exec_lo, s1
	s_wait_storecnt_dscnt 0x0
	s_barrier_signal -1
	s_barrier_wait -1
	scratch_load_b64 v[70:71], v0, off scale_offset
	s_mov_b32 s8, exec_lo
	s_wait_loadcnt 0x0
	v_cmpx_eq_f64_e32 0, v[70:71]
	s_cbranch_execz .LBB32_10
; %bb.7:
	v_mov_b32_e32 v1, 0
	s_mov_b32 s9, 0
	ds_load_b32 v3, v1 offset:264
	s_wait_dscnt 0x0
	v_readfirstlane_b32 s1, v3
	v_add_nc_u32_e32 v3, 1, v0
	s_cmp_eq_u32 s1, 0
	s_delay_alu instid0(VALU_DEP_1) | instskip(SKIP_1) | instid1(SALU_CYCLE_1)
	v_cmp_gt_i32_e32 vcc_lo, s1, v3
	s_cselect_b32 s10, -1, 0
	s_or_b32 s10, s10, vcc_lo
	s_delay_alu instid0(SALU_CYCLE_1)
	s_and_b32 exec_lo, exec_lo, s10
	s_cbranch_execz .LBB32_10
; %bb.8:
	v_mov_b32_e32 v9, s1
.LBB32_9:                               ; =>This Inner Loop Header: Depth=1
	ds_cmpstore_rtn_b32 v9, v1, v3, v9 offset:264
	s_wait_dscnt 0x0
	v_cmp_ne_u32_e32 vcc_lo, 0, v9
	v_cmp_le_i32_e64 s1, v9, v3
	s_and_b32 s1, vcc_lo, s1
	s_delay_alu instid0(SALU_CYCLE_1) | instskip(NEXT) | instid1(SALU_CYCLE_1)
	s_and_b32 s1, exec_lo, s1
	s_or_b32 s9, s1, s9
	s_delay_alu instid0(SALU_CYCLE_1)
	s_and_not1_b32 exec_lo, exec_lo, s9
	s_cbranch_execnz .LBB32_9
.LBB32_10:
	s_or_b32 exec_lo, exec_lo, s8
	v_mov_b32_e32 v1, 0
	s_barrier_signal -1
	s_barrier_wait -1
	ds_load_b32 v3, v1 offset:264
	s_and_saveexec_b32 s1, s0
	s_cbranch_execz .LBB32_12
; %bb.11:
	s_lshl_b64 s[8:9], s[16:17], 2
	s_delay_alu instid0(SALU_CYCLE_1)
	s_add_nc_u64 s[8:9], s[6:7], s[8:9]
	s_wait_dscnt 0x0
	global_store_b32 v1, v3, s[8:9]
.LBB32_12:
	s_wait_xcnt 0x0
	s_or_b32 exec_lo, exec_lo, s1
	s_wait_dscnt 0x0
	v_cmp_ne_u32_e32 vcc_lo, 0, v3
	s_mov_b32 s1, 0
	s_cbranch_vccnz .LBB32_140
; %bb.13:
	v_lshl_add_u32 v3, v0, 3, 0
	v_add_nc_u32_e32 v1, 0x110, v2
	scratch_load_b64 v[70:71], v3, off
	s_wait_loadcnt 0x0
	v_div_scale_f64 v[72:73], null, v[70:71], v[70:71], 1.0
	v_div_scale_f64 v[78:79], vcc_lo, 1.0, v[70:71], 1.0
	s_delay_alu instid0(VALU_DEP_2) | instskip(SKIP_1) | instid1(TRANS32_DEP_1)
	v_rcp_f64_e32 v[74:75], v[72:73]
	v_nop
	v_fma_f64 v[76:77], -v[72:73], v[74:75], 1.0
	s_delay_alu instid0(VALU_DEP_1) | instskip(NEXT) | instid1(VALU_DEP_1)
	v_fmac_f64_e32 v[74:75], v[74:75], v[76:77]
	v_fma_f64 v[76:77], -v[72:73], v[74:75], 1.0
	s_delay_alu instid0(VALU_DEP_1) | instskip(NEXT) | instid1(VALU_DEP_1)
	v_fmac_f64_e32 v[74:75], v[74:75], v[76:77]
	v_mul_f64_e32 v[76:77], v[78:79], v[74:75]
	s_delay_alu instid0(VALU_DEP_1) | instskip(NEXT) | instid1(VALU_DEP_1)
	v_fma_f64 v[72:73], -v[72:73], v[76:77], v[78:79]
	v_div_fmas_f64 v[72:73], v[72:73], v[74:75], v[76:77]
	s_delay_alu instid0(VALU_DEP_1)
	v_div_fixup_f64 v[70:71], v[72:73], v[70:71], 1.0
	scratch_store_b64 v3, v[70:71], off
	scratch_load_b64 v[72:73], off, off offset:8
	s_wait_xcnt 0x1
	v_xor_b32_e32 v71, 0x80000000, v71
	s_wait_loadcnt 0x0
	ds_store_2addr_b64 v2, v[70:71], v[72:73] offset1:34
	s_wait_storecnt_dscnt 0x0
	s_barrier_signal -1
	s_barrier_wait -1
	s_wait_xcnt 0x0
	s_and_saveexec_b32 s1, s0
	s_cbranch_execz .LBB32_15
; %bb.14:
	scratch_load_b64 v[70:71], v3, off
	ds_load_b64 v[72:73], v1
	s_wait_loadcnt_dscnt 0x0
	v_fma_f64 v[70:71], v[70:71], v[72:73], 0
	v_mov_b32_e32 v9, 0
	ds_load_b64 v[74:75], v9 offset:8
	s_wait_dscnt 0x0
	v_mul_f64_e32 v[70:71], v[70:71], v[74:75]
	scratch_store_b64 off, v[70:71], off offset:8
.LBB32_15:
	s_wait_xcnt 0x0
	s_or_b32 exec_lo, exec_lo, s1
	s_wait_storecnt 0x0
	s_barrier_signal -1
	s_barrier_wait -1
	scratch_load_b64 v[70:71], off, off offset:16
	s_mov_b32 s1, exec_lo
	s_wait_loadcnt 0x0
	ds_store_b64 v1, v[70:71]
	s_wait_dscnt 0x0
	s_barrier_signal -1
	s_barrier_wait -1
	v_cmpx_gt_u32_e32 2, v0
	s_cbranch_execz .LBB32_19
; %bb.16:
	scratch_load_b64 v[70:71], v3, off
	ds_load_b64 v[72:73], v1
	s_wait_loadcnt_dscnt 0x0
	v_fma_f64 v[70:71], v[70:71], v[72:73], 0
	s_and_saveexec_b32 s8, s0
	s_cbranch_execz .LBB32_18
; %bb.17:
	scratch_load_b64 v[72:73], off, off offset:8
	v_mov_b32_e32 v3, 0
	ds_load_b64 v[74:75], v3 offset:280
	s_wait_loadcnt_dscnt 0x0
	v_fmac_f64_e32 v[70:71], v[72:73], v[74:75]
.LBB32_18:
	s_or_b32 exec_lo, exec_lo, s8
	v_mov_b32_e32 v3, 0
	ds_load_b64 v[72:73], v3 offset:16
	s_wait_dscnt 0x0
	v_mul_f64_e32 v[70:71], v[70:71], v[72:73]
	scratch_store_b64 off, v[70:71], off offset:16
.LBB32_19:
	s_wait_xcnt 0x0
	s_or_b32 exec_lo, exec_lo, s1
	s_wait_storecnt 0x0
	s_barrier_signal -1
	s_barrier_wait -1
	scratch_load_b64 v[70:71], off, off offset:24
	v_add_nc_u32_e32 v3, -1, v0
	s_mov_b32 s0, exec_lo
	s_wait_loadcnt 0x0
	ds_store_b64 v1, v[70:71]
	s_wait_dscnt 0x0
	s_barrier_signal -1
	s_barrier_wait -1
	v_cmpx_gt_u32_e32 3, v0
	s_cbranch_execz .LBB32_23
; %bb.20:
	v_mov_b64_e32 v[70:71], 0
	v_dual_add_nc_u32 v9, -1, v0 :: v_dual_mov_b32 v13, v2
	v_add_nc_u32_e32 v11, 0x110, v2
	s_mov_b32 s1, 0
.LBB32_21:                              ; =>This Inner Loop Header: Depth=1
	scratch_load_b64 v[72:73], v13, off
	ds_load_b64 v[74:75], v11
	v_dual_add_nc_u32 v9, 1, v9 :: v_dual_add_nc_u32 v11, 8, v11
	s_wait_xcnt 0x0
	v_add_nc_u32_e32 v13, 8, v13
	s_delay_alu instid0(VALU_DEP_2)
	v_cmp_lt_u32_e32 vcc_lo, 1, v9
	s_or_b32 s1, vcc_lo, s1
	s_wait_loadcnt_dscnt 0x0
	v_fmac_f64_e32 v[70:71], v[72:73], v[74:75]
	s_and_not1_b32 exec_lo, exec_lo, s1
	s_cbranch_execnz .LBB32_21
; %bb.22:
	s_or_b32 exec_lo, exec_lo, s1
	v_mov_b32_e32 v9, 0
	ds_load_b64 v[72:73], v9 offset:24
	s_wait_dscnt 0x0
	v_mul_f64_e32 v[70:71], v[70:71], v[72:73]
	scratch_store_b64 off, v[70:71], off offset:24
.LBB32_23:
	s_wait_xcnt 0x0
	s_or_b32 exec_lo, exec_lo, s0
	s_wait_storecnt 0x0
	s_barrier_signal -1
	s_barrier_wait -1
	scratch_load_b64 v[70:71], off, off offset:32
	s_mov_b32 s0, exec_lo
	s_wait_loadcnt 0x0
	ds_store_b64 v1, v[70:71]
	s_wait_dscnt 0x0
	s_barrier_signal -1
	s_barrier_wait -1
	v_cmpx_gt_u32_e32 4, v0
	s_cbranch_execz .LBB32_27
; %bb.24:
	v_mov_b64_e32 v[70:71], 0
	v_dual_add_nc_u32 v9, -1, v0 :: v_dual_mov_b32 v13, v2
	v_add_nc_u32_e32 v11, 0x110, v2
	s_mov_b32 s1, 0
.LBB32_25:                              ; =>This Inner Loop Header: Depth=1
	scratch_load_b64 v[72:73], v13, off
	ds_load_b64 v[74:75], v11
	v_dual_add_nc_u32 v9, 1, v9 :: v_dual_add_nc_u32 v11, 8, v11
	s_wait_xcnt 0x0
	v_add_nc_u32_e32 v13, 8, v13
	s_delay_alu instid0(VALU_DEP_2)
	v_cmp_lt_u32_e32 vcc_lo, 2, v9
	s_or_b32 s1, vcc_lo, s1
	s_wait_loadcnt_dscnt 0x0
	v_fmac_f64_e32 v[70:71], v[72:73], v[74:75]
	s_and_not1_b32 exec_lo, exec_lo, s1
	s_cbranch_execnz .LBB32_25
; %bb.26:
	s_or_b32 exec_lo, exec_lo, s1
	v_mov_b32_e32 v9, 0
	ds_load_b64 v[72:73], v9 offset:32
	s_wait_dscnt 0x0
	v_mul_f64_e32 v[70:71], v[70:71], v[72:73]
	scratch_store_b64 off, v[70:71], off offset:32
.LBB32_27:
	s_wait_xcnt 0x0
	s_or_b32 exec_lo, exec_lo, s0
	s_wait_storecnt 0x0
	s_barrier_signal -1
	s_barrier_wait -1
	scratch_load_b64 v[70:71], off, off offset:40
	;; [unrolled: 40-line block ×20, first 2 shown]
	s_mov_b32 s0, exec_lo
	s_wait_loadcnt 0x0
	ds_store_b64 v1, v[70:71]
	s_wait_dscnt 0x0
	s_barrier_signal -1
	s_barrier_wait -1
	v_cmpx_gt_u32_e32 23, v0
	s_cbranch_execz .LBB32_103
; %bb.100:
	v_mov_b64_e32 v[70:71], 0
	v_dual_add_nc_u32 v9, -1, v0 :: v_dual_mov_b32 v13, v2
	v_add_nc_u32_e32 v11, 0x110, v2
	s_mov_b32 s1, 0
.LBB32_101:                             ; =>This Inner Loop Header: Depth=1
	scratch_load_b64 v[72:73], v13, off
	ds_load_b64 v[74:75], v11
	v_dual_add_nc_u32 v9, 1, v9 :: v_dual_add_nc_u32 v11, 8, v11
	s_wait_xcnt 0x0
	v_add_nc_u32_e32 v13, 8, v13
	s_delay_alu instid0(VALU_DEP_2)
	v_cmp_lt_u32_e32 vcc_lo, 21, v9
	s_or_b32 s1, vcc_lo, s1
	s_wait_loadcnt_dscnt 0x0
	v_fmac_f64_e32 v[70:71], v[72:73], v[74:75]
	s_and_not1_b32 exec_lo, exec_lo, s1
	s_cbranch_execnz .LBB32_101
; %bb.102:
	s_or_b32 exec_lo, exec_lo, s1
	v_mov_b32_e32 v9, 0
	ds_load_b64 v[72:73], v9 offset:184
	s_wait_dscnt 0x0
	v_mul_f64_e32 v[70:71], v[70:71], v[72:73]
	scratch_store_b64 off, v[70:71], off offset:184
.LBB32_103:
	s_wait_xcnt 0x0
	s_or_b32 exec_lo, exec_lo, s0
	s_wait_storecnt 0x0
	s_barrier_signal -1
	s_barrier_wait -1
	scratch_load_b64 v[70:71], off, off offset:192
	s_mov_b32 s0, exec_lo
	s_wait_loadcnt 0x0
	ds_store_b64 v1, v[70:71]
	s_wait_dscnt 0x0
	s_barrier_signal -1
	s_barrier_wait -1
	v_cmpx_gt_u32_e32 24, v0
	s_cbranch_execz .LBB32_107
; %bb.104:
	v_mov_b64_e32 v[70:71], 0
	v_dual_add_nc_u32 v9, -1, v0 :: v_dual_mov_b32 v13, v2
	v_add_nc_u32_e32 v11, 0x110, v2
	s_mov_b32 s1, 0
.LBB32_105:                             ; =>This Inner Loop Header: Depth=1
	scratch_load_b64 v[72:73], v13, off
	ds_load_b64 v[74:75], v11
	v_dual_add_nc_u32 v9, 1, v9 :: v_dual_add_nc_u32 v11, 8, v11
	s_wait_xcnt 0x0
	v_add_nc_u32_e32 v13, 8, v13
	s_delay_alu instid0(VALU_DEP_2)
	v_cmp_lt_u32_e32 vcc_lo, 22, v9
	s_or_b32 s1, vcc_lo, s1
	s_wait_loadcnt_dscnt 0x0
	v_fmac_f64_e32 v[70:71], v[72:73], v[74:75]
	s_and_not1_b32 exec_lo, exec_lo, s1
	s_cbranch_execnz .LBB32_105
; %bb.106:
	s_or_b32 exec_lo, exec_lo, s1
	v_mov_b32_e32 v9, 0
	ds_load_b64 v[72:73], v9 offset:192
	s_wait_dscnt 0x0
	v_mul_f64_e32 v[70:71], v[70:71], v[72:73]
	scratch_store_b64 off, v[70:71], off offset:192
.LBB32_107:
	s_wait_xcnt 0x0
	s_or_b32 exec_lo, exec_lo, s0
	s_wait_storecnt 0x0
	s_barrier_signal -1
	s_barrier_wait -1
	scratch_load_b64 v[70:71], off, off offset:200
	;; [unrolled: 40-line block ×9, first 2 shown]
	s_mov_b32 s0, exec_lo
	s_wait_loadcnt 0x0
	ds_store_b64 v1, v[70:71]
	s_wait_dscnt 0x0
	s_barrier_signal -1
	s_barrier_wait -1
	v_cmpx_ne_u32_e32 32, v0
	s_cbranch_execz .LBB32_139
; %bb.136:
	v_mov_b64_e32 v[70:71], 0
	s_mov_b32 s1, 0
.LBB32_137:                             ; =>This Inner Loop Header: Depth=1
	scratch_load_b64 v[72:73], v2, off
	ds_load_b64 v[74:75], v1
	v_dual_add_nc_u32 v3, 1, v3 :: v_dual_add_nc_u32 v1, 8, v1
	s_wait_xcnt 0x0
	v_add_nc_u32_e32 v2, 8, v2
	s_delay_alu instid0(VALU_DEP_2)
	v_cmp_lt_u32_e32 vcc_lo, 30, v3
	s_or_b32 s1, vcc_lo, s1
	s_wait_loadcnt_dscnt 0x0
	v_fmac_f64_e32 v[70:71], v[72:73], v[74:75]
	s_and_not1_b32 exec_lo, exec_lo, s1
	s_cbranch_execnz .LBB32_137
; %bb.138:
	s_or_b32 exec_lo, exec_lo, s1
	v_mov_b32_e32 v1, 0
	ds_load_b64 v[2:3], v1 offset:256
	s_wait_dscnt 0x0
	v_mul_f64_e32 v[2:3], v[70:71], v[2:3]
	scratch_store_b64 off, v[2:3], off offset:256
.LBB32_139:
	s_wait_xcnt 0x0
	s_or_b32 exec_lo, exec_lo, s0
	s_mov_b32 s1, -1
	s_wait_storecnt 0x0
	s_barrier_signal -1
	s_barrier_wait -1
.LBB32_140:
	s_and_b32 vcc_lo, exec_lo, s1
	s_cbranch_vccz .LBB32_142
; %bb.141:
	v_mov_b32_e32 v1, 0
	s_lshl_b64 s[0:1], s[16:17], 2
	s_delay_alu instid0(SALU_CYCLE_1)
	s_add_nc_u64 s[0:1], s[6:7], s[0:1]
	global_load_b32 v1, v1, s[0:1]
	s_wait_loadcnt 0x0
	v_cmp_ne_u32_e32 vcc_lo, 0, v1
	s_cbranch_vccz .LBB32_143
.LBB32_142:
	s_sendmsg sendmsg(MSG_DEALLOC_VGPRS)
	s_endpgm
.LBB32_143:
	s_wait_xcnt 0x0
	v_lshl_add_u32 v1, v0, 3, 0x110
	s_mov_b32 s0, exec_lo
	v_cmpx_eq_u32_e32 32, v0
	s_cbranch_execz .LBB32_145
; %bb.144:
	scratch_load_b64 v[2:3], off, off offset:248
	v_mov_b64_e32 v[70:71], 0
	scratch_store_b64 off, v[70:71], off offset:248
	s_wait_loadcnt 0x0
	ds_store_b64 v1, v[2:3]
.LBB32_145:
	s_wait_xcnt 0x0
	s_or_b32 exec_lo, exec_lo, s0
	s_wait_storecnt_dscnt 0x0
	s_barrier_signal -1
	s_barrier_wait -1
	scratch_load_b128 v[70:73], off, off offset:248
	v_mov_b32_e32 v2, 0
	s_mov_b32 s0, exec_lo
	ds_load_b64 v[74:75], v2 offset:528
	s_wait_loadcnt_dscnt 0x0
	v_fma_f64 v[72:73], v[72:73], v[74:75], 0
	s_delay_alu instid0(VALU_DEP_1)
	v_add_f64_e64 v[70:71], v[70:71], -v[72:73]
	scratch_store_b64 off, v[70:71], off offset:248
	s_wait_xcnt 0x0
	v_cmpx_lt_u32_e32 30, v0
	s_cbranch_execz .LBB32_147
; %bb.146:
	scratch_load_b64 v[70:71], off, off offset:240
	v_mov_b64_e32 v[72:73], 0
	scratch_store_b64 off, v[72:73], off offset:240
	s_wait_loadcnt 0x0
	ds_store_b64 v1, v[70:71]
.LBB32_147:
	s_wait_xcnt 0x0
	s_or_b32 exec_lo, exec_lo, s0
	s_wait_storecnt_dscnt 0x0
	s_barrier_signal -1
	s_barrier_wait -1
	s_clause 0x1
	scratch_load_b128 v[70:73], off, off offset:240
	scratch_load_b64 v[78:79], off, off offset:256
	ds_load_2addr_b64 v[74:77], v2 offset0:65 offset1:66
	s_mov_b32 s0, exec_lo
	s_wait_loadcnt_dscnt 0x100
	v_fma_f64 v[2:3], v[72:73], v[74:75], 0
	s_wait_loadcnt 0x0
	s_delay_alu instid0(VALU_DEP_1) | instskip(NEXT) | instid1(VALU_DEP_1)
	v_fmac_f64_e32 v[2:3], v[78:79], v[76:77]
	v_add_f64_e64 v[2:3], v[70:71], -v[2:3]
	scratch_store_b64 off, v[2:3], off offset:240
	s_wait_xcnt 0x0
	v_cmpx_lt_u32_e32 29, v0
	s_cbranch_execz .LBB32_149
; %bb.148:
	scratch_load_b64 v[2:3], off, off offset:232
	v_mov_b64_e32 v[70:71], 0
	scratch_store_b64 off, v[70:71], off offset:232
	s_wait_loadcnt 0x0
	ds_store_b64 v1, v[2:3]
.LBB32_149:
	s_wait_xcnt 0x0
	s_or_b32 exec_lo, exec_lo, s0
	s_wait_storecnt_dscnt 0x0
	s_barrier_signal -1
	s_barrier_wait -1
	s_clause 0x1
	scratch_load_b128 v[70:73], off, off offset:232
	scratch_load_b128 v[74:77], off, off offset:248
	v_mov_b32_e32 v2, 0
	ds_load_b128 v[78:81], v2 offset:512
	ds_load_b64 v[82:83], v2 offset:528
	s_mov_b32 s0, exec_lo
	s_wait_loadcnt_dscnt 0x101
	v_fma_f64 v[72:73], v[72:73], v[78:79], 0
	s_wait_loadcnt 0x0
	s_delay_alu instid0(VALU_DEP_1) | instskip(SKIP_1) | instid1(VALU_DEP_1)
	v_fmac_f64_e32 v[72:73], v[74:75], v[80:81]
	s_wait_dscnt 0x0
	v_fmac_f64_e32 v[72:73], v[76:77], v[82:83]
	s_delay_alu instid0(VALU_DEP_1)
	v_add_f64_e64 v[70:71], v[70:71], -v[72:73]
	scratch_store_b64 off, v[70:71], off offset:232
	s_wait_xcnt 0x0
	v_cmpx_lt_u32_e32 28, v0
	s_cbranch_execz .LBB32_151
; %bb.150:
	scratch_load_b64 v[70:71], off, off offset:224
	v_mov_b64_e32 v[72:73], 0
	scratch_store_b64 off, v[72:73], off offset:224
	s_wait_loadcnt 0x0
	ds_store_b64 v1, v[70:71]
.LBB32_151:
	s_wait_xcnt 0x0
	s_or_b32 exec_lo, exec_lo, s0
	s_wait_storecnt_dscnt 0x0
	s_barrier_signal -1
	s_barrier_wait -1
	s_clause 0x2
	scratch_load_b128 v[70:73], off, off offset:224
	scratch_load_b128 v[74:77], off, off offset:240
	scratch_load_b64 v[86:87], off, off offset:256
	ds_load_2addr_b64 v[78:81], v2 offset0:63 offset1:64
	ds_load_2addr_b64 v[82:85], v2 offset0:65 offset1:66
	s_mov_b32 s0, exec_lo
	s_wait_loadcnt_dscnt 0x201
	v_fma_f64 v[2:3], v[72:73], v[78:79], 0
	s_wait_loadcnt 0x1
	s_delay_alu instid0(VALU_DEP_1) | instskip(SKIP_1) | instid1(VALU_DEP_1)
	v_fmac_f64_e32 v[2:3], v[74:75], v[80:81]
	s_wait_dscnt 0x0
	v_fmac_f64_e32 v[2:3], v[76:77], v[82:83]
	s_wait_loadcnt 0x0
	s_delay_alu instid0(VALU_DEP_1) | instskip(NEXT) | instid1(VALU_DEP_1)
	v_fmac_f64_e32 v[2:3], v[86:87], v[84:85]
	v_add_f64_e64 v[2:3], v[70:71], -v[2:3]
	scratch_store_b64 off, v[2:3], off offset:224
	s_wait_xcnt 0x0
	v_cmpx_lt_u32_e32 27, v0
	s_cbranch_execz .LBB32_153
; %bb.152:
	scratch_load_b64 v[2:3], off, off offset:216
	v_mov_b64_e32 v[70:71], 0
	scratch_store_b64 off, v[70:71], off offset:216
	s_wait_loadcnt 0x0
	ds_store_b64 v1, v[2:3]
.LBB32_153:
	s_wait_xcnt 0x0
	s_or_b32 exec_lo, exec_lo, s0
	s_wait_storecnt_dscnt 0x0
	s_barrier_signal -1
	s_barrier_wait -1
	s_clause 0x2
	scratch_load_b128 v[70:73], off, off offset:216
	scratch_load_b128 v[74:77], off, off offset:232
	;; [unrolled: 1-line block ×3, first 2 shown]
	v_mov_b32_e32 v2, 0
	ds_load_b128 v[82:85], v2 offset:496
	ds_load_b128 v[86:89], v2 offset:512
	s_mov_b32 s0, exec_lo
	s_wait_loadcnt_dscnt 0x201
	v_fma_f64 v[72:73], v[72:73], v[82:83], 0
	s_wait_loadcnt 0x1
	s_delay_alu instid0(VALU_DEP_1) | instskip(SKIP_4) | instid1(VALU_DEP_1)
	v_fmac_f64_e32 v[72:73], v[74:75], v[84:85]
	ds_load_b64 v[74:75], v2 offset:528
	s_wait_dscnt 0x1
	v_fmac_f64_e32 v[72:73], v[76:77], v[86:87]
	s_wait_loadcnt 0x0
	v_fmac_f64_e32 v[72:73], v[78:79], v[88:89]
	s_wait_dscnt 0x0
	s_delay_alu instid0(VALU_DEP_1) | instskip(NEXT) | instid1(VALU_DEP_1)
	v_fmac_f64_e32 v[72:73], v[80:81], v[74:75]
	v_add_f64_e64 v[70:71], v[70:71], -v[72:73]
	scratch_store_b64 off, v[70:71], off offset:216
	s_wait_xcnt 0x0
	v_cmpx_lt_u32_e32 26, v0
	s_cbranch_execz .LBB32_155
; %bb.154:
	scratch_load_b64 v[70:71], off, off offset:208
	v_mov_b64_e32 v[72:73], 0
	scratch_store_b64 off, v[72:73], off offset:208
	s_wait_loadcnt 0x0
	ds_store_b64 v1, v[70:71]
.LBB32_155:
	s_wait_xcnt 0x0
	s_or_b32 exec_lo, exec_lo, s0
	s_wait_storecnt_dscnt 0x0
	s_barrier_signal -1
	s_barrier_wait -1
	s_clause 0x3
	scratch_load_b128 v[70:73], off, off offset:208
	scratch_load_b128 v[74:77], off, off offset:224
	;; [unrolled: 1-line block ×3, first 2 shown]
	scratch_load_b64 v[90:91], off, off offset:256
	ds_load_2addr_b64 v[82:85], v2 offset0:61 offset1:62
	ds_load_2addr_b64 v[86:89], v2 offset0:63 offset1:64
	s_mov_b32 s0, exec_lo
	s_wait_loadcnt_dscnt 0x301
	v_fma_f64 v[82:83], v[72:73], v[82:83], 0
	s_wait_loadcnt 0x2
	s_delay_alu instid0(VALU_DEP_1) | instskip(SKIP_4) | instid1(VALU_DEP_1)
	v_fmac_f64_e32 v[82:83], v[74:75], v[84:85]
	ds_load_2addr_b64 v[72:75], v2 offset0:65 offset1:66
	s_wait_dscnt 0x1
	v_fmac_f64_e32 v[82:83], v[76:77], v[86:87]
	s_wait_loadcnt 0x1
	v_fmac_f64_e32 v[82:83], v[78:79], v[88:89]
	s_wait_dscnt 0x0
	s_delay_alu instid0(VALU_DEP_1) | instskip(SKIP_1) | instid1(VALU_DEP_1)
	v_fmac_f64_e32 v[82:83], v[80:81], v[72:73]
	s_wait_loadcnt 0x0
	v_fmac_f64_e32 v[82:83], v[90:91], v[74:75]
	s_delay_alu instid0(VALU_DEP_1)
	v_add_f64_e64 v[2:3], v[70:71], -v[82:83]
	scratch_store_b64 off, v[2:3], off offset:208
	s_wait_xcnt 0x0
	v_cmpx_lt_u32_e32 25, v0
	s_cbranch_execz .LBB32_157
; %bb.156:
	scratch_load_b64 v[2:3], off, off offset:200
	v_mov_b64_e32 v[70:71], 0
	scratch_store_b64 off, v[70:71], off offset:200
	s_wait_loadcnt 0x0
	ds_store_b64 v1, v[2:3]
.LBB32_157:
	s_wait_xcnt 0x0
	s_or_b32 exec_lo, exec_lo, s0
	s_wait_storecnt_dscnt 0x0
	s_barrier_signal -1
	s_barrier_wait -1
	s_clause 0x3
	scratch_load_b128 v[70:73], off, off offset:200
	scratch_load_b128 v[74:77], off, off offset:216
	;; [unrolled: 1-line block ×4, first 2 shown]
	v_mov_b32_e32 v2, 0
	ds_load_b128 v[86:89], v2 offset:480
	ds_load_b128 v[90:93], v2 offset:496
	s_mov_b32 s0, exec_lo
	s_wait_loadcnt_dscnt 0x301
	v_fma_f64 v[86:87], v[72:73], v[86:87], 0
	s_wait_loadcnt 0x2
	s_delay_alu instid0(VALU_DEP_1) | instskip(SKIP_1) | instid1(VALU_DEP_1)
	v_fmac_f64_e32 v[86:87], v[74:75], v[88:89]
	s_wait_dscnt 0x0
	v_fmac_f64_e32 v[86:87], v[76:77], v[90:91]
	ds_load_b128 v[72:75], v2 offset:512
	ds_load_b64 v[76:77], v2 offset:528
	s_wait_loadcnt 0x1
	v_fmac_f64_e32 v[86:87], v[78:79], v[92:93]
	s_wait_dscnt 0x1
	s_delay_alu instid0(VALU_DEP_1) | instskip(SKIP_1) | instid1(VALU_DEP_1)
	v_fmac_f64_e32 v[86:87], v[80:81], v[72:73]
	s_wait_loadcnt 0x0
	v_fmac_f64_e32 v[86:87], v[82:83], v[74:75]
	s_wait_dscnt 0x0
	s_delay_alu instid0(VALU_DEP_1) | instskip(NEXT) | instid1(VALU_DEP_1)
	v_fmac_f64_e32 v[86:87], v[84:85], v[76:77]
	v_add_f64_e64 v[70:71], v[70:71], -v[86:87]
	scratch_store_b64 off, v[70:71], off offset:200
	s_wait_xcnt 0x0
	v_cmpx_lt_u32_e32 24, v0
	s_cbranch_execz .LBB32_159
; %bb.158:
	scratch_load_b64 v[70:71], off, off offset:192
	v_mov_b64_e32 v[72:73], 0
	scratch_store_b64 off, v[72:73], off offset:192
	s_wait_loadcnt 0x0
	ds_store_b64 v1, v[70:71]
.LBB32_159:
	s_wait_xcnt 0x0
	s_or_b32 exec_lo, exec_lo, s0
	s_wait_storecnt_dscnt 0x0
	s_barrier_signal -1
	s_barrier_wait -1
	s_clause 0x4
	scratch_load_b128 v[70:73], off, off offset:192
	scratch_load_b128 v[74:77], off, off offset:208
	scratch_load_b128 v[78:81], off, off offset:224
	scratch_load_b128 v[82:85], off, off offset:240
	scratch_load_b64 v[94:95], off, off offset:256
	ds_load_2addr_b64 v[86:89], v2 offset0:59 offset1:60
	ds_load_2addr_b64 v[90:93], v2 offset0:61 offset1:62
	s_mov_b32 s0, exec_lo
	s_wait_loadcnt_dscnt 0x401
	v_fma_f64 v[86:87], v[72:73], v[86:87], 0
	s_wait_loadcnt 0x3
	s_delay_alu instid0(VALU_DEP_1) | instskip(SKIP_1) | instid1(VALU_DEP_1)
	v_fmac_f64_e32 v[86:87], v[74:75], v[88:89]
	s_wait_dscnt 0x0
	v_fmac_f64_e32 v[86:87], v[76:77], v[90:91]
	s_wait_loadcnt 0x2
	s_delay_alu instid0(VALU_DEP_1)
	v_fmac_f64_e32 v[86:87], v[78:79], v[92:93]
	ds_load_2addr_b64 v[72:75], v2 offset0:63 offset1:64
	ds_load_2addr_b64 v[76:79], v2 offset0:65 offset1:66
	s_wait_dscnt 0x1
	v_fmac_f64_e32 v[86:87], v[80:81], v[72:73]
	s_wait_loadcnt 0x1
	s_delay_alu instid0(VALU_DEP_1) | instskip(SKIP_1) | instid1(VALU_DEP_1)
	v_fmac_f64_e32 v[86:87], v[82:83], v[74:75]
	s_wait_dscnt 0x0
	v_fmac_f64_e32 v[86:87], v[84:85], v[76:77]
	s_wait_loadcnt 0x0
	s_delay_alu instid0(VALU_DEP_1) | instskip(NEXT) | instid1(VALU_DEP_1)
	v_fmac_f64_e32 v[86:87], v[94:95], v[78:79]
	v_add_f64_e64 v[2:3], v[70:71], -v[86:87]
	scratch_store_b64 off, v[2:3], off offset:192
	s_wait_xcnt 0x0
	v_cmpx_lt_u32_e32 23, v0
	s_cbranch_execz .LBB32_161
; %bb.160:
	scratch_load_b64 v[2:3], off, off offset:184
	v_mov_b64_e32 v[70:71], 0
	scratch_store_b64 off, v[70:71], off offset:184
	s_wait_loadcnt 0x0
	ds_store_b64 v1, v[2:3]
.LBB32_161:
	s_wait_xcnt 0x0
	s_or_b32 exec_lo, exec_lo, s0
	s_wait_storecnt_dscnt 0x0
	s_barrier_signal -1
	s_barrier_wait -1
	s_clause 0x4
	scratch_load_b128 v[70:73], off, off offset:184
	scratch_load_b128 v[74:77], off, off offset:200
	;; [unrolled: 1-line block ×5, first 2 shown]
	v_mov_b32_e32 v2, 0
	ds_load_b128 v[90:93], v2 offset:464
	ds_load_b128 v[94:97], v2 offset:480
	s_mov_b32 s0, exec_lo
	s_wait_loadcnt_dscnt 0x401
	v_fma_f64 v[90:91], v[72:73], v[90:91], 0
	s_wait_loadcnt 0x3
	s_delay_alu instid0(VALU_DEP_1) | instskip(SKIP_1) | instid1(VALU_DEP_1)
	v_fmac_f64_e32 v[90:91], v[74:75], v[92:93]
	s_wait_dscnt 0x0
	v_fmac_f64_e32 v[90:91], v[76:77], v[94:95]
	s_wait_loadcnt 0x2
	s_delay_alu instid0(VALU_DEP_1)
	v_fmac_f64_e32 v[90:91], v[78:79], v[96:97]
	ds_load_b128 v[72:75], v2 offset:496
	ds_load_b128 v[76:79], v2 offset:512
	s_wait_dscnt 0x1
	v_fmac_f64_e32 v[90:91], v[80:81], v[72:73]
	ds_load_b64 v[72:73], v2 offset:528
	s_wait_loadcnt 0x1
	v_fmac_f64_e32 v[90:91], v[82:83], v[74:75]
	s_wait_dscnt 0x1
	s_delay_alu instid0(VALU_DEP_1) | instskip(SKIP_1) | instid1(VALU_DEP_1)
	v_fmac_f64_e32 v[90:91], v[84:85], v[76:77]
	s_wait_loadcnt 0x0
	v_fmac_f64_e32 v[90:91], v[86:87], v[78:79]
	s_wait_dscnt 0x0
	s_delay_alu instid0(VALU_DEP_1) | instskip(NEXT) | instid1(VALU_DEP_1)
	v_fmac_f64_e32 v[90:91], v[88:89], v[72:73]
	v_add_f64_e64 v[70:71], v[70:71], -v[90:91]
	scratch_store_b64 off, v[70:71], off offset:184
	s_wait_xcnt 0x0
	v_cmpx_lt_u32_e32 22, v0
	s_cbranch_execz .LBB32_163
; %bb.162:
	scratch_load_b64 v[70:71], off, off offset:176
	v_mov_b64_e32 v[72:73], 0
	scratch_store_b64 off, v[72:73], off offset:176
	s_wait_loadcnt 0x0
	ds_store_b64 v1, v[70:71]
.LBB32_163:
	s_wait_xcnt 0x0
	s_or_b32 exec_lo, exec_lo, s0
	s_wait_storecnt_dscnt 0x0
	s_barrier_signal -1
	s_barrier_wait -1
	s_clause 0x5
	scratch_load_b128 v[70:73], off, off offset:176
	scratch_load_b128 v[74:77], off, off offset:192
	;; [unrolled: 1-line block ×5, first 2 shown]
	scratch_load_b64 v[98:99], off, off offset:256
	ds_load_2addr_b64 v[90:93], v2 offset0:57 offset1:58
	ds_load_2addr_b64 v[94:97], v2 offset0:59 offset1:60
	s_mov_b32 s0, exec_lo
	s_wait_loadcnt_dscnt 0x501
	v_fma_f64 v[90:91], v[72:73], v[90:91], 0
	s_wait_loadcnt 0x4
	s_delay_alu instid0(VALU_DEP_1) | instskip(SKIP_1) | instid1(VALU_DEP_1)
	v_fmac_f64_e32 v[90:91], v[74:75], v[92:93]
	s_wait_dscnt 0x0
	v_fmac_f64_e32 v[90:91], v[76:77], v[94:95]
	s_wait_loadcnt 0x3
	s_delay_alu instid0(VALU_DEP_1)
	v_fmac_f64_e32 v[90:91], v[78:79], v[96:97]
	ds_load_2addr_b64 v[72:75], v2 offset0:61 offset1:62
	ds_load_2addr_b64 v[76:79], v2 offset0:63 offset1:64
	s_wait_dscnt 0x1
	v_fmac_f64_e32 v[90:91], v[80:81], v[72:73]
	s_wait_loadcnt 0x2
	s_delay_alu instid0(VALU_DEP_1) | instskip(SKIP_4) | instid1(VALU_DEP_1)
	v_fmac_f64_e32 v[90:91], v[82:83], v[74:75]
	ds_load_2addr_b64 v[72:75], v2 offset0:65 offset1:66
	s_wait_dscnt 0x1
	v_fmac_f64_e32 v[90:91], v[84:85], v[76:77]
	s_wait_loadcnt 0x1
	v_fmac_f64_e32 v[90:91], v[86:87], v[78:79]
	s_wait_dscnt 0x0
	s_delay_alu instid0(VALU_DEP_1) | instskip(SKIP_1) | instid1(VALU_DEP_1)
	v_fmac_f64_e32 v[90:91], v[88:89], v[72:73]
	s_wait_loadcnt 0x0
	v_fmac_f64_e32 v[90:91], v[98:99], v[74:75]
	s_delay_alu instid0(VALU_DEP_1)
	v_add_f64_e64 v[2:3], v[70:71], -v[90:91]
	scratch_store_b64 off, v[2:3], off offset:176
	s_wait_xcnt 0x0
	v_cmpx_lt_u32_e32 21, v0
	s_cbranch_execz .LBB32_165
; %bb.164:
	scratch_load_b64 v[2:3], off, off offset:168
	v_mov_b64_e32 v[70:71], 0
	scratch_store_b64 off, v[70:71], off offset:168
	s_wait_loadcnt 0x0
	ds_store_b64 v1, v[2:3]
.LBB32_165:
	s_wait_xcnt 0x0
	s_or_b32 exec_lo, exec_lo, s0
	s_wait_storecnt_dscnt 0x0
	s_barrier_signal -1
	s_barrier_wait -1
	s_clause 0x5
	scratch_load_b128 v[70:73], off, off offset:168
	scratch_load_b128 v[74:77], off, off offset:184
	;; [unrolled: 1-line block ×6, first 2 shown]
	v_mov_b32_e32 v2, 0
	ds_load_b128 v[94:97], v2 offset:448
	ds_load_b128 v[98:101], v2 offset:464
	s_mov_b32 s0, exec_lo
	s_wait_loadcnt_dscnt 0x501
	v_fma_f64 v[94:95], v[72:73], v[94:95], 0
	s_wait_loadcnt 0x4
	s_delay_alu instid0(VALU_DEP_1) | instskip(SKIP_1) | instid1(VALU_DEP_1)
	v_fmac_f64_e32 v[94:95], v[74:75], v[96:97]
	s_wait_dscnt 0x0
	v_fmac_f64_e32 v[94:95], v[76:77], v[98:99]
	s_wait_loadcnt 0x3
	s_delay_alu instid0(VALU_DEP_1)
	v_fmac_f64_e32 v[94:95], v[78:79], v[100:101]
	ds_load_b128 v[72:75], v2 offset:480
	ds_load_b128 v[76:79], v2 offset:496
	s_wait_dscnt 0x1
	v_fmac_f64_e32 v[94:95], v[80:81], v[72:73]
	s_wait_loadcnt 0x2
	s_delay_alu instid0(VALU_DEP_1) | instskip(SKIP_1) | instid1(VALU_DEP_1)
	v_fmac_f64_e32 v[94:95], v[82:83], v[74:75]
	s_wait_dscnt 0x0
	v_fmac_f64_e32 v[94:95], v[84:85], v[76:77]
	ds_load_b128 v[72:75], v2 offset:512
	ds_load_b64 v[76:77], v2 offset:528
	s_wait_loadcnt 0x1
	v_fmac_f64_e32 v[94:95], v[86:87], v[78:79]
	s_wait_dscnt 0x1
	s_delay_alu instid0(VALU_DEP_1) | instskip(SKIP_1) | instid1(VALU_DEP_1)
	v_fmac_f64_e32 v[94:95], v[88:89], v[72:73]
	s_wait_loadcnt 0x0
	v_fmac_f64_e32 v[94:95], v[90:91], v[74:75]
	s_wait_dscnt 0x0
	s_delay_alu instid0(VALU_DEP_1) | instskip(NEXT) | instid1(VALU_DEP_1)
	v_fmac_f64_e32 v[94:95], v[92:93], v[76:77]
	v_add_f64_e64 v[70:71], v[70:71], -v[94:95]
	scratch_store_b64 off, v[70:71], off offset:168
	s_wait_xcnt 0x0
	v_cmpx_lt_u32_e32 20, v0
	s_cbranch_execz .LBB32_167
; %bb.166:
	scratch_load_b64 v[70:71], off, off offset:160
	v_mov_b64_e32 v[72:73], 0
	scratch_store_b64 off, v[72:73], off offset:160
	s_wait_loadcnt 0x0
	ds_store_b64 v1, v[70:71]
.LBB32_167:
	s_wait_xcnt 0x0
	s_or_b32 exec_lo, exec_lo, s0
	s_wait_storecnt_dscnt 0x0
	s_barrier_signal -1
	s_barrier_wait -1
	s_clause 0x5
	scratch_load_b128 v[70:73], off, off offset:160
	scratch_load_b128 v[74:77], off, off offset:176
	;; [unrolled: 1-line block ×6, first 2 shown]
	ds_load_2addr_b64 v[94:97], v2 offset0:55 offset1:56
	ds_load_2addr_b64 v[98:101], v2 offset0:57 offset1:58
	s_mov_b32 s0, exec_lo
	s_wait_loadcnt_dscnt 0x501
	v_fma_f64 v[94:95], v[72:73], v[94:95], 0
	s_wait_loadcnt 0x4
	s_delay_alu instid0(VALU_DEP_1) | instskip(SKIP_4) | instid1(VALU_DEP_1)
	v_fmac_f64_e32 v[94:95], v[74:75], v[96:97]
	scratch_load_b64 v[96:97], off, off offset:256
	s_wait_dscnt 0x0
	v_fmac_f64_e32 v[94:95], v[76:77], v[98:99]
	s_wait_loadcnt 0x4
	v_fmac_f64_e32 v[94:95], v[78:79], v[100:101]
	ds_load_2addr_b64 v[72:75], v2 offset0:59 offset1:60
	ds_load_2addr_b64 v[76:79], v2 offset0:61 offset1:62
	s_wait_dscnt 0x1
	v_fmac_f64_e32 v[94:95], v[80:81], v[72:73]
	s_wait_loadcnt 0x3
	s_delay_alu instid0(VALU_DEP_1) | instskip(SKIP_1) | instid1(VALU_DEP_1)
	v_fmac_f64_e32 v[94:95], v[82:83], v[74:75]
	s_wait_dscnt 0x0
	v_fmac_f64_e32 v[94:95], v[84:85], v[76:77]
	s_wait_loadcnt 0x2
	s_delay_alu instid0(VALU_DEP_1)
	v_fmac_f64_e32 v[94:95], v[86:87], v[78:79]
	ds_load_2addr_b64 v[72:75], v2 offset0:63 offset1:64
	ds_load_2addr_b64 v[76:79], v2 offset0:65 offset1:66
	s_wait_dscnt 0x1
	v_fmac_f64_e32 v[94:95], v[88:89], v[72:73]
	s_wait_loadcnt 0x1
	s_delay_alu instid0(VALU_DEP_1) | instskip(SKIP_1) | instid1(VALU_DEP_1)
	v_fmac_f64_e32 v[94:95], v[90:91], v[74:75]
	s_wait_dscnt 0x0
	v_fmac_f64_e32 v[94:95], v[92:93], v[76:77]
	s_wait_loadcnt 0x0
	s_delay_alu instid0(VALU_DEP_1) | instskip(NEXT) | instid1(VALU_DEP_1)
	v_fmac_f64_e32 v[94:95], v[96:97], v[78:79]
	v_add_f64_e64 v[2:3], v[70:71], -v[94:95]
	scratch_store_b64 off, v[2:3], off offset:160
	s_wait_xcnt 0x0
	v_cmpx_lt_u32_e32 19, v0
	s_cbranch_execz .LBB32_169
; %bb.168:
	scratch_load_b64 v[2:3], off, off offset:152
	v_mov_b64_e32 v[70:71], 0
	scratch_store_b64 off, v[70:71], off offset:152
	s_wait_loadcnt 0x0
	ds_store_b64 v1, v[2:3]
.LBB32_169:
	s_wait_xcnt 0x0
	s_or_b32 exec_lo, exec_lo, s0
	s_wait_storecnt_dscnt 0x0
	s_barrier_signal -1
	s_barrier_wait -1
	s_clause 0x5
	scratch_load_b128 v[70:73], off, off offset:152
	scratch_load_b128 v[74:77], off, off offset:168
	;; [unrolled: 1-line block ×6, first 2 shown]
	v_mov_b32_e32 v2, 0
	ds_load_b128 v[94:97], v2 offset:432
	ds_load_b128 v[98:101], v2 offset:448
	s_mov_b32 s0, exec_lo
	s_wait_loadcnt_dscnt 0x501
	v_fma_f64 v[102:103], v[72:73], v[94:95], 0
	s_wait_loadcnt 0x4
	s_delay_alu instid0(VALU_DEP_1) | instskip(SKIP_4) | instid1(VALU_DEP_1)
	v_fmac_f64_e32 v[102:103], v[74:75], v[96:97]
	scratch_load_b128 v[72:75], off, off offset:248
	s_wait_dscnt 0x0
	v_fmac_f64_e32 v[102:103], v[76:77], v[98:99]
	s_wait_loadcnt 0x4
	v_fmac_f64_e32 v[102:103], v[78:79], v[100:101]
	ds_load_b128 v[76:79], v2 offset:464
	ds_load_b128 v[94:97], v2 offset:480
	s_wait_dscnt 0x1
	v_fmac_f64_e32 v[102:103], v[80:81], v[76:77]
	s_wait_loadcnt 0x3
	s_delay_alu instid0(VALU_DEP_1)
	v_fmac_f64_e32 v[102:103], v[82:83], v[78:79]
	ds_load_b128 v[76:79], v2 offset:496
	ds_load_b128 v[80:83], v2 offset:512
	s_wait_dscnt 0x2
	v_fmac_f64_e32 v[102:103], v[84:85], v[94:95]
	s_wait_loadcnt 0x2
	s_delay_alu instid0(VALU_DEP_1) | instskip(SKIP_1) | instid1(VALU_DEP_1)
	v_fmac_f64_e32 v[102:103], v[86:87], v[96:97]
	s_wait_dscnt 0x1
	v_fmac_f64_e32 v[102:103], v[88:89], v[76:77]
	s_wait_loadcnt 0x1
	s_delay_alu instid0(VALU_DEP_1) | instskip(SKIP_1) | instid1(VALU_DEP_1)
	v_fmac_f64_e32 v[102:103], v[90:91], v[78:79]
	s_wait_dscnt 0x0
	v_fmac_f64_e32 v[102:103], v[92:93], v[80:81]
	s_wait_loadcnt 0x0
	s_delay_alu instid0(VALU_DEP_1) | instskip(SKIP_3) | instid1(VALU_DEP_1)
	v_fmac_f64_e32 v[102:103], v[72:73], v[82:83]
	ds_load_b64 v[72:73], v2 offset:528
	s_wait_dscnt 0x0
	v_fmac_f64_e32 v[102:103], v[74:75], v[72:73]
	v_add_f64_e64 v[70:71], v[70:71], -v[102:103]
	scratch_store_b64 off, v[70:71], off offset:152
	s_wait_xcnt 0x0
	v_cmpx_lt_u32_e32 18, v0
	s_cbranch_execz .LBB32_171
; %bb.170:
	scratch_load_b64 v[70:71], off, off offset:144
	v_mov_b64_e32 v[72:73], 0
	scratch_store_b64 off, v[72:73], off offset:144
	s_wait_loadcnt 0x0
	ds_store_b64 v1, v[70:71]
.LBB32_171:
	s_wait_xcnt 0x0
	s_or_b32 exec_lo, exec_lo, s0
	s_wait_storecnt_dscnt 0x0
	s_barrier_signal -1
	s_barrier_wait -1
	s_clause 0x5
	scratch_load_b128 v[70:73], off, off offset:144
	scratch_load_b128 v[74:77], off, off offset:160
	;; [unrolled: 1-line block ×6, first 2 shown]
	ds_load_2addr_b64 v[94:97], v2 offset0:53 offset1:54
	ds_load_2addr_b64 v[98:101], v2 offset0:55 offset1:56
	s_mov_b32 s0, exec_lo
	s_wait_loadcnt_dscnt 0x501
	v_fma_f64 v[102:103], v[72:73], v[94:95], 0
	s_wait_loadcnt 0x4
	s_delay_alu instid0(VALU_DEP_1)
	v_fmac_f64_e32 v[102:103], v[74:75], v[96:97]
	scratch_load_b128 v[72:75], off, off offset:240
	s_wait_dscnt 0x0
	v_fmac_f64_e32 v[102:103], v[76:77], v[98:99]
	scratch_load_b64 v[98:99], off, off offset:256
	s_wait_loadcnt 0x5
	v_fmac_f64_e32 v[102:103], v[78:79], v[100:101]
	ds_load_2addr_b64 v[76:79], v2 offset0:57 offset1:58
	ds_load_2addr_b64 v[94:97], v2 offset0:59 offset1:60
	s_wait_dscnt 0x1
	v_fmac_f64_e32 v[102:103], v[80:81], v[76:77]
	s_wait_loadcnt 0x4
	s_delay_alu instid0(VALU_DEP_1)
	v_fmac_f64_e32 v[102:103], v[82:83], v[78:79]
	ds_load_2addr_b64 v[76:79], v2 offset0:61 offset1:62
	ds_load_2addr_b64 v[80:83], v2 offset0:63 offset1:64
	s_wait_dscnt 0x2
	v_fmac_f64_e32 v[102:103], v[84:85], v[94:95]
	s_wait_loadcnt 0x3
	s_delay_alu instid0(VALU_DEP_1) | instskip(SKIP_1) | instid1(VALU_DEP_1)
	v_fmac_f64_e32 v[102:103], v[86:87], v[96:97]
	s_wait_dscnt 0x1
	v_fmac_f64_e32 v[102:103], v[88:89], v[76:77]
	s_wait_loadcnt 0x2
	s_delay_alu instid0(VALU_DEP_1) | instskip(SKIP_4) | instid1(VALU_DEP_1)
	v_fmac_f64_e32 v[102:103], v[90:91], v[78:79]
	ds_load_2addr_b64 v[76:79], v2 offset0:65 offset1:66
	s_wait_dscnt 0x1
	v_fmac_f64_e32 v[102:103], v[92:93], v[80:81]
	s_wait_loadcnt 0x1
	v_fmac_f64_e32 v[102:103], v[72:73], v[82:83]
	s_wait_dscnt 0x0
	s_delay_alu instid0(VALU_DEP_1) | instskip(SKIP_1) | instid1(VALU_DEP_1)
	v_fmac_f64_e32 v[102:103], v[74:75], v[76:77]
	s_wait_loadcnt 0x0
	v_fmac_f64_e32 v[102:103], v[98:99], v[78:79]
	s_delay_alu instid0(VALU_DEP_1)
	v_add_f64_e64 v[2:3], v[70:71], -v[102:103]
	scratch_store_b64 off, v[2:3], off offset:144
	s_wait_xcnt 0x0
	v_cmpx_lt_u32_e32 17, v0
	s_cbranch_execz .LBB32_173
; %bb.172:
	scratch_load_b64 v[2:3], off, off offset:136
	v_mov_b64_e32 v[70:71], 0
	scratch_store_b64 off, v[70:71], off offset:136
	s_wait_loadcnt 0x0
	ds_store_b64 v1, v[2:3]
.LBB32_173:
	s_wait_xcnt 0x0
	s_or_b32 exec_lo, exec_lo, s0
	s_wait_storecnt_dscnt 0x0
	s_barrier_signal -1
	s_barrier_wait -1
	s_clause 0x5
	scratch_load_b128 v[70:73], off, off offset:136
	scratch_load_b128 v[74:77], off, off offset:152
	;; [unrolled: 1-line block ×6, first 2 shown]
	v_mov_b32_e32 v2, 0
	ds_load_b128 v[94:97], v2 offset:416
	ds_load_b128 v[98:101], v2 offset:432
	s_mov_b32 s0, exec_lo
	s_wait_loadcnt_dscnt 0x501
	v_fma_f64 v[102:103], v[72:73], v[94:95], 0
	s_wait_loadcnt 0x4
	s_delay_alu instid0(VALU_DEP_1) | instskip(SKIP_4) | instid1(VALU_DEP_1)
	v_fmac_f64_e32 v[102:103], v[74:75], v[96:97]
	scratch_load_b128 v[72:75], off, off offset:232
	s_wait_dscnt 0x0
	v_fmac_f64_e32 v[102:103], v[76:77], v[98:99]
	s_wait_loadcnt 0x4
	v_fmac_f64_e32 v[102:103], v[78:79], v[100:101]
	scratch_load_b128 v[76:79], off, off offset:248
	ds_load_b128 v[94:97], v2 offset:448
	ds_load_b128 v[98:101], v2 offset:464
	s_wait_dscnt 0x1
	v_fmac_f64_e32 v[102:103], v[80:81], v[94:95]
	s_wait_loadcnt 0x4
	s_delay_alu instid0(VALU_DEP_1) | instskip(SKIP_1) | instid1(VALU_DEP_1)
	v_fmac_f64_e32 v[102:103], v[82:83], v[96:97]
	s_wait_dscnt 0x0
	v_fmac_f64_e32 v[102:103], v[84:85], v[98:99]
	s_wait_loadcnt 0x3
	s_delay_alu instid0(VALU_DEP_1)
	v_fmac_f64_e32 v[102:103], v[86:87], v[100:101]
	ds_load_b128 v[80:83], v2 offset:480
	ds_load_b128 v[84:87], v2 offset:496
	s_wait_dscnt 0x1
	v_fmac_f64_e32 v[102:103], v[88:89], v[80:81]
	s_wait_loadcnt 0x2
	s_delay_alu instid0(VALU_DEP_1) | instskip(SKIP_1) | instid1(VALU_DEP_1)
	v_fmac_f64_e32 v[102:103], v[90:91], v[82:83]
	s_wait_dscnt 0x0
	v_fmac_f64_e32 v[102:103], v[92:93], v[84:85]
	s_wait_loadcnt 0x1
	s_delay_alu instid0(VALU_DEP_1)
	v_fmac_f64_e32 v[102:103], v[72:73], v[86:87]
	ds_load_b128 v[80:83], v2 offset:512
	ds_load_b64 v[72:73], v2 offset:528
	s_wait_dscnt 0x1
	v_fmac_f64_e32 v[102:103], v[74:75], v[80:81]
	s_wait_loadcnt 0x0
	s_delay_alu instid0(VALU_DEP_1) | instskip(SKIP_1) | instid1(VALU_DEP_1)
	v_fmac_f64_e32 v[102:103], v[76:77], v[82:83]
	s_wait_dscnt 0x0
	v_fmac_f64_e32 v[102:103], v[78:79], v[72:73]
	s_delay_alu instid0(VALU_DEP_1)
	v_add_f64_e64 v[70:71], v[70:71], -v[102:103]
	scratch_store_b64 off, v[70:71], off offset:136
	s_wait_xcnt 0x0
	v_cmpx_lt_u32_e32 16, v0
	s_cbranch_execz .LBB32_175
; %bb.174:
	scratch_load_b64 v[70:71], off, off offset:128
	v_mov_b64_e32 v[72:73], 0
	scratch_store_b64 off, v[72:73], off offset:128
	s_wait_loadcnt 0x0
	ds_store_b64 v1, v[70:71]
.LBB32_175:
	s_wait_xcnt 0x0
	s_or_b32 exec_lo, exec_lo, s0
	s_wait_storecnt_dscnt 0x0
	s_barrier_signal -1
	s_barrier_wait -1
	s_clause 0x5
	scratch_load_b128 v[70:73], off, off offset:128
	scratch_load_b128 v[74:77], off, off offset:144
	;; [unrolled: 1-line block ×6, first 2 shown]
	ds_load_2addr_b64 v[94:97], v2 offset0:51 offset1:52
	ds_load_2addr_b64 v[98:101], v2 offset0:53 offset1:54
	s_mov_b32 s0, exec_lo
	s_wait_loadcnt_dscnt 0x501
	v_fma_f64 v[102:103], v[72:73], v[94:95], 0
	s_wait_loadcnt 0x4
	s_delay_alu instid0(VALU_DEP_1) | instskip(SKIP_4) | instid1(VALU_DEP_1)
	v_fmac_f64_e32 v[102:103], v[74:75], v[96:97]
	scratch_load_b128 v[72:75], off, off offset:224
	s_wait_dscnt 0x0
	v_fmac_f64_e32 v[102:103], v[76:77], v[98:99]
	s_wait_loadcnt 0x4
	v_fmac_f64_e32 v[102:103], v[78:79], v[100:101]
	scratch_load_b128 v[76:79], off, off offset:240
	ds_load_2addr_b64 v[94:97], v2 offset0:55 offset1:56
	ds_load_2addr_b64 v[98:101], v2 offset0:57 offset1:58
	s_wait_dscnt 0x1
	v_fmac_f64_e32 v[102:103], v[80:81], v[94:95]
	scratch_load_b64 v[94:95], off, off offset:256
	s_wait_loadcnt 0x5
	v_fmac_f64_e32 v[102:103], v[82:83], v[96:97]
	s_wait_dscnt 0x0
	s_delay_alu instid0(VALU_DEP_1) | instskip(SKIP_1) | instid1(VALU_DEP_1)
	v_fmac_f64_e32 v[102:103], v[84:85], v[98:99]
	s_wait_loadcnt 0x4
	v_fmac_f64_e32 v[102:103], v[86:87], v[100:101]
	ds_load_2addr_b64 v[80:83], v2 offset0:59 offset1:60
	ds_load_2addr_b64 v[84:87], v2 offset0:61 offset1:62
	s_wait_dscnt 0x1
	v_fmac_f64_e32 v[102:103], v[88:89], v[80:81]
	s_wait_loadcnt 0x3
	s_delay_alu instid0(VALU_DEP_1) | instskip(SKIP_1) | instid1(VALU_DEP_1)
	v_fmac_f64_e32 v[102:103], v[90:91], v[82:83]
	s_wait_dscnt 0x0
	v_fmac_f64_e32 v[102:103], v[92:93], v[84:85]
	s_wait_loadcnt 0x2
	s_delay_alu instid0(VALU_DEP_1)
	v_fmac_f64_e32 v[102:103], v[72:73], v[86:87]
	ds_load_2addr_b64 v[80:83], v2 offset0:63 offset1:64
	ds_load_2addr_b64 v[84:87], v2 offset0:65 offset1:66
	s_wait_dscnt 0x1
	v_fmac_f64_e32 v[102:103], v[74:75], v[80:81]
	s_wait_loadcnt 0x1
	s_delay_alu instid0(VALU_DEP_1) | instskip(SKIP_1) | instid1(VALU_DEP_1)
	v_fmac_f64_e32 v[102:103], v[76:77], v[82:83]
	s_wait_dscnt 0x0
	v_fmac_f64_e32 v[102:103], v[78:79], v[84:85]
	s_wait_loadcnt 0x0
	s_delay_alu instid0(VALU_DEP_1) | instskip(NEXT) | instid1(VALU_DEP_1)
	v_fmac_f64_e32 v[102:103], v[94:95], v[86:87]
	v_add_f64_e64 v[2:3], v[70:71], -v[102:103]
	scratch_store_b64 off, v[2:3], off offset:128
	s_wait_xcnt 0x0
	v_cmpx_lt_u32_e32 15, v0
	s_cbranch_execz .LBB32_177
; %bb.176:
	scratch_load_b64 v[2:3], off, off offset:120
	v_mov_b64_e32 v[70:71], 0
	scratch_store_b64 off, v[70:71], off offset:120
	s_wait_loadcnt 0x0
	ds_store_b64 v1, v[2:3]
.LBB32_177:
	s_wait_xcnt 0x0
	s_or_b32 exec_lo, exec_lo, s0
	s_wait_storecnt_dscnt 0x0
	s_barrier_signal -1
	s_barrier_wait -1
	s_clause 0x5
	scratch_load_b128 v[70:73], off, off offset:120
	scratch_load_b128 v[74:77], off, off offset:136
	;; [unrolled: 1-line block ×6, first 2 shown]
	v_mov_b32_e32 v2, 0
	ds_load_b128 v[94:97], v2 offset:400
	ds_load_b128 v[98:101], v2 offset:416
	s_mov_b32 s0, exec_lo
	s_wait_loadcnt_dscnt 0x501
	v_fma_f64 v[102:103], v[72:73], v[94:95], 0
	s_wait_loadcnt 0x4
	s_delay_alu instid0(VALU_DEP_1) | instskip(SKIP_4) | instid1(VALU_DEP_1)
	v_fmac_f64_e32 v[102:103], v[74:75], v[96:97]
	scratch_load_b128 v[72:75], off, off offset:216
	s_wait_dscnt 0x0
	v_fmac_f64_e32 v[102:103], v[76:77], v[98:99]
	s_wait_loadcnt 0x4
	v_fmac_f64_e32 v[102:103], v[78:79], v[100:101]
	scratch_load_b128 v[76:79], off, off offset:232
	ds_load_b128 v[94:97], v2 offset:432
	ds_load_b128 v[98:101], v2 offset:448
	s_wait_dscnt 0x1
	v_fmac_f64_e32 v[102:103], v[80:81], v[94:95]
	s_wait_loadcnt 0x4
	s_delay_alu instid0(VALU_DEP_1) | instskip(SKIP_4) | instid1(VALU_DEP_1)
	v_fmac_f64_e32 v[102:103], v[82:83], v[96:97]
	scratch_load_b128 v[80:83], off, off offset:248
	s_wait_dscnt 0x0
	v_fmac_f64_e32 v[102:103], v[84:85], v[98:99]
	s_wait_loadcnt 0x4
	v_fmac_f64_e32 v[102:103], v[86:87], v[100:101]
	ds_load_b128 v[84:87], v2 offset:464
	ds_load_b128 v[94:97], v2 offset:480
	s_wait_dscnt 0x1
	v_fmac_f64_e32 v[102:103], v[88:89], v[84:85]
	s_wait_loadcnt 0x3
	s_delay_alu instid0(VALU_DEP_1)
	v_fmac_f64_e32 v[102:103], v[90:91], v[86:87]
	ds_load_b128 v[84:87], v2 offset:496
	ds_load_b128 v[88:91], v2 offset:512
	s_wait_dscnt 0x2
	v_fmac_f64_e32 v[102:103], v[92:93], v[94:95]
	s_wait_loadcnt 0x2
	s_delay_alu instid0(VALU_DEP_1) | instskip(SKIP_4) | instid1(VALU_DEP_1)
	v_fmac_f64_e32 v[102:103], v[72:73], v[96:97]
	ds_load_b64 v[72:73], v2 offset:528
	s_wait_dscnt 0x2
	v_fmac_f64_e32 v[102:103], v[74:75], v[84:85]
	s_wait_loadcnt 0x1
	v_fmac_f64_e32 v[102:103], v[76:77], v[86:87]
	s_wait_dscnt 0x1
	s_delay_alu instid0(VALU_DEP_1) | instskip(SKIP_1) | instid1(VALU_DEP_1)
	v_fmac_f64_e32 v[102:103], v[78:79], v[88:89]
	s_wait_loadcnt 0x0
	v_fmac_f64_e32 v[102:103], v[80:81], v[90:91]
	s_wait_dscnt 0x0
	s_delay_alu instid0(VALU_DEP_1) | instskip(NEXT) | instid1(VALU_DEP_1)
	v_fmac_f64_e32 v[102:103], v[82:83], v[72:73]
	v_add_f64_e64 v[70:71], v[70:71], -v[102:103]
	scratch_store_b64 off, v[70:71], off offset:120
	s_wait_xcnt 0x0
	v_cmpx_lt_u32_e32 14, v0
	s_cbranch_execz .LBB32_179
; %bb.178:
	scratch_load_b64 v[70:71], off, off offset:112
	v_mov_b64_e32 v[72:73], 0
	scratch_store_b64 off, v[72:73], off offset:112
	s_wait_loadcnt 0x0
	ds_store_b64 v1, v[70:71]
.LBB32_179:
	s_wait_xcnt 0x0
	s_or_b32 exec_lo, exec_lo, s0
	s_wait_storecnt_dscnt 0x0
	s_barrier_signal -1
	s_barrier_wait -1
	s_clause 0x5
	scratch_load_b128 v[70:73], off, off offset:112
	scratch_load_b128 v[74:77], off, off offset:128
	;; [unrolled: 1-line block ×6, first 2 shown]
	ds_load_2addr_b64 v[94:97], v2 offset0:49 offset1:50
	ds_load_2addr_b64 v[98:101], v2 offset0:51 offset1:52
	s_mov_b32 s0, exec_lo
	s_wait_loadcnt_dscnt 0x501
	v_fma_f64 v[102:103], v[72:73], v[94:95], 0
	s_wait_loadcnt 0x4
	s_delay_alu instid0(VALU_DEP_1) | instskip(SKIP_4) | instid1(VALU_DEP_1)
	v_fmac_f64_e32 v[102:103], v[74:75], v[96:97]
	scratch_load_b128 v[72:75], off, off offset:208
	s_wait_dscnt 0x0
	v_fmac_f64_e32 v[102:103], v[76:77], v[98:99]
	s_wait_loadcnt 0x4
	v_fmac_f64_e32 v[102:103], v[78:79], v[100:101]
	scratch_load_b128 v[76:79], off, off offset:224
	ds_load_2addr_b64 v[94:97], v2 offset0:53 offset1:54
	ds_load_2addr_b64 v[98:101], v2 offset0:55 offset1:56
	s_wait_dscnt 0x1
	v_fmac_f64_e32 v[102:103], v[80:81], v[94:95]
	s_wait_loadcnt 0x4
	s_delay_alu instid0(VALU_DEP_1)
	v_fmac_f64_e32 v[102:103], v[82:83], v[96:97]
	scratch_load_b128 v[80:83], off, off offset:240
	s_wait_dscnt 0x0
	v_fmac_f64_e32 v[102:103], v[84:85], v[98:99]
	scratch_load_b64 v[98:99], off, off offset:256
	s_wait_loadcnt 0x5
	v_fmac_f64_e32 v[102:103], v[86:87], v[100:101]
	ds_load_2addr_b64 v[84:87], v2 offset0:57 offset1:58
	ds_load_2addr_b64 v[94:97], v2 offset0:59 offset1:60
	s_wait_dscnt 0x1
	v_fmac_f64_e32 v[102:103], v[88:89], v[84:85]
	s_wait_loadcnt 0x4
	s_delay_alu instid0(VALU_DEP_1)
	v_fmac_f64_e32 v[102:103], v[90:91], v[86:87]
	ds_load_2addr_b64 v[84:87], v2 offset0:61 offset1:62
	ds_load_2addr_b64 v[88:91], v2 offset0:63 offset1:64
	s_wait_dscnt 0x2
	v_fmac_f64_e32 v[102:103], v[92:93], v[94:95]
	s_wait_loadcnt 0x3
	s_delay_alu instid0(VALU_DEP_1) | instskip(SKIP_1) | instid1(VALU_DEP_1)
	v_fmac_f64_e32 v[102:103], v[72:73], v[96:97]
	s_wait_dscnt 0x1
	v_fmac_f64_e32 v[102:103], v[74:75], v[84:85]
	ds_load_2addr_b64 v[72:75], v2 offset0:65 offset1:66
	s_wait_loadcnt 0x2
	v_fmac_f64_e32 v[102:103], v[76:77], v[86:87]
	s_wait_dscnt 0x1
	s_delay_alu instid0(VALU_DEP_1) | instskip(SKIP_1) | instid1(VALU_DEP_1)
	v_fmac_f64_e32 v[102:103], v[78:79], v[88:89]
	s_wait_loadcnt 0x1
	v_fmac_f64_e32 v[102:103], v[80:81], v[90:91]
	s_wait_dscnt 0x0
	s_delay_alu instid0(VALU_DEP_1) | instskip(SKIP_1) | instid1(VALU_DEP_1)
	v_fmac_f64_e32 v[102:103], v[82:83], v[72:73]
	s_wait_loadcnt 0x0
	v_fmac_f64_e32 v[102:103], v[98:99], v[74:75]
	s_delay_alu instid0(VALU_DEP_1)
	v_add_f64_e64 v[2:3], v[70:71], -v[102:103]
	scratch_store_b64 off, v[2:3], off offset:112
	s_wait_xcnt 0x0
	v_cmpx_lt_u32_e32 13, v0
	s_cbranch_execz .LBB32_181
; %bb.180:
	scratch_load_b64 v[2:3], off, off offset:104
	v_mov_b64_e32 v[70:71], 0
	scratch_store_b64 off, v[70:71], off offset:104
	s_wait_loadcnt 0x0
	ds_store_b64 v1, v[2:3]
.LBB32_181:
	s_wait_xcnt 0x0
	s_or_b32 exec_lo, exec_lo, s0
	s_wait_storecnt_dscnt 0x0
	s_barrier_signal -1
	s_barrier_wait -1
	s_clause 0x5
	scratch_load_b128 v[70:73], off, off offset:104
	scratch_load_b128 v[74:77], off, off offset:120
	;; [unrolled: 1-line block ×6, first 2 shown]
	v_mov_b32_e32 v2, 0
	ds_load_b128 v[94:97], v2 offset:384
	ds_load_b128 v[98:101], v2 offset:400
	s_mov_b32 s0, exec_lo
	s_wait_loadcnt_dscnt 0x501
	v_fma_f64 v[102:103], v[72:73], v[94:95], 0
	s_wait_loadcnt 0x4
	s_delay_alu instid0(VALU_DEP_1) | instskip(SKIP_4) | instid1(VALU_DEP_1)
	v_fmac_f64_e32 v[102:103], v[74:75], v[96:97]
	scratch_load_b128 v[72:75], off, off offset:200
	s_wait_dscnt 0x0
	v_fmac_f64_e32 v[102:103], v[76:77], v[98:99]
	s_wait_loadcnt 0x4
	v_fmac_f64_e32 v[102:103], v[78:79], v[100:101]
	scratch_load_b128 v[76:79], off, off offset:216
	ds_load_b128 v[94:97], v2 offset:416
	ds_load_b128 v[98:101], v2 offset:432
	s_wait_dscnt 0x1
	v_fmac_f64_e32 v[102:103], v[80:81], v[94:95]
	s_wait_loadcnt 0x4
	s_delay_alu instid0(VALU_DEP_1) | instskip(SKIP_4) | instid1(VALU_DEP_1)
	v_fmac_f64_e32 v[102:103], v[82:83], v[96:97]
	scratch_load_b128 v[80:83], off, off offset:232
	s_wait_dscnt 0x0
	v_fmac_f64_e32 v[102:103], v[84:85], v[98:99]
	s_wait_loadcnt 0x4
	v_fmac_f64_e32 v[102:103], v[86:87], v[100:101]
	scratch_load_b128 v[84:87], off, off offset:248
	ds_load_b128 v[94:97], v2 offset:448
	ds_load_b128 v[98:101], v2 offset:464
	s_wait_dscnt 0x1
	v_fmac_f64_e32 v[102:103], v[88:89], v[94:95]
	s_wait_loadcnt 0x4
	s_delay_alu instid0(VALU_DEP_1) | instskip(SKIP_1) | instid1(VALU_DEP_1)
	v_fmac_f64_e32 v[102:103], v[90:91], v[96:97]
	s_wait_dscnt 0x0
	v_fmac_f64_e32 v[102:103], v[92:93], v[98:99]
	ds_load_b128 v[88:91], v2 offset:480
	ds_load_b128 v[92:95], v2 offset:496
	s_wait_loadcnt 0x3
	v_fmac_f64_e32 v[102:103], v[72:73], v[100:101]
	s_wait_dscnt 0x1
	s_delay_alu instid0(VALU_DEP_1) | instskip(SKIP_1) | instid1(VALU_DEP_1)
	v_fmac_f64_e32 v[102:103], v[74:75], v[88:89]
	s_wait_loadcnt 0x2
	v_fmac_f64_e32 v[102:103], v[76:77], v[90:91]
	ds_load_b128 v[72:75], v2 offset:512
	ds_load_b64 v[76:77], v2 offset:528
	s_wait_dscnt 0x2
	v_fmac_f64_e32 v[102:103], v[78:79], v[92:93]
	s_wait_loadcnt 0x1
	s_delay_alu instid0(VALU_DEP_1) | instskip(SKIP_1) | instid1(VALU_DEP_1)
	v_fmac_f64_e32 v[102:103], v[80:81], v[94:95]
	s_wait_dscnt 0x1
	v_fmac_f64_e32 v[102:103], v[82:83], v[72:73]
	s_wait_loadcnt 0x0
	s_delay_alu instid0(VALU_DEP_1) | instskip(SKIP_1) | instid1(VALU_DEP_1)
	v_fmac_f64_e32 v[102:103], v[84:85], v[74:75]
	s_wait_dscnt 0x0
	v_fmac_f64_e32 v[102:103], v[86:87], v[76:77]
	s_delay_alu instid0(VALU_DEP_1)
	v_add_f64_e64 v[70:71], v[70:71], -v[102:103]
	scratch_store_b64 off, v[70:71], off offset:104
	s_wait_xcnt 0x0
	v_cmpx_lt_u32_e32 12, v0
	s_cbranch_execz .LBB32_183
; %bb.182:
	scratch_load_b64 v[70:71], off, off offset:96
	v_mov_b64_e32 v[72:73], 0
	scratch_store_b64 off, v[72:73], off offset:96
	s_wait_loadcnt 0x0
	ds_store_b64 v1, v[70:71]
.LBB32_183:
	s_wait_xcnt 0x0
	s_or_b32 exec_lo, exec_lo, s0
	s_wait_storecnt_dscnt 0x0
	s_barrier_signal -1
	s_barrier_wait -1
	s_clause 0x5
	scratch_load_b128 v[70:73], off, off offset:96
	scratch_load_b128 v[74:77], off, off offset:112
	;; [unrolled: 1-line block ×6, first 2 shown]
	ds_load_2addr_b64 v[94:97], v2 offset0:47 offset1:48
	ds_load_2addr_b64 v[98:101], v2 offset0:49 offset1:50
	s_mov_b32 s0, exec_lo
	s_wait_loadcnt_dscnt 0x501
	v_fma_f64 v[102:103], v[72:73], v[94:95], 0
	s_wait_loadcnt 0x4
	s_delay_alu instid0(VALU_DEP_1) | instskip(SKIP_4) | instid1(VALU_DEP_1)
	v_fmac_f64_e32 v[102:103], v[74:75], v[96:97]
	scratch_load_b128 v[72:75], off, off offset:192
	s_wait_dscnt 0x0
	v_fmac_f64_e32 v[102:103], v[76:77], v[98:99]
	s_wait_loadcnt 0x4
	v_fmac_f64_e32 v[102:103], v[78:79], v[100:101]
	scratch_load_b128 v[76:79], off, off offset:208
	ds_load_2addr_b64 v[94:97], v2 offset0:51 offset1:52
	ds_load_2addr_b64 v[98:101], v2 offset0:53 offset1:54
	s_wait_dscnt 0x1
	v_fmac_f64_e32 v[102:103], v[80:81], v[94:95]
	s_wait_loadcnt 0x4
	s_delay_alu instid0(VALU_DEP_1) | instskip(SKIP_4) | instid1(VALU_DEP_1)
	v_fmac_f64_e32 v[102:103], v[82:83], v[96:97]
	scratch_load_b128 v[80:83], off, off offset:224
	s_wait_dscnt 0x0
	v_fmac_f64_e32 v[102:103], v[84:85], v[98:99]
	s_wait_loadcnt 0x4
	v_fmac_f64_e32 v[102:103], v[86:87], v[100:101]
	scratch_load_b128 v[84:87], off, off offset:240
	ds_load_2addr_b64 v[94:97], v2 offset0:55 offset1:56
	ds_load_2addr_b64 v[98:101], v2 offset0:57 offset1:58
	s_wait_dscnt 0x1
	v_fmac_f64_e32 v[102:103], v[88:89], v[94:95]
	s_wait_loadcnt 0x4
	s_delay_alu instid0(VALU_DEP_1)
	v_fmac_f64_e32 v[102:103], v[90:91], v[96:97]
	scratch_load_b64 v[96:97], off, off offset:256
	s_wait_dscnt 0x0
	v_fmac_f64_e32 v[102:103], v[92:93], v[98:99]
	ds_load_2addr_b64 v[88:91], v2 offset0:59 offset1:60
	ds_load_2addr_b64 v[92:95], v2 offset0:61 offset1:62
	s_wait_loadcnt 0x4
	v_fmac_f64_e32 v[102:103], v[72:73], v[100:101]
	s_wait_dscnt 0x1
	s_delay_alu instid0(VALU_DEP_1) | instskip(SKIP_1) | instid1(VALU_DEP_1)
	v_fmac_f64_e32 v[102:103], v[74:75], v[88:89]
	s_wait_loadcnt 0x3
	v_fmac_f64_e32 v[102:103], v[76:77], v[90:91]
	s_wait_dscnt 0x0
	s_delay_alu instid0(VALU_DEP_1)
	v_fmac_f64_e32 v[102:103], v[78:79], v[92:93]
	ds_load_2addr_b64 v[72:75], v2 offset0:63 offset1:64
	ds_load_2addr_b64 v[76:79], v2 offset0:65 offset1:66
	s_wait_loadcnt 0x2
	v_fmac_f64_e32 v[102:103], v[80:81], v[94:95]
	s_wait_dscnt 0x1
	s_delay_alu instid0(VALU_DEP_1) | instskip(SKIP_1) | instid1(VALU_DEP_1)
	v_fmac_f64_e32 v[102:103], v[82:83], v[72:73]
	s_wait_loadcnt 0x1
	v_fmac_f64_e32 v[102:103], v[84:85], v[74:75]
	s_wait_dscnt 0x0
	s_delay_alu instid0(VALU_DEP_1) | instskip(SKIP_1) | instid1(VALU_DEP_1)
	v_fmac_f64_e32 v[102:103], v[86:87], v[76:77]
	s_wait_loadcnt 0x0
	v_fmac_f64_e32 v[102:103], v[96:97], v[78:79]
	s_delay_alu instid0(VALU_DEP_1)
	v_add_f64_e64 v[2:3], v[70:71], -v[102:103]
	scratch_store_b64 off, v[2:3], off offset:96
	s_wait_xcnt 0x0
	v_cmpx_lt_u32_e32 11, v0
	s_cbranch_execz .LBB32_185
; %bb.184:
	scratch_load_b64 v[2:3], off, off offset:88
	v_mov_b64_e32 v[70:71], 0
	scratch_store_b64 off, v[70:71], off offset:88
	s_wait_loadcnt 0x0
	ds_store_b64 v1, v[2:3]
.LBB32_185:
	s_wait_xcnt 0x0
	s_or_b32 exec_lo, exec_lo, s0
	s_wait_storecnt_dscnt 0x0
	s_barrier_signal -1
	s_barrier_wait -1
	s_clause 0x5
	scratch_load_b128 v[70:73], off, off offset:88
	scratch_load_b128 v[74:77], off, off offset:104
	;; [unrolled: 1-line block ×6, first 2 shown]
	v_mov_b32_e32 v2, 0
	ds_load_b128 v[94:97], v2 offset:368
	ds_load_b128 v[98:101], v2 offset:384
	s_mov_b32 s0, exec_lo
	s_wait_loadcnt_dscnt 0x501
	v_fma_f64 v[102:103], v[72:73], v[94:95], 0
	s_wait_loadcnt 0x4
	s_delay_alu instid0(VALU_DEP_1) | instskip(SKIP_4) | instid1(VALU_DEP_1)
	v_fmac_f64_e32 v[102:103], v[74:75], v[96:97]
	scratch_load_b128 v[72:75], off, off offset:184
	s_wait_dscnt 0x0
	v_fmac_f64_e32 v[102:103], v[76:77], v[98:99]
	s_wait_loadcnt 0x4
	v_fmac_f64_e32 v[102:103], v[78:79], v[100:101]
	scratch_load_b128 v[76:79], off, off offset:200
	ds_load_b128 v[94:97], v2 offset:400
	ds_load_b128 v[98:101], v2 offset:416
	s_wait_dscnt 0x1
	v_fmac_f64_e32 v[102:103], v[80:81], v[94:95]
	s_wait_loadcnt 0x4
	s_delay_alu instid0(VALU_DEP_1) | instskip(SKIP_4) | instid1(VALU_DEP_1)
	v_fmac_f64_e32 v[102:103], v[82:83], v[96:97]
	scratch_load_b128 v[80:83], off, off offset:216
	s_wait_dscnt 0x0
	v_fmac_f64_e32 v[102:103], v[84:85], v[98:99]
	s_wait_loadcnt 0x4
	v_fmac_f64_e32 v[102:103], v[86:87], v[100:101]
	scratch_load_b128 v[84:87], off, off offset:232
	ds_load_b128 v[94:97], v2 offset:432
	ds_load_b128 v[98:101], v2 offset:448
	s_wait_dscnt 0x1
	v_fmac_f64_e32 v[102:103], v[88:89], v[94:95]
	s_wait_loadcnt 0x4
	s_delay_alu instid0(VALU_DEP_1)
	v_fmac_f64_e32 v[102:103], v[90:91], v[96:97]
	scratch_load_b128 v[88:91], off, off offset:248
	s_wait_dscnt 0x0
	v_fmac_f64_e32 v[102:103], v[92:93], v[98:99]
	ds_load_b128 v[92:95], v2 offset:464
	ds_load_b128 v[96:99], v2 offset:480
	s_wait_loadcnt 0x4
	v_fmac_f64_e32 v[102:103], v[72:73], v[100:101]
	s_wait_dscnt 0x1
	s_delay_alu instid0(VALU_DEP_1) | instskip(SKIP_1) | instid1(VALU_DEP_1)
	v_fmac_f64_e32 v[102:103], v[74:75], v[92:93]
	s_wait_loadcnt 0x3
	v_fmac_f64_e32 v[102:103], v[76:77], v[94:95]
	s_wait_dscnt 0x0
	s_delay_alu instid0(VALU_DEP_1)
	v_fmac_f64_e32 v[102:103], v[78:79], v[96:97]
	ds_load_b128 v[72:75], v2 offset:496
	ds_load_b128 v[76:79], v2 offset:512
	s_wait_loadcnt 0x2
	v_fmac_f64_e32 v[102:103], v[80:81], v[98:99]
	s_wait_dscnt 0x1
	s_delay_alu instid0(VALU_DEP_1) | instskip(SKIP_4) | instid1(VALU_DEP_1)
	v_fmac_f64_e32 v[102:103], v[82:83], v[72:73]
	ds_load_b64 v[72:73], v2 offset:528
	s_wait_loadcnt 0x1
	v_fmac_f64_e32 v[102:103], v[84:85], v[74:75]
	s_wait_dscnt 0x1
	v_fmac_f64_e32 v[102:103], v[86:87], v[76:77]
	s_wait_loadcnt 0x0
	s_delay_alu instid0(VALU_DEP_1) | instskip(SKIP_1) | instid1(VALU_DEP_1)
	v_fmac_f64_e32 v[102:103], v[88:89], v[78:79]
	s_wait_dscnt 0x0
	v_fmac_f64_e32 v[102:103], v[90:91], v[72:73]
	s_delay_alu instid0(VALU_DEP_1)
	v_add_f64_e64 v[70:71], v[70:71], -v[102:103]
	scratch_store_b64 off, v[70:71], off offset:88
	s_wait_xcnt 0x0
	v_cmpx_lt_u32_e32 10, v0
	s_cbranch_execz .LBB32_187
; %bb.186:
	scratch_load_b64 v[70:71], off, off offset:80
	v_mov_b64_e32 v[72:73], 0
	scratch_store_b64 off, v[72:73], off offset:80
	s_wait_loadcnt 0x0
	ds_store_b64 v1, v[70:71]
.LBB32_187:
	s_wait_xcnt 0x0
	s_or_b32 exec_lo, exec_lo, s0
	s_wait_storecnt_dscnt 0x0
	s_barrier_signal -1
	s_barrier_wait -1
	s_clause 0x5
	scratch_load_b128 v[70:73], off, off offset:80
	scratch_load_b128 v[74:77], off, off offset:96
	;; [unrolled: 1-line block ×6, first 2 shown]
	ds_load_2addr_b64 v[94:97], v2 offset0:45 offset1:46
	ds_load_2addr_b64 v[98:101], v2 offset0:47 offset1:48
	scratch_load_b128 v[102:105], off, off offset:176
	s_mov_b32 s0, exec_lo
	s_wait_loadcnt_dscnt 0x601
	v_fma_f64 v[106:107], v[72:73], v[94:95], 0
	s_wait_loadcnt 0x5
	s_delay_alu instid0(VALU_DEP_1) | instskip(SKIP_4) | instid1(VALU_DEP_1)
	v_fmac_f64_e32 v[106:107], v[74:75], v[96:97]
	scratch_load_b128 v[72:75], off, off offset:192
	s_wait_dscnt 0x0
	v_fmac_f64_e32 v[106:107], v[76:77], v[98:99]
	s_wait_loadcnt 0x5
	v_fmac_f64_e32 v[106:107], v[78:79], v[100:101]
	ds_load_2addr_b64 v[76:79], v2 offset0:49 offset1:50
	ds_load_2addr_b64 v[94:97], v2 offset0:51 offset1:52
	s_wait_dscnt 0x1
	v_fmac_f64_e32 v[106:107], v[80:81], v[76:77]
	s_wait_loadcnt 0x4
	s_delay_alu instid0(VALU_DEP_1)
	v_fmac_f64_e32 v[106:107], v[82:83], v[78:79]
	s_clause 0x1
	scratch_load_b128 v[76:79], off, off offset:208
	scratch_load_b128 v[80:83], off, off offset:224
	s_wait_dscnt 0x0
	v_fmac_f64_e32 v[106:107], v[84:85], v[94:95]
	s_wait_loadcnt 0x5
	s_delay_alu instid0(VALU_DEP_1)
	v_fmac_f64_e32 v[106:107], v[86:87], v[96:97]
	ds_load_2addr_b64 v[84:87], v2 offset0:53 offset1:54
	ds_load_2addr_b64 v[94:97], v2 offset0:55 offset1:56
	s_wait_dscnt 0x1
	v_fmac_f64_e32 v[106:107], v[88:89], v[84:85]
	s_wait_loadcnt 0x4
	s_delay_alu instid0(VALU_DEP_1) | instskip(SKIP_4) | instid1(VALU_DEP_1)
	v_fmac_f64_e32 v[106:107], v[90:91], v[86:87]
	scratch_load_b128 v[84:87], off, off offset:240
	s_wait_dscnt 0x0
	v_fmac_f64_e32 v[106:107], v[92:93], v[94:95]
	s_wait_loadcnt 0x4
	v_fmac_f64_e32 v[106:107], v[102:103], v[96:97]
	scratch_load_b64 v[96:97], off, off offset:256
	ds_load_2addr_b64 v[88:91], v2 offset0:57 offset1:58
	ds_load_2addr_b64 v[92:95], v2 offset0:59 offset1:60
	s_wait_dscnt 0x1
	v_fmac_f64_e32 v[106:107], v[104:105], v[88:89]
	s_wait_loadcnt 0x4
	s_delay_alu instid0(VALU_DEP_1) | instskip(SKIP_1) | instid1(VALU_DEP_1)
	v_fmac_f64_e32 v[106:107], v[72:73], v[90:91]
	s_wait_dscnt 0x0
	v_fmac_f64_e32 v[106:107], v[74:75], v[92:93]
	ds_load_2addr_b64 v[72:75], v2 offset0:61 offset1:62
	ds_load_2addr_b64 v[88:91], v2 offset0:63 offset1:64
	s_wait_loadcnt 0x3
	v_fmac_f64_e32 v[106:107], v[76:77], v[94:95]
	s_wait_dscnt 0x1
	s_delay_alu instid0(VALU_DEP_1) | instskip(SKIP_1) | instid1(VALU_DEP_1)
	v_fmac_f64_e32 v[106:107], v[78:79], v[72:73]
	s_wait_loadcnt 0x2
	v_fmac_f64_e32 v[106:107], v[80:81], v[74:75]
	ds_load_2addr_b64 v[72:75], v2 offset0:65 offset1:66
	s_wait_dscnt 0x1
	v_fmac_f64_e32 v[106:107], v[82:83], v[88:89]
	s_wait_loadcnt 0x1
	s_delay_alu instid0(VALU_DEP_1) | instskip(SKIP_1) | instid1(VALU_DEP_1)
	v_fmac_f64_e32 v[106:107], v[84:85], v[90:91]
	s_wait_dscnt 0x0
	v_fmac_f64_e32 v[106:107], v[86:87], v[72:73]
	s_wait_loadcnt 0x0
	s_delay_alu instid0(VALU_DEP_1) | instskip(NEXT) | instid1(VALU_DEP_1)
	v_fmac_f64_e32 v[106:107], v[96:97], v[74:75]
	v_add_f64_e64 v[2:3], v[70:71], -v[106:107]
	scratch_store_b64 off, v[2:3], off offset:80
	s_wait_xcnt 0x0
	v_cmpx_lt_u32_e32 9, v0
	s_cbranch_execz .LBB32_189
; %bb.188:
	scratch_load_b64 v[2:3], off, off offset:72
	v_mov_b64_e32 v[70:71], 0
	scratch_store_b64 off, v[70:71], off offset:72
	s_wait_loadcnt 0x0
	ds_store_b64 v1, v[2:3]
.LBB32_189:
	s_wait_xcnt 0x0
	s_or_b32 exec_lo, exec_lo, s0
	s_wait_storecnt_dscnt 0x0
	s_barrier_signal -1
	s_barrier_wait -1
	s_clause 0x5
	scratch_load_b128 v[70:73], off, off offset:72
	scratch_load_b128 v[74:77], off, off offset:88
	scratch_load_b128 v[78:81], off, off offset:104
	scratch_load_b128 v[82:85], off, off offset:120
	scratch_load_b128 v[86:89], off, off offset:136
	scratch_load_b128 v[90:93], off, off offset:152
	v_mov_b32_e32 v2, 0
	ds_load_b128 v[94:97], v2 offset:352
	ds_load_b128 v[98:101], v2 offset:368
	scratch_load_b128 v[102:105], off, off offset:168
	s_mov_b32 s0, exec_lo
	s_wait_loadcnt_dscnt 0x601
	v_fma_f64 v[106:107], v[72:73], v[94:95], 0
	s_wait_loadcnt 0x5
	s_delay_alu instid0(VALU_DEP_1) | instskip(SKIP_4) | instid1(VALU_DEP_1)
	v_fmac_f64_e32 v[106:107], v[74:75], v[96:97]
	scratch_load_b128 v[72:75], off, off offset:184
	s_wait_dscnt 0x0
	v_fmac_f64_e32 v[106:107], v[76:77], v[98:99]
	s_wait_loadcnt 0x5
	v_fmac_f64_e32 v[106:107], v[78:79], v[100:101]
	ds_load_b128 v[76:79], v2 offset:384
	ds_load_b128 v[94:97], v2 offset:400
	s_wait_dscnt 0x1
	v_fmac_f64_e32 v[106:107], v[80:81], v[76:77]
	s_wait_loadcnt 0x4
	s_delay_alu instid0(VALU_DEP_1)
	v_fmac_f64_e32 v[106:107], v[82:83], v[78:79]
	s_clause 0x1
	scratch_load_b128 v[76:79], off, off offset:200
	scratch_load_b128 v[80:83], off, off offset:216
	s_wait_dscnt 0x0
	v_fmac_f64_e32 v[106:107], v[84:85], v[94:95]
	s_wait_loadcnt 0x5
	s_delay_alu instid0(VALU_DEP_1)
	v_fmac_f64_e32 v[106:107], v[86:87], v[96:97]
	ds_load_b128 v[84:87], v2 offset:416
	ds_load_b128 v[94:97], v2 offset:432
	s_wait_dscnt 0x1
	v_fmac_f64_e32 v[106:107], v[88:89], v[84:85]
	s_wait_loadcnt 0x4
	s_delay_alu instid0(VALU_DEP_1)
	v_fmac_f64_e32 v[106:107], v[90:91], v[86:87]
	s_clause 0x1
	scratch_load_b128 v[84:87], off, off offset:232
	scratch_load_b128 v[88:91], off, off offset:248
	s_wait_dscnt 0x0
	v_fmac_f64_e32 v[106:107], v[92:93], v[94:95]
	s_wait_loadcnt 0x5
	s_delay_alu instid0(VALU_DEP_1)
	v_fmac_f64_e32 v[106:107], v[102:103], v[96:97]
	ds_load_b128 v[92:95], v2 offset:448
	ds_load_b128 v[96:99], v2 offset:464
	s_wait_dscnt 0x1
	v_fmac_f64_e32 v[106:107], v[104:105], v[92:93]
	s_wait_loadcnt 0x4
	s_delay_alu instid0(VALU_DEP_1) | instskip(SKIP_1) | instid1(VALU_DEP_1)
	v_fmac_f64_e32 v[106:107], v[72:73], v[94:95]
	s_wait_dscnt 0x0
	v_fmac_f64_e32 v[106:107], v[74:75], v[96:97]
	ds_load_b128 v[72:75], v2 offset:480
	ds_load_b128 v[92:95], v2 offset:496
	s_wait_loadcnt 0x3
	v_fmac_f64_e32 v[106:107], v[76:77], v[98:99]
	s_wait_dscnt 0x1
	s_delay_alu instid0(VALU_DEP_1) | instskip(SKIP_1) | instid1(VALU_DEP_1)
	v_fmac_f64_e32 v[106:107], v[78:79], v[72:73]
	s_wait_loadcnt 0x2
	v_fmac_f64_e32 v[106:107], v[80:81], v[74:75]
	ds_load_b128 v[72:75], v2 offset:512
	ds_load_b64 v[76:77], v2 offset:528
	s_wait_dscnt 0x2
	v_fmac_f64_e32 v[106:107], v[82:83], v[92:93]
	s_wait_loadcnt 0x1
	s_delay_alu instid0(VALU_DEP_1) | instskip(SKIP_1) | instid1(VALU_DEP_1)
	v_fmac_f64_e32 v[106:107], v[84:85], v[94:95]
	s_wait_dscnt 0x1
	v_fmac_f64_e32 v[106:107], v[86:87], v[72:73]
	s_wait_loadcnt 0x0
	s_delay_alu instid0(VALU_DEP_1) | instskip(SKIP_1) | instid1(VALU_DEP_1)
	v_fmac_f64_e32 v[106:107], v[88:89], v[74:75]
	s_wait_dscnt 0x0
	v_fmac_f64_e32 v[106:107], v[90:91], v[76:77]
	s_delay_alu instid0(VALU_DEP_1)
	v_add_f64_e64 v[70:71], v[70:71], -v[106:107]
	scratch_store_b64 off, v[70:71], off offset:72
	s_wait_xcnt 0x0
	v_cmpx_lt_u32_e32 8, v0
	s_cbranch_execz .LBB32_191
; %bb.190:
	scratch_load_b64 v[70:71], off, off offset:64
	v_mov_b64_e32 v[72:73], 0
	scratch_store_b64 off, v[72:73], off offset:64
	s_wait_loadcnt 0x0
	ds_store_b64 v1, v[70:71]
.LBB32_191:
	s_wait_xcnt 0x0
	s_or_b32 exec_lo, exec_lo, s0
	s_wait_storecnt_dscnt 0x0
	s_barrier_signal -1
	s_barrier_wait -1
	s_clause 0x5
	scratch_load_b128 v[70:73], off, off offset:64
	scratch_load_b128 v[74:77], off, off offset:80
	;; [unrolled: 1-line block ×6, first 2 shown]
	ds_load_2addr_b64 v[94:97], v2 offset0:43 offset1:44
	ds_load_2addr_b64 v[98:101], v2 offset0:45 offset1:46
	scratch_load_b128 v[102:105], off, off offset:160
	s_mov_b32 s0, exec_lo
	s_wait_loadcnt_dscnt 0x601
	v_fma_f64 v[106:107], v[72:73], v[94:95], 0
	s_wait_loadcnt 0x5
	s_delay_alu instid0(VALU_DEP_1) | instskip(SKIP_4) | instid1(VALU_DEP_1)
	v_fmac_f64_e32 v[106:107], v[74:75], v[96:97]
	scratch_load_b128 v[72:75], off, off offset:176
	s_wait_dscnt 0x0
	v_fmac_f64_e32 v[106:107], v[76:77], v[98:99]
	s_wait_loadcnt 0x5
	v_fmac_f64_e32 v[106:107], v[78:79], v[100:101]
	ds_load_2addr_b64 v[76:79], v2 offset0:47 offset1:48
	ds_load_2addr_b64 v[94:97], v2 offset0:49 offset1:50
	s_wait_dscnt 0x1
	v_fmac_f64_e32 v[106:107], v[80:81], v[76:77]
	s_wait_loadcnt 0x4
	s_delay_alu instid0(VALU_DEP_1)
	v_fmac_f64_e32 v[106:107], v[82:83], v[78:79]
	s_clause 0x1
	scratch_load_b128 v[76:79], off, off offset:192
	scratch_load_b128 v[80:83], off, off offset:208
	s_wait_dscnt 0x0
	v_fmac_f64_e32 v[106:107], v[84:85], v[94:95]
	s_wait_loadcnt 0x5
	s_delay_alu instid0(VALU_DEP_1)
	v_fmac_f64_e32 v[106:107], v[86:87], v[96:97]
	ds_load_2addr_b64 v[84:87], v2 offset0:51 offset1:52
	ds_load_2addr_b64 v[94:97], v2 offset0:53 offset1:54
	s_wait_dscnt 0x1
	v_fmac_f64_e32 v[106:107], v[88:89], v[84:85]
	s_wait_loadcnt 0x4
	s_delay_alu instid0(VALU_DEP_1)
	v_fmac_f64_e32 v[106:107], v[90:91], v[86:87]
	s_clause 0x1
	scratch_load_b128 v[84:87], off, off offset:224
	scratch_load_b128 v[88:91], off, off offset:240
	s_wait_dscnt 0x0
	v_fmac_f64_e32 v[106:107], v[92:93], v[94:95]
	s_wait_loadcnt 0x5
	s_delay_alu instid0(VALU_DEP_1)
	v_fmac_f64_e32 v[106:107], v[102:103], v[96:97]
	ds_load_2addr_b64 v[92:95], v2 offset0:55 offset1:56
	ds_load_2addr_b64 v[96:99], v2 offset0:57 offset1:58
	scratch_load_b64 v[100:101], off, off offset:256
	s_wait_dscnt 0x1
	v_fmac_f64_e32 v[106:107], v[104:105], v[92:93]
	s_wait_loadcnt 0x5
	s_delay_alu instid0(VALU_DEP_1) | instskip(SKIP_1) | instid1(VALU_DEP_1)
	v_fmac_f64_e32 v[106:107], v[72:73], v[94:95]
	s_wait_dscnt 0x0
	v_fmac_f64_e32 v[106:107], v[74:75], v[96:97]
	ds_load_2addr_b64 v[72:75], v2 offset0:59 offset1:60
	ds_load_2addr_b64 v[92:95], v2 offset0:61 offset1:62
	s_wait_loadcnt 0x4
	v_fmac_f64_e32 v[106:107], v[76:77], v[98:99]
	s_wait_dscnt 0x1
	s_delay_alu instid0(VALU_DEP_1) | instskip(SKIP_1) | instid1(VALU_DEP_1)
	v_fmac_f64_e32 v[106:107], v[78:79], v[72:73]
	s_wait_loadcnt 0x3
	v_fmac_f64_e32 v[106:107], v[80:81], v[74:75]
	ds_load_2addr_b64 v[72:75], v2 offset0:63 offset1:64
	ds_load_2addr_b64 v[76:79], v2 offset0:65 offset1:66
	s_wait_dscnt 0x2
	v_fmac_f64_e32 v[106:107], v[82:83], v[92:93]
	s_wait_loadcnt 0x2
	s_delay_alu instid0(VALU_DEP_1) | instskip(SKIP_1) | instid1(VALU_DEP_1)
	v_fmac_f64_e32 v[106:107], v[84:85], v[94:95]
	s_wait_dscnt 0x1
	v_fmac_f64_e32 v[106:107], v[86:87], v[72:73]
	s_wait_loadcnt 0x1
	s_delay_alu instid0(VALU_DEP_1) | instskip(SKIP_1) | instid1(VALU_DEP_1)
	v_fmac_f64_e32 v[106:107], v[88:89], v[74:75]
	s_wait_dscnt 0x0
	v_fmac_f64_e32 v[106:107], v[90:91], v[76:77]
	s_wait_loadcnt 0x0
	s_delay_alu instid0(VALU_DEP_1) | instskip(NEXT) | instid1(VALU_DEP_1)
	v_fmac_f64_e32 v[106:107], v[100:101], v[78:79]
	v_add_f64_e64 v[2:3], v[70:71], -v[106:107]
	scratch_store_b64 off, v[2:3], off offset:64
	s_wait_xcnt 0x0
	v_cmpx_lt_u32_e32 7, v0
	s_cbranch_execz .LBB32_193
; %bb.192:
	scratch_load_b64 v[2:3], off, off offset:56
	v_mov_b64_e32 v[70:71], 0
	scratch_store_b64 off, v[70:71], off offset:56
	s_wait_loadcnt 0x0
	ds_store_b64 v1, v[2:3]
.LBB32_193:
	s_wait_xcnt 0x0
	s_or_b32 exec_lo, exec_lo, s0
	s_wait_storecnt_dscnt 0x0
	s_barrier_signal -1
	s_barrier_wait -1
	s_clause 0x5
	scratch_load_b128 v[70:73], off, off offset:56
	scratch_load_b128 v[74:77], off, off offset:72
	;; [unrolled: 1-line block ×6, first 2 shown]
	v_mov_b32_e32 v2, 0
	ds_load_b128 v[94:97], v2 offset:336
	ds_load_b128 v[98:101], v2 offset:352
	scratch_load_b128 v[102:105], off, off offset:152
	s_mov_b32 s0, exec_lo
	s_wait_loadcnt_dscnt 0x601
	v_fma_f64 v[106:107], v[72:73], v[94:95], 0
	s_wait_loadcnt 0x5
	s_delay_alu instid0(VALU_DEP_1) | instskip(SKIP_4) | instid1(VALU_DEP_1)
	v_fmac_f64_e32 v[106:107], v[74:75], v[96:97]
	scratch_load_b128 v[72:75], off, off offset:168
	s_wait_dscnt 0x0
	v_fmac_f64_e32 v[106:107], v[76:77], v[98:99]
	s_wait_loadcnt 0x5
	v_fmac_f64_e32 v[106:107], v[78:79], v[100:101]
	ds_load_b128 v[76:79], v2 offset:368
	ds_load_b128 v[94:97], v2 offset:384
	s_wait_dscnt 0x1
	v_fmac_f64_e32 v[106:107], v[80:81], v[76:77]
	s_wait_loadcnt 0x4
	s_delay_alu instid0(VALU_DEP_1)
	v_fmac_f64_e32 v[106:107], v[82:83], v[78:79]
	s_clause 0x1
	scratch_load_b128 v[76:79], off, off offset:184
	scratch_load_b128 v[80:83], off, off offset:200
	s_wait_dscnt 0x0
	v_fmac_f64_e32 v[106:107], v[84:85], v[94:95]
	s_wait_loadcnt 0x5
	s_delay_alu instid0(VALU_DEP_1)
	v_fmac_f64_e32 v[106:107], v[86:87], v[96:97]
	ds_load_b128 v[84:87], v2 offset:400
	ds_load_b128 v[94:97], v2 offset:416
	s_wait_dscnt 0x1
	v_fmac_f64_e32 v[106:107], v[88:89], v[84:85]
	s_wait_loadcnt 0x4
	s_delay_alu instid0(VALU_DEP_1)
	v_fmac_f64_e32 v[106:107], v[90:91], v[86:87]
	s_clause 0x1
	scratch_load_b128 v[84:87], off, off offset:216
	scratch_load_b128 v[88:91], off, off offset:232
	s_wait_dscnt 0x0
	v_fmac_f64_e32 v[106:107], v[92:93], v[94:95]
	s_wait_loadcnt 0x5
	s_delay_alu instid0(VALU_DEP_1)
	v_fmac_f64_e32 v[106:107], v[102:103], v[96:97]
	ds_load_b128 v[92:95], v2 offset:432
	ds_load_b128 v[96:99], v2 offset:448
	s_wait_dscnt 0x1
	v_fmac_f64_e32 v[106:107], v[104:105], v[92:93]
	s_wait_loadcnt 0x4
	s_delay_alu instid0(VALU_DEP_1) | instskip(SKIP_4) | instid1(VALU_DEP_1)
	v_fmac_f64_e32 v[106:107], v[72:73], v[94:95]
	scratch_load_b128 v[92:95], off, off offset:248
	s_wait_dscnt 0x0
	v_fmac_f64_e32 v[106:107], v[74:75], v[96:97]
	s_wait_loadcnt 0x4
	v_fmac_f64_e32 v[106:107], v[76:77], v[98:99]
	ds_load_b128 v[72:75], v2 offset:464
	ds_load_b128 v[96:99], v2 offset:480
	s_wait_dscnt 0x1
	v_fmac_f64_e32 v[106:107], v[78:79], v[72:73]
	s_wait_loadcnt 0x3
	s_delay_alu instid0(VALU_DEP_1)
	v_fmac_f64_e32 v[106:107], v[80:81], v[74:75]
	ds_load_b128 v[72:75], v2 offset:496
	ds_load_b128 v[76:79], v2 offset:512
	s_wait_dscnt 0x2
	v_fmac_f64_e32 v[106:107], v[82:83], v[96:97]
	s_wait_loadcnt 0x2
	s_delay_alu instid0(VALU_DEP_1) | instskip(SKIP_1) | instid1(VALU_DEP_1)
	v_fmac_f64_e32 v[106:107], v[84:85], v[98:99]
	s_wait_dscnt 0x1
	v_fmac_f64_e32 v[106:107], v[86:87], v[72:73]
	ds_load_b64 v[72:73], v2 offset:528
	s_wait_loadcnt 0x1
	v_fmac_f64_e32 v[106:107], v[88:89], v[74:75]
	s_wait_dscnt 0x1
	s_delay_alu instid0(VALU_DEP_1) | instskip(SKIP_1) | instid1(VALU_DEP_1)
	v_fmac_f64_e32 v[106:107], v[90:91], v[76:77]
	s_wait_loadcnt 0x0
	v_fmac_f64_e32 v[106:107], v[92:93], v[78:79]
	s_wait_dscnt 0x0
	s_delay_alu instid0(VALU_DEP_1) | instskip(NEXT) | instid1(VALU_DEP_1)
	v_fmac_f64_e32 v[106:107], v[94:95], v[72:73]
	v_add_f64_e64 v[70:71], v[70:71], -v[106:107]
	scratch_store_b64 off, v[70:71], off offset:56
	s_wait_xcnt 0x0
	v_cmpx_lt_u32_e32 6, v0
	s_cbranch_execz .LBB32_195
; %bb.194:
	scratch_load_b64 v[70:71], off, off offset:48
	v_mov_b64_e32 v[72:73], 0
	scratch_store_b64 off, v[72:73], off offset:48
	s_wait_loadcnt 0x0
	ds_store_b64 v1, v[70:71]
.LBB32_195:
	s_wait_xcnt 0x0
	s_or_b32 exec_lo, exec_lo, s0
	s_wait_storecnt_dscnt 0x0
	s_barrier_signal -1
	s_barrier_wait -1
	s_clause 0x5
	scratch_load_b128 v[70:73], off, off offset:48
	scratch_load_b128 v[74:77], off, off offset:64
	;; [unrolled: 1-line block ×6, first 2 shown]
	ds_load_2addr_b64 v[94:97], v2 offset0:41 offset1:42
	ds_load_2addr_b64 v[98:101], v2 offset0:43 offset1:44
	scratch_load_b128 v[102:105], off, off offset:144
	s_mov_b32 s0, exec_lo
	s_wait_loadcnt_dscnt 0x601
	v_fma_f64 v[106:107], v[72:73], v[94:95], 0
	s_wait_loadcnt 0x5
	s_delay_alu instid0(VALU_DEP_1) | instskip(SKIP_4) | instid1(VALU_DEP_1)
	v_fmac_f64_e32 v[106:107], v[74:75], v[96:97]
	scratch_load_b128 v[72:75], off, off offset:160
	s_wait_dscnt 0x0
	v_fmac_f64_e32 v[106:107], v[76:77], v[98:99]
	s_wait_loadcnt 0x5
	v_fmac_f64_e32 v[106:107], v[78:79], v[100:101]
	ds_load_2addr_b64 v[76:79], v2 offset0:45 offset1:46
	ds_load_2addr_b64 v[94:97], v2 offset0:47 offset1:48
	scratch_load_b128 v[98:101], off, off offset:176
	s_wait_dscnt 0x1
	v_fmac_f64_e32 v[106:107], v[80:81], v[76:77]
	s_wait_loadcnt 0x5
	s_delay_alu instid0(VALU_DEP_1) | instskip(SKIP_4) | instid1(VALU_DEP_1)
	v_fmac_f64_e32 v[106:107], v[82:83], v[78:79]
	scratch_load_b128 v[76:79], off, off offset:192
	s_wait_dscnt 0x0
	v_fmac_f64_e32 v[106:107], v[84:85], v[94:95]
	s_wait_loadcnt 0x5
	v_fmac_f64_e32 v[106:107], v[86:87], v[96:97]
	ds_load_2addr_b64 v[80:83], v2 offset0:49 offset1:50
	ds_load_2addr_b64 v[84:87], v2 offset0:51 offset1:52
	s_wait_dscnt 0x1
	v_fmac_f64_e32 v[106:107], v[88:89], v[80:81]
	s_wait_loadcnt 0x4
	s_delay_alu instid0(VALU_DEP_1) | instskip(SKIP_4) | instid1(VALU_DEP_1)
	v_fmac_f64_e32 v[106:107], v[90:91], v[82:83]
	scratch_load_b128 v[80:83], off, off offset:208
	s_wait_dscnt 0x0
	v_fmac_f64_e32 v[106:107], v[92:93], v[84:85]
	s_wait_loadcnt 0x4
	v_fmac_f64_e32 v[106:107], v[102:103], v[86:87]
	scratch_load_b128 v[84:87], off, off offset:224
	ds_load_2addr_b64 v[88:91], v2 offset0:53 offset1:54
	ds_load_2addr_b64 v[92:95], v2 offset0:55 offset1:56
	scratch_load_b64 v[96:97], off, off offset:256
	s_wait_dscnt 0x1
	v_fmac_f64_e32 v[106:107], v[104:105], v[88:89]
	s_wait_loadcnt 0x5
	s_delay_alu instid0(VALU_DEP_1) | instskip(SKIP_4) | instid1(VALU_DEP_1)
	v_fmac_f64_e32 v[106:107], v[72:73], v[90:91]
	scratch_load_b128 v[88:91], off, off offset:240
	s_wait_dscnt 0x0
	v_fmac_f64_e32 v[106:107], v[74:75], v[92:93]
	s_wait_loadcnt 0x5
	v_fmac_f64_e32 v[106:107], v[98:99], v[94:95]
	ds_load_2addr_b64 v[72:75], v2 offset0:57 offset1:58
	ds_load_2addr_b64 v[92:95], v2 offset0:59 offset1:60
	s_wait_dscnt 0x1
	v_fmac_f64_e32 v[106:107], v[100:101], v[72:73]
	s_wait_loadcnt 0x4
	s_delay_alu instid0(VALU_DEP_1) | instskip(SKIP_1) | instid1(VALU_DEP_1)
	v_fmac_f64_e32 v[106:107], v[76:77], v[74:75]
	s_wait_dscnt 0x0
	v_fmac_f64_e32 v[106:107], v[78:79], v[92:93]
	ds_load_2addr_b64 v[72:75], v2 offset0:61 offset1:62
	ds_load_2addr_b64 v[76:79], v2 offset0:63 offset1:64
	s_wait_loadcnt 0x3
	v_fmac_f64_e32 v[106:107], v[80:81], v[94:95]
	s_wait_dscnt 0x1
	s_delay_alu instid0(VALU_DEP_1) | instskip(SKIP_1) | instid1(VALU_DEP_1)
	v_fmac_f64_e32 v[106:107], v[82:83], v[72:73]
	s_wait_loadcnt 0x2
	v_fmac_f64_e32 v[106:107], v[84:85], v[74:75]
	ds_load_2addr_b64 v[72:75], v2 offset0:65 offset1:66
	s_wait_dscnt 0x1
	v_fmac_f64_e32 v[106:107], v[86:87], v[76:77]
	s_wait_loadcnt 0x0
	s_delay_alu instid0(VALU_DEP_1) | instskip(SKIP_1) | instid1(VALU_DEP_1)
	v_fmac_f64_e32 v[106:107], v[88:89], v[78:79]
	s_wait_dscnt 0x0
	v_fmac_f64_e32 v[106:107], v[90:91], v[72:73]
	s_delay_alu instid0(VALU_DEP_1) | instskip(NEXT) | instid1(VALU_DEP_1)
	v_fmac_f64_e32 v[106:107], v[96:97], v[74:75]
	v_add_f64_e64 v[2:3], v[70:71], -v[106:107]
	scratch_store_b64 off, v[2:3], off offset:48
	s_wait_xcnt 0x0
	v_cmpx_lt_u32_e32 5, v0
	s_cbranch_execz .LBB32_197
; %bb.196:
	scratch_load_b64 v[2:3], off, off offset:40
	v_mov_b64_e32 v[70:71], 0
	scratch_store_b64 off, v[70:71], off offset:40
	s_wait_loadcnt 0x0
	ds_store_b64 v1, v[2:3]
.LBB32_197:
	s_wait_xcnt 0x0
	s_or_b32 exec_lo, exec_lo, s0
	s_wait_storecnt_dscnt 0x0
	s_barrier_signal -1
	s_barrier_wait -1
	s_clause 0x5
	scratch_load_b128 v[70:73], off, off offset:40
	scratch_load_b128 v[74:77], off, off offset:56
	;; [unrolled: 1-line block ×6, first 2 shown]
	v_mov_b32_e32 v2, 0
	ds_load_b128 v[94:97], v2 offset:320
	ds_load_b128 v[98:101], v2 offset:336
	scratch_load_b128 v[102:105], off, off offset:136
	s_mov_b32 s0, exec_lo
	s_wait_loadcnt_dscnt 0x601
	v_fma_f64 v[106:107], v[72:73], v[94:95], 0
	s_wait_loadcnt 0x5
	s_delay_alu instid0(VALU_DEP_1) | instskip(SKIP_4) | instid1(VALU_DEP_1)
	v_fmac_f64_e32 v[106:107], v[74:75], v[96:97]
	scratch_load_b128 v[72:75], off, off offset:152
	s_wait_dscnt 0x0
	v_fmac_f64_e32 v[106:107], v[76:77], v[98:99]
	s_wait_loadcnt 0x5
	v_fmac_f64_e32 v[106:107], v[78:79], v[100:101]
	ds_load_b128 v[76:79], v2 offset:352
	ds_load_b128 v[94:97], v2 offset:368
	scratch_load_b128 v[98:101], off, off offset:168
	s_wait_dscnt 0x1
	v_fmac_f64_e32 v[106:107], v[80:81], v[76:77]
	s_wait_loadcnt 0x5
	s_delay_alu instid0(VALU_DEP_1) | instskip(SKIP_4) | instid1(VALU_DEP_1)
	v_fmac_f64_e32 v[106:107], v[82:83], v[78:79]
	scratch_load_b128 v[76:79], off, off offset:184
	s_wait_dscnt 0x0
	v_fmac_f64_e32 v[106:107], v[84:85], v[94:95]
	s_wait_loadcnt 0x5
	v_fmac_f64_e32 v[106:107], v[86:87], v[96:97]
	ds_load_b128 v[80:83], v2 offset:384
	ds_load_b128 v[84:87], v2 offset:400
	s_wait_dscnt 0x1
	v_fmac_f64_e32 v[106:107], v[88:89], v[80:81]
	s_wait_loadcnt 0x4
	s_delay_alu instid0(VALU_DEP_1) | instskip(SKIP_4) | instid1(VALU_DEP_1)
	v_fmac_f64_e32 v[106:107], v[90:91], v[82:83]
	scratch_load_b128 v[80:83], off, off offset:200
	s_wait_dscnt 0x0
	v_fmac_f64_e32 v[106:107], v[92:93], v[84:85]
	s_wait_loadcnt 0x4
	v_fmac_f64_e32 v[106:107], v[102:103], v[86:87]
	scratch_load_b128 v[84:87], off, off offset:216
	ds_load_b128 v[88:91], v2 offset:416
	ds_load_b128 v[92:95], v2 offset:432
	s_wait_dscnt 0x1
	v_fmac_f64_e32 v[106:107], v[104:105], v[88:89]
	s_wait_loadcnt 0x4
	s_delay_alu instid0(VALU_DEP_1)
	v_fmac_f64_e32 v[106:107], v[72:73], v[90:91]
	scratch_load_b128 v[88:91], off, off offset:232
	s_wait_dscnt 0x0
	v_fmac_f64_e32 v[106:107], v[74:75], v[92:93]
	scratch_load_b128 v[72:75], off, off offset:248
	s_wait_loadcnt 0x5
	v_fmac_f64_e32 v[106:107], v[98:99], v[94:95]
	ds_load_b128 v[92:95], v2 offset:448
	ds_load_b128 v[96:99], v2 offset:464
	s_wait_dscnt 0x1
	v_fmac_f64_e32 v[106:107], v[100:101], v[92:93]
	s_wait_loadcnt 0x4
	s_delay_alu instid0(VALU_DEP_1) | instskip(SKIP_1) | instid1(VALU_DEP_1)
	v_fmac_f64_e32 v[106:107], v[76:77], v[94:95]
	s_wait_dscnt 0x0
	v_fmac_f64_e32 v[106:107], v[78:79], v[96:97]
	ds_load_b128 v[76:79], v2 offset:480
	ds_load_b128 v[92:95], v2 offset:496
	s_wait_loadcnt 0x3
	v_fmac_f64_e32 v[106:107], v[80:81], v[98:99]
	s_wait_dscnt 0x1
	s_delay_alu instid0(VALU_DEP_1) | instskip(SKIP_1) | instid1(VALU_DEP_1)
	v_fmac_f64_e32 v[106:107], v[82:83], v[76:77]
	s_wait_loadcnt 0x2
	v_fmac_f64_e32 v[106:107], v[84:85], v[78:79]
	ds_load_b128 v[76:79], v2 offset:512
	ds_load_b64 v[80:81], v2 offset:528
	s_wait_dscnt 0x2
	v_fmac_f64_e32 v[106:107], v[86:87], v[92:93]
	s_wait_loadcnt 0x1
	s_delay_alu instid0(VALU_DEP_1) | instskip(SKIP_1) | instid1(VALU_DEP_1)
	v_fmac_f64_e32 v[106:107], v[88:89], v[94:95]
	s_wait_dscnt 0x1
	v_fmac_f64_e32 v[106:107], v[90:91], v[76:77]
	s_wait_loadcnt 0x0
	s_delay_alu instid0(VALU_DEP_1) | instskip(SKIP_1) | instid1(VALU_DEP_1)
	v_fmac_f64_e32 v[106:107], v[72:73], v[78:79]
	s_wait_dscnt 0x0
	v_fmac_f64_e32 v[106:107], v[74:75], v[80:81]
	s_delay_alu instid0(VALU_DEP_1)
	v_add_f64_e64 v[70:71], v[70:71], -v[106:107]
	scratch_store_b64 off, v[70:71], off offset:40
	s_wait_xcnt 0x0
	v_cmpx_lt_u32_e32 4, v0
	s_cbranch_execz .LBB32_199
; %bb.198:
	scratch_load_b64 v[70:71], off, off offset:32
	v_mov_b64_e32 v[72:73], 0
	scratch_store_b64 off, v[72:73], off offset:32
	s_wait_loadcnt 0x0
	ds_store_b64 v1, v[70:71]
.LBB32_199:
	s_wait_xcnt 0x0
	s_or_b32 exec_lo, exec_lo, s0
	s_wait_storecnt_dscnt 0x0
	s_barrier_signal -1
	s_barrier_wait -1
	s_clause 0x5
	scratch_load_b128 v[70:73], off, off offset:32
	scratch_load_b128 v[74:77], off, off offset:48
	;; [unrolled: 1-line block ×6, first 2 shown]
	ds_load_2addr_b64 v[94:97], v2 offset0:39 offset1:40
	ds_load_2addr_b64 v[98:101], v2 offset0:41 offset1:42
	scratch_load_b128 v[102:105], off, off offset:128
	s_mov_b32 s0, exec_lo
	s_wait_loadcnt_dscnt 0x601
	v_fma_f64 v[106:107], v[72:73], v[94:95], 0
	s_wait_loadcnt 0x5
	s_delay_alu instid0(VALU_DEP_1) | instskip(SKIP_4) | instid1(VALU_DEP_1)
	v_fmac_f64_e32 v[106:107], v[74:75], v[96:97]
	scratch_load_b128 v[72:75], off, off offset:144
	s_wait_dscnt 0x0
	v_fmac_f64_e32 v[106:107], v[76:77], v[98:99]
	s_wait_loadcnt 0x5
	v_fmac_f64_e32 v[106:107], v[78:79], v[100:101]
	ds_load_2addr_b64 v[76:79], v2 offset0:43 offset1:44
	ds_load_2addr_b64 v[94:97], v2 offset0:45 offset1:46
	scratch_load_b128 v[98:101], off, off offset:160
	s_wait_dscnt 0x1
	v_fmac_f64_e32 v[106:107], v[80:81], v[76:77]
	s_wait_loadcnt 0x5
	s_delay_alu instid0(VALU_DEP_1) | instskip(SKIP_4) | instid1(VALU_DEP_1)
	v_fmac_f64_e32 v[106:107], v[82:83], v[78:79]
	scratch_load_b128 v[76:79], off, off offset:176
	s_wait_dscnt 0x0
	v_fmac_f64_e32 v[106:107], v[84:85], v[94:95]
	s_wait_loadcnt 0x5
	v_fmac_f64_e32 v[106:107], v[86:87], v[96:97]
	ds_load_2addr_b64 v[80:83], v2 offset0:47 offset1:48
	ds_load_2addr_b64 v[84:87], v2 offset0:49 offset1:50
	s_wait_dscnt 0x1
	v_fmac_f64_e32 v[106:107], v[88:89], v[80:81]
	s_wait_loadcnt 0x4
	s_delay_alu instid0(VALU_DEP_1) | instskip(SKIP_4) | instid1(VALU_DEP_1)
	v_fmac_f64_e32 v[106:107], v[90:91], v[82:83]
	scratch_load_b128 v[80:83], off, off offset:192
	s_wait_dscnt 0x0
	v_fmac_f64_e32 v[106:107], v[92:93], v[84:85]
	s_wait_loadcnt 0x4
	v_fmac_f64_e32 v[106:107], v[102:103], v[86:87]
	scratch_load_b128 v[84:87], off, off offset:208
	ds_load_2addr_b64 v[88:91], v2 offset0:51 offset1:52
	ds_load_2addr_b64 v[92:95], v2 offset0:53 offset1:54
	s_wait_dscnt 0x1
	v_fmac_f64_e32 v[106:107], v[104:105], v[88:89]
	s_wait_loadcnt 0x4
	s_delay_alu instid0(VALU_DEP_1)
	v_fmac_f64_e32 v[106:107], v[72:73], v[90:91]
	scratch_load_b128 v[88:91], off, off offset:224
	s_wait_dscnt 0x0
	v_fmac_f64_e32 v[106:107], v[74:75], v[92:93]
	scratch_load_b128 v[72:75], off, off offset:240
	s_wait_loadcnt 0x5
	v_fmac_f64_e32 v[106:107], v[98:99], v[94:95]
	ds_load_2addr_b64 v[92:95], v2 offset0:55 offset1:56
	ds_load_2addr_b64 v[96:99], v2 offset0:57 offset1:58
	s_wait_dscnt 0x1
	v_fmac_f64_e32 v[106:107], v[100:101], v[92:93]
	scratch_load_b64 v[100:101], off, off offset:256
	s_wait_loadcnt 0x5
	v_fmac_f64_e32 v[106:107], v[76:77], v[94:95]
	s_wait_dscnt 0x0
	s_delay_alu instid0(VALU_DEP_1)
	v_fmac_f64_e32 v[106:107], v[78:79], v[96:97]
	ds_load_2addr_b64 v[76:79], v2 offset0:59 offset1:60
	ds_load_2addr_b64 v[92:95], v2 offset0:61 offset1:62
	s_wait_loadcnt 0x4
	v_fmac_f64_e32 v[106:107], v[80:81], v[98:99]
	s_wait_dscnt 0x1
	s_delay_alu instid0(VALU_DEP_1) | instskip(SKIP_1) | instid1(VALU_DEP_1)
	v_fmac_f64_e32 v[106:107], v[82:83], v[76:77]
	s_wait_loadcnt 0x3
	v_fmac_f64_e32 v[106:107], v[84:85], v[78:79]
	ds_load_2addr_b64 v[76:79], v2 offset0:63 offset1:64
	ds_load_2addr_b64 v[80:83], v2 offset0:65 offset1:66
	s_wait_dscnt 0x2
	v_fmac_f64_e32 v[106:107], v[86:87], v[92:93]
	s_wait_loadcnt 0x2
	s_delay_alu instid0(VALU_DEP_1) | instskip(SKIP_1) | instid1(VALU_DEP_1)
	v_fmac_f64_e32 v[106:107], v[88:89], v[94:95]
	s_wait_dscnt 0x1
	v_fmac_f64_e32 v[106:107], v[90:91], v[76:77]
	s_wait_loadcnt 0x1
	s_delay_alu instid0(VALU_DEP_1) | instskip(SKIP_1) | instid1(VALU_DEP_1)
	v_fmac_f64_e32 v[106:107], v[72:73], v[78:79]
	s_wait_dscnt 0x0
	v_fmac_f64_e32 v[106:107], v[74:75], v[80:81]
	s_wait_loadcnt 0x0
	s_delay_alu instid0(VALU_DEP_1) | instskip(NEXT) | instid1(VALU_DEP_1)
	v_fmac_f64_e32 v[106:107], v[100:101], v[82:83]
	v_add_f64_e64 v[2:3], v[70:71], -v[106:107]
	scratch_store_b64 off, v[2:3], off offset:32
	s_wait_xcnt 0x0
	v_cmpx_lt_u32_e32 3, v0
	s_cbranch_execz .LBB32_201
; %bb.200:
	scratch_load_b64 v[2:3], off, off offset:24
	v_mov_b64_e32 v[70:71], 0
	scratch_store_b64 off, v[70:71], off offset:24
	s_wait_loadcnt 0x0
	ds_store_b64 v1, v[2:3]
.LBB32_201:
	s_wait_xcnt 0x0
	s_or_b32 exec_lo, exec_lo, s0
	s_wait_storecnt_dscnt 0x0
	s_barrier_signal -1
	s_barrier_wait -1
	s_clause 0x5
	scratch_load_b128 v[70:73], off, off offset:24
	scratch_load_b128 v[74:77], off, off offset:40
	;; [unrolled: 1-line block ×6, first 2 shown]
	v_mov_b32_e32 v2, 0
	ds_load_b128 v[94:97], v2 offset:304
	ds_load_b128 v[98:101], v2 offset:320
	scratch_load_b128 v[102:105], off, off offset:120
	s_mov_b32 s0, exec_lo
	s_wait_loadcnt_dscnt 0x601
	v_fma_f64 v[106:107], v[72:73], v[94:95], 0
	s_wait_loadcnt 0x5
	s_delay_alu instid0(VALU_DEP_1) | instskip(SKIP_4) | instid1(VALU_DEP_1)
	v_fmac_f64_e32 v[106:107], v[74:75], v[96:97]
	scratch_load_b128 v[72:75], off, off offset:136
	s_wait_dscnt 0x0
	v_fmac_f64_e32 v[106:107], v[76:77], v[98:99]
	s_wait_loadcnt 0x5
	v_fmac_f64_e32 v[106:107], v[78:79], v[100:101]
	ds_load_b128 v[76:79], v2 offset:336
	ds_load_b128 v[94:97], v2 offset:352
	scratch_load_b128 v[98:101], off, off offset:152
	s_wait_dscnt 0x1
	v_fmac_f64_e32 v[106:107], v[80:81], v[76:77]
	s_wait_loadcnt 0x5
	s_delay_alu instid0(VALU_DEP_1) | instskip(SKIP_4) | instid1(VALU_DEP_1)
	v_fmac_f64_e32 v[106:107], v[82:83], v[78:79]
	scratch_load_b128 v[76:79], off, off offset:168
	s_wait_dscnt 0x0
	v_fmac_f64_e32 v[106:107], v[84:85], v[94:95]
	s_wait_loadcnt 0x5
	v_fmac_f64_e32 v[106:107], v[86:87], v[96:97]
	ds_load_b128 v[80:83], v2 offset:368
	ds_load_b128 v[84:87], v2 offset:384
	s_wait_dscnt 0x1
	v_fmac_f64_e32 v[106:107], v[88:89], v[80:81]
	s_wait_loadcnt 0x4
	s_delay_alu instid0(VALU_DEP_1) | instskip(SKIP_4) | instid1(VALU_DEP_1)
	v_fmac_f64_e32 v[106:107], v[90:91], v[82:83]
	scratch_load_b128 v[80:83], off, off offset:184
	s_wait_dscnt 0x0
	v_fmac_f64_e32 v[106:107], v[92:93], v[84:85]
	s_wait_loadcnt 0x4
	v_fmac_f64_e32 v[106:107], v[102:103], v[86:87]
	scratch_load_b128 v[84:87], off, off offset:200
	ds_load_b128 v[88:91], v2 offset:400
	ds_load_b128 v[92:95], v2 offset:416
	s_wait_dscnt 0x1
	v_fmac_f64_e32 v[106:107], v[104:105], v[88:89]
	s_wait_loadcnt 0x4
	s_delay_alu instid0(VALU_DEP_1)
	v_fmac_f64_e32 v[106:107], v[72:73], v[90:91]
	scratch_load_b128 v[88:91], off, off offset:216
	s_wait_dscnt 0x0
	v_fmac_f64_e32 v[106:107], v[74:75], v[92:93]
	scratch_load_b128 v[72:75], off, off offset:232
	s_wait_loadcnt 0x5
	v_fmac_f64_e32 v[106:107], v[98:99], v[94:95]
	ds_load_b128 v[92:95], v2 offset:432
	ds_load_b128 v[96:99], v2 offset:448
	s_wait_dscnt 0x1
	v_fmac_f64_e32 v[106:107], v[100:101], v[92:93]
	s_wait_loadcnt 0x4
	s_delay_alu instid0(VALU_DEP_1) | instskip(SKIP_4) | instid1(VALU_DEP_1)
	v_fmac_f64_e32 v[106:107], v[76:77], v[94:95]
	scratch_load_b128 v[92:95], off, off offset:248
	s_wait_dscnt 0x0
	v_fmac_f64_e32 v[106:107], v[78:79], v[96:97]
	s_wait_loadcnt 0x4
	v_fmac_f64_e32 v[106:107], v[80:81], v[98:99]
	ds_load_b128 v[76:79], v2 offset:464
	ds_load_b128 v[96:99], v2 offset:480
	s_wait_dscnt 0x1
	v_fmac_f64_e32 v[106:107], v[82:83], v[76:77]
	s_wait_loadcnt 0x3
	s_delay_alu instid0(VALU_DEP_1)
	v_fmac_f64_e32 v[106:107], v[84:85], v[78:79]
	ds_load_b128 v[76:79], v2 offset:496
	ds_load_b128 v[80:83], v2 offset:512
	s_wait_dscnt 0x2
	v_fmac_f64_e32 v[106:107], v[86:87], v[96:97]
	s_wait_loadcnt 0x2
	s_delay_alu instid0(VALU_DEP_1) | instskip(SKIP_1) | instid1(VALU_DEP_1)
	v_fmac_f64_e32 v[106:107], v[88:89], v[98:99]
	s_wait_dscnt 0x1
	v_fmac_f64_e32 v[106:107], v[90:91], v[76:77]
	s_wait_loadcnt 0x1
	s_delay_alu instid0(VALU_DEP_1) | instskip(SKIP_4) | instid1(VALU_DEP_1)
	v_fmac_f64_e32 v[106:107], v[72:73], v[78:79]
	ds_load_b64 v[72:73], v2 offset:528
	s_wait_dscnt 0x1
	v_fmac_f64_e32 v[106:107], v[74:75], v[80:81]
	s_wait_loadcnt 0x0
	v_fmac_f64_e32 v[106:107], v[92:93], v[82:83]
	s_wait_dscnt 0x0
	s_delay_alu instid0(VALU_DEP_1) | instskip(NEXT) | instid1(VALU_DEP_1)
	v_fmac_f64_e32 v[106:107], v[94:95], v[72:73]
	v_add_f64_e64 v[70:71], v[70:71], -v[106:107]
	scratch_store_b64 off, v[70:71], off offset:24
	s_wait_xcnt 0x0
	v_cmpx_lt_u32_e32 2, v0
	s_cbranch_execz .LBB32_203
; %bb.202:
	scratch_load_b64 v[70:71], off, off offset:16
	v_mov_b64_e32 v[72:73], 0
	scratch_store_b64 off, v[72:73], off offset:16
	s_wait_loadcnt 0x0
	ds_store_b64 v1, v[70:71]
.LBB32_203:
	s_wait_xcnt 0x0
	s_or_b32 exec_lo, exec_lo, s0
	s_wait_storecnt_dscnt 0x0
	s_barrier_signal -1
	s_barrier_wait -1
	s_clause 0x5
	scratch_load_b128 v[70:73], off, off offset:16
	scratch_load_b128 v[74:77], off, off offset:32
	;; [unrolled: 1-line block ×6, first 2 shown]
	ds_load_2addr_b64 v[94:97], v2 offset0:37 offset1:38
	ds_load_2addr_b64 v[98:101], v2 offset0:39 offset1:40
	scratch_load_b128 v[102:105], off, off offset:112
	s_mov_b32 s0, exec_lo
	s_wait_loadcnt_dscnt 0x601
	v_fma_f64 v[106:107], v[72:73], v[94:95], 0
	s_wait_loadcnt 0x5
	s_delay_alu instid0(VALU_DEP_1) | instskip(SKIP_4) | instid1(VALU_DEP_1)
	v_fmac_f64_e32 v[106:107], v[74:75], v[96:97]
	scratch_load_b128 v[72:75], off, off offset:128
	s_wait_dscnt 0x0
	v_fmac_f64_e32 v[106:107], v[76:77], v[98:99]
	s_wait_loadcnt 0x5
	v_fmac_f64_e32 v[106:107], v[78:79], v[100:101]
	ds_load_2addr_b64 v[76:79], v2 offset0:41 offset1:42
	ds_load_2addr_b64 v[94:97], v2 offset0:43 offset1:44
	scratch_load_b128 v[98:101], off, off offset:144
	s_wait_dscnt 0x1
	v_fmac_f64_e32 v[106:107], v[80:81], v[76:77]
	s_wait_loadcnt 0x5
	s_delay_alu instid0(VALU_DEP_1) | instskip(SKIP_4) | instid1(VALU_DEP_1)
	v_fmac_f64_e32 v[106:107], v[82:83], v[78:79]
	scratch_load_b128 v[76:79], off, off offset:160
	s_wait_dscnt 0x0
	v_fmac_f64_e32 v[106:107], v[84:85], v[94:95]
	s_wait_loadcnt 0x5
	v_fmac_f64_e32 v[106:107], v[86:87], v[96:97]
	ds_load_2addr_b64 v[80:83], v2 offset0:45 offset1:46
	ds_load_2addr_b64 v[84:87], v2 offset0:47 offset1:48
	scratch_load_b128 v[94:97], off, off offset:176
	s_wait_dscnt 0x1
	v_fmac_f64_e32 v[106:107], v[88:89], v[80:81]
	s_wait_loadcnt 0x5
	s_delay_alu instid0(VALU_DEP_1) | instskip(SKIP_4) | instid1(VALU_DEP_1)
	v_fmac_f64_e32 v[106:107], v[90:91], v[82:83]
	scratch_load_b128 v[80:83], off, off offset:192
	s_wait_dscnt 0x0
	v_fmac_f64_e32 v[106:107], v[92:93], v[84:85]
	s_wait_loadcnt 0x5
	v_fmac_f64_e32 v[106:107], v[102:103], v[86:87]
	ds_load_2addr_b64 v[84:87], v2 offset0:49 offset1:50
	ds_load_2addr_b64 v[88:91], v2 offset0:51 offset1:52
	s_wait_dscnt 0x1
	v_fmac_f64_e32 v[106:107], v[104:105], v[84:85]
	s_wait_loadcnt 0x4
	s_delay_alu instid0(VALU_DEP_1)
	v_fmac_f64_e32 v[106:107], v[72:73], v[86:87]
	scratch_load_b128 v[84:87], off, off offset:208
	s_wait_dscnt 0x0
	v_fmac_f64_e32 v[106:107], v[74:75], v[88:89]
	scratch_load_b128 v[72:75], off, off offset:224
	s_wait_loadcnt 0x5
	v_fmac_f64_e32 v[106:107], v[98:99], v[90:91]
	ds_load_2addr_b64 v[88:91], v2 offset0:53 offset1:54
	ds_load_2addr_b64 v[102:105], v2 offset0:55 offset1:56
	scratch_load_b64 v[98:99], off, off offset:256
	s_wait_dscnt 0x1
	v_fmac_f64_e32 v[106:107], v[100:101], v[88:89]
	s_wait_loadcnt 0x5
	s_delay_alu instid0(VALU_DEP_1) | instskip(SKIP_4) | instid1(VALU_DEP_1)
	v_fmac_f64_e32 v[106:107], v[76:77], v[90:91]
	scratch_load_b128 v[88:91], off, off offset:240
	s_wait_dscnt 0x0
	v_fmac_f64_e32 v[106:107], v[78:79], v[102:103]
	s_wait_loadcnt 0x5
	v_fmac_f64_e32 v[106:107], v[94:95], v[104:105]
	ds_load_2addr_b64 v[76:79], v2 offset0:57 offset1:58
	ds_load_2addr_b64 v[92:95], v2 offset0:59 offset1:60
	s_wait_dscnt 0x1
	v_fmac_f64_e32 v[106:107], v[96:97], v[76:77]
	s_wait_loadcnt 0x4
	s_delay_alu instid0(VALU_DEP_1) | instskip(SKIP_1) | instid1(VALU_DEP_1)
	v_fmac_f64_e32 v[106:107], v[80:81], v[78:79]
	s_wait_dscnt 0x0
	v_fmac_f64_e32 v[106:107], v[82:83], v[92:93]
	ds_load_2addr_b64 v[76:79], v2 offset0:61 offset1:62
	ds_load_2addr_b64 v[80:83], v2 offset0:63 offset1:64
	s_wait_loadcnt 0x3
	v_fmac_f64_e32 v[106:107], v[84:85], v[94:95]
	s_wait_dscnt 0x1
	s_delay_alu instid0(VALU_DEP_1) | instskip(SKIP_1) | instid1(VALU_DEP_1)
	v_fmac_f64_e32 v[106:107], v[86:87], v[76:77]
	s_wait_loadcnt 0x2
	v_fmac_f64_e32 v[106:107], v[72:73], v[78:79]
	s_wait_dscnt 0x0
	s_delay_alu instid0(VALU_DEP_1) | instskip(SKIP_4) | instid1(VALU_DEP_1)
	v_fmac_f64_e32 v[106:107], v[74:75], v[80:81]
	ds_load_2addr_b64 v[72:75], v2 offset0:65 offset1:66
	s_wait_loadcnt 0x0
	v_fmac_f64_e32 v[106:107], v[88:89], v[82:83]
	s_wait_dscnt 0x0
	v_fmac_f64_e32 v[106:107], v[90:91], v[72:73]
	s_delay_alu instid0(VALU_DEP_1) | instskip(NEXT) | instid1(VALU_DEP_1)
	v_fmac_f64_e32 v[106:107], v[98:99], v[74:75]
	v_add_f64_e64 v[2:3], v[70:71], -v[106:107]
	scratch_store_b64 off, v[2:3], off offset:16
	s_wait_xcnt 0x0
	v_cmpx_lt_u32_e32 1, v0
	s_cbranch_execz .LBB32_205
; %bb.204:
	scratch_load_b64 v[2:3], off, off offset:8
	v_mov_b64_e32 v[70:71], 0
	scratch_store_b64 off, v[70:71], off offset:8
	s_wait_loadcnt 0x0
	ds_store_b64 v1, v[2:3]
.LBB32_205:
	s_wait_xcnt 0x0
	s_or_b32 exec_lo, exec_lo, s0
	s_wait_storecnt_dscnt 0x0
	s_barrier_signal -1
	s_barrier_wait -1
	s_clause 0x5
	scratch_load_b128 v[72:75], off, off offset:8
	scratch_load_b128 v[76:79], off, off offset:24
	scratch_load_b128 v[80:83], off, off offset:40
	scratch_load_b128 v[84:87], off, off offset:56
	scratch_load_b128 v[88:91], off, off offset:72
	scratch_load_b128 v[92:95], off, off offset:88
	v_dual_mov_b32 v70, 0 :: v_dual_ashrrev_i32 v9, 31, v8
	ds_load_b128 v[96:99], v70 offset:288
	ds_load_b128 v[100:103], v70 offset:304
	scratch_load_b128 v[104:107], off, off offset:104
	v_dual_ashrrev_i32 v11, 31, v10 :: v_dual_ashrrev_i32 v13, 31, v12
	v_dual_ashrrev_i32 v15, 31, v14 :: v_dual_ashrrev_i32 v17, 31, v16
	;; [unrolled: 1-line block ×14, first 2 shown]
	v_ashrrev_i32_e32 v67, 31, v66
	s_mov_b32 s0, exec_lo
	v_ashrrev_i32_e32 v21, 31, v20
	s_wait_loadcnt_dscnt 0x601
	v_fma_f64 v[2:3], v[74:75], v[96:97], 0
	s_wait_loadcnt 0x5
	s_delay_alu instid0(VALU_DEP_1) | instskip(SKIP_4) | instid1(VALU_DEP_1)
	v_fmac_f64_e32 v[2:3], v[76:77], v[98:99]
	scratch_load_b128 v[74:77], off, off offset:120
	s_wait_dscnt 0x0
	v_fmac_f64_e32 v[2:3], v[78:79], v[100:101]
	s_wait_loadcnt 0x5
	v_fmac_f64_e32 v[2:3], v[80:81], v[102:103]
	ds_load_b128 v[78:81], v70 offset:320
	ds_load_b128 v[96:99], v70 offset:336
	scratch_load_b128 v[100:103], off, off offset:136
	s_wait_dscnt 0x1
	v_fmac_f64_e32 v[2:3], v[82:83], v[78:79]
	s_wait_loadcnt 0x5
	s_delay_alu instid0(VALU_DEP_1) | instskip(SKIP_4) | instid1(VALU_DEP_1)
	v_fmac_f64_e32 v[2:3], v[84:85], v[80:81]
	scratch_load_b128 v[78:81], off, off offset:152
	s_wait_dscnt 0x0
	v_fmac_f64_e32 v[2:3], v[86:87], v[96:97]
	s_wait_loadcnt 0x5
	v_fmac_f64_e32 v[2:3], v[88:89], v[98:99]
	ds_load_b128 v[82:85], v70 offset:352
	ds_load_b128 v[86:89], v70 offset:368
	scratch_load_b128 v[96:99], off, off offset:168
	s_wait_dscnt 0x1
	v_fmac_f64_e32 v[2:3], v[90:91], v[82:83]
	s_wait_loadcnt 0x5
	s_delay_alu instid0(VALU_DEP_1) | instskip(SKIP_4) | instid1(VALU_DEP_1)
	v_fmac_f64_e32 v[2:3], v[92:93], v[84:85]
	scratch_load_b128 v[82:85], off, off offset:184
	s_wait_dscnt 0x0
	v_fmac_f64_e32 v[2:3], v[94:95], v[86:87]
	s_wait_loadcnt 0x5
	v_fmac_f64_e32 v[2:3], v[104:105], v[88:89]
	ds_load_b128 v[86:89], v70 offset:384
	ds_load_b128 v[90:93], v70 offset:400
	s_wait_dscnt 0x1
	v_fmac_f64_e32 v[2:3], v[106:107], v[86:87]
	s_wait_loadcnt 0x4
	s_delay_alu instid0(VALU_DEP_1)
	v_fmac_f64_e32 v[2:3], v[74:75], v[88:89]
	scratch_load_b128 v[86:89], off, off offset:200
	s_wait_dscnt 0x0
	v_fmac_f64_e32 v[2:3], v[76:77], v[90:91]
	scratch_load_b128 v[74:77], off, off offset:216
	s_wait_loadcnt 0x5
	v_fmac_f64_e32 v[2:3], v[100:101], v[92:93]
	ds_load_b128 v[90:93], v70 offset:416
	ds_load_b128 v[104:107], v70 offset:432
	s_wait_dscnt 0x1
	v_fmac_f64_e32 v[2:3], v[102:103], v[90:91]
	s_wait_loadcnt 0x4
	s_delay_alu instid0(VALU_DEP_1)
	v_fmac_f64_e32 v[2:3], v[78:79], v[92:93]
	scratch_load_b128 v[90:93], off, off offset:232
	s_wait_dscnt 0x0
	v_fmac_f64_e32 v[2:3], v[80:81], v[104:105]
	scratch_load_b128 v[78:81], off, off offset:248
	s_wait_loadcnt 0x5
	v_fmac_f64_e32 v[2:3], v[96:97], v[106:107]
	ds_load_b128 v[94:97], v70 offset:448
	ds_load_b128 v[100:103], v70 offset:464
	s_wait_dscnt 0x1
	v_fmac_f64_e32 v[2:3], v[98:99], v[94:95]
	s_wait_loadcnt 0x4
	s_delay_alu instid0(VALU_DEP_1) | instskip(SKIP_1) | instid1(VALU_DEP_1)
	v_fmac_f64_e32 v[2:3], v[82:83], v[96:97]
	s_wait_dscnt 0x0
	v_fmac_f64_e32 v[2:3], v[84:85], v[100:101]
	ds_load_b128 v[82:85], v70 offset:480
	ds_load_b128 v[94:97], v70 offset:496
	s_wait_loadcnt 0x3
	v_fmac_f64_e32 v[2:3], v[86:87], v[102:103]
	s_wait_dscnt 0x1
	s_delay_alu instid0(VALU_DEP_1) | instskip(SKIP_1) | instid1(VALU_DEP_1)
	v_fmac_f64_e32 v[2:3], v[88:89], v[82:83]
	s_wait_loadcnt 0x2
	v_fmac_f64_e32 v[2:3], v[74:75], v[84:85]
	s_wait_dscnt 0x0
	s_delay_alu instid0(VALU_DEP_1) | instskip(SKIP_4) | instid1(VALU_DEP_1)
	v_fmac_f64_e32 v[2:3], v[76:77], v[94:95]
	ds_load_b128 v[74:77], v70 offset:512
	s_wait_loadcnt 0x1
	v_fmac_f64_e32 v[2:3], v[90:91], v[96:97]
	s_wait_dscnt 0x0
	v_fmac_f64_e32 v[2:3], v[92:93], v[74:75]
	ds_load_b64 v[74:75], v70 offset:528
	s_wait_loadcnt 0x0
	v_fmac_f64_e32 v[2:3], v[78:79], v[76:77]
	s_wait_dscnt 0x0
	s_delay_alu instid0(VALU_DEP_1) | instskip(NEXT) | instid1(VALU_DEP_1)
	v_fmac_f64_e32 v[2:3], v[80:81], v[74:75]
	v_add_f64_e64 v[2:3], v[72:73], -v[2:3]
	scratch_store_b64 off, v[2:3], off offset:8
	s_wait_xcnt 0x0
	v_cmpx_ne_u32_e32 0, v0
	s_cbranch_execz .LBB32_207
; %bb.206:
	scratch_load_b64 v[2:3], off, off
	v_mov_b64_e32 v[72:73], 0
	scratch_store_b64 off, v[72:73], off
	s_wait_loadcnt 0x0
	ds_store_b64 v1, v[2:3]
.LBB32_207:
	s_wait_xcnt 0x0
	s_or_b32 exec_lo, exec_lo, s0
	s_wait_storecnt_dscnt 0x0
	s_barrier_signal -1
	s_barrier_wait -1
	s_clause 0x5
	scratch_load_b128 v[72:75], off, off
	scratch_load_b128 v[0:3], off, off offset:16
	scratch_load_b128 v[76:79], off, off offset:32
	;; [unrolled: 1-line block ×5, first 2 shown]
	ds_load_2addr_b64 v[92:95], v70 offset0:35 offset1:36
	scratch_load_b128 v[96:99], off, off offset:96
	s_and_b32 vcc_lo, exec_lo, s18
	scratch_load_b128 v[100:103], off, off offset:208
	s_wait_loadcnt_dscnt 0x700
	v_fma_f64 v[104:105], v[74:75], v[92:93], 0
	s_wait_loadcnt 0x6
	s_delay_alu instid0(VALU_DEP_1)
	v_fmac_f64_e32 v[104:105], v[0:1], v[94:95]
	ds_load_2addr_b64 v[92:95], v70 offset0:37 offset1:38
	s_wait_dscnt 0x0
	v_fmac_f64_e32 v[104:105], v[2:3], v[92:93]
	scratch_load_b128 v[0:3], off, off offset:112
	s_wait_loadcnt 0x6
	v_fmac_f64_e32 v[104:105], v[76:77], v[94:95]
	ds_load_2addr_b64 v[74:77], v70 offset0:39 offset1:40
	scratch_load_b128 v[92:95], off, off offset:128
	s_wait_dscnt 0x0
	v_fmac_f64_e32 v[104:105], v[78:79], v[74:75]
	s_wait_loadcnt 0x6
	s_delay_alu instid0(VALU_DEP_1)
	v_fmac_f64_e32 v[104:105], v[80:81], v[76:77]
	ds_load_2addr_b64 v[74:77], v70 offset0:41 offset1:42
	scratch_load_b128 v[78:81], off, off offset:144
	s_wait_dscnt 0x0
	v_fmac_f64_e32 v[104:105], v[82:83], v[74:75]
	s_wait_loadcnt 0x6
	s_delay_alu instid0(VALU_DEP_1)
	;; [unrolled: 7-line block ×4, first 2 shown]
	v_fmac_f64_e32 v[104:105], v[96:97], v[76:77]
	ds_load_2addr_b64 v[74:77], v70 offset0:47 offset1:48
	s_wait_dscnt 0x0
	v_fmac_f64_e32 v[104:105], v[98:99], v[74:75]
	scratch_load_b128 v[96:99], off, off offset:192
	s_wait_loadcnt 0x5
	v_fmac_f64_e32 v[104:105], v[0:1], v[76:77]
	ds_load_2addr_b64 v[74:77], v70 offset0:49 offset1:50
	s_wait_dscnt 0x0
	v_fmac_f64_e32 v[104:105], v[2:3], v[74:75]
	ds_load_2addr_b64 v[0:3], v70 offset0:51 offset1:52
	s_wait_loadcnt 0x4
	v_fmac_f64_e32 v[104:105], v[92:93], v[76:77]
	ds_load_2addr_b64 v[90:93], v70 offset0:53 offset1:54
	scratch_load_b128 v[74:77], off, off offset:224
	s_wait_dscnt 0x1
	v_fmac_f64_e32 v[104:105], v[94:95], v[0:1]
	s_wait_loadcnt 0x4
	s_delay_alu instid0(VALU_DEP_1)
	v_fmac_f64_e32 v[104:105], v[78:79], v[2:3]
	scratch_load_b128 v[0:3], off, off offset:240
	s_wait_dscnt 0x0
	v_fmac_f64_e32 v[104:105], v[80:81], v[90:91]
	ds_load_2addr_b64 v[78:81], v70 offset0:55 offset1:56
	s_wait_loadcnt 0x4
	v_fmac_f64_e32 v[104:105], v[82:83], v[92:93]
	scratch_load_b64 v[82:83], off, off offset:256
	s_wait_dscnt 0x0
	v_fmac_f64_e32 v[104:105], v[84:85], v[78:79]
	s_wait_loadcnt 0x4
	s_delay_alu instid0(VALU_DEP_1) | instskip(SKIP_4) | instid1(VALU_DEP_1)
	v_fmac_f64_e32 v[104:105], v[86:87], v[80:81]
	ds_load_2addr_b64 v[78:81], v70 offset0:57 offset1:58
	s_wait_dscnt 0x0
	v_fmac_f64_e32 v[104:105], v[88:89], v[78:79]
	s_wait_loadcnt 0x3
	v_fmac_f64_e32 v[104:105], v[96:97], v[80:81]
	ds_load_2addr_b64 v[78:81], v70 offset0:59 offset1:60
	s_wait_dscnt 0x0
	v_fmac_f64_e32 v[104:105], v[98:99], v[78:79]
	s_delay_alu instid0(VALU_DEP_1) | instskip(SKIP_4) | instid1(VALU_DEP_1)
	v_fmac_f64_e32 v[104:105], v[100:101], v[80:81]
	ds_load_2addr_b64 v[78:81], v70 offset0:61 offset1:62
	s_wait_dscnt 0x0
	v_fmac_f64_e32 v[104:105], v[102:103], v[78:79]
	s_wait_loadcnt 0x2
	v_fmac_f64_e32 v[104:105], v[74:75], v[80:81]
	ds_load_2addr_b64 v[78:81], v70 offset0:63 offset1:64
	s_wait_dscnt 0x0
	v_fmac_f64_e32 v[104:105], v[76:77], v[78:79]
	ds_load_2addr_b64 v[74:77], v70 offset0:65 offset1:66
	s_wait_loadcnt 0x1
	v_fmac_f64_e32 v[104:105], v[0:1], v[80:81]
	s_wait_dscnt 0x0
	s_delay_alu instid0(VALU_DEP_1) | instskip(SKIP_1) | instid1(VALU_DEP_1)
	v_fmac_f64_e32 v[104:105], v[2:3], v[74:75]
	s_wait_loadcnt 0x0
	v_fmac_f64_e32 v[104:105], v[82:83], v[76:77]
	s_delay_alu instid0(VALU_DEP_1)
	v_add_f64_e64 v[78:79], v[72:73], -v[104:105]
	scratch_store_b64 off, v[78:79], off
	s_cbranch_vccz .LBB32_272
; %bb.208:
	v_mov_b32_e32 v0, 0
	global_load_b32 v1, v0, s[2:3] offset:124
	s_wait_loadcnt 0x0
	v_cmp_ne_u32_e32 vcc_lo, 32, v1
	s_cbranch_vccz .LBB32_210
; %bb.209:
	v_lshlrev_b32_e32 v1, 3, v1
	scratch_load_b64 v[70:71], v1, off offset:-8
	s_wait_loadcnt 0x0
	scratch_store_b64 off, v[70:71], off offset:248
	scratch_store_b64 v1, v[2:3], off offset:-8
.LBB32_210:
	global_load_b32 v0, v0, s[2:3] offset:120
	s_wait_loadcnt 0x0
	v_cmp_eq_u32_e32 vcc_lo, 31, v0
	s_cbranch_vccnz .LBB32_212
; %bb.211:
	s_wait_xcnt 0x0
	v_lshlrev_b32_e32 v0, 3, v0
	s_delay_alu instid0(VALU_DEP_1)
	v_mov_b32_e32 v70, v0
	scratch_load_b64 v[0:1], v70, off offset:-8
	scratch_load_b64 v[2:3], off, off offset:240
	s_wait_loadcnt 0x1
	scratch_store_b64 off, v[0:1], off offset:240
	s_wait_loadcnt 0x0
	scratch_store_b64 v70, v[2:3], off offset:-8
.LBB32_212:
	s_wait_xcnt 0x0
	v_mov_b32_e32 v0, 0
	global_load_b32 v1, v0, s[2:3] offset:116
	s_wait_loadcnt 0x0
	v_cmp_eq_u32_e32 vcc_lo, 30, v1
	s_cbranch_vccnz .LBB32_214
; %bb.213:
	v_lshlrev_b32_e32 v1, 3, v1
	scratch_load_b64 v[2:3], v1, off offset:-8
	scratch_load_b64 v[70:71], off, off offset:232
	s_wait_loadcnt 0x1
	scratch_store_b64 off, v[2:3], off offset:232
	s_wait_loadcnt 0x0
	scratch_store_b64 v1, v[70:71], off offset:-8
.LBB32_214:
	global_load_b32 v0, v0, s[2:3] offset:112
	s_wait_loadcnt 0x0
	v_cmp_eq_u32_e32 vcc_lo, 29, v0
	s_cbranch_vccnz .LBB32_216
; %bb.215:
	s_wait_xcnt 0x0
	v_lshlrev_b32_e32 v0, 3, v0
	s_delay_alu instid0(VALU_DEP_1)
	v_mov_b32_e32 v70, v0
	scratch_load_b64 v[0:1], v70, off offset:-8
	scratch_load_b64 v[2:3], off, off offset:224
	s_wait_loadcnt 0x1
	scratch_store_b64 off, v[0:1], off offset:224
	s_wait_loadcnt 0x0
	scratch_store_b64 v70, v[2:3], off offset:-8
.LBB32_216:
	s_wait_xcnt 0x0
	v_mov_b32_e32 v0, 0
	global_load_b32 v1, v0, s[2:3] offset:108
	s_wait_loadcnt 0x0
	v_cmp_eq_u32_e32 vcc_lo, 28, v1
	s_cbranch_vccnz .LBB32_218
; %bb.217:
	v_lshlrev_b32_e32 v1, 3, v1
	scratch_load_b64 v[2:3], v1, off offset:-8
	scratch_load_b64 v[70:71], off, off offset:216
	s_wait_loadcnt 0x1
	scratch_store_b64 off, v[2:3], off offset:216
	s_wait_loadcnt 0x0
	scratch_store_b64 v1, v[70:71], off offset:-8
.LBB32_218:
	;; [unrolled: 31-line block ×15, first 2 shown]
	global_load_b32 v0, v0, s[2:3]
	scratch_load_b64 v[78:79], off, off
	s_wait_loadcnt 0x1
	v_cmp_eq_u32_e32 vcc_lo, 1, v0
	s_cbranch_vccnz .LBB32_272
; %bb.271:
	s_wait_xcnt 0x1
	v_lshlrev_b32_e32 v0, 3, v0
	s_delay_alu instid0(VALU_DEP_1)
	v_mov_b32_e32 v2, v0
	scratch_load_b64 v[0:1], v2, off offset:-8
	s_wait_loadcnt 0x0
	scratch_store_b64 off, v[0:1], off
	scratch_store_b64 v2, v[78:79], off offset:-8
	scratch_load_b64 v[78:79], off, off
.LBB32_272:
	v_lshl_add_u64 v[80:81], v[8:9], 3, s[4:5]
	v_lshl_add_u64 v[74:75], v[10:11], 3, s[4:5]
	v_lshl_add_u64 v[76:77], v[12:13], 3, s[4:5]
	v_lshl_add_u64 v[70:71], v[14:15], 3, s[4:5]
	v_lshl_add_u64 v[72:73], v[16:17], 3, s[4:5]
	v_lshl_add_u64 v[8:9], v[18:19], 3, s[4:5]
	v_lshl_add_u64 v[10:11], v[20:21], 3, s[4:5]
	v_lshl_add_u64 v[12:13], v[22:23], 3, s[4:5]
	v_lshl_add_u64 v[14:15], v[24:25], 3, s[4:5]
	v_lshl_add_u64 v[16:17], v[26:27], 3, s[4:5]
	v_lshl_add_u64 v[18:19], v[28:29], 3, s[4:5]
	v_lshl_add_u64 v[20:21], v[30:31], 3, s[4:5]
	v_lshl_add_u64 v[22:23], v[32:33], 3, s[4:5]
	v_lshl_add_u64 v[24:25], v[34:35], 3, s[4:5]
	v_lshl_add_u64 v[26:27], v[36:37], 3, s[4:5]
	v_lshl_add_u64 v[28:29], v[38:39], 3, s[4:5]
	v_lshl_add_u64 v[30:31], v[40:41], 3, s[4:5]
	v_lshl_add_u64 v[32:33], v[42:43], 3, s[4:5]
	v_lshl_add_u64 v[34:35], v[44:45], 3, s[4:5]
	v_lshl_add_u64 v[36:37], v[46:47], 3, s[4:5]
	v_lshl_add_u64 v[38:39], v[48:49], 3, s[4:5]
	v_lshl_add_u64 v[40:41], v[50:51], 3, s[4:5]
	v_lshl_add_u64 v[42:43], v[52:53], 3, s[4:5]
	v_lshl_add_u64 v[44:45], v[54:55], 3, s[4:5]
	v_lshl_add_u64 v[46:47], v[56:57], 3, s[4:5]
	v_lshl_add_u64 v[48:49], v[58:59], 3, s[4:5]
	v_lshl_add_u64 v[50:51], v[60:61], 3, s[4:5]
	v_lshl_add_u64 v[52:53], v[62:63], 3, s[4:5]
	v_lshl_add_u64 v[54:55], v[64:65], 3, s[4:5]
	s_wait_xcnt 0x1
	v_lshl_add_u64 v[0:1], v[66:67], 3, s[4:5]
	s_clause 0x8
	scratch_load_b128 v[56:59], off, off offset:8
	scratch_load_b128 v[60:63], off, off offset:24
	;; [unrolled: 1-line block ×9, first 2 shown]
	s_wait_loadcnt 0x9
	global_store_b64 v[6:7], v[78:79], off
	s_clause 0x1
	scratch_load_b128 v[106:109], off, off offset:152
	scratch_load_b128 v[110:113], off, off offset:168
	v_lshl_add_u64 v[2:3], v[68:69], 3, s[4:5]
	s_wait_loadcnt 0xa
	s_clause 0x1
	global_store_b64 v[4:5], v[56:57], off
	global_store_b64 v[80:81], v[58:59], off
	s_clause 0x1
	scratch_load_b128 v[4:7], off, off offset:184
	scratch_load_b128 v[56:59], off, off offset:200
	s_wait_loadcnt 0xb
	s_clause 0x1
	global_store_b64 v[74:75], v[60:61], off
	global_store_b64 v[76:77], v[62:63], off
	s_clause 0x1
	scratch_load_b128 v[60:63], off, off offset:216
	scratch_load_b128 v[74:77], off, off offset:232
	s_wait_loadcnt 0xc
	s_clause 0x1
	global_store_b64 v[70:71], v[64:65], off
	global_store_b64 v[72:73], v[66:67], off
	scratch_load_b128 v[64:67], off, off offset:248
	s_wait_loadcnt 0xc
	s_clause 0x1
	global_store_b64 v[8:9], v[82:83], off
	global_store_b64 v[10:11], v[84:85], off
	s_wait_loadcnt 0xb
	s_clause 0x1
	global_store_b64 v[12:13], v[86:87], off
	global_store_b64 v[14:15], v[88:89], off
	;; [unrolled: 4-line block ×13, first 2 shown]
	s_sendmsg sendmsg(MSG_DEALLOC_VGPRS)
	s_endpgm
	.section	.rodata,"a",@progbits
	.p2align	6, 0x0
	.amdhsa_kernel _ZN9rocsolver6v33100L18getri_kernel_smallILi33EdPdEEvT1_iilPiilS4_bb
		.amdhsa_group_segment_fixed_size 536
		.amdhsa_private_segment_fixed_size 272
		.amdhsa_kernarg_size 60
		.amdhsa_user_sgpr_count 2
		.amdhsa_user_sgpr_dispatch_ptr 0
		.amdhsa_user_sgpr_queue_ptr 0
		.amdhsa_user_sgpr_kernarg_segment_ptr 1
		.amdhsa_user_sgpr_dispatch_id 0
		.amdhsa_user_sgpr_kernarg_preload_length 0
		.amdhsa_user_sgpr_kernarg_preload_offset 0
		.amdhsa_user_sgpr_private_segment_size 0
		.amdhsa_wavefront_size32 1
		.amdhsa_uses_dynamic_stack 0
		.amdhsa_enable_private_segment 1
		.amdhsa_system_sgpr_workgroup_id_x 1
		.amdhsa_system_sgpr_workgroup_id_y 0
		.amdhsa_system_sgpr_workgroup_id_z 0
		.amdhsa_system_sgpr_workgroup_info 0
		.amdhsa_system_vgpr_workitem_id 0
		.amdhsa_next_free_vgpr 114
		.amdhsa_next_free_sgpr 19
		.amdhsa_named_barrier_count 0
		.amdhsa_reserve_vcc 1
		.amdhsa_float_round_mode_32 0
		.amdhsa_float_round_mode_16_64 0
		.amdhsa_float_denorm_mode_32 3
		.amdhsa_float_denorm_mode_16_64 3
		.amdhsa_fp16_overflow 0
		.amdhsa_memory_ordered 1
		.amdhsa_forward_progress 1
		.amdhsa_inst_pref_size 205
		.amdhsa_round_robin_scheduling 0
		.amdhsa_exception_fp_ieee_invalid_op 0
		.amdhsa_exception_fp_denorm_src 0
		.amdhsa_exception_fp_ieee_div_zero 0
		.amdhsa_exception_fp_ieee_overflow 0
		.amdhsa_exception_fp_ieee_underflow 0
		.amdhsa_exception_fp_ieee_inexact 0
		.amdhsa_exception_int_div_zero 0
	.end_amdhsa_kernel
	.section	.text._ZN9rocsolver6v33100L18getri_kernel_smallILi33EdPdEEvT1_iilPiilS4_bb,"axG",@progbits,_ZN9rocsolver6v33100L18getri_kernel_smallILi33EdPdEEvT1_iilPiilS4_bb,comdat
.Lfunc_end32:
	.size	_ZN9rocsolver6v33100L18getri_kernel_smallILi33EdPdEEvT1_iilPiilS4_bb, .Lfunc_end32-_ZN9rocsolver6v33100L18getri_kernel_smallILi33EdPdEEvT1_iilPiilS4_bb
                                        ; -- End function
	.set _ZN9rocsolver6v33100L18getri_kernel_smallILi33EdPdEEvT1_iilPiilS4_bb.num_vgpr, 114
	.set _ZN9rocsolver6v33100L18getri_kernel_smallILi33EdPdEEvT1_iilPiilS4_bb.num_agpr, 0
	.set _ZN9rocsolver6v33100L18getri_kernel_smallILi33EdPdEEvT1_iilPiilS4_bb.numbered_sgpr, 19
	.set _ZN9rocsolver6v33100L18getri_kernel_smallILi33EdPdEEvT1_iilPiilS4_bb.num_named_barrier, 0
	.set _ZN9rocsolver6v33100L18getri_kernel_smallILi33EdPdEEvT1_iilPiilS4_bb.private_seg_size, 272
	.set _ZN9rocsolver6v33100L18getri_kernel_smallILi33EdPdEEvT1_iilPiilS4_bb.uses_vcc, 1
	.set _ZN9rocsolver6v33100L18getri_kernel_smallILi33EdPdEEvT1_iilPiilS4_bb.uses_flat_scratch, 1
	.set _ZN9rocsolver6v33100L18getri_kernel_smallILi33EdPdEEvT1_iilPiilS4_bb.has_dyn_sized_stack, 0
	.set _ZN9rocsolver6v33100L18getri_kernel_smallILi33EdPdEEvT1_iilPiilS4_bb.has_recursion, 0
	.set _ZN9rocsolver6v33100L18getri_kernel_smallILi33EdPdEEvT1_iilPiilS4_bb.has_indirect_call, 0
	.section	.AMDGPU.csdata,"",@progbits
; Kernel info:
; codeLenInByte = 26156
; TotalNumSgprs: 21
; NumVgprs: 114
; ScratchSize: 272
; MemoryBound: 0
; FloatMode: 240
; IeeeMode: 1
; LDSByteSize: 536 bytes/workgroup (compile time only)
; SGPRBlocks: 0
; VGPRBlocks: 7
; NumSGPRsForWavesPerEU: 21
; NumVGPRsForWavesPerEU: 114
; NamedBarCnt: 0
; Occupancy: 8
; WaveLimiterHint : 1
; COMPUTE_PGM_RSRC2:SCRATCH_EN: 1
; COMPUTE_PGM_RSRC2:USER_SGPR: 2
; COMPUTE_PGM_RSRC2:TRAP_HANDLER: 0
; COMPUTE_PGM_RSRC2:TGID_X_EN: 1
; COMPUTE_PGM_RSRC2:TGID_Y_EN: 0
; COMPUTE_PGM_RSRC2:TGID_Z_EN: 0
; COMPUTE_PGM_RSRC2:TIDIG_COMP_CNT: 0
	.section	.text._ZN9rocsolver6v33100L18getri_kernel_smallILi34EdPdEEvT1_iilPiilS4_bb,"axG",@progbits,_ZN9rocsolver6v33100L18getri_kernel_smallILi34EdPdEEvT1_iilPiilS4_bb,comdat
	.globl	_ZN9rocsolver6v33100L18getri_kernel_smallILi34EdPdEEvT1_iilPiilS4_bb ; -- Begin function _ZN9rocsolver6v33100L18getri_kernel_smallILi34EdPdEEvT1_iilPiilS4_bb
	.p2align	8
	.type	_ZN9rocsolver6v33100L18getri_kernel_smallILi34EdPdEEvT1_iilPiilS4_bb,@function
_ZN9rocsolver6v33100L18getri_kernel_smallILi34EdPdEEvT1_iilPiilS4_bb: ; @_ZN9rocsolver6v33100L18getri_kernel_smallILi34EdPdEEvT1_iilPiilS4_bb
; %bb.0:
	s_mov_b32 s2, exec_lo
	v_cmpx_gt_u32_e32 34, v0
	s_cbranch_execz .LBB33_146
; %bb.1:
	s_clause 0x2
	s_load_b32 s2, s[0:1], 0x38
	s_load_b128 s[12:15], s[0:1], 0x10
	s_load_b128 s[4:7], s[0:1], 0x28
	s_getreg_b32 s9, hwreg(HW_REG_IB_STS2, 6, 4)
	s_wait_kmcnt 0x0
	s_bitcmp1_b32 s2, 8
	s_cselect_b32 s18, -1, 0
	s_bfe_u32 s3, ttmp6, 0x4000c
	s_and_b32 s8, ttmp6, 15
	s_add_co_i32 s3, s3, 1
	s_delay_alu instid0(SALU_CYCLE_1) | instskip(NEXT) | instid1(SALU_CYCLE_1)
	s_mul_i32 s3, ttmp9, s3
	s_add_co_i32 s8, s8, s3
	s_cmp_eq_u32 s9, 0
	s_cselect_b32 s16, ttmp9, s8
	s_bfe_u32 s2, s2, 0x10008
	s_ashr_i32 s17, s16, 31
	s_cmp_eq_u32 s2, 0
                                        ; implicit-def: $sgpr2_sgpr3
	s_cbranch_scc1 .LBB33_3
; %bb.2:
	s_load_b32 s2, s[0:1], 0x20
	s_mul_u64 s[4:5], s[4:5], s[16:17]
	s_delay_alu instid0(SALU_CYCLE_1) | instskip(NEXT) | instid1(SALU_CYCLE_1)
	s_lshl_b64 s[4:5], s[4:5], 2
	s_add_nc_u64 s[4:5], s[14:15], s[4:5]
	s_wait_kmcnt 0x0
	s_ashr_i32 s3, s2, 31
	s_delay_alu instid0(SALU_CYCLE_1) | instskip(NEXT) | instid1(SALU_CYCLE_1)
	s_lshl_b64 s[2:3], s[2:3], 2
	s_add_nc_u64 s[2:3], s[4:5], s[2:3]
.LBB33_3:
	s_clause 0x1
	s_load_b128 s[8:11], s[0:1], 0x0
	s_load_b32 s14, s[0:1], 0x38
	s_wait_xcnt 0x0
	s_mul_u64 s[0:1], s[12:13], s[16:17]
	v_lshlrev_b32_e32 v2, 3, v0
	s_lshl_b64 s[0:1], s[0:1], 3
	v_mov_b32_e32 v3, 0
	s_wait_kmcnt 0x0
	v_add3_u32 v8, s11, s11, v0
	s_ashr_i32 s5, s10, 31
	s_mov_b32 s4, s10
	s_add_nc_u64 s[0:1], s[8:9], s[0:1]
	s_lshl_b64 s[4:5], s[4:5], 3
	v_add_nc_u32_e32 v10, s11, v8
	s_add_nc_u64 s[4:5], s[0:1], s[4:5]
	s_ashr_i32 s1, s11, 31
	s_mov_b32 s0, s11
	s_bitcmp0_b32 s14, 0
	v_add_nc_u32_e32 v12, s11, v10
	v_add_nc_u64_e32 v[4:5], s[4:5], v[2:3]
	s_delay_alu instid0(VALU_DEP_2) | instskip(NEXT) | instid1(VALU_DEP_2)
	v_add_nc_u32_e32 v14, s11, v12
	v_lshl_add_u64 v[6:7], s[0:1], 3, v[4:5]
	s_mov_b32 s1, -1
	s_delay_alu instid0(VALU_DEP_2)
	v_add_nc_u32_e32 v16, s11, v14
	s_clause 0x5
	global_load_b64 v[66:67], v0, s[4:5] scale_offset
	global_load_b64 v[68:69], v[6:7], off
	global_load_b64 v[70:71], v8, s[4:5] scale_offset
	global_load_b64 v[72:73], v10, s[4:5] scale_offset
	;; [unrolled: 1-line block ×4, first 2 shown]
	v_add_nc_u32_e32 v18, s11, v16
	s_delay_alu instid0(VALU_DEP_1) | instskip(NEXT) | instid1(VALU_DEP_1)
	v_add_nc_u32_e32 v20, s11, v18
	v_add_nc_u32_e32 v22, s11, v20
	s_delay_alu instid0(VALU_DEP_1) | instskip(NEXT) | instid1(VALU_DEP_1)
	v_add_nc_u32_e32 v24, s11, v22
	v_add_nc_u32_e32 v26, s11, v24
	s_delay_alu instid0(VALU_DEP_1)
	v_add_nc_u32_e32 v28, s11, v26
	s_clause 0x5
	global_load_b64 v[78:79], v16, s[4:5] scale_offset
	global_load_b64 v[80:81], v18, s[4:5] scale_offset
	;; [unrolled: 1-line block ×6, first 2 shown]
	v_add_nc_u32_e32 v30, s11, v28
	s_delay_alu instid0(VALU_DEP_1) | instskip(NEXT) | instid1(VALU_DEP_1)
	v_add_nc_u32_e32 v32, s11, v30
	v_add_nc_u32_e32 v34, s11, v32
	s_delay_alu instid0(VALU_DEP_1) | instskip(NEXT) | instid1(VALU_DEP_1)
	v_add_nc_u32_e32 v36, s11, v34
	v_add_nc_u32_e32 v38, s11, v36
	s_delay_alu instid0(VALU_DEP_1)
	v_add_nc_u32_e32 v40, s11, v38
	s_clause 0x5
	global_load_b64 v[90:91], v28, s[4:5] scale_offset
	global_load_b64 v[92:93], v30, s[4:5] scale_offset
	;; [unrolled: 1-line block ×6, first 2 shown]
	v_add_nc_u32_e32 v42, s11, v40
	s_delay_alu instid0(VALU_DEP_1) | instskip(NEXT) | instid1(VALU_DEP_1)
	v_add_nc_u32_e32 v44, s11, v42
	v_add_nc_u32_e32 v46, s11, v44
	s_delay_alu instid0(VALU_DEP_1) | instskip(NEXT) | instid1(VALU_DEP_1)
	v_add_nc_u32_e32 v48, s11, v46
	;; [unrolled: 3-line block ×5, first 2 shown]
	v_add_nc_u32_e32 v62, s11, v60
	s_delay_alu instid0(VALU_DEP_1)
	v_add_nc_u32_e32 v64, s11, v62
	s_wait_loadcnt 0x10
	scratch_store_b128 off, v[66:69], off
	s_wait_xcnt 0x0
	v_add_nc_u32_e32 v66, s11, v64
	s_clause 0x3
	global_load_b64 v[102:103], v40, s[4:5] scale_offset
	global_load_b64 v[104:105], v42, s[4:5] scale_offset
	;; [unrolled: 1-line block ×4, first 2 shown]
	s_wait_loadcnt 0x12
	scratch_store_b128 off, v[70:73], off offset:16
	s_wait_loadcnt 0x10
	scratch_store_b128 off, v[74:77], off offset:32
	s_clause 0x3
	global_load_b64 v[72:73], v48, s[4:5] scale_offset
	global_load_b64 v[74:75], v50, s[4:5] scale_offset
	;; [unrolled: 1-line block ×4, first 2 shown]
	v_add_nc_u32_e32 v68, s11, v66
	s_delay_alu instid0(VALU_DEP_1)
	v_add_nc_u32_e32 v70, s11, v68
	s_wait_loadcnt 0x12
	scratch_store_b128 off, v[78:81], off offset:48
	s_wait_loadcnt 0x10
	scratch_store_b128 off, v[82:85], off offset:64
	;; [unrolled: 2-line block ×3, first 2 shown]
	s_clause 0x3
	global_load_b64 v[76:77], v56, s[4:5] scale_offset
	global_load_b64 v[78:79], v58, s[4:5] scale_offset
	;; [unrolled: 1-line block ×4, first 2 shown]
	s_wait_loadcnt 0x10
	scratch_store_b128 off, v[90:93], off offset:96
	s_clause 0x1
	global_load_b64 v[84:85], v64, s[4:5] scale_offset
	global_load_b64 v[86:87], v66, s[4:5] scale_offset
	s_wait_loadcnt 0x10
	scratch_store_b128 off, v[94:97], off offset:112
	s_clause 0x1
	global_load_b64 v[88:89], v68, s[4:5] scale_offset
	global_load_b64 v[90:91], v70, s[4:5] scale_offset
	s_wait_loadcnt 0x10
	scratch_store_b128 off, v[98:101], off offset:128
	s_wait_loadcnt 0xe
	scratch_store_b128 off, v[102:105], off offset:144
	;; [unrolled: 2-line block ×9, first 2 shown]
	s_cbranch_scc1 .LBB33_144
; %bb.4:
	v_cmp_eq_u32_e64 s0, 0, v0
	s_wait_xcnt 0x0
	s_and_saveexec_b32 s1, s0
; %bb.5:
	v_mov_b32_e32 v1, 0
	ds_store_b32 v1, v1 offset:544
; %bb.6:
	s_or_b32 exec_lo, exec_lo, s1
	s_wait_storecnt_dscnt 0x0
	s_barrier_signal -1
	s_barrier_wait -1
	scratch_load_b64 v[72:73], v0, off scale_offset
	s_mov_b32 s8, exec_lo
	s_wait_loadcnt 0x0
	v_cmpx_eq_f64_e32 0, v[72:73]
	s_cbranch_execz .LBB33_10
; %bb.7:
	v_mov_b32_e32 v1, 0
	s_mov_b32 s9, 0
	ds_load_b32 v3, v1 offset:544
	s_wait_dscnt 0x0
	v_readfirstlane_b32 s1, v3
	v_add_nc_u32_e32 v3, 1, v0
	s_cmp_eq_u32 s1, 0
	s_delay_alu instid0(VALU_DEP_1) | instskip(SKIP_1) | instid1(SALU_CYCLE_1)
	v_cmp_gt_i32_e32 vcc_lo, s1, v3
	s_cselect_b32 s10, -1, 0
	s_or_b32 s10, s10, vcc_lo
	s_delay_alu instid0(SALU_CYCLE_1)
	s_and_b32 exec_lo, exec_lo, s10
	s_cbranch_execz .LBB33_10
; %bb.8:
	v_mov_b32_e32 v9, s1
.LBB33_9:                               ; =>This Inner Loop Header: Depth=1
	ds_cmpstore_rtn_b32 v9, v1, v3, v9 offset:544
	s_wait_dscnt 0x0
	v_cmp_ne_u32_e32 vcc_lo, 0, v9
	v_cmp_le_i32_e64 s1, v9, v3
	s_and_b32 s1, vcc_lo, s1
	s_delay_alu instid0(SALU_CYCLE_1) | instskip(NEXT) | instid1(SALU_CYCLE_1)
	s_and_b32 s1, exec_lo, s1
	s_or_b32 s9, s1, s9
	s_delay_alu instid0(SALU_CYCLE_1)
	s_and_not1_b32 exec_lo, exec_lo, s9
	s_cbranch_execnz .LBB33_9
.LBB33_10:
	s_or_b32 exec_lo, exec_lo, s8
	v_mov_b32_e32 v1, 0
	s_barrier_signal -1
	s_barrier_wait -1
	ds_load_b32 v3, v1 offset:544
	s_and_saveexec_b32 s1, s0
	s_cbranch_execz .LBB33_12
; %bb.11:
	s_lshl_b64 s[8:9], s[16:17], 2
	s_delay_alu instid0(SALU_CYCLE_1)
	s_add_nc_u64 s[8:9], s[6:7], s[8:9]
	s_wait_dscnt 0x0
	global_store_b32 v1, v3, s[8:9]
.LBB33_12:
	s_wait_xcnt 0x0
	s_or_b32 exec_lo, exec_lo, s1
	s_wait_dscnt 0x0
	v_cmp_ne_u32_e32 vcc_lo, 0, v3
	s_mov_b32 s1, 0
	s_cbranch_vccnz .LBB33_144
; %bb.13:
	v_lshl_add_u32 v3, v0, 3, 0
	v_add_nc_u32_e32 v1, 0x110, v2
	scratch_load_b64 v[72:73], v3, off
	s_wait_loadcnt 0x0
	v_div_scale_f64 v[74:75], null, v[72:73], v[72:73], 1.0
	v_div_scale_f64 v[80:81], vcc_lo, 1.0, v[72:73], 1.0
	s_delay_alu instid0(VALU_DEP_2) | instskip(SKIP_1) | instid1(TRANS32_DEP_1)
	v_rcp_f64_e32 v[76:77], v[74:75]
	v_nop
	v_fma_f64 v[78:79], -v[74:75], v[76:77], 1.0
	s_delay_alu instid0(VALU_DEP_1) | instskip(NEXT) | instid1(VALU_DEP_1)
	v_fmac_f64_e32 v[76:77], v[76:77], v[78:79]
	v_fma_f64 v[78:79], -v[74:75], v[76:77], 1.0
	s_delay_alu instid0(VALU_DEP_1) | instskip(NEXT) | instid1(VALU_DEP_1)
	v_fmac_f64_e32 v[76:77], v[76:77], v[78:79]
	v_mul_f64_e32 v[78:79], v[80:81], v[76:77]
	s_delay_alu instid0(VALU_DEP_1) | instskip(NEXT) | instid1(VALU_DEP_1)
	v_fma_f64 v[74:75], -v[74:75], v[78:79], v[80:81]
	v_div_fmas_f64 v[74:75], v[74:75], v[76:77], v[78:79]
	s_delay_alu instid0(VALU_DEP_1)
	v_div_fixup_f64 v[72:73], v[74:75], v[72:73], 1.0
	scratch_store_b64 v3, v[72:73], off
	scratch_load_b64 v[74:75], off, off offset:8
	s_wait_xcnt 0x1
	v_xor_b32_e32 v73, 0x80000000, v73
	s_wait_loadcnt 0x0
	ds_store_2addr_b64 v2, v[72:73], v[74:75] offset1:34
	s_wait_storecnt_dscnt 0x0
	s_barrier_signal -1
	s_barrier_wait -1
	s_wait_xcnt 0x0
	s_and_saveexec_b32 s1, s0
	s_cbranch_execz .LBB33_15
; %bb.14:
	scratch_load_b64 v[72:73], v3, off
	ds_load_b64 v[74:75], v1
	s_wait_loadcnt_dscnt 0x0
	v_fma_f64 v[72:73], v[72:73], v[74:75], 0
	v_mov_b32_e32 v9, 0
	ds_load_b64 v[76:77], v9 offset:8
	s_wait_dscnt 0x0
	v_mul_f64_e32 v[72:73], v[72:73], v[76:77]
	scratch_store_b64 off, v[72:73], off offset:8
.LBB33_15:
	s_wait_xcnt 0x0
	s_or_b32 exec_lo, exec_lo, s1
	s_wait_storecnt 0x0
	s_barrier_signal -1
	s_barrier_wait -1
	scratch_load_b64 v[72:73], off, off offset:16
	s_mov_b32 s1, exec_lo
	s_wait_loadcnt 0x0
	ds_store_b64 v1, v[72:73]
	s_wait_dscnt 0x0
	s_barrier_signal -1
	s_barrier_wait -1
	v_cmpx_gt_u32_e32 2, v0
	s_cbranch_execz .LBB33_19
; %bb.16:
	scratch_load_b64 v[72:73], v3, off
	ds_load_b64 v[74:75], v1
	s_wait_loadcnt_dscnt 0x0
	v_fma_f64 v[72:73], v[72:73], v[74:75], 0
	s_and_saveexec_b32 s8, s0
	s_cbranch_execz .LBB33_18
; %bb.17:
	scratch_load_b64 v[74:75], off, off offset:8
	v_mov_b32_e32 v3, 0
	ds_load_b64 v[76:77], v3 offset:280
	s_wait_loadcnt_dscnt 0x0
	v_fmac_f64_e32 v[72:73], v[74:75], v[76:77]
.LBB33_18:
	s_or_b32 exec_lo, exec_lo, s8
	v_mov_b32_e32 v3, 0
	ds_load_b64 v[74:75], v3 offset:16
	s_wait_dscnt 0x0
	v_mul_f64_e32 v[72:73], v[72:73], v[74:75]
	scratch_store_b64 off, v[72:73], off offset:16
.LBB33_19:
	s_wait_xcnt 0x0
	s_or_b32 exec_lo, exec_lo, s1
	s_wait_storecnt 0x0
	s_barrier_signal -1
	s_barrier_wait -1
	scratch_load_b64 v[72:73], off, off offset:24
	v_add_nc_u32_e32 v3, -1, v0
	s_mov_b32 s0, exec_lo
	s_wait_loadcnt 0x0
	ds_store_b64 v1, v[72:73]
	s_wait_dscnt 0x0
	s_barrier_signal -1
	s_barrier_wait -1
	v_cmpx_gt_u32_e32 3, v0
	s_cbranch_execz .LBB33_23
; %bb.20:
	v_mov_b64_e32 v[72:73], 0
	v_dual_add_nc_u32 v9, -1, v0 :: v_dual_mov_b32 v13, v2
	v_add_nc_u32_e32 v11, 0x110, v2
	s_mov_b32 s1, 0
.LBB33_21:                              ; =>This Inner Loop Header: Depth=1
	scratch_load_b64 v[74:75], v13, off
	ds_load_b64 v[76:77], v11
	v_dual_add_nc_u32 v9, 1, v9 :: v_dual_add_nc_u32 v11, 8, v11
	s_wait_xcnt 0x0
	v_add_nc_u32_e32 v13, 8, v13
	s_delay_alu instid0(VALU_DEP_2)
	v_cmp_lt_u32_e32 vcc_lo, 1, v9
	s_or_b32 s1, vcc_lo, s1
	s_wait_loadcnt_dscnt 0x0
	v_fmac_f64_e32 v[72:73], v[74:75], v[76:77]
	s_and_not1_b32 exec_lo, exec_lo, s1
	s_cbranch_execnz .LBB33_21
; %bb.22:
	s_or_b32 exec_lo, exec_lo, s1
	v_mov_b32_e32 v9, 0
	ds_load_b64 v[74:75], v9 offset:24
	s_wait_dscnt 0x0
	v_mul_f64_e32 v[72:73], v[72:73], v[74:75]
	scratch_store_b64 off, v[72:73], off offset:24
.LBB33_23:
	s_wait_xcnt 0x0
	s_or_b32 exec_lo, exec_lo, s0
	s_wait_storecnt 0x0
	s_barrier_signal -1
	s_barrier_wait -1
	scratch_load_b64 v[72:73], off, off offset:32
	s_mov_b32 s0, exec_lo
	s_wait_loadcnt 0x0
	ds_store_b64 v1, v[72:73]
	s_wait_dscnt 0x0
	s_barrier_signal -1
	s_barrier_wait -1
	v_cmpx_gt_u32_e32 4, v0
	s_cbranch_execz .LBB33_27
; %bb.24:
	v_mov_b64_e32 v[72:73], 0
	v_dual_add_nc_u32 v9, -1, v0 :: v_dual_mov_b32 v13, v2
	v_add_nc_u32_e32 v11, 0x110, v2
	s_mov_b32 s1, 0
.LBB33_25:                              ; =>This Inner Loop Header: Depth=1
	scratch_load_b64 v[74:75], v13, off
	ds_load_b64 v[76:77], v11
	v_dual_add_nc_u32 v9, 1, v9 :: v_dual_add_nc_u32 v11, 8, v11
	s_wait_xcnt 0x0
	v_add_nc_u32_e32 v13, 8, v13
	s_delay_alu instid0(VALU_DEP_2)
	v_cmp_lt_u32_e32 vcc_lo, 2, v9
	s_or_b32 s1, vcc_lo, s1
	s_wait_loadcnt_dscnt 0x0
	v_fmac_f64_e32 v[72:73], v[74:75], v[76:77]
	s_and_not1_b32 exec_lo, exec_lo, s1
	s_cbranch_execnz .LBB33_25
; %bb.26:
	s_or_b32 exec_lo, exec_lo, s1
	v_mov_b32_e32 v9, 0
	ds_load_b64 v[74:75], v9 offset:32
	s_wait_dscnt 0x0
	v_mul_f64_e32 v[72:73], v[72:73], v[74:75]
	scratch_store_b64 off, v[72:73], off offset:32
.LBB33_27:
	s_wait_xcnt 0x0
	s_or_b32 exec_lo, exec_lo, s0
	s_wait_storecnt 0x0
	s_barrier_signal -1
	s_barrier_wait -1
	scratch_load_b64 v[72:73], off, off offset:40
	;; [unrolled: 40-line block ×20, first 2 shown]
	s_mov_b32 s0, exec_lo
	s_wait_loadcnt 0x0
	ds_store_b64 v1, v[72:73]
	s_wait_dscnt 0x0
	s_barrier_signal -1
	s_barrier_wait -1
	v_cmpx_gt_u32_e32 23, v0
	s_cbranch_execz .LBB33_103
; %bb.100:
	v_mov_b64_e32 v[72:73], 0
	v_dual_add_nc_u32 v9, -1, v0 :: v_dual_mov_b32 v13, v2
	v_add_nc_u32_e32 v11, 0x110, v2
	s_mov_b32 s1, 0
.LBB33_101:                             ; =>This Inner Loop Header: Depth=1
	scratch_load_b64 v[74:75], v13, off
	ds_load_b64 v[76:77], v11
	v_dual_add_nc_u32 v9, 1, v9 :: v_dual_add_nc_u32 v11, 8, v11
	s_wait_xcnt 0x0
	v_add_nc_u32_e32 v13, 8, v13
	s_delay_alu instid0(VALU_DEP_2)
	v_cmp_lt_u32_e32 vcc_lo, 21, v9
	s_or_b32 s1, vcc_lo, s1
	s_wait_loadcnt_dscnt 0x0
	v_fmac_f64_e32 v[72:73], v[74:75], v[76:77]
	s_and_not1_b32 exec_lo, exec_lo, s1
	s_cbranch_execnz .LBB33_101
; %bb.102:
	s_or_b32 exec_lo, exec_lo, s1
	v_mov_b32_e32 v9, 0
	ds_load_b64 v[74:75], v9 offset:184
	s_wait_dscnt 0x0
	v_mul_f64_e32 v[72:73], v[72:73], v[74:75]
	scratch_store_b64 off, v[72:73], off offset:184
.LBB33_103:
	s_wait_xcnt 0x0
	s_or_b32 exec_lo, exec_lo, s0
	s_wait_storecnt 0x0
	s_barrier_signal -1
	s_barrier_wait -1
	scratch_load_b64 v[72:73], off, off offset:192
	s_mov_b32 s0, exec_lo
	s_wait_loadcnt 0x0
	ds_store_b64 v1, v[72:73]
	s_wait_dscnt 0x0
	s_barrier_signal -1
	s_barrier_wait -1
	v_cmpx_gt_u32_e32 24, v0
	s_cbranch_execz .LBB33_107
; %bb.104:
	v_mov_b64_e32 v[72:73], 0
	v_dual_add_nc_u32 v9, -1, v0 :: v_dual_mov_b32 v13, v2
	v_add_nc_u32_e32 v11, 0x110, v2
	s_mov_b32 s1, 0
.LBB33_105:                             ; =>This Inner Loop Header: Depth=1
	scratch_load_b64 v[74:75], v13, off
	ds_load_b64 v[76:77], v11
	v_dual_add_nc_u32 v9, 1, v9 :: v_dual_add_nc_u32 v11, 8, v11
	s_wait_xcnt 0x0
	v_add_nc_u32_e32 v13, 8, v13
	s_delay_alu instid0(VALU_DEP_2)
	v_cmp_lt_u32_e32 vcc_lo, 22, v9
	s_or_b32 s1, vcc_lo, s1
	s_wait_loadcnt_dscnt 0x0
	v_fmac_f64_e32 v[72:73], v[74:75], v[76:77]
	s_and_not1_b32 exec_lo, exec_lo, s1
	s_cbranch_execnz .LBB33_105
; %bb.106:
	s_or_b32 exec_lo, exec_lo, s1
	v_mov_b32_e32 v9, 0
	ds_load_b64 v[74:75], v9 offset:192
	s_wait_dscnt 0x0
	v_mul_f64_e32 v[72:73], v[72:73], v[74:75]
	scratch_store_b64 off, v[72:73], off offset:192
.LBB33_107:
	s_wait_xcnt 0x0
	s_or_b32 exec_lo, exec_lo, s0
	s_wait_storecnt 0x0
	s_barrier_signal -1
	s_barrier_wait -1
	scratch_load_b64 v[72:73], off, off offset:200
	;; [unrolled: 40-line block ×10, first 2 shown]
	s_mov_b32 s0, exec_lo
	s_wait_loadcnt 0x0
	ds_store_b64 v1, v[72:73]
	s_wait_dscnt 0x0
	s_barrier_signal -1
	s_barrier_wait -1
	v_cmpx_ne_u32_e32 33, v0
	s_cbranch_execz .LBB33_143
; %bb.140:
	v_mov_b64_e32 v[72:73], 0
	s_mov_b32 s1, 0
.LBB33_141:                             ; =>This Inner Loop Header: Depth=1
	scratch_load_b64 v[74:75], v2, off
	ds_load_b64 v[76:77], v1
	v_dual_add_nc_u32 v3, 1, v3 :: v_dual_add_nc_u32 v1, 8, v1
	s_wait_xcnt 0x0
	v_add_nc_u32_e32 v2, 8, v2
	s_delay_alu instid0(VALU_DEP_2)
	v_cmp_lt_u32_e32 vcc_lo, 31, v3
	s_or_b32 s1, vcc_lo, s1
	s_wait_loadcnt_dscnt 0x0
	v_fmac_f64_e32 v[72:73], v[74:75], v[76:77]
	s_and_not1_b32 exec_lo, exec_lo, s1
	s_cbranch_execnz .LBB33_141
; %bb.142:
	s_or_b32 exec_lo, exec_lo, s1
	v_mov_b32_e32 v1, 0
	ds_load_b64 v[2:3], v1 offset:264
	s_wait_dscnt 0x0
	v_mul_f64_e32 v[2:3], v[72:73], v[2:3]
	scratch_store_b64 off, v[2:3], off offset:264
.LBB33_143:
	s_wait_xcnt 0x0
	s_or_b32 exec_lo, exec_lo, s0
	s_mov_b32 s1, -1
	s_wait_storecnt 0x0
	s_barrier_signal -1
	s_barrier_wait -1
.LBB33_144:
	s_and_b32 vcc_lo, exec_lo, s1
	s_cbranch_vccz .LBB33_146
; %bb.145:
	v_mov_b32_e32 v1, 0
	s_lshl_b64 s[0:1], s[16:17], 2
	s_delay_alu instid0(SALU_CYCLE_1)
	s_add_nc_u64 s[0:1], s[6:7], s[0:1]
	global_load_b32 v1, v1, s[0:1]
	s_wait_loadcnt 0x0
	v_cmp_ne_u32_e32 vcc_lo, 0, v1
	s_cbranch_vccz .LBB33_147
.LBB33_146:
	s_sendmsg sendmsg(MSG_DEALLOC_VGPRS)
	s_endpgm
.LBB33_147:
	s_wait_xcnt 0x0
	v_lshl_add_u32 v1, v0, 3, 0x110
	s_mov_b32 s0, exec_lo
	v_cmpx_eq_u32_e32 33, v0
	s_cbranch_execz .LBB33_149
; %bb.148:
	scratch_load_b64 v[2:3], off, off offset:256
	v_mov_b64_e32 v[72:73], 0
	scratch_store_b64 off, v[72:73], off offset:256
	s_wait_loadcnt 0x0
	ds_store_b64 v1, v[2:3]
.LBB33_149:
	s_wait_xcnt 0x0
	s_or_b32 exec_lo, exec_lo, s0
	s_wait_storecnt_dscnt 0x0
	s_barrier_signal -1
	s_barrier_wait -1
	scratch_load_b128 v[72:75], off, off offset:256
	v_mov_b32_e32 v2, 0
	s_mov_b32 s0, exec_lo
	ds_load_b64 v[76:77], v2 offset:536
	s_wait_loadcnt_dscnt 0x0
	v_fma_f64 v[74:75], v[74:75], v[76:77], 0
	s_delay_alu instid0(VALU_DEP_1)
	v_add_f64_e64 v[72:73], v[72:73], -v[74:75]
	scratch_store_b64 off, v[72:73], off offset:256
	s_wait_xcnt 0x0
	v_cmpx_lt_u32_e32 31, v0
	s_cbranch_execz .LBB33_151
; %bb.150:
	scratch_load_b64 v[72:73], off, off offset:248
	v_mov_b64_e32 v[74:75], 0
	scratch_store_b64 off, v[74:75], off offset:248
	s_wait_loadcnt 0x0
	ds_store_b64 v1, v[72:73]
.LBB33_151:
	s_wait_xcnt 0x0
	s_or_b32 exec_lo, exec_lo, s0
	s_wait_storecnt_dscnt 0x0
	s_barrier_signal -1
	s_barrier_wait -1
	s_clause 0x1
	scratch_load_b128 v[72:75], off, off offset:248
	scratch_load_b64 v[80:81], off, off offset:264
	ds_load_b128 v[76:79], v2 offset:528
	s_mov_b32 s0, exec_lo
	s_wait_loadcnt_dscnt 0x100
	v_fma_f64 v[2:3], v[74:75], v[76:77], 0
	s_wait_loadcnt 0x0
	s_delay_alu instid0(VALU_DEP_1) | instskip(NEXT) | instid1(VALU_DEP_1)
	v_fmac_f64_e32 v[2:3], v[80:81], v[78:79]
	v_add_f64_e64 v[2:3], v[72:73], -v[2:3]
	scratch_store_b64 off, v[2:3], off offset:248
	s_wait_xcnt 0x0
	v_cmpx_lt_u32_e32 30, v0
	s_cbranch_execz .LBB33_153
; %bb.152:
	scratch_load_b64 v[2:3], off, off offset:240
	v_mov_b64_e32 v[72:73], 0
	scratch_store_b64 off, v[72:73], off offset:240
	s_wait_loadcnt 0x0
	ds_store_b64 v1, v[2:3]
.LBB33_153:
	s_wait_xcnt 0x0
	s_or_b32 exec_lo, exec_lo, s0
	s_wait_storecnt_dscnt 0x0
	s_barrier_signal -1
	s_barrier_wait -1
	s_clause 0x1
	scratch_load_b128 v[72:75], off, off offset:240
	scratch_load_b128 v[76:79], off, off offset:256
	v_mov_b32_e32 v2, 0
	ds_load_2addr_b64 v[80:83], v2 offset0:65 offset1:66
	ds_load_b64 v[84:85], v2 offset:536
	s_mov_b32 s0, exec_lo
	s_wait_loadcnt_dscnt 0x101
	v_fma_f64 v[74:75], v[74:75], v[80:81], 0
	s_wait_loadcnt 0x0
	s_delay_alu instid0(VALU_DEP_1) | instskip(SKIP_1) | instid1(VALU_DEP_1)
	v_fmac_f64_e32 v[74:75], v[76:77], v[82:83]
	s_wait_dscnt 0x0
	v_fmac_f64_e32 v[74:75], v[78:79], v[84:85]
	s_delay_alu instid0(VALU_DEP_1)
	v_add_f64_e64 v[72:73], v[72:73], -v[74:75]
	scratch_store_b64 off, v[72:73], off offset:240
	s_wait_xcnt 0x0
	v_cmpx_lt_u32_e32 29, v0
	s_cbranch_execz .LBB33_155
; %bb.154:
	scratch_load_b64 v[72:73], off, off offset:232
	v_mov_b64_e32 v[74:75], 0
	scratch_store_b64 off, v[74:75], off offset:232
	s_wait_loadcnt 0x0
	ds_store_b64 v1, v[72:73]
.LBB33_155:
	s_wait_xcnt 0x0
	s_or_b32 exec_lo, exec_lo, s0
	s_wait_storecnt_dscnt 0x0
	s_barrier_signal -1
	s_barrier_wait -1
	s_clause 0x2
	scratch_load_b128 v[72:75], off, off offset:232
	scratch_load_b128 v[76:79], off, off offset:248
	scratch_load_b64 v[88:89], off, off offset:264
	ds_load_b128 v[80:83], v2 offset:512
	ds_load_b128 v[84:87], v2 offset:528
	s_mov_b32 s0, exec_lo
	s_wait_loadcnt_dscnt 0x201
	v_fma_f64 v[2:3], v[74:75], v[80:81], 0
	s_wait_loadcnt 0x1
	s_delay_alu instid0(VALU_DEP_1) | instskip(SKIP_1) | instid1(VALU_DEP_1)
	v_fmac_f64_e32 v[2:3], v[76:77], v[82:83]
	s_wait_dscnt 0x0
	v_fmac_f64_e32 v[2:3], v[78:79], v[84:85]
	s_wait_loadcnt 0x0
	s_delay_alu instid0(VALU_DEP_1) | instskip(NEXT) | instid1(VALU_DEP_1)
	v_fmac_f64_e32 v[2:3], v[88:89], v[86:87]
	v_add_f64_e64 v[2:3], v[72:73], -v[2:3]
	scratch_store_b64 off, v[2:3], off offset:232
	s_wait_xcnt 0x0
	v_cmpx_lt_u32_e32 28, v0
	s_cbranch_execz .LBB33_157
; %bb.156:
	scratch_load_b64 v[2:3], off, off offset:224
	v_mov_b64_e32 v[72:73], 0
	scratch_store_b64 off, v[72:73], off offset:224
	s_wait_loadcnt 0x0
	ds_store_b64 v1, v[2:3]
.LBB33_157:
	s_wait_xcnt 0x0
	s_or_b32 exec_lo, exec_lo, s0
	s_wait_storecnt_dscnt 0x0
	s_barrier_signal -1
	s_barrier_wait -1
	s_clause 0x2
	scratch_load_b128 v[72:75], off, off offset:224
	scratch_load_b128 v[76:79], off, off offset:240
	;; [unrolled: 1-line block ×3, first 2 shown]
	v_mov_b32_e32 v2, 0
	ds_load_2addr_b64 v[84:87], v2 offset0:63 offset1:64
	ds_load_2addr_b64 v[88:91], v2 offset0:65 offset1:66
	s_mov_b32 s0, exec_lo
	s_wait_loadcnt_dscnt 0x201
	v_fma_f64 v[74:75], v[74:75], v[84:85], 0
	s_wait_loadcnt 0x1
	s_delay_alu instid0(VALU_DEP_1) | instskip(SKIP_4) | instid1(VALU_DEP_1)
	v_fmac_f64_e32 v[74:75], v[76:77], v[86:87]
	ds_load_b64 v[76:77], v2 offset:536
	s_wait_dscnt 0x1
	v_fmac_f64_e32 v[74:75], v[78:79], v[88:89]
	s_wait_loadcnt 0x0
	v_fmac_f64_e32 v[74:75], v[80:81], v[90:91]
	s_wait_dscnt 0x0
	s_delay_alu instid0(VALU_DEP_1) | instskip(NEXT) | instid1(VALU_DEP_1)
	v_fmac_f64_e32 v[74:75], v[82:83], v[76:77]
	v_add_f64_e64 v[72:73], v[72:73], -v[74:75]
	scratch_store_b64 off, v[72:73], off offset:224
	s_wait_xcnt 0x0
	v_cmpx_lt_u32_e32 27, v0
	s_cbranch_execz .LBB33_159
; %bb.158:
	scratch_load_b64 v[72:73], off, off offset:216
	v_mov_b64_e32 v[74:75], 0
	scratch_store_b64 off, v[74:75], off offset:216
	s_wait_loadcnt 0x0
	ds_store_b64 v1, v[72:73]
.LBB33_159:
	s_wait_xcnt 0x0
	s_or_b32 exec_lo, exec_lo, s0
	s_wait_storecnt_dscnt 0x0
	s_barrier_signal -1
	s_barrier_wait -1
	s_clause 0x3
	scratch_load_b128 v[72:75], off, off offset:216
	scratch_load_b128 v[76:79], off, off offset:232
	;; [unrolled: 1-line block ×3, first 2 shown]
	scratch_load_b64 v[92:93], off, off offset:264
	ds_load_b128 v[84:87], v2 offset:496
	ds_load_b128 v[88:91], v2 offset:512
	s_mov_b32 s0, exec_lo
	s_wait_loadcnt_dscnt 0x301
	v_fma_f64 v[84:85], v[74:75], v[84:85], 0
	s_wait_loadcnt 0x2
	s_delay_alu instid0(VALU_DEP_1) | instskip(SKIP_4) | instid1(VALU_DEP_1)
	v_fmac_f64_e32 v[84:85], v[76:77], v[86:87]
	ds_load_b128 v[74:77], v2 offset:528
	s_wait_dscnt 0x1
	v_fmac_f64_e32 v[84:85], v[78:79], v[88:89]
	s_wait_loadcnt 0x1
	v_fmac_f64_e32 v[84:85], v[80:81], v[90:91]
	s_wait_dscnt 0x0
	s_delay_alu instid0(VALU_DEP_1) | instskip(SKIP_1) | instid1(VALU_DEP_1)
	v_fmac_f64_e32 v[84:85], v[82:83], v[74:75]
	s_wait_loadcnt 0x0
	v_fmac_f64_e32 v[84:85], v[92:93], v[76:77]
	s_delay_alu instid0(VALU_DEP_1)
	v_add_f64_e64 v[2:3], v[72:73], -v[84:85]
	scratch_store_b64 off, v[2:3], off offset:216
	s_wait_xcnt 0x0
	v_cmpx_lt_u32_e32 26, v0
	s_cbranch_execz .LBB33_161
; %bb.160:
	scratch_load_b64 v[2:3], off, off offset:208
	v_mov_b64_e32 v[72:73], 0
	scratch_store_b64 off, v[72:73], off offset:208
	s_wait_loadcnt 0x0
	ds_store_b64 v1, v[2:3]
.LBB33_161:
	s_wait_xcnt 0x0
	s_or_b32 exec_lo, exec_lo, s0
	s_wait_storecnt_dscnt 0x0
	s_barrier_signal -1
	s_barrier_wait -1
	s_clause 0x3
	scratch_load_b128 v[72:75], off, off offset:208
	scratch_load_b128 v[76:79], off, off offset:224
	;; [unrolled: 1-line block ×4, first 2 shown]
	v_mov_b32_e32 v2, 0
	ds_load_2addr_b64 v[88:91], v2 offset0:61 offset1:62
	ds_load_2addr_b64 v[92:95], v2 offset0:63 offset1:64
	s_mov_b32 s0, exec_lo
	s_wait_loadcnt_dscnt 0x301
	v_fma_f64 v[88:89], v[74:75], v[88:89], 0
	s_wait_loadcnt 0x2
	s_delay_alu instid0(VALU_DEP_1) | instskip(SKIP_1) | instid1(VALU_DEP_1)
	v_fmac_f64_e32 v[88:89], v[76:77], v[90:91]
	s_wait_dscnt 0x0
	v_fmac_f64_e32 v[88:89], v[78:79], v[92:93]
	ds_load_2addr_b64 v[74:77], v2 offset0:65 offset1:66
	ds_load_b64 v[78:79], v2 offset:536
	s_wait_loadcnt 0x1
	v_fmac_f64_e32 v[88:89], v[80:81], v[94:95]
	s_wait_dscnt 0x1
	s_delay_alu instid0(VALU_DEP_1) | instskip(SKIP_1) | instid1(VALU_DEP_1)
	v_fmac_f64_e32 v[88:89], v[82:83], v[74:75]
	s_wait_loadcnt 0x0
	v_fmac_f64_e32 v[88:89], v[84:85], v[76:77]
	s_wait_dscnt 0x0
	s_delay_alu instid0(VALU_DEP_1) | instskip(NEXT) | instid1(VALU_DEP_1)
	v_fmac_f64_e32 v[88:89], v[86:87], v[78:79]
	v_add_f64_e64 v[72:73], v[72:73], -v[88:89]
	scratch_store_b64 off, v[72:73], off offset:208
	s_wait_xcnt 0x0
	v_cmpx_lt_u32_e32 25, v0
	s_cbranch_execz .LBB33_163
; %bb.162:
	scratch_load_b64 v[72:73], off, off offset:200
	v_mov_b64_e32 v[74:75], 0
	scratch_store_b64 off, v[74:75], off offset:200
	s_wait_loadcnt 0x0
	ds_store_b64 v1, v[72:73]
.LBB33_163:
	s_wait_xcnt 0x0
	s_or_b32 exec_lo, exec_lo, s0
	s_wait_storecnt_dscnt 0x0
	s_barrier_signal -1
	s_barrier_wait -1
	s_clause 0x4
	scratch_load_b128 v[72:75], off, off offset:200
	scratch_load_b128 v[76:79], off, off offset:216
	;; [unrolled: 1-line block ×4, first 2 shown]
	scratch_load_b64 v[96:97], off, off offset:264
	ds_load_b128 v[88:91], v2 offset:480
	ds_load_b128 v[92:95], v2 offset:496
	s_mov_b32 s0, exec_lo
	s_wait_loadcnt_dscnt 0x401
	v_fma_f64 v[88:89], v[74:75], v[88:89], 0
	s_wait_loadcnt 0x3
	s_delay_alu instid0(VALU_DEP_1) | instskip(SKIP_1) | instid1(VALU_DEP_1)
	v_fmac_f64_e32 v[88:89], v[76:77], v[90:91]
	s_wait_dscnt 0x0
	v_fmac_f64_e32 v[88:89], v[78:79], v[92:93]
	s_wait_loadcnt 0x2
	s_delay_alu instid0(VALU_DEP_1)
	v_fmac_f64_e32 v[88:89], v[80:81], v[94:95]
	ds_load_b128 v[74:77], v2 offset:512
	ds_load_b128 v[78:81], v2 offset:528
	s_wait_dscnt 0x1
	v_fmac_f64_e32 v[88:89], v[82:83], v[74:75]
	s_wait_loadcnt 0x1
	s_delay_alu instid0(VALU_DEP_1) | instskip(SKIP_1) | instid1(VALU_DEP_1)
	v_fmac_f64_e32 v[88:89], v[84:85], v[76:77]
	s_wait_dscnt 0x0
	v_fmac_f64_e32 v[88:89], v[86:87], v[78:79]
	s_wait_loadcnt 0x0
	s_delay_alu instid0(VALU_DEP_1) | instskip(NEXT) | instid1(VALU_DEP_1)
	v_fmac_f64_e32 v[88:89], v[96:97], v[80:81]
	v_add_f64_e64 v[2:3], v[72:73], -v[88:89]
	scratch_store_b64 off, v[2:3], off offset:200
	s_wait_xcnt 0x0
	v_cmpx_lt_u32_e32 24, v0
	s_cbranch_execz .LBB33_165
; %bb.164:
	scratch_load_b64 v[2:3], off, off offset:192
	v_mov_b64_e32 v[72:73], 0
	scratch_store_b64 off, v[72:73], off offset:192
	s_wait_loadcnt 0x0
	ds_store_b64 v1, v[2:3]
.LBB33_165:
	s_wait_xcnt 0x0
	s_or_b32 exec_lo, exec_lo, s0
	s_wait_storecnt_dscnt 0x0
	s_barrier_signal -1
	s_barrier_wait -1
	s_clause 0x4
	scratch_load_b128 v[72:75], off, off offset:192
	scratch_load_b128 v[76:79], off, off offset:208
	;; [unrolled: 1-line block ×5, first 2 shown]
	v_mov_b32_e32 v2, 0
	ds_load_2addr_b64 v[92:95], v2 offset0:59 offset1:60
	ds_load_2addr_b64 v[96:99], v2 offset0:61 offset1:62
	s_mov_b32 s0, exec_lo
	s_wait_loadcnt_dscnt 0x401
	v_fma_f64 v[92:93], v[74:75], v[92:93], 0
	s_wait_loadcnt 0x3
	s_delay_alu instid0(VALU_DEP_1) | instskip(SKIP_1) | instid1(VALU_DEP_1)
	v_fmac_f64_e32 v[92:93], v[76:77], v[94:95]
	s_wait_dscnt 0x0
	v_fmac_f64_e32 v[92:93], v[78:79], v[96:97]
	s_wait_loadcnt 0x2
	s_delay_alu instid0(VALU_DEP_1)
	v_fmac_f64_e32 v[92:93], v[80:81], v[98:99]
	ds_load_2addr_b64 v[74:77], v2 offset0:63 offset1:64
	ds_load_2addr_b64 v[78:81], v2 offset0:65 offset1:66
	s_wait_dscnt 0x1
	v_fmac_f64_e32 v[92:93], v[82:83], v[74:75]
	ds_load_b64 v[74:75], v2 offset:536
	s_wait_loadcnt 0x1
	v_fmac_f64_e32 v[92:93], v[84:85], v[76:77]
	s_wait_dscnt 0x1
	s_delay_alu instid0(VALU_DEP_1) | instskip(SKIP_1) | instid1(VALU_DEP_1)
	v_fmac_f64_e32 v[92:93], v[86:87], v[78:79]
	s_wait_loadcnt 0x0
	v_fmac_f64_e32 v[92:93], v[88:89], v[80:81]
	s_wait_dscnt 0x0
	s_delay_alu instid0(VALU_DEP_1) | instskip(NEXT) | instid1(VALU_DEP_1)
	v_fmac_f64_e32 v[92:93], v[90:91], v[74:75]
	v_add_f64_e64 v[72:73], v[72:73], -v[92:93]
	scratch_store_b64 off, v[72:73], off offset:192
	s_wait_xcnt 0x0
	v_cmpx_lt_u32_e32 23, v0
	s_cbranch_execz .LBB33_167
; %bb.166:
	scratch_load_b64 v[72:73], off, off offset:184
	v_mov_b64_e32 v[74:75], 0
	scratch_store_b64 off, v[74:75], off offset:184
	s_wait_loadcnt 0x0
	ds_store_b64 v1, v[72:73]
.LBB33_167:
	s_wait_xcnt 0x0
	s_or_b32 exec_lo, exec_lo, s0
	s_wait_storecnt_dscnt 0x0
	s_barrier_signal -1
	s_barrier_wait -1
	s_clause 0x5
	scratch_load_b128 v[72:75], off, off offset:184
	scratch_load_b128 v[76:79], off, off offset:200
	;; [unrolled: 1-line block ×5, first 2 shown]
	scratch_load_b64 v[100:101], off, off offset:264
	ds_load_b128 v[92:95], v2 offset:464
	ds_load_b128 v[96:99], v2 offset:480
	s_mov_b32 s0, exec_lo
	s_wait_loadcnt_dscnt 0x501
	v_fma_f64 v[92:93], v[74:75], v[92:93], 0
	s_wait_loadcnt 0x4
	s_delay_alu instid0(VALU_DEP_1) | instskip(SKIP_1) | instid1(VALU_DEP_1)
	v_fmac_f64_e32 v[92:93], v[76:77], v[94:95]
	s_wait_dscnt 0x0
	v_fmac_f64_e32 v[92:93], v[78:79], v[96:97]
	s_wait_loadcnt 0x3
	s_delay_alu instid0(VALU_DEP_1)
	v_fmac_f64_e32 v[92:93], v[80:81], v[98:99]
	ds_load_b128 v[74:77], v2 offset:496
	ds_load_b128 v[78:81], v2 offset:512
	s_wait_dscnt 0x1
	v_fmac_f64_e32 v[92:93], v[82:83], v[74:75]
	s_wait_loadcnt 0x2
	s_delay_alu instid0(VALU_DEP_1) | instskip(SKIP_4) | instid1(VALU_DEP_1)
	v_fmac_f64_e32 v[92:93], v[84:85], v[76:77]
	ds_load_b128 v[74:77], v2 offset:528
	s_wait_dscnt 0x1
	v_fmac_f64_e32 v[92:93], v[86:87], v[78:79]
	s_wait_loadcnt 0x1
	v_fmac_f64_e32 v[92:93], v[88:89], v[80:81]
	s_wait_dscnt 0x0
	s_delay_alu instid0(VALU_DEP_1) | instskip(SKIP_1) | instid1(VALU_DEP_1)
	v_fmac_f64_e32 v[92:93], v[90:91], v[74:75]
	s_wait_loadcnt 0x0
	v_fmac_f64_e32 v[92:93], v[100:101], v[76:77]
	s_delay_alu instid0(VALU_DEP_1)
	v_add_f64_e64 v[2:3], v[72:73], -v[92:93]
	scratch_store_b64 off, v[2:3], off offset:184
	s_wait_xcnt 0x0
	v_cmpx_lt_u32_e32 22, v0
	s_cbranch_execz .LBB33_169
; %bb.168:
	scratch_load_b64 v[2:3], off, off offset:176
	v_mov_b64_e32 v[72:73], 0
	scratch_store_b64 off, v[72:73], off offset:176
	s_wait_loadcnt 0x0
	ds_store_b64 v1, v[2:3]
.LBB33_169:
	s_wait_xcnt 0x0
	s_or_b32 exec_lo, exec_lo, s0
	s_wait_storecnt_dscnt 0x0
	s_barrier_signal -1
	s_barrier_wait -1
	s_clause 0x5
	scratch_load_b128 v[72:75], off, off offset:176
	scratch_load_b128 v[76:79], off, off offset:192
	;; [unrolled: 1-line block ×6, first 2 shown]
	v_mov_b32_e32 v2, 0
	ds_load_2addr_b64 v[96:99], v2 offset0:57 offset1:58
	ds_load_2addr_b64 v[100:103], v2 offset0:59 offset1:60
	s_mov_b32 s0, exec_lo
	s_wait_loadcnt_dscnt 0x501
	v_fma_f64 v[96:97], v[74:75], v[96:97], 0
	s_wait_loadcnt 0x4
	s_delay_alu instid0(VALU_DEP_1) | instskip(SKIP_1) | instid1(VALU_DEP_1)
	v_fmac_f64_e32 v[96:97], v[76:77], v[98:99]
	s_wait_dscnt 0x0
	v_fmac_f64_e32 v[96:97], v[78:79], v[100:101]
	s_wait_loadcnt 0x3
	s_delay_alu instid0(VALU_DEP_1)
	v_fmac_f64_e32 v[96:97], v[80:81], v[102:103]
	ds_load_2addr_b64 v[74:77], v2 offset0:61 offset1:62
	ds_load_2addr_b64 v[78:81], v2 offset0:63 offset1:64
	s_wait_dscnt 0x1
	v_fmac_f64_e32 v[96:97], v[82:83], v[74:75]
	s_wait_loadcnt 0x2
	s_delay_alu instid0(VALU_DEP_1) | instskip(SKIP_1) | instid1(VALU_DEP_1)
	v_fmac_f64_e32 v[96:97], v[84:85], v[76:77]
	s_wait_dscnt 0x0
	v_fmac_f64_e32 v[96:97], v[86:87], v[78:79]
	ds_load_2addr_b64 v[74:77], v2 offset0:65 offset1:66
	ds_load_b64 v[78:79], v2 offset:536
	s_wait_loadcnt 0x1
	v_fmac_f64_e32 v[96:97], v[88:89], v[80:81]
	s_wait_dscnt 0x1
	s_delay_alu instid0(VALU_DEP_1) | instskip(SKIP_1) | instid1(VALU_DEP_1)
	v_fmac_f64_e32 v[96:97], v[90:91], v[74:75]
	s_wait_loadcnt 0x0
	v_fmac_f64_e32 v[96:97], v[92:93], v[76:77]
	s_wait_dscnt 0x0
	s_delay_alu instid0(VALU_DEP_1) | instskip(NEXT) | instid1(VALU_DEP_1)
	v_fmac_f64_e32 v[96:97], v[94:95], v[78:79]
	v_add_f64_e64 v[72:73], v[72:73], -v[96:97]
	scratch_store_b64 off, v[72:73], off offset:176
	s_wait_xcnt 0x0
	v_cmpx_lt_u32_e32 21, v0
	s_cbranch_execz .LBB33_171
; %bb.170:
	scratch_load_b64 v[72:73], off, off offset:168
	v_mov_b64_e32 v[74:75], 0
	scratch_store_b64 off, v[74:75], off offset:168
	s_wait_loadcnt 0x0
	ds_store_b64 v1, v[72:73]
.LBB33_171:
	s_wait_xcnt 0x0
	s_or_b32 exec_lo, exec_lo, s0
	s_wait_storecnt_dscnt 0x0
	s_barrier_signal -1
	s_barrier_wait -1
	s_clause 0x5
	scratch_load_b128 v[72:75], off, off offset:168
	scratch_load_b128 v[76:79], off, off offset:184
	;; [unrolled: 1-line block ×6, first 2 shown]
	ds_load_b128 v[96:99], v2 offset:448
	ds_load_b128 v[100:103], v2 offset:464
	s_mov_b32 s0, exec_lo
	s_wait_loadcnt_dscnt 0x501
	v_fma_f64 v[96:97], v[74:75], v[96:97], 0
	s_wait_loadcnt 0x4
	s_delay_alu instid0(VALU_DEP_1) | instskip(SKIP_4) | instid1(VALU_DEP_1)
	v_fmac_f64_e32 v[96:97], v[76:77], v[98:99]
	scratch_load_b64 v[98:99], off, off offset:264
	s_wait_dscnt 0x0
	v_fmac_f64_e32 v[96:97], v[78:79], v[100:101]
	s_wait_loadcnt 0x4
	v_fmac_f64_e32 v[96:97], v[80:81], v[102:103]
	ds_load_b128 v[74:77], v2 offset:480
	ds_load_b128 v[78:81], v2 offset:496
	s_wait_dscnt 0x1
	v_fmac_f64_e32 v[96:97], v[82:83], v[74:75]
	s_wait_loadcnt 0x3
	s_delay_alu instid0(VALU_DEP_1) | instskip(SKIP_1) | instid1(VALU_DEP_1)
	v_fmac_f64_e32 v[96:97], v[84:85], v[76:77]
	s_wait_dscnt 0x0
	v_fmac_f64_e32 v[96:97], v[86:87], v[78:79]
	s_wait_loadcnt 0x2
	s_delay_alu instid0(VALU_DEP_1)
	v_fmac_f64_e32 v[96:97], v[88:89], v[80:81]
	ds_load_b128 v[74:77], v2 offset:512
	ds_load_b128 v[78:81], v2 offset:528
	s_wait_dscnt 0x1
	v_fmac_f64_e32 v[96:97], v[90:91], v[74:75]
	s_wait_loadcnt 0x1
	s_delay_alu instid0(VALU_DEP_1) | instskip(SKIP_1) | instid1(VALU_DEP_1)
	v_fmac_f64_e32 v[96:97], v[92:93], v[76:77]
	s_wait_dscnt 0x0
	v_fmac_f64_e32 v[96:97], v[94:95], v[78:79]
	s_wait_loadcnt 0x0
	s_delay_alu instid0(VALU_DEP_1) | instskip(NEXT) | instid1(VALU_DEP_1)
	v_fmac_f64_e32 v[96:97], v[98:99], v[80:81]
	v_add_f64_e64 v[2:3], v[72:73], -v[96:97]
	scratch_store_b64 off, v[2:3], off offset:168
	s_wait_xcnt 0x0
	v_cmpx_lt_u32_e32 20, v0
	s_cbranch_execz .LBB33_173
; %bb.172:
	scratch_load_b64 v[2:3], off, off offset:160
	v_mov_b64_e32 v[72:73], 0
	scratch_store_b64 off, v[72:73], off offset:160
	s_wait_loadcnt 0x0
	ds_store_b64 v1, v[2:3]
.LBB33_173:
	s_wait_xcnt 0x0
	s_or_b32 exec_lo, exec_lo, s0
	s_wait_storecnt_dscnt 0x0
	s_barrier_signal -1
	s_barrier_wait -1
	s_clause 0x5
	scratch_load_b128 v[72:75], off, off offset:160
	scratch_load_b128 v[76:79], off, off offset:176
	;; [unrolled: 1-line block ×6, first 2 shown]
	v_mov_b32_e32 v2, 0
	ds_load_2addr_b64 v[96:99], v2 offset0:55 offset1:56
	ds_load_2addr_b64 v[100:103], v2 offset0:57 offset1:58
	s_mov_b32 s0, exec_lo
	s_wait_loadcnt_dscnt 0x501
	v_fma_f64 v[104:105], v[74:75], v[96:97], 0
	s_wait_loadcnt 0x4
	s_delay_alu instid0(VALU_DEP_1) | instskip(SKIP_4) | instid1(VALU_DEP_1)
	v_fmac_f64_e32 v[104:105], v[76:77], v[98:99]
	scratch_load_b128 v[74:77], off, off offset:256
	s_wait_dscnt 0x0
	v_fmac_f64_e32 v[104:105], v[78:79], v[100:101]
	s_wait_loadcnt 0x4
	v_fmac_f64_e32 v[104:105], v[80:81], v[102:103]
	ds_load_2addr_b64 v[78:81], v2 offset0:59 offset1:60
	ds_load_2addr_b64 v[96:99], v2 offset0:61 offset1:62
	s_wait_dscnt 0x1
	v_fmac_f64_e32 v[104:105], v[82:83], v[78:79]
	s_wait_loadcnt 0x3
	s_delay_alu instid0(VALU_DEP_1)
	v_fmac_f64_e32 v[104:105], v[84:85], v[80:81]
	ds_load_2addr_b64 v[78:81], v2 offset0:63 offset1:64
	ds_load_2addr_b64 v[82:85], v2 offset0:65 offset1:66
	s_wait_dscnt 0x2
	v_fmac_f64_e32 v[104:105], v[86:87], v[96:97]
	s_wait_loadcnt 0x2
	s_delay_alu instid0(VALU_DEP_1) | instskip(SKIP_1) | instid1(VALU_DEP_1)
	v_fmac_f64_e32 v[104:105], v[88:89], v[98:99]
	s_wait_dscnt 0x1
	v_fmac_f64_e32 v[104:105], v[90:91], v[78:79]
	s_wait_loadcnt 0x1
	s_delay_alu instid0(VALU_DEP_1) | instskip(SKIP_1) | instid1(VALU_DEP_1)
	v_fmac_f64_e32 v[104:105], v[92:93], v[80:81]
	s_wait_dscnt 0x0
	v_fmac_f64_e32 v[104:105], v[94:95], v[82:83]
	s_wait_loadcnt 0x0
	s_delay_alu instid0(VALU_DEP_1) | instskip(SKIP_3) | instid1(VALU_DEP_1)
	v_fmac_f64_e32 v[104:105], v[74:75], v[84:85]
	ds_load_b64 v[74:75], v2 offset:536
	s_wait_dscnt 0x0
	v_fmac_f64_e32 v[104:105], v[76:77], v[74:75]
	v_add_f64_e64 v[72:73], v[72:73], -v[104:105]
	scratch_store_b64 off, v[72:73], off offset:160
	s_wait_xcnt 0x0
	v_cmpx_lt_u32_e32 19, v0
	s_cbranch_execz .LBB33_175
; %bb.174:
	scratch_load_b64 v[72:73], off, off offset:152
	v_mov_b64_e32 v[74:75], 0
	scratch_store_b64 off, v[74:75], off offset:152
	s_wait_loadcnt 0x0
	ds_store_b64 v1, v[72:73]
.LBB33_175:
	s_wait_xcnt 0x0
	s_or_b32 exec_lo, exec_lo, s0
	s_wait_storecnt_dscnt 0x0
	s_barrier_signal -1
	s_barrier_wait -1
	s_clause 0x5
	scratch_load_b128 v[72:75], off, off offset:152
	scratch_load_b128 v[76:79], off, off offset:168
	;; [unrolled: 1-line block ×6, first 2 shown]
	ds_load_b128 v[96:99], v2 offset:432
	ds_load_b128 v[100:103], v2 offset:448
	s_mov_b32 s0, exec_lo
	s_wait_loadcnt_dscnt 0x501
	v_fma_f64 v[104:105], v[74:75], v[96:97], 0
	s_wait_loadcnt 0x4
	s_delay_alu instid0(VALU_DEP_1)
	v_fmac_f64_e32 v[104:105], v[76:77], v[98:99]
	scratch_load_b128 v[74:77], off, off offset:248
	s_wait_dscnt 0x0
	v_fmac_f64_e32 v[104:105], v[78:79], v[100:101]
	scratch_load_b64 v[100:101], off, off offset:264
	s_wait_loadcnt 0x5
	v_fmac_f64_e32 v[104:105], v[80:81], v[102:103]
	ds_load_b128 v[78:81], v2 offset:464
	ds_load_b128 v[96:99], v2 offset:480
	s_wait_dscnt 0x1
	v_fmac_f64_e32 v[104:105], v[82:83], v[78:79]
	s_wait_loadcnt 0x4
	s_delay_alu instid0(VALU_DEP_1)
	v_fmac_f64_e32 v[104:105], v[84:85], v[80:81]
	ds_load_b128 v[78:81], v2 offset:496
	ds_load_b128 v[82:85], v2 offset:512
	s_wait_dscnt 0x2
	v_fmac_f64_e32 v[104:105], v[86:87], v[96:97]
	s_wait_loadcnt 0x3
	s_delay_alu instid0(VALU_DEP_1) | instskip(SKIP_1) | instid1(VALU_DEP_1)
	v_fmac_f64_e32 v[104:105], v[88:89], v[98:99]
	s_wait_dscnt 0x1
	v_fmac_f64_e32 v[104:105], v[90:91], v[78:79]
	s_wait_loadcnt 0x2
	s_delay_alu instid0(VALU_DEP_1) | instskip(SKIP_4) | instid1(VALU_DEP_1)
	v_fmac_f64_e32 v[104:105], v[92:93], v[80:81]
	ds_load_b128 v[78:81], v2 offset:528
	s_wait_dscnt 0x1
	v_fmac_f64_e32 v[104:105], v[94:95], v[82:83]
	s_wait_loadcnt 0x1
	v_fmac_f64_e32 v[104:105], v[74:75], v[84:85]
	s_wait_dscnt 0x0
	s_delay_alu instid0(VALU_DEP_1) | instskip(SKIP_1) | instid1(VALU_DEP_1)
	v_fmac_f64_e32 v[104:105], v[76:77], v[78:79]
	s_wait_loadcnt 0x0
	v_fmac_f64_e32 v[104:105], v[100:101], v[80:81]
	s_delay_alu instid0(VALU_DEP_1)
	v_add_f64_e64 v[2:3], v[72:73], -v[104:105]
	scratch_store_b64 off, v[2:3], off offset:152
	s_wait_xcnt 0x0
	v_cmpx_lt_u32_e32 18, v0
	s_cbranch_execz .LBB33_177
; %bb.176:
	scratch_load_b64 v[2:3], off, off offset:144
	v_mov_b64_e32 v[72:73], 0
	scratch_store_b64 off, v[72:73], off offset:144
	s_wait_loadcnt 0x0
	ds_store_b64 v1, v[2:3]
.LBB33_177:
	s_wait_xcnt 0x0
	s_or_b32 exec_lo, exec_lo, s0
	s_wait_storecnt_dscnt 0x0
	s_barrier_signal -1
	s_barrier_wait -1
	s_clause 0x5
	scratch_load_b128 v[72:75], off, off offset:144
	scratch_load_b128 v[76:79], off, off offset:160
	;; [unrolled: 1-line block ×6, first 2 shown]
	v_mov_b32_e32 v2, 0
	ds_load_2addr_b64 v[96:99], v2 offset0:53 offset1:54
	ds_load_2addr_b64 v[100:103], v2 offset0:55 offset1:56
	s_mov_b32 s0, exec_lo
	s_wait_loadcnt_dscnt 0x501
	v_fma_f64 v[104:105], v[74:75], v[96:97], 0
	s_wait_loadcnt 0x4
	s_delay_alu instid0(VALU_DEP_1) | instskip(SKIP_4) | instid1(VALU_DEP_1)
	v_fmac_f64_e32 v[104:105], v[76:77], v[98:99]
	scratch_load_b128 v[74:77], off, off offset:240
	s_wait_dscnt 0x0
	v_fmac_f64_e32 v[104:105], v[78:79], v[100:101]
	s_wait_loadcnt 0x4
	v_fmac_f64_e32 v[104:105], v[80:81], v[102:103]
	scratch_load_b128 v[78:81], off, off offset:256
	ds_load_2addr_b64 v[96:99], v2 offset0:57 offset1:58
	ds_load_2addr_b64 v[100:103], v2 offset0:59 offset1:60
	s_wait_dscnt 0x1
	v_fmac_f64_e32 v[104:105], v[82:83], v[96:97]
	s_wait_loadcnt 0x4
	s_delay_alu instid0(VALU_DEP_1) | instskip(SKIP_1) | instid1(VALU_DEP_1)
	v_fmac_f64_e32 v[104:105], v[84:85], v[98:99]
	s_wait_dscnt 0x0
	v_fmac_f64_e32 v[104:105], v[86:87], v[100:101]
	s_wait_loadcnt 0x3
	s_delay_alu instid0(VALU_DEP_1)
	v_fmac_f64_e32 v[104:105], v[88:89], v[102:103]
	ds_load_2addr_b64 v[82:85], v2 offset0:61 offset1:62
	ds_load_2addr_b64 v[86:89], v2 offset0:63 offset1:64
	s_wait_dscnt 0x1
	v_fmac_f64_e32 v[104:105], v[90:91], v[82:83]
	s_wait_loadcnt 0x2
	s_delay_alu instid0(VALU_DEP_1) | instskip(SKIP_1) | instid1(VALU_DEP_1)
	v_fmac_f64_e32 v[104:105], v[92:93], v[84:85]
	s_wait_dscnt 0x0
	v_fmac_f64_e32 v[104:105], v[94:95], v[86:87]
	s_wait_loadcnt 0x1
	s_delay_alu instid0(VALU_DEP_1)
	v_fmac_f64_e32 v[104:105], v[74:75], v[88:89]
	ds_load_2addr_b64 v[82:85], v2 offset0:65 offset1:66
	ds_load_b64 v[74:75], v2 offset:536
	s_wait_dscnt 0x1
	v_fmac_f64_e32 v[104:105], v[76:77], v[82:83]
	s_wait_loadcnt 0x0
	s_delay_alu instid0(VALU_DEP_1) | instskip(SKIP_1) | instid1(VALU_DEP_1)
	v_fmac_f64_e32 v[104:105], v[78:79], v[84:85]
	s_wait_dscnt 0x0
	v_fmac_f64_e32 v[104:105], v[80:81], v[74:75]
	s_delay_alu instid0(VALU_DEP_1)
	v_add_f64_e64 v[72:73], v[72:73], -v[104:105]
	scratch_store_b64 off, v[72:73], off offset:144
	s_wait_xcnt 0x0
	v_cmpx_lt_u32_e32 17, v0
	s_cbranch_execz .LBB33_179
; %bb.178:
	scratch_load_b64 v[72:73], off, off offset:136
	v_mov_b64_e32 v[74:75], 0
	scratch_store_b64 off, v[74:75], off offset:136
	s_wait_loadcnt 0x0
	ds_store_b64 v1, v[72:73]
.LBB33_179:
	s_wait_xcnt 0x0
	s_or_b32 exec_lo, exec_lo, s0
	s_wait_storecnt_dscnt 0x0
	s_barrier_signal -1
	s_barrier_wait -1
	s_clause 0x5
	scratch_load_b128 v[72:75], off, off offset:136
	scratch_load_b128 v[76:79], off, off offset:152
	;; [unrolled: 1-line block ×6, first 2 shown]
	ds_load_b128 v[96:99], v2 offset:416
	ds_load_b128 v[100:103], v2 offset:432
	s_mov_b32 s0, exec_lo
	s_wait_loadcnt_dscnt 0x501
	v_fma_f64 v[104:105], v[74:75], v[96:97], 0
	s_wait_loadcnt 0x4
	s_delay_alu instid0(VALU_DEP_1) | instskip(SKIP_4) | instid1(VALU_DEP_1)
	v_fmac_f64_e32 v[104:105], v[76:77], v[98:99]
	scratch_load_b128 v[74:77], off, off offset:232
	s_wait_dscnt 0x0
	v_fmac_f64_e32 v[104:105], v[78:79], v[100:101]
	s_wait_loadcnt 0x4
	v_fmac_f64_e32 v[104:105], v[80:81], v[102:103]
	scratch_load_b128 v[78:81], off, off offset:248
	ds_load_b128 v[96:99], v2 offset:448
	ds_load_b128 v[100:103], v2 offset:464
	s_wait_dscnt 0x1
	v_fmac_f64_e32 v[104:105], v[82:83], v[96:97]
	scratch_load_b64 v[96:97], off, off offset:264
	s_wait_loadcnt 0x5
	v_fmac_f64_e32 v[104:105], v[84:85], v[98:99]
	s_wait_dscnt 0x0
	s_delay_alu instid0(VALU_DEP_1) | instskip(SKIP_1) | instid1(VALU_DEP_1)
	v_fmac_f64_e32 v[104:105], v[86:87], v[100:101]
	s_wait_loadcnt 0x4
	v_fmac_f64_e32 v[104:105], v[88:89], v[102:103]
	ds_load_b128 v[82:85], v2 offset:480
	ds_load_b128 v[86:89], v2 offset:496
	s_wait_dscnt 0x1
	v_fmac_f64_e32 v[104:105], v[90:91], v[82:83]
	s_wait_loadcnt 0x3
	s_delay_alu instid0(VALU_DEP_1) | instskip(SKIP_1) | instid1(VALU_DEP_1)
	v_fmac_f64_e32 v[104:105], v[92:93], v[84:85]
	s_wait_dscnt 0x0
	v_fmac_f64_e32 v[104:105], v[94:95], v[86:87]
	s_wait_loadcnt 0x2
	s_delay_alu instid0(VALU_DEP_1)
	v_fmac_f64_e32 v[104:105], v[74:75], v[88:89]
	ds_load_b128 v[82:85], v2 offset:512
	ds_load_b128 v[86:89], v2 offset:528
	s_wait_dscnt 0x1
	v_fmac_f64_e32 v[104:105], v[76:77], v[82:83]
	s_wait_loadcnt 0x1
	s_delay_alu instid0(VALU_DEP_1) | instskip(SKIP_1) | instid1(VALU_DEP_1)
	v_fmac_f64_e32 v[104:105], v[78:79], v[84:85]
	s_wait_dscnt 0x0
	v_fmac_f64_e32 v[104:105], v[80:81], v[86:87]
	s_wait_loadcnt 0x0
	s_delay_alu instid0(VALU_DEP_1) | instskip(NEXT) | instid1(VALU_DEP_1)
	v_fmac_f64_e32 v[104:105], v[96:97], v[88:89]
	v_add_f64_e64 v[2:3], v[72:73], -v[104:105]
	scratch_store_b64 off, v[2:3], off offset:136
	s_wait_xcnt 0x0
	v_cmpx_lt_u32_e32 16, v0
	s_cbranch_execz .LBB33_181
; %bb.180:
	scratch_load_b64 v[2:3], off, off offset:128
	v_mov_b64_e32 v[72:73], 0
	scratch_store_b64 off, v[72:73], off offset:128
	s_wait_loadcnt 0x0
	ds_store_b64 v1, v[2:3]
.LBB33_181:
	s_wait_xcnt 0x0
	s_or_b32 exec_lo, exec_lo, s0
	s_wait_storecnt_dscnt 0x0
	s_barrier_signal -1
	s_barrier_wait -1
	s_clause 0x5
	scratch_load_b128 v[72:75], off, off offset:128
	scratch_load_b128 v[76:79], off, off offset:144
	;; [unrolled: 1-line block ×6, first 2 shown]
	v_mov_b32_e32 v2, 0
	ds_load_2addr_b64 v[96:99], v2 offset0:51 offset1:52
	ds_load_2addr_b64 v[100:103], v2 offset0:53 offset1:54
	s_mov_b32 s0, exec_lo
	s_wait_loadcnt_dscnt 0x501
	v_fma_f64 v[104:105], v[74:75], v[96:97], 0
	s_wait_loadcnt 0x4
	s_delay_alu instid0(VALU_DEP_1) | instskip(SKIP_4) | instid1(VALU_DEP_1)
	v_fmac_f64_e32 v[104:105], v[76:77], v[98:99]
	scratch_load_b128 v[74:77], off, off offset:224
	s_wait_dscnt 0x0
	v_fmac_f64_e32 v[104:105], v[78:79], v[100:101]
	s_wait_loadcnt 0x4
	v_fmac_f64_e32 v[104:105], v[80:81], v[102:103]
	scratch_load_b128 v[78:81], off, off offset:240
	ds_load_2addr_b64 v[96:99], v2 offset0:55 offset1:56
	ds_load_2addr_b64 v[100:103], v2 offset0:57 offset1:58
	s_wait_dscnt 0x1
	v_fmac_f64_e32 v[104:105], v[82:83], v[96:97]
	s_wait_loadcnt 0x4
	s_delay_alu instid0(VALU_DEP_1) | instskip(SKIP_4) | instid1(VALU_DEP_1)
	v_fmac_f64_e32 v[104:105], v[84:85], v[98:99]
	scratch_load_b128 v[82:85], off, off offset:256
	s_wait_dscnt 0x0
	v_fmac_f64_e32 v[104:105], v[86:87], v[100:101]
	s_wait_loadcnt 0x4
	v_fmac_f64_e32 v[104:105], v[88:89], v[102:103]
	ds_load_2addr_b64 v[86:89], v2 offset0:59 offset1:60
	ds_load_2addr_b64 v[96:99], v2 offset0:61 offset1:62
	s_wait_dscnt 0x1
	v_fmac_f64_e32 v[104:105], v[90:91], v[86:87]
	s_wait_loadcnt 0x3
	s_delay_alu instid0(VALU_DEP_1)
	v_fmac_f64_e32 v[104:105], v[92:93], v[88:89]
	ds_load_2addr_b64 v[86:89], v2 offset0:63 offset1:64
	ds_load_2addr_b64 v[90:93], v2 offset0:65 offset1:66
	s_wait_dscnt 0x2
	v_fmac_f64_e32 v[104:105], v[94:95], v[96:97]
	s_wait_loadcnt 0x2
	s_delay_alu instid0(VALU_DEP_1) | instskip(SKIP_4) | instid1(VALU_DEP_1)
	v_fmac_f64_e32 v[104:105], v[74:75], v[98:99]
	ds_load_b64 v[74:75], v2 offset:536
	s_wait_dscnt 0x2
	v_fmac_f64_e32 v[104:105], v[76:77], v[86:87]
	s_wait_loadcnt 0x1
	v_fmac_f64_e32 v[104:105], v[78:79], v[88:89]
	s_wait_dscnt 0x1
	s_delay_alu instid0(VALU_DEP_1) | instskip(SKIP_1) | instid1(VALU_DEP_1)
	v_fmac_f64_e32 v[104:105], v[80:81], v[90:91]
	s_wait_loadcnt 0x0
	v_fmac_f64_e32 v[104:105], v[82:83], v[92:93]
	s_wait_dscnt 0x0
	s_delay_alu instid0(VALU_DEP_1) | instskip(NEXT) | instid1(VALU_DEP_1)
	v_fmac_f64_e32 v[104:105], v[84:85], v[74:75]
	v_add_f64_e64 v[72:73], v[72:73], -v[104:105]
	scratch_store_b64 off, v[72:73], off offset:128
	s_wait_xcnt 0x0
	v_cmpx_lt_u32_e32 15, v0
	s_cbranch_execz .LBB33_183
; %bb.182:
	scratch_load_b64 v[72:73], off, off offset:120
	v_mov_b64_e32 v[74:75], 0
	scratch_store_b64 off, v[74:75], off offset:120
	s_wait_loadcnt 0x0
	ds_store_b64 v1, v[72:73]
.LBB33_183:
	s_wait_xcnt 0x0
	s_or_b32 exec_lo, exec_lo, s0
	s_wait_storecnt_dscnt 0x0
	s_barrier_signal -1
	s_barrier_wait -1
	s_clause 0x5
	scratch_load_b128 v[72:75], off, off offset:120
	scratch_load_b128 v[76:79], off, off offset:136
	;; [unrolled: 1-line block ×6, first 2 shown]
	ds_load_b128 v[96:99], v2 offset:400
	ds_load_b128 v[100:103], v2 offset:416
	s_mov_b32 s0, exec_lo
	s_wait_loadcnt_dscnt 0x501
	v_fma_f64 v[104:105], v[74:75], v[96:97], 0
	s_wait_loadcnt 0x4
	s_delay_alu instid0(VALU_DEP_1) | instskip(SKIP_4) | instid1(VALU_DEP_1)
	v_fmac_f64_e32 v[104:105], v[76:77], v[98:99]
	scratch_load_b128 v[74:77], off, off offset:216
	s_wait_dscnt 0x0
	v_fmac_f64_e32 v[104:105], v[78:79], v[100:101]
	s_wait_loadcnt 0x4
	v_fmac_f64_e32 v[104:105], v[80:81], v[102:103]
	scratch_load_b128 v[78:81], off, off offset:232
	ds_load_b128 v[96:99], v2 offset:432
	ds_load_b128 v[100:103], v2 offset:448
	s_wait_dscnt 0x1
	v_fmac_f64_e32 v[104:105], v[82:83], v[96:97]
	s_wait_loadcnt 0x4
	s_delay_alu instid0(VALU_DEP_1)
	v_fmac_f64_e32 v[104:105], v[84:85], v[98:99]
	scratch_load_b128 v[82:85], off, off offset:248
	s_wait_dscnt 0x0
	v_fmac_f64_e32 v[104:105], v[86:87], v[100:101]
	scratch_load_b64 v[100:101], off, off offset:264
	s_wait_loadcnt 0x5
	v_fmac_f64_e32 v[104:105], v[88:89], v[102:103]
	ds_load_b128 v[86:89], v2 offset:464
	ds_load_b128 v[96:99], v2 offset:480
	s_wait_dscnt 0x1
	v_fmac_f64_e32 v[104:105], v[90:91], v[86:87]
	s_wait_loadcnt 0x4
	s_delay_alu instid0(VALU_DEP_1)
	v_fmac_f64_e32 v[104:105], v[92:93], v[88:89]
	ds_load_b128 v[86:89], v2 offset:496
	ds_load_b128 v[90:93], v2 offset:512
	s_wait_dscnt 0x2
	v_fmac_f64_e32 v[104:105], v[94:95], v[96:97]
	s_wait_loadcnt 0x3
	s_delay_alu instid0(VALU_DEP_1) | instskip(SKIP_1) | instid1(VALU_DEP_1)
	v_fmac_f64_e32 v[104:105], v[74:75], v[98:99]
	s_wait_dscnt 0x1
	v_fmac_f64_e32 v[104:105], v[76:77], v[86:87]
	ds_load_b128 v[74:77], v2 offset:528
	s_wait_loadcnt 0x2
	v_fmac_f64_e32 v[104:105], v[78:79], v[88:89]
	s_wait_dscnt 0x1
	s_delay_alu instid0(VALU_DEP_1) | instskip(SKIP_1) | instid1(VALU_DEP_1)
	v_fmac_f64_e32 v[104:105], v[80:81], v[90:91]
	s_wait_loadcnt 0x1
	v_fmac_f64_e32 v[104:105], v[82:83], v[92:93]
	s_wait_dscnt 0x0
	s_delay_alu instid0(VALU_DEP_1) | instskip(SKIP_1) | instid1(VALU_DEP_1)
	v_fmac_f64_e32 v[104:105], v[84:85], v[74:75]
	s_wait_loadcnt 0x0
	v_fmac_f64_e32 v[104:105], v[100:101], v[76:77]
	s_delay_alu instid0(VALU_DEP_1)
	v_add_f64_e64 v[2:3], v[72:73], -v[104:105]
	scratch_store_b64 off, v[2:3], off offset:120
	s_wait_xcnt 0x0
	v_cmpx_lt_u32_e32 14, v0
	s_cbranch_execz .LBB33_185
; %bb.184:
	scratch_load_b64 v[2:3], off, off offset:112
	v_mov_b64_e32 v[72:73], 0
	scratch_store_b64 off, v[72:73], off offset:112
	s_wait_loadcnt 0x0
	ds_store_b64 v1, v[2:3]
.LBB33_185:
	s_wait_xcnt 0x0
	s_or_b32 exec_lo, exec_lo, s0
	s_wait_storecnt_dscnt 0x0
	s_barrier_signal -1
	s_barrier_wait -1
	s_clause 0x5
	scratch_load_b128 v[72:75], off, off offset:112
	scratch_load_b128 v[76:79], off, off offset:128
	;; [unrolled: 1-line block ×6, first 2 shown]
	v_mov_b32_e32 v2, 0
	ds_load_2addr_b64 v[96:99], v2 offset0:49 offset1:50
	ds_load_2addr_b64 v[100:103], v2 offset0:51 offset1:52
	s_mov_b32 s0, exec_lo
	s_wait_loadcnt_dscnt 0x501
	v_fma_f64 v[104:105], v[74:75], v[96:97], 0
	s_wait_loadcnt 0x4
	s_delay_alu instid0(VALU_DEP_1) | instskip(SKIP_4) | instid1(VALU_DEP_1)
	v_fmac_f64_e32 v[104:105], v[76:77], v[98:99]
	scratch_load_b128 v[74:77], off, off offset:208
	s_wait_dscnt 0x0
	v_fmac_f64_e32 v[104:105], v[78:79], v[100:101]
	s_wait_loadcnt 0x4
	v_fmac_f64_e32 v[104:105], v[80:81], v[102:103]
	scratch_load_b128 v[78:81], off, off offset:224
	ds_load_2addr_b64 v[96:99], v2 offset0:53 offset1:54
	ds_load_2addr_b64 v[100:103], v2 offset0:55 offset1:56
	s_wait_dscnt 0x1
	v_fmac_f64_e32 v[104:105], v[82:83], v[96:97]
	s_wait_loadcnt 0x4
	s_delay_alu instid0(VALU_DEP_1) | instskip(SKIP_4) | instid1(VALU_DEP_1)
	v_fmac_f64_e32 v[104:105], v[84:85], v[98:99]
	scratch_load_b128 v[82:85], off, off offset:240
	s_wait_dscnt 0x0
	v_fmac_f64_e32 v[104:105], v[86:87], v[100:101]
	s_wait_loadcnt 0x4
	v_fmac_f64_e32 v[104:105], v[88:89], v[102:103]
	scratch_load_b128 v[86:89], off, off offset:256
	ds_load_2addr_b64 v[96:99], v2 offset0:57 offset1:58
	ds_load_2addr_b64 v[100:103], v2 offset0:59 offset1:60
	s_wait_dscnt 0x1
	v_fmac_f64_e32 v[104:105], v[90:91], v[96:97]
	s_wait_loadcnt 0x4
	s_delay_alu instid0(VALU_DEP_1) | instskip(SKIP_1) | instid1(VALU_DEP_1)
	v_fmac_f64_e32 v[104:105], v[92:93], v[98:99]
	s_wait_dscnt 0x0
	v_fmac_f64_e32 v[104:105], v[94:95], v[100:101]
	ds_load_2addr_b64 v[90:93], v2 offset0:61 offset1:62
	ds_load_2addr_b64 v[94:97], v2 offset0:63 offset1:64
	s_wait_loadcnt 0x3
	v_fmac_f64_e32 v[104:105], v[74:75], v[102:103]
	s_wait_dscnt 0x1
	s_delay_alu instid0(VALU_DEP_1) | instskip(SKIP_1) | instid1(VALU_DEP_1)
	v_fmac_f64_e32 v[104:105], v[76:77], v[90:91]
	s_wait_loadcnt 0x2
	v_fmac_f64_e32 v[104:105], v[78:79], v[92:93]
	ds_load_2addr_b64 v[74:77], v2 offset0:65 offset1:66
	ds_load_b64 v[78:79], v2 offset:536
	s_wait_dscnt 0x2
	v_fmac_f64_e32 v[104:105], v[80:81], v[94:95]
	s_wait_loadcnt 0x1
	s_delay_alu instid0(VALU_DEP_1) | instskip(SKIP_1) | instid1(VALU_DEP_1)
	v_fmac_f64_e32 v[104:105], v[82:83], v[96:97]
	s_wait_dscnt 0x1
	v_fmac_f64_e32 v[104:105], v[84:85], v[74:75]
	s_wait_loadcnt 0x0
	s_delay_alu instid0(VALU_DEP_1) | instskip(SKIP_1) | instid1(VALU_DEP_1)
	v_fmac_f64_e32 v[104:105], v[86:87], v[76:77]
	s_wait_dscnt 0x0
	v_fmac_f64_e32 v[104:105], v[88:89], v[78:79]
	s_delay_alu instid0(VALU_DEP_1)
	v_add_f64_e64 v[72:73], v[72:73], -v[104:105]
	scratch_store_b64 off, v[72:73], off offset:112
	s_wait_xcnt 0x0
	v_cmpx_lt_u32_e32 13, v0
	s_cbranch_execz .LBB33_187
; %bb.186:
	scratch_load_b64 v[72:73], off, off offset:104
	v_mov_b64_e32 v[74:75], 0
	scratch_store_b64 off, v[74:75], off offset:104
	s_wait_loadcnt 0x0
	ds_store_b64 v1, v[72:73]
.LBB33_187:
	s_wait_xcnt 0x0
	s_or_b32 exec_lo, exec_lo, s0
	s_wait_storecnt_dscnt 0x0
	s_barrier_signal -1
	s_barrier_wait -1
	s_clause 0x5
	scratch_load_b128 v[72:75], off, off offset:104
	scratch_load_b128 v[76:79], off, off offset:120
	;; [unrolled: 1-line block ×6, first 2 shown]
	ds_load_b128 v[96:99], v2 offset:384
	ds_load_b128 v[100:103], v2 offset:400
	s_mov_b32 s0, exec_lo
	s_wait_loadcnt_dscnt 0x501
	v_fma_f64 v[104:105], v[74:75], v[96:97], 0
	s_wait_loadcnt 0x4
	s_delay_alu instid0(VALU_DEP_1) | instskip(SKIP_4) | instid1(VALU_DEP_1)
	v_fmac_f64_e32 v[104:105], v[76:77], v[98:99]
	scratch_load_b128 v[74:77], off, off offset:200
	s_wait_dscnt 0x0
	v_fmac_f64_e32 v[104:105], v[78:79], v[100:101]
	s_wait_loadcnt 0x4
	v_fmac_f64_e32 v[104:105], v[80:81], v[102:103]
	scratch_load_b128 v[78:81], off, off offset:216
	ds_load_b128 v[96:99], v2 offset:416
	ds_load_b128 v[100:103], v2 offset:432
	s_wait_dscnt 0x1
	v_fmac_f64_e32 v[104:105], v[82:83], v[96:97]
	s_wait_loadcnt 0x4
	s_delay_alu instid0(VALU_DEP_1) | instskip(SKIP_4) | instid1(VALU_DEP_1)
	v_fmac_f64_e32 v[104:105], v[84:85], v[98:99]
	scratch_load_b128 v[82:85], off, off offset:232
	s_wait_dscnt 0x0
	v_fmac_f64_e32 v[104:105], v[86:87], v[100:101]
	s_wait_loadcnt 0x4
	v_fmac_f64_e32 v[104:105], v[88:89], v[102:103]
	scratch_load_b128 v[86:89], off, off offset:248
	ds_load_b128 v[96:99], v2 offset:448
	ds_load_b128 v[100:103], v2 offset:464
	s_wait_dscnt 0x1
	v_fmac_f64_e32 v[104:105], v[90:91], v[96:97]
	s_wait_loadcnt 0x4
	s_delay_alu instid0(VALU_DEP_1)
	v_fmac_f64_e32 v[104:105], v[92:93], v[98:99]
	scratch_load_b64 v[98:99], off, off offset:264
	s_wait_dscnt 0x0
	v_fmac_f64_e32 v[104:105], v[94:95], v[100:101]
	ds_load_b128 v[90:93], v2 offset:480
	ds_load_b128 v[94:97], v2 offset:496
	s_wait_loadcnt 0x4
	v_fmac_f64_e32 v[104:105], v[74:75], v[102:103]
	s_wait_dscnt 0x1
	s_delay_alu instid0(VALU_DEP_1) | instskip(SKIP_1) | instid1(VALU_DEP_1)
	v_fmac_f64_e32 v[104:105], v[76:77], v[90:91]
	s_wait_loadcnt 0x3
	v_fmac_f64_e32 v[104:105], v[78:79], v[92:93]
	s_wait_dscnt 0x0
	s_delay_alu instid0(VALU_DEP_1)
	v_fmac_f64_e32 v[104:105], v[80:81], v[94:95]
	ds_load_b128 v[74:77], v2 offset:512
	ds_load_b128 v[78:81], v2 offset:528
	s_wait_loadcnt 0x2
	v_fmac_f64_e32 v[104:105], v[82:83], v[96:97]
	s_wait_dscnt 0x1
	s_delay_alu instid0(VALU_DEP_1) | instskip(SKIP_1) | instid1(VALU_DEP_1)
	v_fmac_f64_e32 v[104:105], v[84:85], v[74:75]
	s_wait_loadcnt 0x1
	v_fmac_f64_e32 v[104:105], v[86:87], v[76:77]
	s_wait_dscnt 0x0
	s_delay_alu instid0(VALU_DEP_1) | instskip(SKIP_1) | instid1(VALU_DEP_1)
	v_fmac_f64_e32 v[104:105], v[88:89], v[78:79]
	s_wait_loadcnt 0x0
	v_fmac_f64_e32 v[104:105], v[98:99], v[80:81]
	s_delay_alu instid0(VALU_DEP_1)
	v_add_f64_e64 v[2:3], v[72:73], -v[104:105]
	scratch_store_b64 off, v[2:3], off offset:104
	s_wait_xcnt 0x0
	v_cmpx_lt_u32_e32 12, v0
	s_cbranch_execz .LBB33_189
; %bb.188:
	scratch_load_b64 v[2:3], off, off offset:96
	v_mov_b64_e32 v[72:73], 0
	scratch_store_b64 off, v[72:73], off offset:96
	s_wait_loadcnt 0x0
	ds_store_b64 v1, v[2:3]
.LBB33_189:
	s_wait_xcnt 0x0
	s_or_b32 exec_lo, exec_lo, s0
	s_wait_storecnt_dscnt 0x0
	s_barrier_signal -1
	s_barrier_wait -1
	s_clause 0x5
	scratch_load_b128 v[72:75], off, off offset:96
	scratch_load_b128 v[76:79], off, off offset:112
	;; [unrolled: 1-line block ×6, first 2 shown]
	v_mov_b32_e32 v2, 0
	ds_load_2addr_b64 v[96:99], v2 offset0:47 offset1:48
	ds_load_2addr_b64 v[100:103], v2 offset0:49 offset1:50
	s_mov_b32 s0, exec_lo
	s_wait_loadcnt_dscnt 0x501
	v_fma_f64 v[104:105], v[74:75], v[96:97], 0
	s_wait_loadcnt 0x4
	s_delay_alu instid0(VALU_DEP_1) | instskip(SKIP_4) | instid1(VALU_DEP_1)
	v_fmac_f64_e32 v[104:105], v[76:77], v[98:99]
	scratch_load_b128 v[74:77], off, off offset:192
	s_wait_dscnt 0x0
	v_fmac_f64_e32 v[104:105], v[78:79], v[100:101]
	s_wait_loadcnt 0x4
	v_fmac_f64_e32 v[104:105], v[80:81], v[102:103]
	scratch_load_b128 v[78:81], off, off offset:208
	ds_load_2addr_b64 v[96:99], v2 offset0:51 offset1:52
	ds_load_2addr_b64 v[100:103], v2 offset0:53 offset1:54
	s_wait_dscnt 0x1
	v_fmac_f64_e32 v[104:105], v[82:83], v[96:97]
	s_wait_loadcnt 0x4
	s_delay_alu instid0(VALU_DEP_1) | instskip(SKIP_4) | instid1(VALU_DEP_1)
	v_fmac_f64_e32 v[104:105], v[84:85], v[98:99]
	scratch_load_b128 v[82:85], off, off offset:224
	s_wait_dscnt 0x0
	v_fmac_f64_e32 v[104:105], v[86:87], v[100:101]
	s_wait_loadcnt 0x4
	v_fmac_f64_e32 v[104:105], v[88:89], v[102:103]
	scratch_load_b128 v[86:89], off, off offset:240
	ds_load_2addr_b64 v[96:99], v2 offset0:55 offset1:56
	ds_load_2addr_b64 v[100:103], v2 offset0:57 offset1:58
	s_wait_dscnt 0x1
	v_fmac_f64_e32 v[104:105], v[90:91], v[96:97]
	s_wait_loadcnt 0x4
	s_delay_alu instid0(VALU_DEP_1)
	v_fmac_f64_e32 v[104:105], v[92:93], v[98:99]
	scratch_load_b128 v[90:93], off, off offset:256
	s_wait_dscnt 0x0
	v_fmac_f64_e32 v[104:105], v[94:95], v[100:101]
	ds_load_2addr_b64 v[94:97], v2 offset0:59 offset1:60
	ds_load_2addr_b64 v[98:101], v2 offset0:61 offset1:62
	s_wait_loadcnt 0x4
	v_fmac_f64_e32 v[104:105], v[74:75], v[102:103]
	s_wait_dscnt 0x1
	s_delay_alu instid0(VALU_DEP_1) | instskip(SKIP_1) | instid1(VALU_DEP_1)
	v_fmac_f64_e32 v[104:105], v[76:77], v[94:95]
	s_wait_loadcnt 0x3
	v_fmac_f64_e32 v[104:105], v[78:79], v[96:97]
	s_wait_dscnt 0x0
	s_delay_alu instid0(VALU_DEP_1)
	v_fmac_f64_e32 v[104:105], v[80:81], v[98:99]
	ds_load_2addr_b64 v[74:77], v2 offset0:63 offset1:64
	ds_load_2addr_b64 v[78:81], v2 offset0:65 offset1:66
	s_wait_loadcnt 0x2
	v_fmac_f64_e32 v[104:105], v[82:83], v[100:101]
	s_wait_dscnt 0x1
	s_delay_alu instid0(VALU_DEP_1) | instskip(SKIP_4) | instid1(VALU_DEP_1)
	v_fmac_f64_e32 v[104:105], v[84:85], v[74:75]
	ds_load_b64 v[74:75], v2 offset:536
	s_wait_loadcnt 0x1
	v_fmac_f64_e32 v[104:105], v[86:87], v[76:77]
	s_wait_dscnt 0x1
	v_fmac_f64_e32 v[104:105], v[88:89], v[78:79]
	s_wait_loadcnt 0x0
	s_delay_alu instid0(VALU_DEP_1) | instskip(SKIP_1) | instid1(VALU_DEP_1)
	v_fmac_f64_e32 v[104:105], v[90:91], v[80:81]
	s_wait_dscnt 0x0
	v_fmac_f64_e32 v[104:105], v[92:93], v[74:75]
	s_delay_alu instid0(VALU_DEP_1)
	v_add_f64_e64 v[72:73], v[72:73], -v[104:105]
	scratch_store_b64 off, v[72:73], off offset:96
	s_wait_xcnt 0x0
	v_cmpx_lt_u32_e32 11, v0
	s_cbranch_execz .LBB33_191
; %bb.190:
	scratch_load_b64 v[72:73], off, off offset:88
	v_mov_b64_e32 v[74:75], 0
	scratch_store_b64 off, v[74:75], off offset:88
	s_wait_loadcnt 0x0
	ds_store_b64 v1, v[72:73]
.LBB33_191:
	s_wait_xcnt 0x0
	s_or_b32 exec_lo, exec_lo, s0
	s_wait_storecnt_dscnt 0x0
	s_barrier_signal -1
	s_barrier_wait -1
	s_clause 0x5
	scratch_load_b128 v[72:75], off, off offset:88
	scratch_load_b128 v[76:79], off, off offset:104
	;; [unrolled: 1-line block ×6, first 2 shown]
	ds_load_b128 v[96:99], v2 offset:368
	ds_load_b128 v[100:103], v2 offset:384
	scratch_load_b128 v[104:107], off, off offset:184
	s_mov_b32 s0, exec_lo
	s_wait_loadcnt_dscnt 0x601
	v_fma_f64 v[108:109], v[74:75], v[96:97], 0
	s_wait_loadcnt 0x5
	s_delay_alu instid0(VALU_DEP_1) | instskip(SKIP_4) | instid1(VALU_DEP_1)
	v_fmac_f64_e32 v[108:109], v[76:77], v[98:99]
	scratch_load_b128 v[74:77], off, off offset:200
	s_wait_dscnt 0x0
	v_fmac_f64_e32 v[108:109], v[78:79], v[100:101]
	s_wait_loadcnt 0x5
	v_fmac_f64_e32 v[108:109], v[80:81], v[102:103]
	ds_load_b128 v[78:81], v2 offset:400
	ds_load_b128 v[96:99], v2 offset:416
	s_wait_dscnt 0x1
	v_fmac_f64_e32 v[108:109], v[82:83], v[78:79]
	s_wait_loadcnt 0x4
	s_delay_alu instid0(VALU_DEP_1)
	v_fmac_f64_e32 v[108:109], v[84:85], v[80:81]
	s_clause 0x1
	scratch_load_b128 v[78:81], off, off offset:216
	scratch_load_b128 v[82:85], off, off offset:232
	s_wait_dscnt 0x0
	v_fmac_f64_e32 v[108:109], v[86:87], v[96:97]
	s_wait_loadcnt 0x5
	s_delay_alu instid0(VALU_DEP_1)
	v_fmac_f64_e32 v[108:109], v[88:89], v[98:99]
	ds_load_b128 v[86:89], v2 offset:432
	ds_load_b128 v[96:99], v2 offset:448
	s_wait_dscnt 0x1
	v_fmac_f64_e32 v[108:109], v[90:91], v[86:87]
	s_wait_loadcnt 0x4
	s_delay_alu instid0(VALU_DEP_1) | instskip(SKIP_4) | instid1(VALU_DEP_1)
	v_fmac_f64_e32 v[108:109], v[92:93], v[88:89]
	scratch_load_b128 v[86:89], off, off offset:248
	s_wait_dscnt 0x0
	v_fmac_f64_e32 v[108:109], v[94:95], v[96:97]
	s_wait_loadcnt 0x4
	v_fmac_f64_e32 v[108:109], v[104:105], v[98:99]
	scratch_load_b64 v[98:99], off, off offset:264
	ds_load_b128 v[90:93], v2 offset:464
	ds_load_b128 v[94:97], v2 offset:480
	s_wait_dscnt 0x1
	v_fmac_f64_e32 v[108:109], v[106:107], v[90:91]
	s_wait_loadcnt 0x4
	s_delay_alu instid0(VALU_DEP_1) | instskip(SKIP_1) | instid1(VALU_DEP_1)
	v_fmac_f64_e32 v[108:109], v[74:75], v[92:93]
	s_wait_dscnt 0x0
	v_fmac_f64_e32 v[108:109], v[76:77], v[94:95]
	ds_load_b128 v[74:77], v2 offset:496
	ds_load_b128 v[90:93], v2 offset:512
	s_wait_loadcnt 0x3
	v_fmac_f64_e32 v[108:109], v[78:79], v[96:97]
	s_wait_dscnt 0x1
	s_delay_alu instid0(VALU_DEP_1) | instskip(SKIP_1) | instid1(VALU_DEP_1)
	v_fmac_f64_e32 v[108:109], v[80:81], v[74:75]
	s_wait_loadcnt 0x2
	v_fmac_f64_e32 v[108:109], v[82:83], v[76:77]
	ds_load_b128 v[74:77], v2 offset:528
	s_wait_dscnt 0x1
	v_fmac_f64_e32 v[108:109], v[84:85], v[90:91]
	s_wait_loadcnt 0x1
	s_delay_alu instid0(VALU_DEP_1) | instskip(SKIP_1) | instid1(VALU_DEP_1)
	v_fmac_f64_e32 v[108:109], v[86:87], v[92:93]
	s_wait_dscnt 0x0
	v_fmac_f64_e32 v[108:109], v[88:89], v[74:75]
	s_wait_loadcnt 0x0
	s_delay_alu instid0(VALU_DEP_1) | instskip(NEXT) | instid1(VALU_DEP_1)
	v_fmac_f64_e32 v[108:109], v[98:99], v[76:77]
	v_add_f64_e64 v[2:3], v[72:73], -v[108:109]
	scratch_store_b64 off, v[2:3], off offset:88
	s_wait_xcnt 0x0
	v_cmpx_lt_u32_e32 10, v0
	s_cbranch_execz .LBB33_193
; %bb.192:
	scratch_load_b64 v[2:3], off, off offset:80
	v_mov_b64_e32 v[72:73], 0
	scratch_store_b64 off, v[72:73], off offset:80
	s_wait_loadcnt 0x0
	ds_store_b64 v1, v[2:3]
.LBB33_193:
	s_wait_xcnt 0x0
	s_or_b32 exec_lo, exec_lo, s0
	s_wait_storecnt_dscnt 0x0
	s_barrier_signal -1
	s_barrier_wait -1
	s_clause 0x5
	scratch_load_b128 v[72:75], off, off offset:80
	scratch_load_b128 v[76:79], off, off offset:96
	;; [unrolled: 1-line block ×6, first 2 shown]
	v_mov_b32_e32 v2, 0
	ds_load_2addr_b64 v[96:99], v2 offset0:45 offset1:46
	ds_load_2addr_b64 v[100:103], v2 offset0:47 offset1:48
	scratch_load_b128 v[104:107], off, off offset:176
	s_mov_b32 s0, exec_lo
	s_wait_loadcnt_dscnt 0x601
	v_fma_f64 v[108:109], v[74:75], v[96:97], 0
	s_wait_loadcnt 0x5
	s_delay_alu instid0(VALU_DEP_1) | instskip(SKIP_4) | instid1(VALU_DEP_1)
	v_fmac_f64_e32 v[108:109], v[76:77], v[98:99]
	scratch_load_b128 v[74:77], off, off offset:192
	s_wait_dscnt 0x0
	v_fmac_f64_e32 v[108:109], v[78:79], v[100:101]
	s_wait_loadcnt 0x5
	v_fmac_f64_e32 v[108:109], v[80:81], v[102:103]
	ds_load_2addr_b64 v[78:81], v2 offset0:49 offset1:50
	ds_load_2addr_b64 v[96:99], v2 offset0:51 offset1:52
	s_wait_dscnt 0x1
	v_fmac_f64_e32 v[108:109], v[82:83], v[78:79]
	s_wait_loadcnt 0x4
	s_delay_alu instid0(VALU_DEP_1)
	v_fmac_f64_e32 v[108:109], v[84:85], v[80:81]
	s_clause 0x1
	scratch_load_b128 v[78:81], off, off offset:208
	scratch_load_b128 v[82:85], off, off offset:224
	s_wait_dscnt 0x0
	v_fmac_f64_e32 v[108:109], v[86:87], v[96:97]
	s_wait_loadcnt 0x5
	s_delay_alu instid0(VALU_DEP_1)
	v_fmac_f64_e32 v[108:109], v[88:89], v[98:99]
	ds_load_2addr_b64 v[86:89], v2 offset0:53 offset1:54
	ds_load_2addr_b64 v[96:99], v2 offset0:55 offset1:56
	s_wait_dscnt 0x1
	v_fmac_f64_e32 v[108:109], v[90:91], v[86:87]
	s_wait_loadcnt 0x4
	s_delay_alu instid0(VALU_DEP_1)
	v_fmac_f64_e32 v[108:109], v[92:93], v[88:89]
	s_clause 0x1
	scratch_load_b128 v[86:89], off, off offset:240
	scratch_load_b128 v[90:93], off, off offset:256
	s_wait_dscnt 0x0
	v_fmac_f64_e32 v[108:109], v[94:95], v[96:97]
	s_wait_loadcnt 0x5
	s_delay_alu instid0(VALU_DEP_1)
	v_fmac_f64_e32 v[108:109], v[104:105], v[98:99]
	ds_load_2addr_b64 v[94:97], v2 offset0:57 offset1:58
	ds_load_2addr_b64 v[98:101], v2 offset0:59 offset1:60
	s_wait_dscnt 0x1
	v_fmac_f64_e32 v[108:109], v[106:107], v[94:95]
	s_wait_loadcnt 0x4
	s_delay_alu instid0(VALU_DEP_1) | instskip(SKIP_1) | instid1(VALU_DEP_1)
	v_fmac_f64_e32 v[108:109], v[74:75], v[96:97]
	s_wait_dscnt 0x0
	v_fmac_f64_e32 v[108:109], v[76:77], v[98:99]
	ds_load_2addr_b64 v[74:77], v2 offset0:61 offset1:62
	ds_load_2addr_b64 v[94:97], v2 offset0:63 offset1:64
	s_wait_loadcnt 0x3
	v_fmac_f64_e32 v[108:109], v[78:79], v[100:101]
	s_wait_dscnt 0x1
	s_delay_alu instid0(VALU_DEP_1) | instskip(SKIP_1) | instid1(VALU_DEP_1)
	v_fmac_f64_e32 v[108:109], v[80:81], v[74:75]
	s_wait_loadcnt 0x2
	v_fmac_f64_e32 v[108:109], v[82:83], v[76:77]
	ds_load_2addr_b64 v[74:77], v2 offset0:65 offset1:66
	ds_load_b64 v[78:79], v2 offset:536
	s_wait_dscnt 0x2
	v_fmac_f64_e32 v[108:109], v[84:85], v[94:95]
	s_wait_loadcnt 0x1
	s_delay_alu instid0(VALU_DEP_1) | instskip(SKIP_1) | instid1(VALU_DEP_1)
	v_fmac_f64_e32 v[108:109], v[86:87], v[96:97]
	s_wait_dscnt 0x1
	v_fmac_f64_e32 v[108:109], v[88:89], v[74:75]
	s_wait_loadcnt 0x0
	s_delay_alu instid0(VALU_DEP_1) | instskip(SKIP_1) | instid1(VALU_DEP_1)
	v_fmac_f64_e32 v[108:109], v[90:91], v[76:77]
	s_wait_dscnt 0x0
	v_fmac_f64_e32 v[108:109], v[92:93], v[78:79]
	s_delay_alu instid0(VALU_DEP_1)
	v_add_f64_e64 v[72:73], v[72:73], -v[108:109]
	scratch_store_b64 off, v[72:73], off offset:80
	s_wait_xcnt 0x0
	v_cmpx_lt_u32_e32 9, v0
	s_cbranch_execz .LBB33_195
; %bb.194:
	scratch_load_b64 v[72:73], off, off offset:72
	v_mov_b64_e32 v[74:75], 0
	scratch_store_b64 off, v[74:75], off offset:72
	s_wait_loadcnt 0x0
	ds_store_b64 v1, v[72:73]
.LBB33_195:
	s_wait_xcnt 0x0
	s_or_b32 exec_lo, exec_lo, s0
	s_wait_storecnt_dscnt 0x0
	s_barrier_signal -1
	s_barrier_wait -1
	s_clause 0x5
	scratch_load_b128 v[72:75], off, off offset:72
	scratch_load_b128 v[76:79], off, off offset:88
	;; [unrolled: 1-line block ×6, first 2 shown]
	ds_load_b128 v[96:99], v2 offset:352
	ds_load_b128 v[100:103], v2 offset:368
	scratch_load_b128 v[104:107], off, off offset:168
	s_mov_b32 s0, exec_lo
	s_wait_loadcnt_dscnt 0x601
	v_fma_f64 v[108:109], v[74:75], v[96:97], 0
	s_wait_loadcnt 0x5
	s_delay_alu instid0(VALU_DEP_1) | instskip(SKIP_4) | instid1(VALU_DEP_1)
	v_fmac_f64_e32 v[108:109], v[76:77], v[98:99]
	scratch_load_b128 v[74:77], off, off offset:184
	s_wait_dscnt 0x0
	v_fmac_f64_e32 v[108:109], v[78:79], v[100:101]
	s_wait_loadcnt 0x5
	v_fmac_f64_e32 v[108:109], v[80:81], v[102:103]
	ds_load_b128 v[78:81], v2 offset:384
	ds_load_b128 v[96:99], v2 offset:400
	s_wait_dscnt 0x1
	v_fmac_f64_e32 v[108:109], v[82:83], v[78:79]
	s_wait_loadcnt 0x4
	s_delay_alu instid0(VALU_DEP_1)
	v_fmac_f64_e32 v[108:109], v[84:85], v[80:81]
	s_clause 0x1
	scratch_load_b128 v[78:81], off, off offset:200
	scratch_load_b128 v[82:85], off, off offset:216
	s_wait_dscnt 0x0
	v_fmac_f64_e32 v[108:109], v[86:87], v[96:97]
	s_wait_loadcnt 0x5
	s_delay_alu instid0(VALU_DEP_1)
	v_fmac_f64_e32 v[108:109], v[88:89], v[98:99]
	ds_load_b128 v[86:89], v2 offset:416
	ds_load_b128 v[96:99], v2 offset:432
	s_wait_dscnt 0x1
	v_fmac_f64_e32 v[108:109], v[90:91], v[86:87]
	s_wait_loadcnt 0x4
	s_delay_alu instid0(VALU_DEP_1)
	v_fmac_f64_e32 v[108:109], v[92:93], v[88:89]
	s_clause 0x1
	scratch_load_b128 v[86:89], off, off offset:232
	scratch_load_b128 v[90:93], off, off offset:248
	s_wait_dscnt 0x0
	v_fmac_f64_e32 v[108:109], v[94:95], v[96:97]
	s_wait_loadcnt 0x5
	s_delay_alu instid0(VALU_DEP_1)
	v_fmac_f64_e32 v[108:109], v[104:105], v[98:99]
	ds_load_b128 v[94:97], v2 offset:448
	ds_load_b128 v[98:101], v2 offset:464
	scratch_load_b64 v[102:103], off, off offset:264
	s_wait_dscnt 0x1
	v_fmac_f64_e32 v[108:109], v[106:107], v[94:95]
	s_wait_loadcnt 0x5
	s_delay_alu instid0(VALU_DEP_1) | instskip(SKIP_1) | instid1(VALU_DEP_1)
	v_fmac_f64_e32 v[108:109], v[74:75], v[96:97]
	s_wait_dscnt 0x0
	v_fmac_f64_e32 v[108:109], v[76:77], v[98:99]
	ds_load_b128 v[74:77], v2 offset:480
	ds_load_b128 v[94:97], v2 offset:496
	s_wait_loadcnt 0x4
	v_fmac_f64_e32 v[108:109], v[78:79], v[100:101]
	s_wait_dscnt 0x1
	s_delay_alu instid0(VALU_DEP_1) | instskip(SKIP_1) | instid1(VALU_DEP_1)
	v_fmac_f64_e32 v[108:109], v[80:81], v[74:75]
	s_wait_loadcnt 0x3
	v_fmac_f64_e32 v[108:109], v[82:83], v[76:77]
	ds_load_b128 v[74:77], v2 offset:512
	ds_load_b128 v[78:81], v2 offset:528
	s_wait_dscnt 0x2
	v_fmac_f64_e32 v[108:109], v[84:85], v[94:95]
	s_wait_loadcnt 0x2
	s_delay_alu instid0(VALU_DEP_1) | instskip(SKIP_1) | instid1(VALU_DEP_1)
	v_fmac_f64_e32 v[108:109], v[86:87], v[96:97]
	s_wait_dscnt 0x1
	v_fmac_f64_e32 v[108:109], v[88:89], v[74:75]
	s_wait_loadcnt 0x1
	s_delay_alu instid0(VALU_DEP_1) | instskip(SKIP_1) | instid1(VALU_DEP_1)
	v_fmac_f64_e32 v[108:109], v[90:91], v[76:77]
	s_wait_dscnt 0x0
	v_fmac_f64_e32 v[108:109], v[92:93], v[78:79]
	s_wait_loadcnt 0x0
	s_delay_alu instid0(VALU_DEP_1) | instskip(NEXT) | instid1(VALU_DEP_1)
	v_fmac_f64_e32 v[108:109], v[102:103], v[80:81]
	v_add_f64_e64 v[2:3], v[72:73], -v[108:109]
	scratch_store_b64 off, v[2:3], off offset:72
	s_wait_xcnt 0x0
	v_cmpx_lt_u32_e32 8, v0
	s_cbranch_execz .LBB33_197
; %bb.196:
	scratch_load_b64 v[2:3], off, off offset:64
	v_mov_b64_e32 v[72:73], 0
	scratch_store_b64 off, v[72:73], off offset:64
	s_wait_loadcnt 0x0
	ds_store_b64 v1, v[2:3]
.LBB33_197:
	s_wait_xcnt 0x0
	s_or_b32 exec_lo, exec_lo, s0
	s_wait_storecnt_dscnt 0x0
	s_barrier_signal -1
	s_barrier_wait -1
	s_clause 0x5
	scratch_load_b128 v[72:75], off, off offset:64
	scratch_load_b128 v[76:79], off, off offset:80
	;; [unrolled: 1-line block ×6, first 2 shown]
	v_mov_b32_e32 v2, 0
	ds_load_2addr_b64 v[96:99], v2 offset0:43 offset1:44
	ds_load_2addr_b64 v[100:103], v2 offset0:45 offset1:46
	scratch_load_b128 v[104:107], off, off offset:160
	s_mov_b32 s0, exec_lo
	s_wait_loadcnt_dscnt 0x601
	v_fma_f64 v[108:109], v[74:75], v[96:97], 0
	s_wait_loadcnt 0x5
	s_delay_alu instid0(VALU_DEP_1) | instskip(SKIP_4) | instid1(VALU_DEP_1)
	v_fmac_f64_e32 v[108:109], v[76:77], v[98:99]
	scratch_load_b128 v[74:77], off, off offset:176
	s_wait_dscnt 0x0
	v_fmac_f64_e32 v[108:109], v[78:79], v[100:101]
	s_wait_loadcnt 0x5
	v_fmac_f64_e32 v[108:109], v[80:81], v[102:103]
	ds_load_2addr_b64 v[78:81], v2 offset0:47 offset1:48
	ds_load_2addr_b64 v[96:99], v2 offset0:49 offset1:50
	s_wait_dscnt 0x1
	v_fmac_f64_e32 v[108:109], v[82:83], v[78:79]
	s_wait_loadcnt 0x4
	s_delay_alu instid0(VALU_DEP_1)
	v_fmac_f64_e32 v[108:109], v[84:85], v[80:81]
	s_clause 0x1
	scratch_load_b128 v[78:81], off, off offset:192
	scratch_load_b128 v[82:85], off, off offset:208
	s_wait_dscnt 0x0
	v_fmac_f64_e32 v[108:109], v[86:87], v[96:97]
	s_wait_loadcnt 0x5
	s_delay_alu instid0(VALU_DEP_1)
	v_fmac_f64_e32 v[108:109], v[88:89], v[98:99]
	ds_load_2addr_b64 v[86:89], v2 offset0:51 offset1:52
	ds_load_2addr_b64 v[96:99], v2 offset0:53 offset1:54
	s_wait_dscnt 0x1
	v_fmac_f64_e32 v[108:109], v[90:91], v[86:87]
	s_wait_loadcnt 0x4
	s_delay_alu instid0(VALU_DEP_1)
	v_fmac_f64_e32 v[108:109], v[92:93], v[88:89]
	s_clause 0x1
	scratch_load_b128 v[86:89], off, off offset:224
	scratch_load_b128 v[90:93], off, off offset:240
	s_wait_dscnt 0x0
	v_fmac_f64_e32 v[108:109], v[94:95], v[96:97]
	s_wait_loadcnt 0x5
	s_delay_alu instid0(VALU_DEP_1)
	v_fmac_f64_e32 v[108:109], v[104:105], v[98:99]
	ds_load_2addr_b64 v[94:97], v2 offset0:55 offset1:56
	ds_load_2addr_b64 v[98:101], v2 offset0:57 offset1:58
	s_wait_dscnt 0x1
	v_fmac_f64_e32 v[108:109], v[106:107], v[94:95]
	s_wait_loadcnt 0x4
	s_delay_alu instid0(VALU_DEP_1) | instskip(SKIP_4) | instid1(VALU_DEP_1)
	v_fmac_f64_e32 v[108:109], v[74:75], v[96:97]
	scratch_load_b128 v[94:97], off, off offset:256
	s_wait_dscnt 0x0
	v_fmac_f64_e32 v[108:109], v[76:77], v[98:99]
	s_wait_loadcnt 0x4
	v_fmac_f64_e32 v[108:109], v[78:79], v[100:101]
	ds_load_2addr_b64 v[74:77], v2 offset0:59 offset1:60
	ds_load_2addr_b64 v[98:101], v2 offset0:61 offset1:62
	s_wait_dscnt 0x1
	v_fmac_f64_e32 v[108:109], v[80:81], v[74:75]
	s_wait_loadcnt 0x3
	s_delay_alu instid0(VALU_DEP_1)
	v_fmac_f64_e32 v[108:109], v[82:83], v[76:77]
	ds_load_2addr_b64 v[74:77], v2 offset0:63 offset1:64
	ds_load_2addr_b64 v[78:81], v2 offset0:65 offset1:66
	s_wait_dscnt 0x2
	v_fmac_f64_e32 v[108:109], v[84:85], v[98:99]
	s_wait_loadcnt 0x2
	s_delay_alu instid0(VALU_DEP_1) | instskip(SKIP_1) | instid1(VALU_DEP_1)
	v_fmac_f64_e32 v[108:109], v[86:87], v[100:101]
	s_wait_dscnt 0x1
	v_fmac_f64_e32 v[108:109], v[88:89], v[74:75]
	ds_load_b64 v[74:75], v2 offset:536
	s_wait_loadcnt 0x1
	v_fmac_f64_e32 v[108:109], v[90:91], v[76:77]
	s_wait_dscnt 0x1
	s_delay_alu instid0(VALU_DEP_1) | instskip(SKIP_1) | instid1(VALU_DEP_1)
	v_fmac_f64_e32 v[108:109], v[92:93], v[78:79]
	s_wait_loadcnt 0x0
	v_fmac_f64_e32 v[108:109], v[94:95], v[80:81]
	s_wait_dscnt 0x0
	s_delay_alu instid0(VALU_DEP_1) | instskip(NEXT) | instid1(VALU_DEP_1)
	v_fmac_f64_e32 v[108:109], v[96:97], v[74:75]
	v_add_f64_e64 v[72:73], v[72:73], -v[108:109]
	scratch_store_b64 off, v[72:73], off offset:64
	s_wait_xcnt 0x0
	v_cmpx_lt_u32_e32 7, v0
	s_cbranch_execz .LBB33_199
; %bb.198:
	scratch_load_b64 v[72:73], off, off offset:56
	v_mov_b64_e32 v[74:75], 0
	scratch_store_b64 off, v[74:75], off offset:56
	s_wait_loadcnt 0x0
	ds_store_b64 v1, v[72:73]
.LBB33_199:
	s_wait_xcnt 0x0
	s_or_b32 exec_lo, exec_lo, s0
	s_wait_storecnt_dscnt 0x0
	s_barrier_signal -1
	s_barrier_wait -1
	s_clause 0x5
	scratch_load_b128 v[72:75], off, off offset:56
	scratch_load_b128 v[76:79], off, off offset:72
	;; [unrolled: 1-line block ×6, first 2 shown]
	ds_load_b128 v[96:99], v2 offset:336
	ds_load_b128 v[100:103], v2 offset:352
	scratch_load_b128 v[104:107], off, off offset:152
	s_mov_b32 s0, exec_lo
	s_wait_loadcnt_dscnt 0x601
	v_fma_f64 v[108:109], v[74:75], v[96:97], 0
	s_wait_loadcnt 0x5
	s_delay_alu instid0(VALU_DEP_1) | instskip(SKIP_4) | instid1(VALU_DEP_1)
	v_fmac_f64_e32 v[108:109], v[76:77], v[98:99]
	scratch_load_b128 v[74:77], off, off offset:168
	s_wait_dscnt 0x0
	v_fmac_f64_e32 v[108:109], v[78:79], v[100:101]
	s_wait_loadcnt 0x5
	v_fmac_f64_e32 v[108:109], v[80:81], v[102:103]
	ds_load_b128 v[78:81], v2 offset:368
	ds_load_b128 v[96:99], v2 offset:384
	scratch_load_b128 v[100:103], off, off offset:184
	s_wait_dscnt 0x1
	v_fmac_f64_e32 v[108:109], v[82:83], v[78:79]
	s_wait_loadcnt 0x5
	s_delay_alu instid0(VALU_DEP_1) | instskip(SKIP_4) | instid1(VALU_DEP_1)
	v_fmac_f64_e32 v[108:109], v[84:85], v[80:81]
	scratch_load_b128 v[78:81], off, off offset:200
	s_wait_dscnt 0x0
	v_fmac_f64_e32 v[108:109], v[86:87], v[96:97]
	s_wait_loadcnt 0x5
	v_fmac_f64_e32 v[108:109], v[88:89], v[98:99]
	ds_load_b128 v[82:85], v2 offset:400
	ds_load_b128 v[86:89], v2 offset:416
	s_wait_dscnt 0x1
	v_fmac_f64_e32 v[108:109], v[90:91], v[82:83]
	s_wait_loadcnt 0x4
	s_delay_alu instid0(VALU_DEP_1) | instskip(SKIP_4) | instid1(VALU_DEP_1)
	v_fmac_f64_e32 v[108:109], v[92:93], v[84:85]
	scratch_load_b128 v[82:85], off, off offset:216
	s_wait_dscnt 0x0
	v_fmac_f64_e32 v[108:109], v[94:95], v[86:87]
	s_wait_loadcnt 0x4
	v_fmac_f64_e32 v[108:109], v[104:105], v[88:89]
	scratch_load_b128 v[86:89], off, off offset:232
	ds_load_b128 v[90:93], v2 offset:432
	ds_load_b128 v[94:97], v2 offset:448
	scratch_load_b64 v[98:99], off, off offset:264
	s_wait_dscnt 0x1
	v_fmac_f64_e32 v[108:109], v[106:107], v[90:91]
	s_wait_loadcnt 0x5
	s_delay_alu instid0(VALU_DEP_1) | instskip(SKIP_4) | instid1(VALU_DEP_1)
	v_fmac_f64_e32 v[108:109], v[74:75], v[92:93]
	scratch_load_b128 v[90:93], off, off offset:248
	s_wait_dscnt 0x0
	v_fmac_f64_e32 v[108:109], v[76:77], v[94:95]
	s_wait_loadcnt 0x5
	v_fmac_f64_e32 v[108:109], v[100:101], v[96:97]
	ds_load_b128 v[74:77], v2 offset:464
	ds_load_b128 v[94:97], v2 offset:480
	s_wait_dscnt 0x1
	v_fmac_f64_e32 v[108:109], v[102:103], v[74:75]
	s_wait_loadcnt 0x4
	s_delay_alu instid0(VALU_DEP_1) | instskip(SKIP_1) | instid1(VALU_DEP_1)
	v_fmac_f64_e32 v[108:109], v[78:79], v[76:77]
	s_wait_dscnt 0x0
	v_fmac_f64_e32 v[108:109], v[80:81], v[94:95]
	ds_load_b128 v[74:77], v2 offset:496
	ds_load_b128 v[78:81], v2 offset:512
	s_wait_loadcnt 0x3
	v_fmac_f64_e32 v[108:109], v[82:83], v[96:97]
	s_wait_dscnt 0x1
	s_delay_alu instid0(VALU_DEP_1) | instskip(SKIP_1) | instid1(VALU_DEP_1)
	v_fmac_f64_e32 v[108:109], v[84:85], v[74:75]
	s_wait_loadcnt 0x2
	v_fmac_f64_e32 v[108:109], v[86:87], v[76:77]
	ds_load_b128 v[74:77], v2 offset:528
	s_wait_dscnt 0x1
	v_fmac_f64_e32 v[108:109], v[88:89], v[78:79]
	s_wait_loadcnt 0x0
	s_delay_alu instid0(VALU_DEP_1) | instskip(SKIP_1) | instid1(VALU_DEP_1)
	v_fmac_f64_e32 v[108:109], v[90:91], v[80:81]
	s_wait_dscnt 0x0
	v_fmac_f64_e32 v[108:109], v[92:93], v[74:75]
	s_delay_alu instid0(VALU_DEP_1) | instskip(NEXT) | instid1(VALU_DEP_1)
	v_fmac_f64_e32 v[108:109], v[98:99], v[76:77]
	v_add_f64_e64 v[2:3], v[72:73], -v[108:109]
	scratch_store_b64 off, v[2:3], off offset:56
	s_wait_xcnt 0x0
	v_cmpx_lt_u32_e32 6, v0
	s_cbranch_execz .LBB33_201
; %bb.200:
	scratch_load_b64 v[2:3], off, off offset:48
	v_mov_b64_e32 v[72:73], 0
	scratch_store_b64 off, v[72:73], off offset:48
	s_wait_loadcnt 0x0
	ds_store_b64 v1, v[2:3]
.LBB33_201:
	s_wait_xcnt 0x0
	s_or_b32 exec_lo, exec_lo, s0
	s_wait_storecnt_dscnt 0x0
	s_barrier_signal -1
	s_barrier_wait -1
	s_clause 0x5
	scratch_load_b128 v[72:75], off, off offset:48
	scratch_load_b128 v[76:79], off, off offset:64
	;; [unrolled: 1-line block ×6, first 2 shown]
	v_mov_b32_e32 v2, 0
	ds_load_2addr_b64 v[96:99], v2 offset0:41 offset1:42
	ds_load_2addr_b64 v[100:103], v2 offset0:43 offset1:44
	scratch_load_b128 v[104:107], off, off offset:144
	s_mov_b32 s0, exec_lo
	s_wait_loadcnt_dscnt 0x601
	v_fma_f64 v[108:109], v[74:75], v[96:97], 0
	s_wait_loadcnt 0x5
	s_delay_alu instid0(VALU_DEP_1) | instskip(SKIP_4) | instid1(VALU_DEP_1)
	v_fmac_f64_e32 v[108:109], v[76:77], v[98:99]
	scratch_load_b128 v[74:77], off, off offset:160
	s_wait_dscnt 0x0
	v_fmac_f64_e32 v[108:109], v[78:79], v[100:101]
	s_wait_loadcnt 0x5
	v_fmac_f64_e32 v[108:109], v[80:81], v[102:103]
	ds_load_2addr_b64 v[78:81], v2 offset0:45 offset1:46
	ds_load_2addr_b64 v[96:99], v2 offset0:47 offset1:48
	scratch_load_b128 v[100:103], off, off offset:176
	s_wait_dscnt 0x1
	v_fmac_f64_e32 v[108:109], v[82:83], v[78:79]
	s_wait_loadcnt 0x5
	s_delay_alu instid0(VALU_DEP_1) | instskip(SKIP_4) | instid1(VALU_DEP_1)
	v_fmac_f64_e32 v[108:109], v[84:85], v[80:81]
	scratch_load_b128 v[78:81], off, off offset:192
	s_wait_dscnt 0x0
	v_fmac_f64_e32 v[108:109], v[86:87], v[96:97]
	s_wait_loadcnt 0x5
	v_fmac_f64_e32 v[108:109], v[88:89], v[98:99]
	ds_load_2addr_b64 v[82:85], v2 offset0:49 offset1:50
	ds_load_2addr_b64 v[86:89], v2 offset0:51 offset1:52
	s_wait_dscnt 0x1
	v_fmac_f64_e32 v[108:109], v[90:91], v[82:83]
	s_wait_loadcnt 0x4
	s_delay_alu instid0(VALU_DEP_1) | instskip(SKIP_4) | instid1(VALU_DEP_1)
	v_fmac_f64_e32 v[108:109], v[92:93], v[84:85]
	scratch_load_b128 v[82:85], off, off offset:208
	s_wait_dscnt 0x0
	v_fmac_f64_e32 v[108:109], v[94:95], v[86:87]
	s_wait_loadcnt 0x4
	v_fmac_f64_e32 v[108:109], v[104:105], v[88:89]
	scratch_load_b128 v[86:89], off, off offset:224
	ds_load_2addr_b64 v[90:93], v2 offset0:53 offset1:54
	ds_load_2addr_b64 v[94:97], v2 offset0:55 offset1:56
	s_wait_dscnt 0x1
	v_fmac_f64_e32 v[108:109], v[106:107], v[90:91]
	s_wait_loadcnt 0x4
	s_delay_alu instid0(VALU_DEP_1)
	v_fmac_f64_e32 v[108:109], v[74:75], v[92:93]
	scratch_load_b128 v[90:93], off, off offset:240
	s_wait_dscnt 0x0
	v_fmac_f64_e32 v[108:109], v[76:77], v[94:95]
	scratch_load_b128 v[74:77], off, off offset:256
	s_wait_loadcnt 0x5
	v_fmac_f64_e32 v[108:109], v[100:101], v[96:97]
	ds_load_2addr_b64 v[94:97], v2 offset0:57 offset1:58
	ds_load_2addr_b64 v[98:101], v2 offset0:59 offset1:60
	s_wait_dscnt 0x1
	v_fmac_f64_e32 v[108:109], v[102:103], v[94:95]
	s_wait_loadcnt 0x4
	s_delay_alu instid0(VALU_DEP_1) | instskip(SKIP_1) | instid1(VALU_DEP_1)
	v_fmac_f64_e32 v[108:109], v[78:79], v[96:97]
	s_wait_dscnt 0x0
	v_fmac_f64_e32 v[108:109], v[80:81], v[98:99]
	ds_load_2addr_b64 v[78:81], v2 offset0:61 offset1:62
	ds_load_2addr_b64 v[94:97], v2 offset0:63 offset1:64
	s_wait_loadcnt 0x3
	v_fmac_f64_e32 v[108:109], v[82:83], v[100:101]
	s_wait_dscnt 0x1
	s_delay_alu instid0(VALU_DEP_1) | instskip(SKIP_1) | instid1(VALU_DEP_1)
	v_fmac_f64_e32 v[108:109], v[84:85], v[78:79]
	s_wait_loadcnt 0x2
	v_fmac_f64_e32 v[108:109], v[86:87], v[80:81]
	ds_load_2addr_b64 v[78:81], v2 offset0:65 offset1:66
	ds_load_b64 v[82:83], v2 offset:536
	s_wait_dscnt 0x2
	v_fmac_f64_e32 v[108:109], v[88:89], v[94:95]
	s_wait_loadcnt 0x1
	s_delay_alu instid0(VALU_DEP_1) | instskip(SKIP_1) | instid1(VALU_DEP_1)
	v_fmac_f64_e32 v[108:109], v[90:91], v[96:97]
	s_wait_dscnt 0x1
	v_fmac_f64_e32 v[108:109], v[92:93], v[78:79]
	s_wait_loadcnt 0x0
	s_delay_alu instid0(VALU_DEP_1) | instskip(SKIP_1) | instid1(VALU_DEP_1)
	v_fmac_f64_e32 v[108:109], v[74:75], v[80:81]
	s_wait_dscnt 0x0
	v_fmac_f64_e32 v[108:109], v[76:77], v[82:83]
	s_delay_alu instid0(VALU_DEP_1)
	v_add_f64_e64 v[72:73], v[72:73], -v[108:109]
	scratch_store_b64 off, v[72:73], off offset:48
	s_wait_xcnt 0x0
	v_cmpx_lt_u32_e32 5, v0
	s_cbranch_execz .LBB33_203
; %bb.202:
	scratch_load_b64 v[72:73], off, off offset:40
	v_mov_b64_e32 v[74:75], 0
	scratch_store_b64 off, v[74:75], off offset:40
	s_wait_loadcnt 0x0
	ds_store_b64 v1, v[72:73]
.LBB33_203:
	s_wait_xcnt 0x0
	s_or_b32 exec_lo, exec_lo, s0
	s_wait_storecnt_dscnt 0x0
	s_barrier_signal -1
	s_barrier_wait -1
	s_clause 0x5
	scratch_load_b128 v[72:75], off, off offset:40
	scratch_load_b128 v[76:79], off, off offset:56
	;; [unrolled: 1-line block ×6, first 2 shown]
	ds_load_b128 v[96:99], v2 offset:320
	ds_load_b128 v[100:103], v2 offset:336
	scratch_load_b128 v[104:107], off, off offset:136
	s_mov_b32 s0, exec_lo
	s_wait_loadcnt_dscnt 0x601
	v_fma_f64 v[108:109], v[74:75], v[96:97], 0
	s_wait_loadcnt 0x5
	s_delay_alu instid0(VALU_DEP_1) | instskip(SKIP_4) | instid1(VALU_DEP_1)
	v_fmac_f64_e32 v[108:109], v[76:77], v[98:99]
	scratch_load_b128 v[74:77], off, off offset:152
	s_wait_dscnt 0x0
	v_fmac_f64_e32 v[108:109], v[78:79], v[100:101]
	s_wait_loadcnt 0x5
	v_fmac_f64_e32 v[108:109], v[80:81], v[102:103]
	ds_load_b128 v[78:81], v2 offset:352
	ds_load_b128 v[96:99], v2 offset:368
	scratch_load_b128 v[100:103], off, off offset:168
	s_wait_dscnt 0x1
	v_fmac_f64_e32 v[108:109], v[82:83], v[78:79]
	s_wait_loadcnt 0x5
	s_delay_alu instid0(VALU_DEP_1) | instskip(SKIP_4) | instid1(VALU_DEP_1)
	v_fmac_f64_e32 v[108:109], v[84:85], v[80:81]
	scratch_load_b128 v[78:81], off, off offset:184
	s_wait_dscnt 0x0
	v_fmac_f64_e32 v[108:109], v[86:87], v[96:97]
	s_wait_loadcnt 0x5
	v_fmac_f64_e32 v[108:109], v[88:89], v[98:99]
	ds_load_b128 v[82:85], v2 offset:384
	ds_load_b128 v[86:89], v2 offset:400
	s_wait_dscnt 0x1
	v_fmac_f64_e32 v[108:109], v[90:91], v[82:83]
	s_wait_loadcnt 0x4
	s_delay_alu instid0(VALU_DEP_1) | instskip(SKIP_4) | instid1(VALU_DEP_1)
	v_fmac_f64_e32 v[108:109], v[92:93], v[84:85]
	scratch_load_b128 v[82:85], off, off offset:200
	s_wait_dscnt 0x0
	v_fmac_f64_e32 v[108:109], v[94:95], v[86:87]
	s_wait_loadcnt 0x4
	v_fmac_f64_e32 v[108:109], v[104:105], v[88:89]
	scratch_load_b128 v[86:89], off, off offset:216
	ds_load_b128 v[90:93], v2 offset:416
	ds_load_b128 v[94:97], v2 offset:432
	s_wait_dscnt 0x1
	v_fmac_f64_e32 v[108:109], v[106:107], v[90:91]
	s_wait_loadcnt 0x4
	s_delay_alu instid0(VALU_DEP_1)
	v_fmac_f64_e32 v[108:109], v[74:75], v[92:93]
	scratch_load_b128 v[90:93], off, off offset:232
	s_wait_dscnt 0x0
	v_fmac_f64_e32 v[108:109], v[76:77], v[94:95]
	scratch_load_b128 v[74:77], off, off offset:248
	s_wait_loadcnt 0x5
	v_fmac_f64_e32 v[108:109], v[100:101], v[96:97]
	ds_load_b128 v[94:97], v2 offset:448
	ds_load_b128 v[98:101], v2 offset:464
	s_wait_dscnt 0x1
	v_fmac_f64_e32 v[108:109], v[102:103], v[94:95]
	scratch_load_b64 v[102:103], off, off offset:264
	s_wait_loadcnt 0x5
	v_fmac_f64_e32 v[108:109], v[78:79], v[96:97]
	s_wait_dscnt 0x0
	s_delay_alu instid0(VALU_DEP_1)
	v_fmac_f64_e32 v[108:109], v[80:81], v[98:99]
	ds_load_b128 v[78:81], v2 offset:480
	ds_load_b128 v[94:97], v2 offset:496
	s_wait_loadcnt 0x4
	v_fmac_f64_e32 v[108:109], v[82:83], v[100:101]
	s_wait_dscnt 0x1
	s_delay_alu instid0(VALU_DEP_1) | instskip(SKIP_1) | instid1(VALU_DEP_1)
	v_fmac_f64_e32 v[108:109], v[84:85], v[78:79]
	s_wait_loadcnt 0x3
	v_fmac_f64_e32 v[108:109], v[86:87], v[80:81]
	ds_load_b128 v[78:81], v2 offset:512
	ds_load_b128 v[82:85], v2 offset:528
	s_wait_dscnt 0x2
	v_fmac_f64_e32 v[108:109], v[88:89], v[94:95]
	s_wait_loadcnt 0x2
	s_delay_alu instid0(VALU_DEP_1) | instskip(SKIP_1) | instid1(VALU_DEP_1)
	v_fmac_f64_e32 v[108:109], v[90:91], v[96:97]
	s_wait_dscnt 0x1
	v_fmac_f64_e32 v[108:109], v[92:93], v[78:79]
	s_wait_loadcnt 0x1
	s_delay_alu instid0(VALU_DEP_1) | instskip(SKIP_1) | instid1(VALU_DEP_1)
	v_fmac_f64_e32 v[108:109], v[74:75], v[80:81]
	s_wait_dscnt 0x0
	v_fmac_f64_e32 v[108:109], v[76:77], v[82:83]
	s_wait_loadcnt 0x0
	s_delay_alu instid0(VALU_DEP_1) | instskip(NEXT) | instid1(VALU_DEP_1)
	v_fmac_f64_e32 v[108:109], v[102:103], v[84:85]
	v_add_f64_e64 v[2:3], v[72:73], -v[108:109]
	scratch_store_b64 off, v[2:3], off offset:40
	s_wait_xcnt 0x0
	v_cmpx_lt_u32_e32 4, v0
	s_cbranch_execz .LBB33_205
; %bb.204:
	scratch_load_b64 v[2:3], off, off offset:32
	v_mov_b64_e32 v[72:73], 0
	scratch_store_b64 off, v[72:73], off offset:32
	s_wait_loadcnt 0x0
	ds_store_b64 v1, v[2:3]
.LBB33_205:
	s_wait_xcnt 0x0
	s_or_b32 exec_lo, exec_lo, s0
	s_wait_storecnt_dscnt 0x0
	s_barrier_signal -1
	s_barrier_wait -1
	s_clause 0x5
	scratch_load_b128 v[72:75], off, off offset:32
	scratch_load_b128 v[76:79], off, off offset:48
	;; [unrolled: 1-line block ×6, first 2 shown]
	v_mov_b32_e32 v2, 0
	ds_load_2addr_b64 v[96:99], v2 offset0:39 offset1:40
	ds_load_2addr_b64 v[100:103], v2 offset0:41 offset1:42
	scratch_load_b128 v[104:107], off, off offset:128
	s_mov_b32 s0, exec_lo
	s_wait_loadcnt_dscnt 0x601
	v_fma_f64 v[108:109], v[74:75], v[96:97], 0
	s_wait_loadcnt 0x5
	s_delay_alu instid0(VALU_DEP_1) | instskip(SKIP_4) | instid1(VALU_DEP_1)
	v_fmac_f64_e32 v[108:109], v[76:77], v[98:99]
	scratch_load_b128 v[74:77], off, off offset:144
	s_wait_dscnt 0x0
	v_fmac_f64_e32 v[108:109], v[78:79], v[100:101]
	s_wait_loadcnt 0x5
	v_fmac_f64_e32 v[108:109], v[80:81], v[102:103]
	ds_load_2addr_b64 v[78:81], v2 offset0:43 offset1:44
	ds_load_2addr_b64 v[96:99], v2 offset0:45 offset1:46
	scratch_load_b128 v[100:103], off, off offset:160
	s_wait_dscnt 0x1
	v_fmac_f64_e32 v[108:109], v[82:83], v[78:79]
	s_wait_loadcnt 0x5
	s_delay_alu instid0(VALU_DEP_1) | instskip(SKIP_4) | instid1(VALU_DEP_1)
	v_fmac_f64_e32 v[108:109], v[84:85], v[80:81]
	scratch_load_b128 v[78:81], off, off offset:176
	s_wait_dscnt 0x0
	v_fmac_f64_e32 v[108:109], v[86:87], v[96:97]
	s_wait_loadcnt 0x5
	v_fmac_f64_e32 v[108:109], v[88:89], v[98:99]
	ds_load_2addr_b64 v[82:85], v2 offset0:47 offset1:48
	ds_load_2addr_b64 v[86:89], v2 offset0:49 offset1:50
	s_wait_dscnt 0x1
	v_fmac_f64_e32 v[108:109], v[90:91], v[82:83]
	s_wait_loadcnt 0x4
	s_delay_alu instid0(VALU_DEP_1) | instskip(SKIP_4) | instid1(VALU_DEP_1)
	v_fmac_f64_e32 v[108:109], v[92:93], v[84:85]
	scratch_load_b128 v[82:85], off, off offset:192
	s_wait_dscnt 0x0
	v_fmac_f64_e32 v[108:109], v[94:95], v[86:87]
	s_wait_loadcnt 0x4
	v_fmac_f64_e32 v[108:109], v[104:105], v[88:89]
	scratch_load_b128 v[86:89], off, off offset:208
	ds_load_2addr_b64 v[90:93], v2 offset0:51 offset1:52
	ds_load_2addr_b64 v[94:97], v2 offset0:53 offset1:54
	s_wait_dscnt 0x1
	v_fmac_f64_e32 v[108:109], v[106:107], v[90:91]
	s_wait_loadcnt 0x4
	s_delay_alu instid0(VALU_DEP_1)
	v_fmac_f64_e32 v[108:109], v[74:75], v[92:93]
	scratch_load_b128 v[90:93], off, off offset:224
	s_wait_dscnt 0x0
	v_fmac_f64_e32 v[108:109], v[76:77], v[94:95]
	scratch_load_b128 v[74:77], off, off offset:240
	s_wait_loadcnt 0x5
	v_fmac_f64_e32 v[108:109], v[100:101], v[96:97]
	ds_load_2addr_b64 v[94:97], v2 offset0:55 offset1:56
	ds_load_2addr_b64 v[98:101], v2 offset0:57 offset1:58
	s_wait_dscnt 0x1
	v_fmac_f64_e32 v[108:109], v[102:103], v[94:95]
	s_wait_loadcnt 0x4
	s_delay_alu instid0(VALU_DEP_1) | instskip(SKIP_4) | instid1(VALU_DEP_1)
	v_fmac_f64_e32 v[108:109], v[78:79], v[96:97]
	scratch_load_b128 v[94:97], off, off offset:256
	s_wait_dscnt 0x0
	v_fmac_f64_e32 v[108:109], v[80:81], v[98:99]
	s_wait_loadcnt 0x4
	v_fmac_f64_e32 v[108:109], v[82:83], v[100:101]
	ds_load_2addr_b64 v[78:81], v2 offset0:59 offset1:60
	ds_load_2addr_b64 v[98:101], v2 offset0:61 offset1:62
	s_wait_dscnt 0x1
	v_fmac_f64_e32 v[108:109], v[84:85], v[78:79]
	s_wait_loadcnt 0x3
	s_delay_alu instid0(VALU_DEP_1)
	v_fmac_f64_e32 v[108:109], v[86:87], v[80:81]
	ds_load_2addr_b64 v[78:81], v2 offset0:63 offset1:64
	ds_load_2addr_b64 v[82:85], v2 offset0:65 offset1:66
	s_wait_dscnt 0x2
	v_fmac_f64_e32 v[108:109], v[88:89], v[98:99]
	s_wait_loadcnt 0x2
	s_delay_alu instid0(VALU_DEP_1) | instskip(SKIP_1) | instid1(VALU_DEP_1)
	v_fmac_f64_e32 v[108:109], v[90:91], v[100:101]
	s_wait_dscnt 0x1
	v_fmac_f64_e32 v[108:109], v[92:93], v[78:79]
	s_wait_loadcnt 0x1
	s_delay_alu instid0(VALU_DEP_1) | instskip(SKIP_4) | instid1(VALU_DEP_1)
	v_fmac_f64_e32 v[108:109], v[74:75], v[80:81]
	ds_load_b64 v[74:75], v2 offset:536
	s_wait_dscnt 0x1
	v_fmac_f64_e32 v[108:109], v[76:77], v[82:83]
	s_wait_loadcnt 0x0
	v_fmac_f64_e32 v[108:109], v[94:95], v[84:85]
	s_wait_dscnt 0x0
	s_delay_alu instid0(VALU_DEP_1) | instskip(NEXT) | instid1(VALU_DEP_1)
	v_fmac_f64_e32 v[108:109], v[96:97], v[74:75]
	v_add_f64_e64 v[72:73], v[72:73], -v[108:109]
	scratch_store_b64 off, v[72:73], off offset:32
	s_wait_xcnt 0x0
	v_cmpx_lt_u32_e32 3, v0
	s_cbranch_execz .LBB33_207
; %bb.206:
	scratch_load_b64 v[72:73], off, off offset:24
	v_mov_b64_e32 v[74:75], 0
	scratch_store_b64 off, v[74:75], off offset:24
	s_wait_loadcnt 0x0
	ds_store_b64 v1, v[72:73]
.LBB33_207:
	s_wait_xcnt 0x0
	s_or_b32 exec_lo, exec_lo, s0
	s_wait_storecnt_dscnt 0x0
	s_barrier_signal -1
	s_barrier_wait -1
	s_clause 0x5
	scratch_load_b128 v[72:75], off, off offset:24
	scratch_load_b128 v[76:79], off, off offset:40
	;; [unrolled: 1-line block ×6, first 2 shown]
	ds_load_b128 v[96:99], v2 offset:304
	ds_load_b128 v[100:103], v2 offset:320
	scratch_load_b128 v[104:107], off, off offset:120
	s_mov_b32 s0, exec_lo
	s_wait_loadcnt_dscnt 0x601
	v_fma_f64 v[108:109], v[74:75], v[96:97], 0
	s_wait_loadcnt 0x5
	s_delay_alu instid0(VALU_DEP_1) | instskip(SKIP_4) | instid1(VALU_DEP_1)
	v_fmac_f64_e32 v[108:109], v[76:77], v[98:99]
	scratch_load_b128 v[74:77], off, off offset:136
	s_wait_dscnt 0x0
	v_fmac_f64_e32 v[108:109], v[78:79], v[100:101]
	s_wait_loadcnt 0x5
	v_fmac_f64_e32 v[108:109], v[80:81], v[102:103]
	ds_load_b128 v[78:81], v2 offset:336
	ds_load_b128 v[96:99], v2 offset:352
	scratch_load_b128 v[100:103], off, off offset:152
	s_wait_dscnt 0x1
	v_fmac_f64_e32 v[108:109], v[82:83], v[78:79]
	s_wait_loadcnt 0x5
	s_delay_alu instid0(VALU_DEP_1) | instskip(SKIP_4) | instid1(VALU_DEP_1)
	v_fmac_f64_e32 v[108:109], v[84:85], v[80:81]
	scratch_load_b128 v[78:81], off, off offset:168
	s_wait_dscnt 0x0
	v_fmac_f64_e32 v[108:109], v[86:87], v[96:97]
	s_wait_loadcnt 0x5
	v_fmac_f64_e32 v[108:109], v[88:89], v[98:99]
	ds_load_b128 v[82:85], v2 offset:368
	ds_load_b128 v[86:89], v2 offset:384
	scratch_load_b128 v[96:99], off, off offset:184
	s_wait_dscnt 0x1
	v_fmac_f64_e32 v[108:109], v[90:91], v[82:83]
	s_wait_loadcnt 0x5
	s_delay_alu instid0(VALU_DEP_1) | instskip(SKIP_4) | instid1(VALU_DEP_1)
	v_fmac_f64_e32 v[108:109], v[92:93], v[84:85]
	scratch_load_b128 v[82:85], off, off offset:200
	s_wait_dscnt 0x0
	v_fmac_f64_e32 v[108:109], v[94:95], v[86:87]
	s_wait_loadcnt 0x5
	v_fmac_f64_e32 v[108:109], v[104:105], v[88:89]
	ds_load_b128 v[86:89], v2 offset:400
	ds_load_b128 v[90:93], v2 offset:416
	s_wait_dscnt 0x1
	v_fmac_f64_e32 v[108:109], v[106:107], v[86:87]
	s_wait_loadcnt 0x4
	s_delay_alu instid0(VALU_DEP_1)
	v_fmac_f64_e32 v[108:109], v[74:75], v[88:89]
	scratch_load_b128 v[86:89], off, off offset:216
	s_wait_dscnt 0x0
	v_fmac_f64_e32 v[108:109], v[76:77], v[90:91]
	scratch_load_b128 v[74:77], off, off offset:232
	s_wait_loadcnt 0x5
	v_fmac_f64_e32 v[108:109], v[100:101], v[92:93]
	ds_load_b128 v[90:93], v2 offset:432
	ds_load_b128 v[104:107], v2 offset:448
	scratch_load_b64 v[100:101], off, off offset:264
	s_wait_dscnt 0x1
	v_fmac_f64_e32 v[108:109], v[102:103], v[90:91]
	s_wait_loadcnt 0x5
	s_delay_alu instid0(VALU_DEP_1) | instskip(SKIP_4) | instid1(VALU_DEP_1)
	v_fmac_f64_e32 v[108:109], v[78:79], v[92:93]
	scratch_load_b128 v[90:93], off, off offset:248
	s_wait_dscnt 0x0
	v_fmac_f64_e32 v[108:109], v[80:81], v[104:105]
	s_wait_loadcnt 0x5
	v_fmac_f64_e32 v[108:109], v[96:97], v[106:107]
	ds_load_b128 v[78:81], v2 offset:464
	ds_load_b128 v[94:97], v2 offset:480
	s_wait_dscnt 0x1
	v_fmac_f64_e32 v[108:109], v[98:99], v[78:79]
	s_wait_loadcnt 0x4
	s_delay_alu instid0(VALU_DEP_1) | instskip(SKIP_1) | instid1(VALU_DEP_1)
	v_fmac_f64_e32 v[108:109], v[82:83], v[80:81]
	s_wait_dscnt 0x0
	v_fmac_f64_e32 v[108:109], v[84:85], v[94:95]
	ds_load_b128 v[78:81], v2 offset:496
	ds_load_b128 v[82:85], v2 offset:512
	s_wait_loadcnt 0x3
	v_fmac_f64_e32 v[108:109], v[86:87], v[96:97]
	s_wait_dscnt 0x1
	s_delay_alu instid0(VALU_DEP_1) | instskip(SKIP_1) | instid1(VALU_DEP_1)
	v_fmac_f64_e32 v[108:109], v[88:89], v[78:79]
	s_wait_loadcnt 0x2
	v_fmac_f64_e32 v[108:109], v[74:75], v[80:81]
	s_wait_dscnt 0x0
	s_delay_alu instid0(VALU_DEP_1) | instskip(SKIP_4) | instid1(VALU_DEP_1)
	v_fmac_f64_e32 v[108:109], v[76:77], v[82:83]
	ds_load_b128 v[74:77], v2 offset:528
	s_wait_loadcnt 0x0
	v_fmac_f64_e32 v[108:109], v[90:91], v[84:85]
	s_wait_dscnt 0x0
	v_fmac_f64_e32 v[108:109], v[92:93], v[74:75]
	s_delay_alu instid0(VALU_DEP_1) | instskip(NEXT) | instid1(VALU_DEP_1)
	v_fmac_f64_e32 v[108:109], v[100:101], v[76:77]
	v_add_f64_e64 v[2:3], v[72:73], -v[108:109]
	scratch_store_b64 off, v[2:3], off offset:24
	s_wait_xcnt 0x0
	v_cmpx_lt_u32_e32 2, v0
	s_cbranch_execz .LBB33_209
; %bb.208:
	scratch_load_b64 v[2:3], off, off offset:16
	v_mov_b64_e32 v[72:73], 0
	scratch_store_b64 off, v[72:73], off offset:16
	s_wait_loadcnt 0x0
	ds_store_b64 v1, v[2:3]
.LBB33_209:
	s_wait_xcnt 0x0
	s_or_b32 exec_lo, exec_lo, s0
	s_wait_storecnt_dscnt 0x0
	s_barrier_signal -1
	s_barrier_wait -1
	s_clause 0x5
	scratch_load_b128 v[72:75], off, off offset:16
	scratch_load_b128 v[76:79], off, off offset:32
	;; [unrolled: 1-line block ×6, first 2 shown]
	v_mov_b32_e32 v2, 0
	ds_load_2addr_b64 v[96:99], v2 offset0:37 offset1:38
	ds_load_2addr_b64 v[100:103], v2 offset0:39 offset1:40
	scratch_load_b128 v[104:107], off, off offset:112
	s_mov_b32 s0, exec_lo
	s_wait_loadcnt_dscnt 0x601
	v_fma_f64 v[108:109], v[74:75], v[96:97], 0
	s_wait_loadcnt 0x5
	s_delay_alu instid0(VALU_DEP_1) | instskip(SKIP_4) | instid1(VALU_DEP_1)
	v_fmac_f64_e32 v[108:109], v[76:77], v[98:99]
	scratch_load_b128 v[74:77], off, off offset:128
	s_wait_dscnt 0x0
	v_fmac_f64_e32 v[108:109], v[78:79], v[100:101]
	s_wait_loadcnt 0x5
	v_fmac_f64_e32 v[108:109], v[80:81], v[102:103]
	ds_load_2addr_b64 v[78:81], v2 offset0:41 offset1:42
	ds_load_2addr_b64 v[96:99], v2 offset0:43 offset1:44
	scratch_load_b128 v[100:103], off, off offset:144
	s_wait_dscnt 0x1
	v_fmac_f64_e32 v[108:109], v[82:83], v[78:79]
	s_wait_loadcnt 0x5
	s_delay_alu instid0(VALU_DEP_1) | instskip(SKIP_4) | instid1(VALU_DEP_1)
	v_fmac_f64_e32 v[108:109], v[84:85], v[80:81]
	scratch_load_b128 v[78:81], off, off offset:160
	s_wait_dscnt 0x0
	v_fmac_f64_e32 v[108:109], v[86:87], v[96:97]
	s_wait_loadcnt 0x5
	v_fmac_f64_e32 v[108:109], v[88:89], v[98:99]
	ds_load_2addr_b64 v[82:85], v2 offset0:45 offset1:46
	ds_load_2addr_b64 v[86:89], v2 offset0:47 offset1:48
	scratch_load_b128 v[96:99], off, off offset:176
	s_wait_dscnt 0x1
	v_fmac_f64_e32 v[108:109], v[90:91], v[82:83]
	s_wait_loadcnt 0x5
	s_delay_alu instid0(VALU_DEP_1) | instskip(SKIP_4) | instid1(VALU_DEP_1)
	v_fmac_f64_e32 v[108:109], v[92:93], v[84:85]
	scratch_load_b128 v[82:85], off, off offset:192
	s_wait_dscnt 0x0
	v_fmac_f64_e32 v[108:109], v[94:95], v[86:87]
	s_wait_loadcnt 0x5
	v_fmac_f64_e32 v[108:109], v[104:105], v[88:89]
	ds_load_2addr_b64 v[86:89], v2 offset0:49 offset1:50
	ds_load_2addr_b64 v[90:93], v2 offset0:51 offset1:52
	s_wait_dscnt 0x1
	v_fmac_f64_e32 v[108:109], v[106:107], v[86:87]
	s_wait_loadcnt 0x4
	s_delay_alu instid0(VALU_DEP_1)
	v_fmac_f64_e32 v[108:109], v[74:75], v[88:89]
	scratch_load_b128 v[86:89], off, off offset:208
	s_wait_dscnt 0x0
	v_fmac_f64_e32 v[108:109], v[76:77], v[90:91]
	scratch_load_b128 v[74:77], off, off offset:224
	s_wait_loadcnt 0x5
	v_fmac_f64_e32 v[108:109], v[100:101], v[92:93]
	ds_load_2addr_b64 v[90:93], v2 offset0:53 offset1:54
	ds_load_2addr_b64 v[104:107], v2 offset0:55 offset1:56
	s_wait_dscnt 0x1
	v_fmac_f64_e32 v[108:109], v[102:103], v[90:91]
	s_wait_loadcnt 0x4
	s_delay_alu instid0(VALU_DEP_1)
	v_fmac_f64_e32 v[108:109], v[78:79], v[92:93]
	scratch_load_b128 v[90:93], off, off offset:240
	s_wait_dscnt 0x0
	v_fmac_f64_e32 v[108:109], v[80:81], v[104:105]
	scratch_load_b128 v[78:81], off, off offset:256
	s_wait_loadcnt 0x5
	v_fmac_f64_e32 v[108:109], v[96:97], v[106:107]
	ds_load_2addr_b64 v[94:97], v2 offset0:57 offset1:58
	ds_load_2addr_b64 v[100:103], v2 offset0:59 offset1:60
	s_wait_dscnt 0x1
	v_fmac_f64_e32 v[108:109], v[98:99], v[94:95]
	s_wait_loadcnt 0x4
	s_delay_alu instid0(VALU_DEP_1) | instskip(SKIP_1) | instid1(VALU_DEP_1)
	v_fmac_f64_e32 v[108:109], v[82:83], v[96:97]
	s_wait_dscnt 0x0
	v_fmac_f64_e32 v[108:109], v[84:85], v[100:101]
	ds_load_2addr_b64 v[82:85], v2 offset0:61 offset1:62
	ds_load_2addr_b64 v[94:97], v2 offset0:63 offset1:64
	s_wait_loadcnt 0x3
	v_fmac_f64_e32 v[108:109], v[86:87], v[102:103]
	s_wait_dscnt 0x1
	s_delay_alu instid0(VALU_DEP_1) | instskip(SKIP_1) | instid1(VALU_DEP_1)
	v_fmac_f64_e32 v[108:109], v[88:89], v[82:83]
	s_wait_loadcnt 0x2
	v_fmac_f64_e32 v[108:109], v[74:75], v[84:85]
	s_wait_dscnt 0x0
	s_delay_alu instid0(VALU_DEP_1)
	v_fmac_f64_e32 v[108:109], v[76:77], v[94:95]
	ds_load_2addr_b64 v[74:77], v2 offset0:65 offset1:66
	ds_load_b64 v[82:83], v2 offset:536
	s_wait_loadcnt 0x1
	v_fmac_f64_e32 v[108:109], v[90:91], v[96:97]
	s_wait_dscnt 0x1
	s_delay_alu instid0(VALU_DEP_1) | instskip(SKIP_1) | instid1(VALU_DEP_1)
	v_fmac_f64_e32 v[108:109], v[92:93], v[74:75]
	s_wait_loadcnt 0x0
	v_fmac_f64_e32 v[108:109], v[78:79], v[76:77]
	s_wait_dscnt 0x0
	s_delay_alu instid0(VALU_DEP_1) | instskip(NEXT) | instid1(VALU_DEP_1)
	v_fmac_f64_e32 v[108:109], v[80:81], v[82:83]
	v_add_f64_e64 v[72:73], v[72:73], -v[108:109]
	scratch_store_b64 off, v[72:73], off offset:16
	s_wait_xcnt 0x0
	v_cmpx_lt_u32_e32 1, v0
	s_cbranch_execz .LBB33_211
; %bb.210:
	scratch_load_b64 v[72:73], off, off offset:8
	v_mov_b64_e32 v[74:75], 0
	scratch_store_b64 off, v[74:75], off offset:8
	s_wait_loadcnt 0x0
	ds_store_b64 v1, v[72:73]
.LBB33_211:
	s_wait_xcnt 0x0
	s_or_b32 exec_lo, exec_lo, s0
	s_wait_storecnt_dscnt 0x0
	s_barrier_signal -1
	s_barrier_wait -1
	s_clause 0x5
	scratch_load_b128 v[72:75], off, off offset:8
	scratch_load_b128 v[76:79], off, off offset:24
	;; [unrolled: 1-line block ×6, first 2 shown]
	ds_load_b128 v[96:99], v2 offset:288
	ds_load_b128 v[100:103], v2 offset:304
	scratch_load_b128 v[104:107], off, off offset:104
	v_dual_ashrrev_i32 v9, 31, v8 :: v_dual_ashrrev_i32 v11, 31, v10
	v_dual_ashrrev_i32 v13, 31, v12 :: v_dual_ashrrev_i32 v15, 31, v14
	;; [unrolled: 1-line block ×15, first 2 shown]
	v_ashrrev_i32_e32 v69, 31, v68
	s_mov_b32 s0, exec_lo
	v_ashrrev_i32_e32 v23, 31, v22
	s_wait_loadcnt_dscnt 0x601
	v_fma_f64 v[108:109], v[74:75], v[96:97], 0
	s_wait_loadcnt 0x5
	s_delay_alu instid0(VALU_DEP_1) | instskip(SKIP_4) | instid1(VALU_DEP_1)
	v_fmac_f64_e32 v[108:109], v[76:77], v[98:99]
	scratch_load_b128 v[74:77], off, off offset:120
	s_wait_dscnt 0x0
	v_fmac_f64_e32 v[108:109], v[78:79], v[100:101]
	s_wait_loadcnt 0x5
	v_fmac_f64_e32 v[108:109], v[80:81], v[102:103]
	ds_load_b128 v[78:81], v2 offset:320
	ds_load_b128 v[96:99], v2 offset:336
	scratch_load_b128 v[100:103], off, off offset:136
	s_wait_dscnt 0x1
	v_fmac_f64_e32 v[108:109], v[82:83], v[78:79]
	s_wait_loadcnt 0x5
	s_delay_alu instid0(VALU_DEP_1) | instskip(SKIP_4) | instid1(VALU_DEP_1)
	v_fmac_f64_e32 v[108:109], v[84:85], v[80:81]
	scratch_load_b128 v[78:81], off, off offset:152
	s_wait_dscnt 0x0
	v_fmac_f64_e32 v[108:109], v[86:87], v[96:97]
	s_wait_loadcnt 0x5
	v_fmac_f64_e32 v[108:109], v[88:89], v[98:99]
	ds_load_b128 v[82:85], v2 offset:352
	ds_load_b128 v[86:89], v2 offset:368
	scratch_load_b128 v[96:99], off, off offset:168
	s_wait_dscnt 0x1
	v_fmac_f64_e32 v[108:109], v[90:91], v[82:83]
	s_wait_loadcnt 0x5
	s_delay_alu instid0(VALU_DEP_1) | instskip(SKIP_4) | instid1(VALU_DEP_1)
	v_fmac_f64_e32 v[108:109], v[92:93], v[84:85]
	scratch_load_b128 v[82:85], off, off offset:184
	s_wait_dscnt 0x0
	v_fmac_f64_e32 v[108:109], v[94:95], v[86:87]
	s_wait_loadcnt 0x5
	v_fmac_f64_e32 v[108:109], v[104:105], v[88:89]
	ds_load_b128 v[86:89], v2 offset:384
	ds_load_b128 v[90:93], v2 offset:400
	s_wait_dscnt 0x1
	v_fmac_f64_e32 v[108:109], v[106:107], v[86:87]
	s_wait_loadcnt 0x4
	s_delay_alu instid0(VALU_DEP_1)
	v_fmac_f64_e32 v[108:109], v[74:75], v[88:89]
	scratch_load_b128 v[86:89], off, off offset:200
	s_wait_dscnt 0x0
	v_fmac_f64_e32 v[108:109], v[76:77], v[90:91]
	scratch_load_b128 v[74:77], off, off offset:216
	s_wait_loadcnt 0x5
	v_fmac_f64_e32 v[108:109], v[100:101], v[92:93]
	ds_load_b128 v[90:93], v2 offset:416
	ds_load_b128 v[104:107], v2 offset:432
	s_wait_dscnt 0x1
	v_fmac_f64_e32 v[108:109], v[102:103], v[90:91]
	s_wait_loadcnt 0x4
	s_delay_alu instid0(VALU_DEP_1)
	v_fmac_f64_e32 v[108:109], v[78:79], v[92:93]
	scratch_load_b128 v[90:93], off, off offset:232
	s_wait_dscnt 0x0
	v_fmac_f64_e32 v[108:109], v[80:81], v[104:105]
	scratch_load_b128 v[78:81], off, off offset:248
	s_wait_loadcnt 0x5
	v_fmac_f64_e32 v[108:109], v[96:97], v[106:107]
	ds_load_b128 v[94:97], v2 offset:448
	ds_load_b128 v[100:103], v2 offset:464
	s_wait_dscnt 0x1
	v_fmac_f64_e32 v[108:109], v[98:99], v[94:95]
	scratch_load_b64 v[98:99], off, off offset:264
	s_wait_loadcnt 0x5
	v_fmac_f64_e32 v[108:109], v[82:83], v[96:97]
	s_wait_dscnt 0x0
	s_delay_alu instid0(VALU_DEP_1)
	v_fmac_f64_e32 v[108:109], v[84:85], v[100:101]
	ds_load_b128 v[82:85], v2 offset:480
	ds_load_b128 v[94:97], v2 offset:496
	s_wait_loadcnt 0x4
	v_fmac_f64_e32 v[108:109], v[86:87], v[102:103]
	s_wait_dscnt 0x1
	s_delay_alu instid0(VALU_DEP_1) | instskip(SKIP_1) | instid1(VALU_DEP_1)
	v_fmac_f64_e32 v[108:109], v[88:89], v[82:83]
	s_wait_loadcnt 0x3
	v_fmac_f64_e32 v[108:109], v[74:75], v[84:85]
	s_wait_dscnt 0x0
	s_delay_alu instid0(VALU_DEP_1)
	v_fmac_f64_e32 v[108:109], v[76:77], v[94:95]
	ds_load_b128 v[74:77], v2 offset:512
	ds_load_b128 v[82:85], v2 offset:528
	s_wait_loadcnt 0x2
	v_fmac_f64_e32 v[108:109], v[90:91], v[96:97]
	s_wait_dscnt 0x1
	s_delay_alu instid0(VALU_DEP_1) | instskip(SKIP_1) | instid1(VALU_DEP_1)
	v_fmac_f64_e32 v[108:109], v[92:93], v[74:75]
	s_wait_loadcnt 0x1
	v_fmac_f64_e32 v[108:109], v[78:79], v[76:77]
	s_wait_dscnt 0x0
	s_delay_alu instid0(VALU_DEP_1) | instskip(SKIP_1) | instid1(VALU_DEP_1)
	v_fmac_f64_e32 v[108:109], v[80:81], v[82:83]
	s_wait_loadcnt 0x0
	v_fmac_f64_e32 v[108:109], v[98:99], v[84:85]
	s_delay_alu instid0(VALU_DEP_1)
	v_add_f64_e64 v[2:3], v[72:73], -v[108:109]
	scratch_store_b64 off, v[2:3], off offset:8
	s_wait_xcnt 0x0
	v_cmpx_ne_u32_e32 0, v0
	s_cbranch_execz .LBB33_213
; %bb.212:
	scratch_load_b64 v[2:3], off, off
	v_mov_b64_e32 v[72:73], 0
	scratch_store_b64 off, v[72:73], off
	s_wait_loadcnt 0x0
	ds_store_b64 v1, v[2:3]
.LBB33_213:
	s_wait_xcnt 0x0
	s_or_b32 exec_lo, exec_lo, s0
	s_wait_storecnt_dscnt 0x0
	s_barrier_signal -1
	s_barrier_wait -1
	s_clause 0x5
	scratch_load_b128 v[74:77], off, off
	scratch_load_b128 v[0:3], off, off offset:16
	scratch_load_b128 v[78:81], off, off offset:32
	;; [unrolled: 1-line block ×5, first 2 shown]
	v_mov_b32_e32 v72, 0
	scratch_load_b128 v[98:101], off, off offset:96
	s_and_b32 vcc_lo, exec_lo, s18
	scratch_load_b128 v[102:105], off, off offset:208
	ds_load_2addr_b64 v[94:97], v72 offset0:35 offset1:36
	s_wait_loadcnt_dscnt 0x700
	v_fma_f64 v[106:107], v[76:77], v[94:95], 0
	s_wait_loadcnt 0x6
	s_delay_alu instid0(VALU_DEP_1)
	v_fmac_f64_e32 v[106:107], v[0:1], v[96:97]
	ds_load_2addr_b64 v[94:97], v72 offset0:37 offset1:38
	s_wait_dscnt 0x0
	v_fmac_f64_e32 v[106:107], v[2:3], v[94:95]
	scratch_load_b128 v[0:3], off, off offset:112
	s_wait_loadcnt 0x6
	v_fmac_f64_e32 v[106:107], v[78:79], v[96:97]
	ds_load_2addr_b64 v[76:79], v72 offset0:39 offset1:40
	scratch_load_b128 v[94:97], off, off offset:128
	s_wait_dscnt 0x0
	v_fmac_f64_e32 v[106:107], v[80:81], v[76:77]
	s_wait_loadcnt 0x6
	s_delay_alu instid0(VALU_DEP_1)
	v_fmac_f64_e32 v[106:107], v[82:83], v[78:79]
	ds_load_2addr_b64 v[76:79], v72 offset0:41 offset1:42
	scratch_load_b128 v[80:83], off, off offset:144
	s_wait_dscnt 0x0
	v_fmac_f64_e32 v[106:107], v[84:85], v[76:77]
	s_wait_loadcnt 0x6
	s_delay_alu instid0(VALU_DEP_1)
	;; [unrolled: 7-line block ×4, first 2 shown]
	v_fmac_f64_e32 v[106:107], v[98:99], v[78:79]
	ds_load_2addr_b64 v[76:79], v72 offset0:47 offset1:48
	s_wait_dscnt 0x0
	v_fmac_f64_e32 v[106:107], v[100:101], v[76:77]
	scratch_load_b128 v[98:101], off, off offset:192
	s_wait_loadcnt 0x5
	v_fmac_f64_e32 v[106:107], v[0:1], v[78:79]
	ds_load_2addr_b64 v[76:79], v72 offset0:49 offset1:50
	s_wait_dscnt 0x0
	v_fmac_f64_e32 v[106:107], v[2:3], v[76:77]
	ds_load_2addr_b64 v[0:3], v72 offset0:51 offset1:52
	s_wait_loadcnt 0x4
	v_fmac_f64_e32 v[106:107], v[94:95], v[78:79]
	ds_load_2addr_b64 v[92:95], v72 offset0:55 offset1:56
	scratch_load_b128 v[76:79], off, off offset:224
	s_wait_dscnt 0x1
	v_fmac_f64_e32 v[106:107], v[96:97], v[0:1]
	s_wait_loadcnt 0x4
	s_delay_alu instid0(VALU_DEP_1)
	v_fmac_f64_e32 v[106:107], v[80:81], v[2:3]
	ds_load_2addr_b64 v[0:3], v72 offset0:53 offset1:54
	s_wait_dscnt 0x0
	v_fmac_f64_e32 v[106:107], v[82:83], v[0:1]
	scratch_load_b128 v[80:83], off, off offset:240
	s_wait_loadcnt 0x4
	v_fmac_f64_e32 v[106:107], v[84:85], v[2:3]
	scratch_load_b128 v[0:3], off, off offset:256
	v_fmac_f64_e32 v[106:107], v[86:87], v[92:93]
	ds_load_2addr_b64 v[84:87], v72 offset0:57 offset1:58
	s_wait_loadcnt 0x4
	v_fmac_f64_e32 v[106:107], v[88:89], v[94:95]
	s_wait_dscnt 0x0
	s_delay_alu instid0(VALU_DEP_1) | instskip(SKIP_1) | instid1(VALU_DEP_1)
	v_fmac_f64_e32 v[106:107], v[90:91], v[84:85]
	s_wait_loadcnt 0x3
	v_fmac_f64_e32 v[106:107], v[98:99], v[86:87]
	ds_load_2addr_b64 v[84:87], v72 offset0:59 offset1:60
	s_wait_dscnt 0x0
	v_fmac_f64_e32 v[106:107], v[100:101], v[84:85]
	s_delay_alu instid0(VALU_DEP_1) | instskip(SKIP_4) | instid1(VALU_DEP_1)
	v_fmac_f64_e32 v[106:107], v[102:103], v[86:87]
	ds_load_2addr_b64 v[84:87], v72 offset0:61 offset1:62
	s_wait_dscnt 0x0
	v_fmac_f64_e32 v[106:107], v[104:105], v[84:85]
	s_wait_loadcnt 0x2
	v_fmac_f64_e32 v[106:107], v[76:77], v[86:87]
	ds_load_2addr_b64 v[84:87], v72 offset0:63 offset1:64
	s_wait_dscnt 0x0
	v_fmac_f64_e32 v[106:107], v[78:79], v[84:85]
	ds_load_2addr_b64 v[76:79], v72 offset0:65 offset1:66
	s_wait_loadcnt 0x1
	v_fmac_f64_e32 v[106:107], v[80:81], v[86:87]
	s_wait_dscnt 0x0
	s_delay_alu instid0(VALU_DEP_1) | instskip(SKIP_4) | instid1(VALU_DEP_1)
	v_fmac_f64_e32 v[106:107], v[82:83], v[76:77]
	ds_load_b64 v[76:77], v72 offset:536
	s_wait_loadcnt 0x0
	v_fmac_f64_e32 v[106:107], v[0:1], v[78:79]
	s_wait_dscnt 0x0
	v_fmac_f64_e32 v[106:107], v[2:3], v[76:77]
	s_delay_alu instid0(VALU_DEP_1)
	v_add_f64_e64 v[78:79], v[74:75], -v[106:107]
	scratch_store_b64 off, v[78:79], off
	s_cbranch_vccz .LBB33_280
; %bb.214:
	global_load_b32 v2, v72, s[2:3] offset:128
	s_wait_loadcnt 0x0
	v_cmp_ne_u32_e32 vcc_lo, 33, v2
	s_cbranch_vccz .LBB33_216
; %bb.215:
	v_lshlrev_b32_e32 v2, 3, v2
	s_wait_xcnt 0x0
	s_delay_alu instid0(VALU_DEP_1)
	v_mov_b32_e32 v72, v2
	scratch_load_b64 v[2:3], v72, off offset:-8
	s_wait_loadcnt 0x0
	scratch_store_b64 off, v[2:3], off offset:256
	scratch_store_b64 v72, v[0:1], off offset:-8
.LBB33_216:
	s_wait_xcnt 0x0
	v_mov_b32_e32 v0, 0
	global_load_b32 v1, v0, s[2:3] offset:124
	s_wait_loadcnt 0x0
	v_cmp_eq_u32_e32 vcc_lo, 32, v1
	s_cbranch_vccnz .LBB33_218
; %bb.217:
	v_lshlrev_b32_e32 v1, 3, v1
	scratch_load_b64 v[2:3], v1, off offset:-8
	scratch_load_b64 v[72:73], off, off offset:248
	s_wait_loadcnt 0x1
	scratch_store_b64 off, v[2:3], off offset:248
	s_wait_loadcnt 0x0
	scratch_store_b64 v1, v[72:73], off offset:-8
.LBB33_218:
	global_load_b32 v0, v0, s[2:3] offset:120
	s_wait_loadcnt 0x0
	v_cmp_eq_u32_e32 vcc_lo, 31, v0
	s_cbranch_vccnz .LBB33_220
; %bb.219:
	s_wait_xcnt 0x0
	v_lshlrev_b32_e32 v0, 3, v0
	s_delay_alu instid0(VALU_DEP_1)
	v_mov_b32_e32 v72, v0
	scratch_load_b64 v[0:1], v72, off offset:-8
	scratch_load_b64 v[2:3], off, off offset:240
	s_wait_loadcnt 0x1
	scratch_store_b64 off, v[0:1], off offset:240
	s_wait_loadcnt 0x0
	scratch_store_b64 v72, v[2:3], off offset:-8
.LBB33_220:
	s_wait_xcnt 0x0
	v_mov_b32_e32 v0, 0
	global_load_b32 v1, v0, s[2:3] offset:116
	s_wait_loadcnt 0x0
	v_cmp_eq_u32_e32 vcc_lo, 30, v1
	s_cbranch_vccnz .LBB33_222
; %bb.221:
	v_lshlrev_b32_e32 v1, 3, v1
	scratch_load_b64 v[2:3], v1, off offset:-8
	scratch_load_b64 v[72:73], off, off offset:232
	s_wait_loadcnt 0x1
	scratch_store_b64 off, v[2:3], off offset:232
	s_wait_loadcnt 0x0
	scratch_store_b64 v1, v[72:73], off offset:-8
.LBB33_222:
	global_load_b32 v0, v0, s[2:3] offset:112
	s_wait_loadcnt 0x0
	v_cmp_eq_u32_e32 vcc_lo, 29, v0
	s_cbranch_vccnz .LBB33_224
; %bb.223:
	s_wait_xcnt 0x0
	v_lshlrev_b32_e32 v0, 3, v0
	s_delay_alu instid0(VALU_DEP_1)
	v_mov_b32_e32 v72, v0
	scratch_load_b64 v[0:1], v72, off offset:-8
	scratch_load_b64 v[2:3], off, off offset:224
	s_wait_loadcnt 0x1
	scratch_store_b64 off, v[0:1], off offset:224
	s_wait_loadcnt 0x0
	scratch_store_b64 v72, v[2:3], off offset:-8
.LBB33_224:
	s_wait_xcnt 0x0
	v_mov_b32_e32 v0, 0
	global_load_b32 v1, v0, s[2:3] offset:108
	s_wait_loadcnt 0x0
	v_cmp_eq_u32_e32 vcc_lo, 28, v1
	s_cbranch_vccnz .LBB33_226
; %bb.225:
	v_lshlrev_b32_e32 v1, 3, v1
	scratch_load_b64 v[2:3], v1, off offset:-8
	scratch_load_b64 v[72:73], off, off offset:216
	s_wait_loadcnt 0x1
	scratch_store_b64 off, v[2:3], off offset:216
	s_wait_loadcnt 0x0
	scratch_store_b64 v1, v[72:73], off offset:-8
.LBB33_226:
	global_load_b32 v0, v0, s[2:3] offset:104
	s_wait_loadcnt 0x0
	v_cmp_eq_u32_e32 vcc_lo, 27, v0
	s_cbranch_vccnz .LBB33_228
; %bb.227:
	s_wait_xcnt 0x0
	v_lshlrev_b32_e32 v0, 3, v0
	s_delay_alu instid0(VALU_DEP_1)
	v_mov_b32_e32 v72, v0
	scratch_load_b64 v[0:1], v72, off offset:-8
	scratch_load_b64 v[2:3], off, off offset:208
	s_wait_loadcnt 0x1
	scratch_store_b64 off, v[0:1], off offset:208
	s_wait_loadcnt 0x0
	scratch_store_b64 v72, v[2:3], off offset:-8
.LBB33_228:
	s_wait_xcnt 0x0
	v_mov_b32_e32 v0, 0
	global_load_b32 v1, v0, s[2:3] offset:100
	s_wait_loadcnt 0x0
	v_cmp_eq_u32_e32 vcc_lo, 26, v1
	s_cbranch_vccnz .LBB33_230
; %bb.229:
	v_lshlrev_b32_e32 v1, 3, v1
	scratch_load_b64 v[2:3], v1, off offset:-8
	scratch_load_b64 v[72:73], off, off offset:200
	s_wait_loadcnt 0x1
	scratch_store_b64 off, v[2:3], off offset:200
	s_wait_loadcnt 0x0
	scratch_store_b64 v1, v[72:73], off offset:-8
.LBB33_230:
	global_load_b32 v0, v0, s[2:3] offset:96
	s_wait_loadcnt 0x0
	v_cmp_eq_u32_e32 vcc_lo, 25, v0
	s_cbranch_vccnz .LBB33_232
; %bb.231:
	s_wait_xcnt 0x0
	v_lshlrev_b32_e32 v0, 3, v0
	s_delay_alu instid0(VALU_DEP_1)
	v_mov_b32_e32 v72, v0
	scratch_load_b64 v[0:1], v72, off offset:-8
	scratch_load_b64 v[2:3], off, off offset:192
	s_wait_loadcnt 0x1
	scratch_store_b64 off, v[0:1], off offset:192
	s_wait_loadcnt 0x0
	scratch_store_b64 v72, v[2:3], off offset:-8
.LBB33_232:
	s_wait_xcnt 0x0
	v_mov_b32_e32 v0, 0
	global_load_b32 v1, v0, s[2:3] offset:92
	s_wait_loadcnt 0x0
	v_cmp_eq_u32_e32 vcc_lo, 24, v1
	s_cbranch_vccnz .LBB33_234
; %bb.233:
	v_lshlrev_b32_e32 v1, 3, v1
	scratch_load_b64 v[2:3], v1, off offset:-8
	scratch_load_b64 v[72:73], off, off offset:184
	s_wait_loadcnt 0x1
	scratch_store_b64 off, v[2:3], off offset:184
	s_wait_loadcnt 0x0
	scratch_store_b64 v1, v[72:73], off offset:-8
.LBB33_234:
	global_load_b32 v0, v0, s[2:3] offset:88
	s_wait_loadcnt 0x0
	v_cmp_eq_u32_e32 vcc_lo, 23, v0
	s_cbranch_vccnz .LBB33_236
; %bb.235:
	s_wait_xcnt 0x0
	v_lshlrev_b32_e32 v0, 3, v0
	s_delay_alu instid0(VALU_DEP_1)
	v_mov_b32_e32 v72, v0
	scratch_load_b64 v[0:1], v72, off offset:-8
	scratch_load_b64 v[2:3], off, off offset:176
	s_wait_loadcnt 0x1
	scratch_store_b64 off, v[0:1], off offset:176
	s_wait_loadcnt 0x0
	scratch_store_b64 v72, v[2:3], off offset:-8
.LBB33_236:
	s_wait_xcnt 0x0
	v_mov_b32_e32 v0, 0
	global_load_b32 v1, v0, s[2:3] offset:84
	s_wait_loadcnt 0x0
	v_cmp_eq_u32_e32 vcc_lo, 22, v1
	s_cbranch_vccnz .LBB33_238
; %bb.237:
	v_lshlrev_b32_e32 v1, 3, v1
	scratch_load_b64 v[2:3], v1, off offset:-8
	scratch_load_b64 v[72:73], off, off offset:168
	s_wait_loadcnt 0x1
	scratch_store_b64 off, v[2:3], off offset:168
	s_wait_loadcnt 0x0
	scratch_store_b64 v1, v[72:73], off offset:-8
.LBB33_238:
	global_load_b32 v0, v0, s[2:3] offset:80
	s_wait_loadcnt 0x0
	v_cmp_eq_u32_e32 vcc_lo, 21, v0
	s_cbranch_vccnz .LBB33_240
; %bb.239:
	s_wait_xcnt 0x0
	v_lshlrev_b32_e32 v0, 3, v0
	s_delay_alu instid0(VALU_DEP_1)
	v_mov_b32_e32 v72, v0
	scratch_load_b64 v[0:1], v72, off offset:-8
	scratch_load_b64 v[2:3], off, off offset:160
	s_wait_loadcnt 0x1
	scratch_store_b64 off, v[0:1], off offset:160
	s_wait_loadcnt 0x0
	scratch_store_b64 v72, v[2:3], off offset:-8
.LBB33_240:
	s_wait_xcnt 0x0
	v_mov_b32_e32 v0, 0
	global_load_b32 v1, v0, s[2:3] offset:76
	s_wait_loadcnt 0x0
	v_cmp_eq_u32_e32 vcc_lo, 20, v1
	s_cbranch_vccnz .LBB33_242
; %bb.241:
	v_lshlrev_b32_e32 v1, 3, v1
	scratch_load_b64 v[2:3], v1, off offset:-8
	scratch_load_b64 v[72:73], off, off offset:152
	s_wait_loadcnt 0x1
	scratch_store_b64 off, v[2:3], off offset:152
	s_wait_loadcnt 0x0
	scratch_store_b64 v1, v[72:73], off offset:-8
.LBB33_242:
	global_load_b32 v0, v0, s[2:3] offset:72
	s_wait_loadcnt 0x0
	v_cmp_eq_u32_e32 vcc_lo, 19, v0
	s_cbranch_vccnz .LBB33_244
; %bb.243:
	s_wait_xcnt 0x0
	v_lshlrev_b32_e32 v0, 3, v0
	s_delay_alu instid0(VALU_DEP_1)
	v_mov_b32_e32 v72, v0
	scratch_load_b64 v[0:1], v72, off offset:-8
	scratch_load_b64 v[2:3], off, off offset:144
	s_wait_loadcnt 0x1
	scratch_store_b64 off, v[0:1], off offset:144
	s_wait_loadcnt 0x0
	scratch_store_b64 v72, v[2:3], off offset:-8
.LBB33_244:
	s_wait_xcnt 0x0
	v_mov_b32_e32 v0, 0
	global_load_b32 v1, v0, s[2:3] offset:68
	s_wait_loadcnt 0x0
	v_cmp_eq_u32_e32 vcc_lo, 18, v1
	s_cbranch_vccnz .LBB33_246
; %bb.245:
	v_lshlrev_b32_e32 v1, 3, v1
	scratch_load_b64 v[2:3], v1, off offset:-8
	scratch_load_b64 v[72:73], off, off offset:136
	s_wait_loadcnt 0x1
	scratch_store_b64 off, v[2:3], off offset:136
	s_wait_loadcnt 0x0
	scratch_store_b64 v1, v[72:73], off offset:-8
.LBB33_246:
	global_load_b32 v0, v0, s[2:3] offset:64
	s_wait_loadcnt 0x0
	v_cmp_eq_u32_e32 vcc_lo, 17, v0
	s_cbranch_vccnz .LBB33_248
; %bb.247:
	s_wait_xcnt 0x0
	v_lshlrev_b32_e32 v0, 3, v0
	s_delay_alu instid0(VALU_DEP_1)
	v_mov_b32_e32 v72, v0
	scratch_load_b64 v[0:1], v72, off offset:-8
	scratch_load_b64 v[2:3], off, off offset:128
	s_wait_loadcnt 0x1
	scratch_store_b64 off, v[0:1], off offset:128
	s_wait_loadcnt 0x0
	scratch_store_b64 v72, v[2:3], off offset:-8
.LBB33_248:
	s_wait_xcnt 0x0
	v_mov_b32_e32 v0, 0
	global_load_b32 v1, v0, s[2:3] offset:60
	s_wait_loadcnt 0x0
	v_cmp_eq_u32_e32 vcc_lo, 16, v1
	s_cbranch_vccnz .LBB33_250
; %bb.249:
	v_lshlrev_b32_e32 v1, 3, v1
	scratch_load_b64 v[2:3], v1, off offset:-8
	scratch_load_b64 v[72:73], off, off offset:120
	s_wait_loadcnt 0x1
	scratch_store_b64 off, v[2:3], off offset:120
	s_wait_loadcnt 0x0
	scratch_store_b64 v1, v[72:73], off offset:-8
.LBB33_250:
	global_load_b32 v0, v0, s[2:3] offset:56
	s_wait_loadcnt 0x0
	v_cmp_eq_u32_e32 vcc_lo, 15, v0
	s_cbranch_vccnz .LBB33_252
; %bb.251:
	s_wait_xcnt 0x0
	v_lshlrev_b32_e32 v0, 3, v0
	s_delay_alu instid0(VALU_DEP_1)
	v_mov_b32_e32 v72, v0
	scratch_load_b64 v[0:1], v72, off offset:-8
	scratch_load_b64 v[2:3], off, off offset:112
	s_wait_loadcnt 0x1
	scratch_store_b64 off, v[0:1], off offset:112
	s_wait_loadcnt 0x0
	scratch_store_b64 v72, v[2:3], off offset:-8
.LBB33_252:
	s_wait_xcnt 0x0
	v_mov_b32_e32 v0, 0
	global_load_b32 v1, v0, s[2:3] offset:52
	s_wait_loadcnt 0x0
	v_cmp_eq_u32_e32 vcc_lo, 14, v1
	s_cbranch_vccnz .LBB33_254
; %bb.253:
	v_lshlrev_b32_e32 v1, 3, v1
	scratch_load_b64 v[2:3], v1, off offset:-8
	scratch_load_b64 v[72:73], off, off offset:104
	s_wait_loadcnt 0x1
	scratch_store_b64 off, v[2:3], off offset:104
	s_wait_loadcnt 0x0
	scratch_store_b64 v1, v[72:73], off offset:-8
.LBB33_254:
	global_load_b32 v0, v0, s[2:3] offset:48
	s_wait_loadcnt 0x0
	v_cmp_eq_u32_e32 vcc_lo, 13, v0
	s_cbranch_vccnz .LBB33_256
; %bb.255:
	s_wait_xcnt 0x0
	v_lshlrev_b32_e32 v0, 3, v0
	s_delay_alu instid0(VALU_DEP_1)
	v_mov_b32_e32 v72, v0
	scratch_load_b64 v[0:1], v72, off offset:-8
	scratch_load_b64 v[2:3], off, off offset:96
	s_wait_loadcnt 0x1
	scratch_store_b64 off, v[0:1], off offset:96
	s_wait_loadcnt 0x0
	scratch_store_b64 v72, v[2:3], off offset:-8
.LBB33_256:
	s_wait_xcnt 0x0
	v_mov_b32_e32 v0, 0
	global_load_b32 v1, v0, s[2:3] offset:44
	s_wait_loadcnt 0x0
	v_cmp_eq_u32_e32 vcc_lo, 12, v1
	s_cbranch_vccnz .LBB33_258
; %bb.257:
	v_lshlrev_b32_e32 v1, 3, v1
	scratch_load_b64 v[2:3], v1, off offset:-8
	scratch_load_b64 v[72:73], off, off offset:88
	s_wait_loadcnt 0x1
	scratch_store_b64 off, v[2:3], off offset:88
	s_wait_loadcnt 0x0
	scratch_store_b64 v1, v[72:73], off offset:-8
.LBB33_258:
	global_load_b32 v0, v0, s[2:3] offset:40
	s_wait_loadcnt 0x0
	v_cmp_eq_u32_e32 vcc_lo, 11, v0
	s_cbranch_vccnz .LBB33_260
; %bb.259:
	s_wait_xcnt 0x0
	v_lshlrev_b32_e32 v0, 3, v0
	s_delay_alu instid0(VALU_DEP_1)
	v_mov_b32_e32 v72, v0
	scratch_load_b64 v[0:1], v72, off offset:-8
	scratch_load_b64 v[2:3], off, off offset:80
	s_wait_loadcnt 0x1
	scratch_store_b64 off, v[0:1], off offset:80
	s_wait_loadcnt 0x0
	scratch_store_b64 v72, v[2:3], off offset:-8
.LBB33_260:
	s_wait_xcnt 0x0
	v_mov_b32_e32 v0, 0
	global_load_b32 v1, v0, s[2:3] offset:36
	s_wait_loadcnt 0x0
	v_cmp_eq_u32_e32 vcc_lo, 10, v1
	s_cbranch_vccnz .LBB33_262
; %bb.261:
	v_lshlrev_b32_e32 v1, 3, v1
	scratch_load_b64 v[2:3], v1, off offset:-8
	scratch_load_b64 v[72:73], off, off offset:72
	s_wait_loadcnt 0x1
	scratch_store_b64 off, v[2:3], off offset:72
	s_wait_loadcnt 0x0
	scratch_store_b64 v1, v[72:73], off offset:-8
.LBB33_262:
	global_load_b32 v0, v0, s[2:3] offset:32
	s_wait_loadcnt 0x0
	v_cmp_eq_u32_e32 vcc_lo, 9, v0
	s_cbranch_vccnz .LBB33_264
; %bb.263:
	s_wait_xcnt 0x0
	v_lshlrev_b32_e32 v0, 3, v0
	s_delay_alu instid0(VALU_DEP_1)
	v_mov_b32_e32 v72, v0
	scratch_load_b64 v[0:1], v72, off offset:-8
	scratch_load_b64 v[2:3], off, off offset:64
	s_wait_loadcnt 0x1
	scratch_store_b64 off, v[0:1], off offset:64
	s_wait_loadcnt 0x0
	scratch_store_b64 v72, v[2:3], off offset:-8
.LBB33_264:
	s_wait_xcnt 0x0
	v_mov_b32_e32 v0, 0
	global_load_b32 v1, v0, s[2:3] offset:28
	s_wait_loadcnt 0x0
	v_cmp_eq_u32_e32 vcc_lo, 8, v1
	s_cbranch_vccnz .LBB33_266
; %bb.265:
	v_lshlrev_b32_e32 v1, 3, v1
	scratch_load_b64 v[2:3], v1, off offset:-8
	scratch_load_b64 v[72:73], off, off offset:56
	s_wait_loadcnt 0x1
	scratch_store_b64 off, v[2:3], off offset:56
	s_wait_loadcnt 0x0
	scratch_store_b64 v1, v[72:73], off offset:-8
.LBB33_266:
	global_load_b32 v0, v0, s[2:3] offset:24
	s_wait_loadcnt 0x0
	v_cmp_eq_u32_e32 vcc_lo, 7, v0
	s_cbranch_vccnz .LBB33_268
; %bb.267:
	s_wait_xcnt 0x0
	v_lshlrev_b32_e32 v0, 3, v0
	s_delay_alu instid0(VALU_DEP_1)
	v_mov_b32_e32 v72, v0
	scratch_load_b64 v[0:1], v72, off offset:-8
	scratch_load_b64 v[2:3], off, off offset:48
	s_wait_loadcnt 0x1
	scratch_store_b64 off, v[0:1], off offset:48
	s_wait_loadcnt 0x0
	scratch_store_b64 v72, v[2:3], off offset:-8
.LBB33_268:
	s_wait_xcnt 0x0
	v_mov_b32_e32 v0, 0
	global_load_b32 v1, v0, s[2:3] offset:20
	s_wait_loadcnt 0x0
	v_cmp_eq_u32_e32 vcc_lo, 6, v1
	s_cbranch_vccnz .LBB33_270
; %bb.269:
	v_lshlrev_b32_e32 v1, 3, v1
	scratch_load_b64 v[2:3], v1, off offset:-8
	scratch_load_b64 v[72:73], off, off offset:40
	s_wait_loadcnt 0x1
	scratch_store_b64 off, v[2:3], off offset:40
	s_wait_loadcnt 0x0
	scratch_store_b64 v1, v[72:73], off offset:-8
.LBB33_270:
	global_load_b32 v0, v0, s[2:3] offset:16
	s_wait_loadcnt 0x0
	v_cmp_eq_u32_e32 vcc_lo, 5, v0
	s_cbranch_vccnz .LBB33_272
; %bb.271:
	s_wait_xcnt 0x0
	v_lshlrev_b32_e32 v0, 3, v0
	s_delay_alu instid0(VALU_DEP_1)
	v_mov_b32_e32 v72, v0
	scratch_load_b64 v[0:1], v72, off offset:-8
	scratch_load_b64 v[2:3], off, off offset:32
	s_wait_loadcnt 0x1
	scratch_store_b64 off, v[0:1], off offset:32
	s_wait_loadcnt 0x0
	scratch_store_b64 v72, v[2:3], off offset:-8
.LBB33_272:
	s_wait_xcnt 0x0
	v_mov_b32_e32 v0, 0
	global_load_b32 v1, v0, s[2:3] offset:12
	s_wait_loadcnt 0x0
	v_cmp_eq_u32_e32 vcc_lo, 4, v1
	s_cbranch_vccnz .LBB33_274
; %bb.273:
	v_lshlrev_b32_e32 v1, 3, v1
	scratch_load_b64 v[2:3], v1, off offset:-8
	scratch_load_b64 v[72:73], off, off offset:24
	s_wait_loadcnt 0x1
	scratch_store_b64 off, v[2:3], off offset:24
	s_wait_loadcnt 0x0
	scratch_store_b64 v1, v[72:73], off offset:-8
.LBB33_274:
	global_load_b32 v0, v0, s[2:3] offset:8
	s_wait_loadcnt 0x0
	v_cmp_eq_u32_e32 vcc_lo, 3, v0
	s_cbranch_vccnz .LBB33_276
; %bb.275:
	s_wait_xcnt 0x0
	v_lshlrev_b32_e32 v0, 3, v0
	s_delay_alu instid0(VALU_DEP_1)
	v_mov_b32_e32 v72, v0
	scratch_load_b64 v[0:1], v72, off offset:-8
	scratch_load_b64 v[2:3], off, off offset:16
	s_wait_loadcnt 0x1
	scratch_store_b64 off, v[0:1], off offset:16
	s_wait_loadcnt 0x0
	scratch_store_b64 v72, v[2:3], off offset:-8
.LBB33_276:
	s_wait_xcnt 0x0
	v_mov_b32_e32 v0, 0
	global_load_b32 v1, v0, s[2:3] offset:4
	s_wait_loadcnt 0x0
	v_cmp_eq_u32_e32 vcc_lo, 2, v1
	s_cbranch_vccnz .LBB33_278
; %bb.277:
	v_lshlrev_b32_e32 v1, 3, v1
	scratch_load_b64 v[2:3], v1, off offset:-8
	scratch_load_b64 v[72:73], off, off offset:8
	s_wait_loadcnt 0x1
	scratch_store_b64 off, v[2:3], off offset:8
	s_wait_loadcnt 0x0
	scratch_store_b64 v1, v[72:73], off offset:-8
.LBB33_278:
	global_load_b32 v0, v0, s[2:3]
	scratch_load_b64 v[78:79], off, off
	s_wait_loadcnt 0x1
	v_cmp_eq_u32_e32 vcc_lo, 1, v0
	s_cbranch_vccnz .LBB33_280
; %bb.279:
	s_wait_xcnt 0x1
	v_lshlrev_b32_e32 v0, 3, v0
	s_delay_alu instid0(VALU_DEP_1)
	v_mov_b32_e32 v2, v0
	scratch_load_b64 v[0:1], v2, off offset:-8
	s_wait_loadcnt 0x0
	scratch_store_b64 off, v[0:1], off
	scratch_store_b64 v2, v[78:79], off offset:-8
	scratch_load_b64 v[78:79], off, off
.LBB33_280:
	v_lshl_add_u64 v[82:83], v[8:9], 3, s[4:5]
	v_lshl_add_u64 v[80:81], v[10:11], 3, s[4:5]
	;; [unrolled: 1-line block ×4, first 2 shown]
	s_wait_xcnt 0x1
	v_lshl_add_u64 v[0:1], v[18:19], 3, s[4:5]
	v_lshl_add_u64 v[2:3], v[20:21], 3, s[4:5]
	;; [unrolled: 1-line block ×23, first 2 shown]
	s_clause 0x8
	scratch_load_b128 v[58:61], off, off offset:8
	scratch_load_b128 v[62:65], off, off offset:24
	;; [unrolled: 1-line block ×9, first 2 shown]
	v_lshl_add_u64 v[74:75], v[14:15], 3, s[4:5]
	s_wait_loadcnt 0x9
	global_store_b64 v[4:5], v[78:79], off
	v_lshl_add_u64 v[14:15], v[28:29], 3, s[4:5]
	v_lshl_add_u64 v[28:29], v[42:43], 3, s[4:5]
	;; [unrolled: 1-line block ×4, first 2 shown]
	scratch_load_b128 v[108:111], off, off offset:152
	s_wait_loadcnt 0x9
	s_clause 0x1
	global_store_b64 v[6:7], v[58:59], off
	global_store_b64 v[82:83], v[60:61], off
	s_wait_loadcnt 0x8
	s_clause 0x1
	global_store_b64 v[80:81], v[62:63], off
	global_store_b64 v[76:77], v[64:65], off
	;; [unrolled: 4-line block ×3, first 2 shown]
	s_clause 0x6
	scratch_load_b128 v[4:7], off, off offset:168
	scratch_load_b128 v[58:61], off, off offset:184
	;; [unrolled: 1-line block ×6, first 2 shown]
	scratch_load_b64 v[70:71], off, off offset:264
	s_wait_loadcnt 0xd
	s_clause 0x1
	global_store_b64 v[0:1], v[84:85], off
	global_store_b64 v[2:3], v[86:87], off
	s_wait_loadcnt 0xc
	s_clause 0x1
	global_store_b64 v[8:9], v[88:89], off
	global_store_b64 v[10:11], v[90:91], off
	;; [unrolled: 4-line block ×13, first 2 shown]
	s_wait_loadcnt 0x0
	global_store_b64 v[56:57], v[70:71], off
	s_sendmsg sendmsg(MSG_DEALLOC_VGPRS)
	s_endpgm
	.section	.rodata,"a",@progbits
	.p2align	6, 0x0
	.amdhsa_kernel _ZN9rocsolver6v33100L18getri_kernel_smallILi34EdPdEEvT1_iilPiilS4_bb
		.amdhsa_group_segment_fixed_size 552
		.amdhsa_private_segment_fixed_size 288
		.amdhsa_kernarg_size 60
		.amdhsa_user_sgpr_count 2
		.amdhsa_user_sgpr_dispatch_ptr 0
		.amdhsa_user_sgpr_queue_ptr 0
		.amdhsa_user_sgpr_kernarg_segment_ptr 1
		.amdhsa_user_sgpr_dispatch_id 0
		.amdhsa_user_sgpr_kernarg_preload_length 0
		.amdhsa_user_sgpr_kernarg_preload_offset 0
		.amdhsa_user_sgpr_private_segment_size 0
		.amdhsa_wavefront_size32 1
		.amdhsa_uses_dynamic_stack 0
		.amdhsa_enable_private_segment 1
		.amdhsa_system_sgpr_workgroup_id_x 1
		.amdhsa_system_sgpr_workgroup_id_y 0
		.amdhsa_system_sgpr_workgroup_id_z 0
		.amdhsa_system_sgpr_workgroup_info 0
		.amdhsa_system_vgpr_workitem_id 0
		.amdhsa_next_free_vgpr 114
		.amdhsa_next_free_sgpr 19
		.amdhsa_named_barrier_count 0
		.amdhsa_reserve_vcc 1
		.amdhsa_float_round_mode_32 0
		.amdhsa_float_round_mode_16_64 0
		.amdhsa_float_denorm_mode_32 3
		.amdhsa_float_denorm_mode_16_64 3
		.amdhsa_fp16_overflow 0
		.amdhsa_memory_ordered 1
		.amdhsa_forward_progress 1
		.amdhsa_inst_pref_size 214
		.amdhsa_round_robin_scheduling 0
		.amdhsa_exception_fp_ieee_invalid_op 0
		.amdhsa_exception_fp_denorm_src 0
		.amdhsa_exception_fp_ieee_div_zero 0
		.amdhsa_exception_fp_ieee_overflow 0
		.amdhsa_exception_fp_ieee_underflow 0
		.amdhsa_exception_fp_ieee_inexact 0
		.amdhsa_exception_int_div_zero 0
	.end_amdhsa_kernel
	.section	.text._ZN9rocsolver6v33100L18getri_kernel_smallILi34EdPdEEvT1_iilPiilS4_bb,"axG",@progbits,_ZN9rocsolver6v33100L18getri_kernel_smallILi34EdPdEEvT1_iilPiilS4_bb,comdat
.Lfunc_end33:
	.size	_ZN9rocsolver6v33100L18getri_kernel_smallILi34EdPdEEvT1_iilPiilS4_bb, .Lfunc_end33-_ZN9rocsolver6v33100L18getri_kernel_smallILi34EdPdEEvT1_iilPiilS4_bb
                                        ; -- End function
	.set _ZN9rocsolver6v33100L18getri_kernel_smallILi34EdPdEEvT1_iilPiilS4_bb.num_vgpr, 114
	.set _ZN9rocsolver6v33100L18getri_kernel_smallILi34EdPdEEvT1_iilPiilS4_bb.num_agpr, 0
	.set _ZN9rocsolver6v33100L18getri_kernel_smallILi34EdPdEEvT1_iilPiilS4_bb.numbered_sgpr, 19
	.set _ZN9rocsolver6v33100L18getri_kernel_smallILi34EdPdEEvT1_iilPiilS4_bb.num_named_barrier, 0
	.set _ZN9rocsolver6v33100L18getri_kernel_smallILi34EdPdEEvT1_iilPiilS4_bb.private_seg_size, 288
	.set _ZN9rocsolver6v33100L18getri_kernel_smallILi34EdPdEEvT1_iilPiilS4_bb.uses_vcc, 1
	.set _ZN9rocsolver6v33100L18getri_kernel_smallILi34EdPdEEvT1_iilPiilS4_bb.uses_flat_scratch, 1
	.set _ZN9rocsolver6v33100L18getri_kernel_smallILi34EdPdEEvT1_iilPiilS4_bb.has_dyn_sized_stack, 0
	.set _ZN9rocsolver6v33100L18getri_kernel_smallILi34EdPdEEvT1_iilPiilS4_bb.has_recursion, 0
	.set _ZN9rocsolver6v33100L18getri_kernel_smallILi34EdPdEEvT1_iilPiilS4_bb.has_indirect_call, 0
	.section	.AMDGPU.csdata,"",@progbits
; Kernel info:
; codeLenInByte = 27272
; TotalNumSgprs: 21
; NumVgprs: 114
; ScratchSize: 288
; MemoryBound: 0
; FloatMode: 240
; IeeeMode: 1
; LDSByteSize: 552 bytes/workgroup (compile time only)
; SGPRBlocks: 0
; VGPRBlocks: 7
; NumSGPRsForWavesPerEU: 21
; NumVGPRsForWavesPerEU: 114
; NamedBarCnt: 0
; Occupancy: 8
; WaveLimiterHint : 1
; COMPUTE_PGM_RSRC2:SCRATCH_EN: 1
; COMPUTE_PGM_RSRC2:USER_SGPR: 2
; COMPUTE_PGM_RSRC2:TRAP_HANDLER: 0
; COMPUTE_PGM_RSRC2:TGID_X_EN: 1
; COMPUTE_PGM_RSRC2:TGID_Y_EN: 0
; COMPUTE_PGM_RSRC2:TGID_Z_EN: 0
; COMPUTE_PGM_RSRC2:TIDIG_COMP_CNT: 0
	.section	.text._ZN9rocsolver6v33100L18getri_kernel_smallILi35EdPdEEvT1_iilPiilS4_bb,"axG",@progbits,_ZN9rocsolver6v33100L18getri_kernel_smallILi35EdPdEEvT1_iilPiilS4_bb,comdat
	.globl	_ZN9rocsolver6v33100L18getri_kernel_smallILi35EdPdEEvT1_iilPiilS4_bb ; -- Begin function _ZN9rocsolver6v33100L18getri_kernel_smallILi35EdPdEEvT1_iilPiilS4_bb
	.p2align	8
	.type	_ZN9rocsolver6v33100L18getri_kernel_smallILi35EdPdEEvT1_iilPiilS4_bb,@function
_ZN9rocsolver6v33100L18getri_kernel_smallILi35EdPdEEvT1_iilPiilS4_bb: ; @_ZN9rocsolver6v33100L18getri_kernel_smallILi35EdPdEEvT1_iilPiilS4_bb
; %bb.0:
	s_mov_b32 s2, exec_lo
	v_cmpx_gt_u32_e32 35, v0
	s_cbranch_execz .LBB34_150
; %bb.1:
	s_clause 0x2
	s_load_b32 s2, s[0:1], 0x38
	s_load_b128 s[12:15], s[0:1], 0x10
	s_load_b128 s[4:7], s[0:1], 0x28
	s_getreg_b32 s9, hwreg(HW_REG_IB_STS2, 6, 4)
	s_wait_kmcnt 0x0
	s_bitcmp1_b32 s2, 8
	s_cselect_b32 s18, -1, 0
	s_bfe_u32 s3, ttmp6, 0x4000c
	s_and_b32 s8, ttmp6, 15
	s_add_co_i32 s3, s3, 1
	s_delay_alu instid0(SALU_CYCLE_1) | instskip(NEXT) | instid1(SALU_CYCLE_1)
	s_mul_i32 s3, ttmp9, s3
	s_add_co_i32 s8, s8, s3
	s_cmp_eq_u32 s9, 0
	s_cselect_b32 s16, ttmp9, s8
	s_bfe_u32 s2, s2, 0x10008
	s_ashr_i32 s17, s16, 31
	s_cmp_eq_u32 s2, 0
                                        ; implicit-def: $sgpr2_sgpr3
	s_cbranch_scc1 .LBB34_3
; %bb.2:
	s_load_b32 s2, s[0:1], 0x20
	s_mul_u64 s[4:5], s[4:5], s[16:17]
	s_delay_alu instid0(SALU_CYCLE_1) | instskip(NEXT) | instid1(SALU_CYCLE_1)
	s_lshl_b64 s[4:5], s[4:5], 2
	s_add_nc_u64 s[4:5], s[14:15], s[4:5]
	s_wait_kmcnt 0x0
	s_ashr_i32 s3, s2, 31
	s_delay_alu instid0(SALU_CYCLE_1) | instskip(NEXT) | instid1(SALU_CYCLE_1)
	s_lshl_b64 s[2:3], s[2:3], 2
	s_add_nc_u64 s[2:3], s[4:5], s[2:3]
.LBB34_3:
	s_clause 0x1
	s_load_b128 s[8:11], s[0:1], 0x0
	s_load_b32 s14, s[0:1], 0x38
	s_wait_xcnt 0x0
	s_mul_u64 s[0:1], s[12:13], s[16:17]
	v_dual_mov_b32 v3, 0 :: v_dual_lshlrev_b32 v2, 3, v0
	s_lshl_b64 s[0:1], s[0:1], 3
	s_wait_kmcnt 0x0
	v_add3_u32 v8, s11, s11, v0
	s_ashr_i32 s5, s10, 31
	s_mov_b32 s4, s10
	s_add_nc_u64 s[0:1], s[8:9], s[0:1]
	s_lshl_b64 s[4:5], s[4:5], 3
	v_add_nc_u32_e32 v10, s11, v8
	s_add_nc_u64 s[4:5], s[0:1], s[4:5]
	s_ashr_i32 s1, s11, 31
	v_add_nc_u64_e32 v[6:7], s[4:5], v[2:3]
	s_mov_b32 s0, s11
	v_add_nc_u32_e32 v12, s11, v10
	s_bitcmp0_b32 s14, 0
	s_delay_alu instid0(VALU_DEP_2) | instskip(NEXT) | instid1(VALU_DEP_2)
	v_lshl_add_u64 v[4:5], s[0:1], 3, v[6:7]
	v_add_nc_u32_e32 v14, s11, v12
	s_clause 0x1
	global_load_b64 v[68:69], v0, s[4:5] scale_offset
	global_load_b64 v[70:71], v[4:5], off
	s_mov_b32 s1, -1
	v_add_nc_u32_e32 v16, s11, v14
	s_delay_alu instid0(VALU_DEP_1) | instskip(NEXT) | instid1(VALU_DEP_1)
	v_add_nc_u32_e32 v18, s11, v16
	v_add_nc_u32_e32 v20, s11, v18
	s_clause 0x3
	global_load_b64 v[72:73], v8, s[4:5] scale_offset
	global_load_b64 v[74:75], v10, s[4:5] scale_offset
	;; [unrolled: 1-line block ×4, first 2 shown]
	v_add_nc_u32_e32 v22, s11, v20
	s_delay_alu instid0(VALU_DEP_1) | instskip(NEXT) | instid1(VALU_DEP_1)
	v_add_nc_u32_e32 v24, s11, v22
	v_add_nc_u32_e32 v26, s11, v24
	s_delay_alu instid0(VALU_DEP_1)
	v_add_nc_u32_e32 v28, s11, v26
	s_clause 0x3
	global_load_b64 v[80:81], v16, s[4:5] scale_offset
	global_load_b64 v[82:83], v18, s[4:5] scale_offset
	;; [unrolled: 1-line block ×4, first 2 shown]
	v_add_nc_u32_e32 v30, s11, v28
	s_delay_alu instid0(VALU_DEP_1)
	v_add_nc_u32_e32 v32, s11, v30
	s_clause 0x3
	global_load_b64 v[88:89], v24, s[4:5] scale_offset
	global_load_b64 v[90:91], v26, s[4:5] scale_offset
	;; [unrolled: 1-line block ×4, first 2 shown]
	v_add_nc_u32_e32 v34, s11, v32
	s_delay_alu instid0(VALU_DEP_1) | instskip(NEXT) | instid1(VALU_DEP_1)
	v_add_nc_u32_e32 v36, s11, v34
	v_add_nc_u32_e32 v38, s11, v36
	s_delay_alu instid0(VALU_DEP_1) | instskip(NEXT) | instid1(VALU_DEP_1)
	v_add_nc_u32_e32 v40, s11, v38
	v_add_nc_u32_e32 v42, s11, v40
	s_delay_alu instid0(VALU_DEP_1)
	v_add_nc_u32_e32 v44, s11, v42
	s_clause 0x3
	global_load_b64 v[96:97], v32, s[4:5] scale_offset
	global_load_b64 v[98:99], v34, s[4:5] scale_offset
	;; [unrolled: 1-line block ×4, first 2 shown]
	v_add_nc_u32_e32 v46, s11, v44
	s_delay_alu instid0(VALU_DEP_1) | instskip(NEXT) | instid1(VALU_DEP_1)
	v_add_nc_u32_e32 v48, s11, v46
	v_add_nc_u32_e32 v50, s11, v48
	s_delay_alu instid0(VALU_DEP_1) | instskip(NEXT) | instid1(VALU_DEP_1)
	v_add_nc_u32_e32 v52, s11, v50
	;; [unrolled: 3-line block ×5, first 2 shown]
	v_add_nc_u32_e32 v66, s11, v64
	s_wait_loadcnt 0x10
	scratch_store_b128 off, v[68:71], off
	s_wait_xcnt 0x0
	v_add_nc_u32_e32 v68, s11, v66
	s_clause 0x3
	global_load_b64 v[104:105], v40, s[4:5] scale_offset
	global_load_b64 v[106:107], v42, s[4:5] scale_offset
	;; [unrolled: 1-line block ×4, first 2 shown]
	v_add_nc_u32_e32 v70, s11, v68
	s_wait_loadcnt 0x12
	scratch_store_b128 off, v[72:75], off offset:16
	s_wait_xcnt 0x0
	v_add_nc_u32_e32 v72, s11, v70
	s_wait_loadcnt 0x10
	scratch_store_b128 off, v[76:79], off offset:32
	s_wait_loadcnt 0xe
	scratch_store_b128 off, v[80:83], off offset:48
	s_clause 0x3
	global_load_b64 v[74:75], v48, s[4:5] scale_offset
	global_load_b64 v[76:77], v50, s[4:5] scale_offset
	;; [unrolled: 1-line block ×4, first 2 shown]
	s_wait_loadcnt 0x10
	scratch_store_b128 off, v[84:87], off offset:64
	s_wait_loadcnt 0xe
	scratch_store_b128 off, v[88:91], off offset:80
	s_clause 0x3
	global_load_b64 v[82:83], v56, s[4:5] scale_offset
	global_load_b64 v[84:85], v58, s[4:5] scale_offset
	;; [unrolled: 1-line block ×4, first 2 shown]
	s_wait_loadcnt 0x10
	scratch_store_b128 off, v[92:95], off offset:96
	s_wait_loadcnt 0xe
	scratch_store_b128 off, v[96:99], off offset:112
	s_clause 0x1
	global_load_b64 v[90:91], v64, s[4:5] scale_offset
	global_load_b64 v[92:93], v66, s[4:5] scale_offset
	s_wait_loadcnt 0xe
	scratch_store_b128 off, v[100:103], off offset:128
	s_clause 0x2
	global_load_b64 v[94:95], v68, s[4:5] scale_offset
	global_load_b64 v[96:97], v70, s[4:5] scale_offset
	global_load_b64 v[98:99], v72, s[4:5] scale_offset
	s_wait_loadcnt 0xf
	scratch_store_b128 off, v[104:107], off offset:144
	s_wait_loadcnt 0xd
	scratch_store_b128 off, v[108:111], off offset:160
	;; [unrolled: 2-line block ×8, first 2 shown]
	s_wait_loadcnt 0x0
	scratch_store_b64 off, v[98:99], off offset:272
	s_cbranch_scc1 .LBB34_148
; %bb.4:
	v_cmp_eq_u32_e64 s0, 0, v0
	s_wait_xcnt 0x0
	s_and_saveexec_b32 s1, s0
; %bb.5:
	v_mov_b32_e32 v1, 0
	ds_store_b32 v1, v1 offset:280
; %bb.6:
	s_or_b32 exec_lo, exec_lo, s1
	s_wait_storecnt_dscnt 0x0
	s_barrier_signal -1
	s_barrier_wait -1
	scratch_load_b64 v[74:75], v0, off scale_offset
	s_mov_b32 s8, exec_lo
	s_wait_loadcnt 0x0
	v_cmpx_eq_f64_e32 0, v[74:75]
	s_cbranch_execz .LBB34_10
; %bb.7:
	v_mov_b32_e32 v1, 0
	s_mov_b32 s9, 0
	ds_load_b32 v3, v1 offset:280
	s_wait_dscnt 0x0
	v_readfirstlane_b32 s1, v3
	v_add_nc_u32_e32 v3, 1, v0
	s_cmp_eq_u32 s1, 0
	s_delay_alu instid0(VALU_DEP_1) | instskip(SKIP_1) | instid1(SALU_CYCLE_1)
	v_cmp_gt_i32_e32 vcc_lo, s1, v3
	s_cselect_b32 s10, -1, 0
	s_or_b32 s10, s10, vcc_lo
	s_delay_alu instid0(SALU_CYCLE_1)
	s_and_b32 exec_lo, exec_lo, s10
	s_cbranch_execz .LBB34_10
; %bb.8:
	v_mov_b32_e32 v9, s1
.LBB34_9:                               ; =>This Inner Loop Header: Depth=1
	ds_cmpstore_rtn_b32 v9, v1, v3, v9 offset:280
	s_wait_dscnt 0x0
	v_cmp_ne_u32_e32 vcc_lo, 0, v9
	v_cmp_le_i32_e64 s1, v9, v3
	s_and_b32 s1, vcc_lo, s1
	s_delay_alu instid0(SALU_CYCLE_1) | instskip(NEXT) | instid1(SALU_CYCLE_1)
	s_and_b32 s1, exec_lo, s1
	s_or_b32 s9, s1, s9
	s_delay_alu instid0(SALU_CYCLE_1)
	s_and_not1_b32 exec_lo, exec_lo, s9
	s_cbranch_execnz .LBB34_9
.LBB34_10:
	s_or_b32 exec_lo, exec_lo, s8
	v_mov_b32_e32 v1, 0
	s_barrier_signal -1
	s_barrier_wait -1
	ds_load_b32 v3, v1 offset:280
	s_and_saveexec_b32 s1, s0
	s_cbranch_execz .LBB34_12
; %bb.11:
	s_lshl_b64 s[8:9], s[16:17], 2
	s_delay_alu instid0(SALU_CYCLE_1)
	s_add_nc_u64 s[8:9], s[6:7], s[8:9]
	s_wait_dscnt 0x0
	global_store_b32 v1, v3, s[8:9]
.LBB34_12:
	s_wait_xcnt 0x0
	s_or_b32 exec_lo, exec_lo, s1
	s_wait_dscnt 0x0
	v_cmp_ne_u32_e32 vcc_lo, 0, v3
	s_mov_b32 s1, 0
	s_cbranch_vccnz .LBB34_148
; %bb.13:
	v_lshl_add_u32 v3, v0, 3, 0
	v_add_nc_u32_e32 v1, 0x120, v2
	scratch_load_b64 v[74:75], v3, off
	s_wait_loadcnt 0x0
	v_div_scale_f64 v[76:77], null, v[74:75], v[74:75], 1.0
	v_div_scale_f64 v[82:83], vcc_lo, 1.0, v[74:75], 1.0
	s_delay_alu instid0(VALU_DEP_2) | instskip(SKIP_1) | instid1(TRANS32_DEP_1)
	v_rcp_f64_e32 v[78:79], v[76:77]
	v_nop
	v_fma_f64 v[80:81], -v[76:77], v[78:79], 1.0
	s_delay_alu instid0(VALU_DEP_1) | instskip(NEXT) | instid1(VALU_DEP_1)
	v_fmac_f64_e32 v[78:79], v[78:79], v[80:81]
	v_fma_f64 v[80:81], -v[76:77], v[78:79], 1.0
	s_delay_alu instid0(VALU_DEP_1) | instskip(NEXT) | instid1(VALU_DEP_1)
	v_fmac_f64_e32 v[78:79], v[78:79], v[80:81]
	v_mul_f64_e32 v[80:81], v[82:83], v[78:79]
	s_delay_alu instid0(VALU_DEP_1) | instskip(NEXT) | instid1(VALU_DEP_1)
	v_fma_f64 v[76:77], -v[76:77], v[80:81], v[82:83]
	v_div_fmas_f64 v[76:77], v[76:77], v[78:79], v[80:81]
	s_delay_alu instid0(VALU_DEP_1)
	v_div_fixup_f64 v[74:75], v[76:77], v[74:75], 1.0
	scratch_store_b64 v3, v[74:75], off
	scratch_load_b64 v[76:77], off, off offset:8
	s_wait_xcnt 0x1
	v_xor_b32_e32 v75, 0x80000000, v75
	s_wait_loadcnt 0x0
	ds_store_2addr_b64 v2, v[74:75], v[76:77] offset1:36
	s_wait_storecnt_dscnt 0x0
	s_barrier_signal -1
	s_barrier_wait -1
	s_wait_xcnt 0x0
	s_and_saveexec_b32 s1, s0
	s_cbranch_execz .LBB34_15
; %bb.14:
	scratch_load_b64 v[74:75], v3, off
	ds_load_b64 v[76:77], v1
	s_wait_loadcnt_dscnt 0x0
	v_fma_f64 v[74:75], v[74:75], v[76:77], 0
	v_mov_b32_e32 v9, 0
	ds_load_b64 v[78:79], v9 offset:8
	s_wait_dscnt 0x0
	v_mul_f64_e32 v[74:75], v[74:75], v[78:79]
	scratch_store_b64 off, v[74:75], off offset:8
.LBB34_15:
	s_wait_xcnt 0x0
	s_or_b32 exec_lo, exec_lo, s1
	s_wait_storecnt 0x0
	s_barrier_signal -1
	s_barrier_wait -1
	scratch_load_b64 v[74:75], off, off offset:16
	s_mov_b32 s1, exec_lo
	s_wait_loadcnt 0x0
	ds_store_b64 v1, v[74:75]
	s_wait_dscnt 0x0
	s_barrier_signal -1
	s_barrier_wait -1
	v_cmpx_gt_u32_e32 2, v0
	s_cbranch_execz .LBB34_19
; %bb.16:
	scratch_load_b64 v[74:75], v3, off
	ds_load_b64 v[76:77], v1
	s_wait_loadcnt_dscnt 0x0
	v_fma_f64 v[74:75], v[74:75], v[76:77], 0
	s_and_saveexec_b32 s8, s0
	s_cbranch_execz .LBB34_18
; %bb.17:
	scratch_load_b64 v[76:77], off, off offset:8
	v_mov_b32_e32 v3, 0
	ds_load_b64 v[78:79], v3 offset:296
	s_wait_loadcnt_dscnt 0x0
	v_fmac_f64_e32 v[74:75], v[76:77], v[78:79]
.LBB34_18:
	s_or_b32 exec_lo, exec_lo, s8
	v_mov_b32_e32 v3, 0
	ds_load_b64 v[76:77], v3 offset:16
	s_wait_dscnt 0x0
	v_mul_f64_e32 v[74:75], v[74:75], v[76:77]
	scratch_store_b64 off, v[74:75], off offset:16
.LBB34_19:
	s_wait_xcnt 0x0
	s_or_b32 exec_lo, exec_lo, s1
	s_wait_storecnt 0x0
	s_barrier_signal -1
	s_barrier_wait -1
	scratch_load_b64 v[74:75], off, off offset:24
	v_add_nc_u32_e32 v3, -1, v0
	s_mov_b32 s0, exec_lo
	s_wait_loadcnt 0x0
	ds_store_b64 v1, v[74:75]
	s_wait_dscnt 0x0
	s_barrier_signal -1
	s_barrier_wait -1
	v_cmpx_gt_u32_e32 3, v0
	s_cbranch_execz .LBB34_23
; %bb.20:
	v_mov_b64_e32 v[74:75], 0
	v_dual_add_nc_u32 v9, -1, v0 :: v_dual_mov_b32 v13, v2
	v_add_nc_u32_e32 v11, 0x120, v2
	s_mov_b32 s1, 0
.LBB34_21:                              ; =>This Inner Loop Header: Depth=1
	scratch_load_b64 v[76:77], v13, off
	ds_load_b64 v[78:79], v11
	v_dual_add_nc_u32 v9, 1, v9 :: v_dual_add_nc_u32 v11, 8, v11
	s_wait_xcnt 0x0
	v_add_nc_u32_e32 v13, 8, v13
	s_delay_alu instid0(VALU_DEP_2)
	v_cmp_lt_u32_e32 vcc_lo, 1, v9
	s_or_b32 s1, vcc_lo, s1
	s_wait_loadcnt_dscnt 0x0
	v_fmac_f64_e32 v[74:75], v[76:77], v[78:79]
	s_and_not1_b32 exec_lo, exec_lo, s1
	s_cbranch_execnz .LBB34_21
; %bb.22:
	s_or_b32 exec_lo, exec_lo, s1
	v_mov_b32_e32 v9, 0
	ds_load_b64 v[76:77], v9 offset:24
	s_wait_dscnt 0x0
	v_mul_f64_e32 v[74:75], v[74:75], v[76:77]
	scratch_store_b64 off, v[74:75], off offset:24
.LBB34_23:
	s_wait_xcnt 0x0
	s_or_b32 exec_lo, exec_lo, s0
	s_wait_storecnt 0x0
	s_barrier_signal -1
	s_barrier_wait -1
	scratch_load_b64 v[74:75], off, off offset:32
	s_mov_b32 s0, exec_lo
	s_wait_loadcnt 0x0
	ds_store_b64 v1, v[74:75]
	s_wait_dscnt 0x0
	s_barrier_signal -1
	s_barrier_wait -1
	v_cmpx_gt_u32_e32 4, v0
	s_cbranch_execz .LBB34_27
; %bb.24:
	v_mov_b64_e32 v[74:75], 0
	v_dual_add_nc_u32 v9, -1, v0 :: v_dual_mov_b32 v13, v2
	v_add_nc_u32_e32 v11, 0x120, v2
	s_mov_b32 s1, 0
.LBB34_25:                              ; =>This Inner Loop Header: Depth=1
	scratch_load_b64 v[76:77], v13, off
	ds_load_b64 v[78:79], v11
	v_dual_add_nc_u32 v9, 1, v9 :: v_dual_add_nc_u32 v11, 8, v11
	s_wait_xcnt 0x0
	v_add_nc_u32_e32 v13, 8, v13
	s_delay_alu instid0(VALU_DEP_2)
	v_cmp_lt_u32_e32 vcc_lo, 2, v9
	s_or_b32 s1, vcc_lo, s1
	s_wait_loadcnt_dscnt 0x0
	v_fmac_f64_e32 v[74:75], v[76:77], v[78:79]
	s_and_not1_b32 exec_lo, exec_lo, s1
	s_cbranch_execnz .LBB34_25
; %bb.26:
	s_or_b32 exec_lo, exec_lo, s1
	v_mov_b32_e32 v9, 0
	ds_load_b64 v[76:77], v9 offset:32
	s_wait_dscnt 0x0
	v_mul_f64_e32 v[74:75], v[74:75], v[76:77]
	scratch_store_b64 off, v[74:75], off offset:32
.LBB34_27:
	s_wait_xcnt 0x0
	s_or_b32 exec_lo, exec_lo, s0
	s_wait_storecnt 0x0
	s_barrier_signal -1
	s_barrier_wait -1
	scratch_load_b64 v[74:75], off, off offset:40
	;; [unrolled: 40-line block ×20, first 2 shown]
	s_mov_b32 s0, exec_lo
	s_wait_loadcnt 0x0
	ds_store_b64 v1, v[74:75]
	s_wait_dscnt 0x0
	s_barrier_signal -1
	s_barrier_wait -1
	v_cmpx_gt_u32_e32 23, v0
	s_cbranch_execz .LBB34_103
; %bb.100:
	v_mov_b64_e32 v[74:75], 0
	v_dual_add_nc_u32 v9, -1, v0 :: v_dual_mov_b32 v13, v2
	v_add_nc_u32_e32 v11, 0x120, v2
	s_mov_b32 s1, 0
.LBB34_101:                             ; =>This Inner Loop Header: Depth=1
	scratch_load_b64 v[76:77], v13, off
	ds_load_b64 v[78:79], v11
	v_dual_add_nc_u32 v9, 1, v9 :: v_dual_add_nc_u32 v11, 8, v11
	s_wait_xcnt 0x0
	v_add_nc_u32_e32 v13, 8, v13
	s_delay_alu instid0(VALU_DEP_2)
	v_cmp_lt_u32_e32 vcc_lo, 21, v9
	s_or_b32 s1, vcc_lo, s1
	s_wait_loadcnt_dscnt 0x0
	v_fmac_f64_e32 v[74:75], v[76:77], v[78:79]
	s_and_not1_b32 exec_lo, exec_lo, s1
	s_cbranch_execnz .LBB34_101
; %bb.102:
	s_or_b32 exec_lo, exec_lo, s1
	v_mov_b32_e32 v9, 0
	ds_load_b64 v[76:77], v9 offset:184
	s_wait_dscnt 0x0
	v_mul_f64_e32 v[74:75], v[74:75], v[76:77]
	scratch_store_b64 off, v[74:75], off offset:184
.LBB34_103:
	s_wait_xcnt 0x0
	s_or_b32 exec_lo, exec_lo, s0
	s_wait_storecnt 0x0
	s_barrier_signal -1
	s_barrier_wait -1
	scratch_load_b64 v[74:75], off, off offset:192
	s_mov_b32 s0, exec_lo
	s_wait_loadcnt 0x0
	ds_store_b64 v1, v[74:75]
	s_wait_dscnt 0x0
	s_barrier_signal -1
	s_barrier_wait -1
	v_cmpx_gt_u32_e32 24, v0
	s_cbranch_execz .LBB34_107
; %bb.104:
	v_mov_b64_e32 v[74:75], 0
	v_dual_add_nc_u32 v9, -1, v0 :: v_dual_mov_b32 v13, v2
	v_add_nc_u32_e32 v11, 0x120, v2
	s_mov_b32 s1, 0
.LBB34_105:                             ; =>This Inner Loop Header: Depth=1
	scratch_load_b64 v[76:77], v13, off
	ds_load_b64 v[78:79], v11
	v_dual_add_nc_u32 v9, 1, v9 :: v_dual_add_nc_u32 v11, 8, v11
	s_wait_xcnt 0x0
	v_add_nc_u32_e32 v13, 8, v13
	s_delay_alu instid0(VALU_DEP_2)
	v_cmp_lt_u32_e32 vcc_lo, 22, v9
	s_or_b32 s1, vcc_lo, s1
	s_wait_loadcnt_dscnt 0x0
	v_fmac_f64_e32 v[74:75], v[76:77], v[78:79]
	s_and_not1_b32 exec_lo, exec_lo, s1
	s_cbranch_execnz .LBB34_105
; %bb.106:
	s_or_b32 exec_lo, exec_lo, s1
	v_mov_b32_e32 v9, 0
	ds_load_b64 v[76:77], v9 offset:192
	s_wait_dscnt 0x0
	v_mul_f64_e32 v[74:75], v[74:75], v[76:77]
	scratch_store_b64 off, v[74:75], off offset:192
.LBB34_107:
	s_wait_xcnt 0x0
	s_or_b32 exec_lo, exec_lo, s0
	s_wait_storecnt 0x0
	s_barrier_signal -1
	s_barrier_wait -1
	scratch_load_b64 v[74:75], off, off offset:200
	;; [unrolled: 40-line block ×11, first 2 shown]
	s_mov_b32 s0, exec_lo
	s_wait_loadcnt 0x0
	ds_store_b64 v1, v[74:75]
	s_wait_dscnt 0x0
	s_barrier_signal -1
	s_barrier_wait -1
	v_cmpx_ne_u32_e32 34, v0
	s_cbranch_execz .LBB34_147
; %bb.144:
	v_mov_b64_e32 v[74:75], 0
	s_mov_b32 s1, 0
.LBB34_145:                             ; =>This Inner Loop Header: Depth=1
	scratch_load_b64 v[76:77], v2, off
	ds_load_b64 v[78:79], v1
	v_dual_add_nc_u32 v3, 1, v3 :: v_dual_add_nc_u32 v1, 8, v1
	s_wait_xcnt 0x0
	v_add_nc_u32_e32 v2, 8, v2
	s_delay_alu instid0(VALU_DEP_2)
	v_cmp_lt_u32_e32 vcc_lo, 32, v3
	s_or_b32 s1, vcc_lo, s1
	s_wait_loadcnt_dscnt 0x0
	v_fmac_f64_e32 v[74:75], v[76:77], v[78:79]
	s_and_not1_b32 exec_lo, exec_lo, s1
	s_cbranch_execnz .LBB34_145
; %bb.146:
	s_or_b32 exec_lo, exec_lo, s1
	v_mov_b32_e32 v1, 0
	ds_load_b64 v[2:3], v1 offset:272
	s_wait_dscnt 0x0
	v_mul_f64_e32 v[2:3], v[74:75], v[2:3]
	scratch_store_b64 off, v[2:3], off offset:272
.LBB34_147:
	s_wait_xcnt 0x0
	s_or_b32 exec_lo, exec_lo, s0
	s_mov_b32 s1, -1
	s_wait_storecnt 0x0
	s_barrier_signal -1
	s_barrier_wait -1
.LBB34_148:
	s_and_b32 vcc_lo, exec_lo, s1
	s_cbranch_vccz .LBB34_150
; %bb.149:
	v_mov_b32_e32 v1, 0
	s_lshl_b64 s[0:1], s[16:17], 2
	s_delay_alu instid0(SALU_CYCLE_1)
	s_add_nc_u64 s[0:1], s[6:7], s[0:1]
	global_load_b32 v1, v1, s[0:1]
	s_wait_loadcnt 0x0
	v_cmp_ne_u32_e32 vcc_lo, 0, v1
	s_cbranch_vccz .LBB34_151
.LBB34_150:
	s_sendmsg sendmsg(MSG_DEALLOC_VGPRS)
	s_endpgm
.LBB34_151:
	s_wait_xcnt 0x0
	v_lshl_add_u32 v1, v0, 3, 0x120
	s_mov_b32 s0, exec_lo
	v_cmpx_eq_u32_e32 34, v0
	s_cbranch_execz .LBB34_153
; %bb.152:
	scratch_load_b64 v[2:3], off, off offset:264
	v_mov_b64_e32 v[74:75], 0
	scratch_store_b64 off, v[74:75], off offset:264
	s_wait_loadcnt 0x0
	ds_store_b64 v1, v[2:3]
.LBB34_153:
	s_wait_xcnt 0x0
	s_or_b32 exec_lo, exec_lo, s0
	s_wait_storecnt_dscnt 0x0
	s_barrier_signal -1
	s_barrier_wait -1
	scratch_load_b128 v[74:77], off, off offset:264
	v_mov_b32_e32 v2, 0
	s_mov_b32 s0, exec_lo
	ds_load_b64 v[78:79], v2 offset:560
	s_wait_loadcnt_dscnt 0x0
	v_fma_f64 v[76:77], v[76:77], v[78:79], 0
	s_delay_alu instid0(VALU_DEP_1)
	v_add_f64_e64 v[74:75], v[74:75], -v[76:77]
	scratch_store_b64 off, v[74:75], off offset:264
	s_wait_xcnt 0x0
	v_cmpx_lt_u32_e32 32, v0
	s_cbranch_execz .LBB34_155
; %bb.154:
	scratch_load_b64 v[74:75], off, off offset:256
	v_mov_b64_e32 v[76:77], 0
	scratch_store_b64 off, v[76:77], off offset:256
	s_wait_loadcnt 0x0
	ds_store_b64 v1, v[74:75]
.LBB34_155:
	s_wait_xcnt 0x0
	s_or_b32 exec_lo, exec_lo, s0
	s_wait_storecnt_dscnt 0x0
	s_barrier_signal -1
	s_barrier_wait -1
	s_clause 0x1
	scratch_load_b128 v[74:77], off, off offset:256
	scratch_load_b64 v[82:83], off, off offset:272
	ds_load_2addr_b64 v[78:81], v2 offset0:69 offset1:70
	s_mov_b32 s0, exec_lo
	s_wait_loadcnt_dscnt 0x100
	v_fma_f64 v[2:3], v[76:77], v[78:79], 0
	s_wait_loadcnt 0x0
	s_delay_alu instid0(VALU_DEP_1) | instskip(NEXT) | instid1(VALU_DEP_1)
	v_fmac_f64_e32 v[2:3], v[82:83], v[80:81]
	v_add_f64_e64 v[2:3], v[74:75], -v[2:3]
	scratch_store_b64 off, v[2:3], off offset:256
	s_wait_xcnt 0x0
	v_cmpx_lt_u32_e32 31, v0
	s_cbranch_execz .LBB34_157
; %bb.156:
	scratch_load_b64 v[2:3], off, off offset:248
	v_mov_b64_e32 v[74:75], 0
	scratch_store_b64 off, v[74:75], off offset:248
	s_wait_loadcnt 0x0
	ds_store_b64 v1, v[2:3]
.LBB34_157:
	s_wait_xcnt 0x0
	s_or_b32 exec_lo, exec_lo, s0
	s_wait_storecnt_dscnt 0x0
	s_barrier_signal -1
	s_barrier_wait -1
	s_clause 0x1
	scratch_load_b128 v[74:77], off, off offset:248
	scratch_load_b128 v[78:81], off, off offset:264
	v_mov_b32_e32 v2, 0
	ds_load_b128 v[82:85], v2 offset:544
	ds_load_b64 v[86:87], v2 offset:560
	s_mov_b32 s0, exec_lo
	s_wait_loadcnt_dscnt 0x101
	v_fma_f64 v[76:77], v[76:77], v[82:83], 0
	s_wait_loadcnt 0x0
	s_delay_alu instid0(VALU_DEP_1) | instskip(SKIP_1) | instid1(VALU_DEP_1)
	v_fmac_f64_e32 v[76:77], v[78:79], v[84:85]
	s_wait_dscnt 0x0
	v_fmac_f64_e32 v[76:77], v[80:81], v[86:87]
	s_delay_alu instid0(VALU_DEP_1)
	v_add_f64_e64 v[74:75], v[74:75], -v[76:77]
	scratch_store_b64 off, v[74:75], off offset:248
	s_wait_xcnt 0x0
	v_cmpx_lt_u32_e32 30, v0
	s_cbranch_execz .LBB34_159
; %bb.158:
	scratch_load_b64 v[74:75], off, off offset:240
	v_mov_b64_e32 v[76:77], 0
	scratch_store_b64 off, v[76:77], off offset:240
	s_wait_loadcnt 0x0
	ds_store_b64 v1, v[74:75]
.LBB34_159:
	s_wait_xcnt 0x0
	s_or_b32 exec_lo, exec_lo, s0
	s_wait_storecnt_dscnt 0x0
	s_barrier_signal -1
	s_barrier_wait -1
	s_clause 0x2
	scratch_load_b128 v[74:77], off, off offset:240
	scratch_load_b128 v[78:81], off, off offset:256
	scratch_load_b64 v[90:91], off, off offset:272
	ds_load_2addr_b64 v[82:85], v2 offset0:67 offset1:68
	ds_load_2addr_b64 v[86:89], v2 offset0:69 offset1:70
	s_mov_b32 s0, exec_lo
	s_wait_loadcnt_dscnt 0x201
	v_fma_f64 v[2:3], v[76:77], v[82:83], 0
	s_wait_loadcnt 0x1
	s_delay_alu instid0(VALU_DEP_1) | instskip(SKIP_1) | instid1(VALU_DEP_1)
	v_fmac_f64_e32 v[2:3], v[78:79], v[84:85]
	s_wait_dscnt 0x0
	v_fmac_f64_e32 v[2:3], v[80:81], v[86:87]
	s_wait_loadcnt 0x0
	s_delay_alu instid0(VALU_DEP_1) | instskip(NEXT) | instid1(VALU_DEP_1)
	v_fmac_f64_e32 v[2:3], v[90:91], v[88:89]
	v_add_f64_e64 v[2:3], v[74:75], -v[2:3]
	scratch_store_b64 off, v[2:3], off offset:240
	s_wait_xcnt 0x0
	v_cmpx_lt_u32_e32 29, v0
	s_cbranch_execz .LBB34_161
; %bb.160:
	scratch_load_b64 v[2:3], off, off offset:232
	v_mov_b64_e32 v[74:75], 0
	scratch_store_b64 off, v[74:75], off offset:232
	s_wait_loadcnt 0x0
	ds_store_b64 v1, v[2:3]
.LBB34_161:
	s_wait_xcnt 0x0
	s_or_b32 exec_lo, exec_lo, s0
	s_wait_storecnt_dscnt 0x0
	s_barrier_signal -1
	s_barrier_wait -1
	s_clause 0x2
	scratch_load_b128 v[74:77], off, off offset:232
	scratch_load_b128 v[78:81], off, off offset:248
	;; [unrolled: 1-line block ×3, first 2 shown]
	v_mov_b32_e32 v2, 0
	ds_load_b128 v[86:89], v2 offset:528
	ds_load_b128 v[90:93], v2 offset:544
	s_mov_b32 s0, exec_lo
	s_wait_loadcnt_dscnt 0x201
	v_fma_f64 v[76:77], v[76:77], v[86:87], 0
	s_wait_loadcnt 0x1
	s_delay_alu instid0(VALU_DEP_1) | instskip(SKIP_4) | instid1(VALU_DEP_1)
	v_fmac_f64_e32 v[76:77], v[78:79], v[88:89]
	ds_load_b64 v[78:79], v2 offset:560
	s_wait_dscnt 0x1
	v_fmac_f64_e32 v[76:77], v[80:81], v[90:91]
	s_wait_loadcnt 0x0
	v_fmac_f64_e32 v[76:77], v[82:83], v[92:93]
	s_wait_dscnt 0x0
	s_delay_alu instid0(VALU_DEP_1) | instskip(NEXT) | instid1(VALU_DEP_1)
	v_fmac_f64_e32 v[76:77], v[84:85], v[78:79]
	v_add_f64_e64 v[74:75], v[74:75], -v[76:77]
	scratch_store_b64 off, v[74:75], off offset:232
	s_wait_xcnt 0x0
	v_cmpx_lt_u32_e32 28, v0
	s_cbranch_execz .LBB34_163
; %bb.162:
	scratch_load_b64 v[74:75], off, off offset:224
	v_mov_b64_e32 v[76:77], 0
	scratch_store_b64 off, v[76:77], off offset:224
	s_wait_loadcnt 0x0
	ds_store_b64 v1, v[74:75]
.LBB34_163:
	s_wait_xcnt 0x0
	s_or_b32 exec_lo, exec_lo, s0
	s_wait_storecnt_dscnt 0x0
	s_barrier_signal -1
	s_barrier_wait -1
	s_clause 0x3
	scratch_load_b128 v[74:77], off, off offset:224
	scratch_load_b128 v[78:81], off, off offset:240
	;; [unrolled: 1-line block ×3, first 2 shown]
	scratch_load_b64 v[94:95], off, off offset:272
	ds_load_2addr_b64 v[86:89], v2 offset0:65 offset1:66
	ds_load_2addr_b64 v[90:93], v2 offset0:67 offset1:68
	s_mov_b32 s0, exec_lo
	s_wait_loadcnt_dscnt 0x301
	v_fma_f64 v[86:87], v[76:77], v[86:87], 0
	s_wait_loadcnt 0x2
	s_delay_alu instid0(VALU_DEP_1) | instskip(SKIP_4) | instid1(VALU_DEP_1)
	v_fmac_f64_e32 v[86:87], v[78:79], v[88:89]
	ds_load_2addr_b64 v[76:79], v2 offset0:69 offset1:70
	s_wait_dscnt 0x1
	v_fmac_f64_e32 v[86:87], v[80:81], v[90:91]
	s_wait_loadcnt 0x1
	v_fmac_f64_e32 v[86:87], v[82:83], v[92:93]
	s_wait_dscnt 0x0
	s_delay_alu instid0(VALU_DEP_1) | instskip(SKIP_1) | instid1(VALU_DEP_1)
	v_fmac_f64_e32 v[86:87], v[84:85], v[76:77]
	s_wait_loadcnt 0x0
	v_fmac_f64_e32 v[86:87], v[94:95], v[78:79]
	s_delay_alu instid0(VALU_DEP_1)
	v_add_f64_e64 v[2:3], v[74:75], -v[86:87]
	scratch_store_b64 off, v[2:3], off offset:224
	s_wait_xcnt 0x0
	v_cmpx_lt_u32_e32 27, v0
	s_cbranch_execz .LBB34_165
; %bb.164:
	scratch_load_b64 v[2:3], off, off offset:216
	v_mov_b64_e32 v[74:75], 0
	scratch_store_b64 off, v[74:75], off offset:216
	s_wait_loadcnt 0x0
	ds_store_b64 v1, v[2:3]
.LBB34_165:
	s_wait_xcnt 0x0
	s_or_b32 exec_lo, exec_lo, s0
	s_wait_storecnt_dscnt 0x0
	s_barrier_signal -1
	s_barrier_wait -1
	s_clause 0x3
	scratch_load_b128 v[74:77], off, off offset:216
	scratch_load_b128 v[78:81], off, off offset:232
	;; [unrolled: 1-line block ×4, first 2 shown]
	v_mov_b32_e32 v2, 0
	ds_load_b128 v[90:93], v2 offset:512
	ds_load_b128 v[94:97], v2 offset:528
	s_mov_b32 s0, exec_lo
	s_wait_loadcnt_dscnt 0x301
	v_fma_f64 v[90:91], v[76:77], v[90:91], 0
	s_wait_loadcnt 0x2
	s_delay_alu instid0(VALU_DEP_1) | instskip(SKIP_1) | instid1(VALU_DEP_1)
	v_fmac_f64_e32 v[90:91], v[78:79], v[92:93]
	s_wait_dscnt 0x0
	v_fmac_f64_e32 v[90:91], v[80:81], v[94:95]
	ds_load_b128 v[76:79], v2 offset:544
	ds_load_b64 v[80:81], v2 offset:560
	s_wait_loadcnt 0x1
	v_fmac_f64_e32 v[90:91], v[82:83], v[96:97]
	s_wait_dscnt 0x1
	s_delay_alu instid0(VALU_DEP_1) | instskip(SKIP_1) | instid1(VALU_DEP_1)
	v_fmac_f64_e32 v[90:91], v[84:85], v[76:77]
	s_wait_loadcnt 0x0
	v_fmac_f64_e32 v[90:91], v[86:87], v[78:79]
	s_wait_dscnt 0x0
	s_delay_alu instid0(VALU_DEP_1) | instskip(NEXT) | instid1(VALU_DEP_1)
	v_fmac_f64_e32 v[90:91], v[88:89], v[80:81]
	v_add_f64_e64 v[74:75], v[74:75], -v[90:91]
	scratch_store_b64 off, v[74:75], off offset:216
	s_wait_xcnt 0x0
	v_cmpx_lt_u32_e32 26, v0
	s_cbranch_execz .LBB34_167
; %bb.166:
	scratch_load_b64 v[74:75], off, off offset:208
	v_mov_b64_e32 v[76:77], 0
	scratch_store_b64 off, v[76:77], off offset:208
	s_wait_loadcnt 0x0
	ds_store_b64 v1, v[74:75]
.LBB34_167:
	s_wait_xcnt 0x0
	s_or_b32 exec_lo, exec_lo, s0
	s_wait_storecnt_dscnt 0x0
	s_barrier_signal -1
	s_barrier_wait -1
	s_clause 0x4
	scratch_load_b128 v[74:77], off, off offset:208
	scratch_load_b128 v[78:81], off, off offset:224
	scratch_load_b128 v[82:85], off, off offset:240
	scratch_load_b128 v[86:89], off, off offset:256
	scratch_load_b64 v[98:99], off, off offset:272
	ds_load_2addr_b64 v[90:93], v2 offset0:63 offset1:64
	ds_load_2addr_b64 v[94:97], v2 offset0:65 offset1:66
	s_mov_b32 s0, exec_lo
	s_wait_loadcnt_dscnt 0x401
	v_fma_f64 v[90:91], v[76:77], v[90:91], 0
	s_wait_loadcnt 0x3
	s_delay_alu instid0(VALU_DEP_1) | instskip(SKIP_1) | instid1(VALU_DEP_1)
	v_fmac_f64_e32 v[90:91], v[78:79], v[92:93]
	s_wait_dscnt 0x0
	v_fmac_f64_e32 v[90:91], v[80:81], v[94:95]
	s_wait_loadcnt 0x2
	s_delay_alu instid0(VALU_DEP_1)
	v_fmac_f64_e32 v[90:91], v[82:83], v[96:97]
	ds_load_2addr_b64 v[76:79], v2 offset0:67 offset1:68
	ds_load_2addr_b64 v[80:83], v2 offset0:69 offset1:70
	s_wait_dscnt 0x1
	v_fmac_f64_e32 v[90:91], v[84:85], v[76:77]
	s_wait_loadcnt 0x1
	s_delay_alu instid0(VALU_DEP_1) | instskip(SKIP_1) | instid1(VALU_DEP_1)
	v_fmac_f64_e32 v[90:91], v[86:87], v[78:79]
	s_wait_dscnt 0x0
	v_fmac_f64_e32 v[90:91], v[88:89], v[80:81]
	s_wait_loadcnt 0x0
	s_delay_alu instid0(VALU_DEP_1) | instskip(NEXT) | instid1(VALU_DEP_1)
	v_fmac_f64_e32 v[90:91], v[98:99], v[82:83]
	v_add_f64_e64 v[2:3], v[74:75], -v[90:91]
	scratch_store_b64 off, v[2:3], off offset:208
	s_wait_xcnt 0x0
	v_cmpx_lt_u32_e32 25, v0
	s_cbranch_execz .LBB34_169
; %bb.168:
	scratch_load_b64 v[2:3], off, off offset:200
	v_mov_b64_e32 v[74:75], 0
	scratch_store_b64 off, v[74:75], off offset:200
	s_wait_loadcnt 0x0
	ds_store_b64 v1, v[2:3]
.LBB34_169:
	s_wait_xcnt 0x0
	s_or_b32 exec_lo, exec_lo, s0
	s_wait_storecnt_dscnt 0x0
	s_barrier_signal -1
	s_barrier_wait -1
	s_clause 0x4
	scratch_load_b128 v[74:77], off, off offset:200
	scratch_load_b128 v[78:81], off, off offset:216
	;; [unrolled: 1-line block ×5, first 2 shown]
	v_mov_b32_e32 v2, 0
	ds_load_b128 v[94:97], v2 offset:496
	ds_load_b128 v[98:101], v2 offset:512
	s_mov_b32 s0, exec_lo
	s_wait_loadcnt_dscnt 0x401
	v_fma_f64 v[94:95], v[76:77], v[94:95], 0
	s_wait_loadcnt 0x3
	s_delay_alu instid0(VALU_DEP_1) | instskip(SKIP_1) | instid1(VALU_DEP_1)
	v_fmac_f64_e32 v[94:95], v[78:79], v[96:97]
	s_wait_dscnt 0x0
	v_fmac_f64_e32 v[94:95], v[80:81], v[98:99]
	s_wait_loadcnt 0x2
	s_delay_alu instid0(VALU_DEP_1)
	v_fmac_f64_e32 v[94:95], v[82:83], v[100:101]
	ds_load_b128 v[76:79], v2 offset:528
	ds_load_b128 v[80:83], v2 offset:544
	s_wait_dscnt 0x1
	v_fmac_f64_e32 v[94:95], v[84:85], v[76:77]
	ds_load_b64 v[76:77], v2 offset:560
	s_wait_loadcnt 0x1
	v_fmac_f64_e32 v[94:95], v[86:87], v[78:79]
	s_wait_dscnt 0x1
	s_delay_alu instid0(VALU_DEP_1) | instskip(SKIP_1) | instid1(VALU_DEP_1)
	v_fmac_f64_e32 v[94:95], v[88:89], v[80:81]
	s_wait_loadcnt 0x0
	v_fmac_f64_e32 v[94:95], v[90:91], v[82:83]
	s_wait_dscnt 0x0
	s_delay_alu instid0(VALU_DEP_1) | instskip(NEXT) | instid1(VALU_DEP_1)
	v_fmac_f64_e32 v[94:95], v[92:93], v[76:77]
	v_add_f64_e64 v[74:75], v[74:75], -v[94:95]
	scratch_store_b64 off, v[74:75], off offset:200
	s_wait_xcnt 0x0
	v_cmpx_lt_u32_e32 24, v0
	s_cbranch_execz .LBB34_171
; %bb.170:
	scratch_load_b64 v[74:75], off, off offset:192
	v_mov_b64_e32 v[76:77], 0
	scratch_store_b64 off, v[76:77], off offset:192
	s_wait_loadcnt 0x0
	ds_store_b64 v1, v[74:75]
.LBB34_171:
	s_wait_xcnt 0x0
	s_or_b32 exec_lo, exec_lo, s0
	s_wait_storecnt_dscnt 0x0
	s_barrier_signal -1
	s_barrier_wait -1
	s_clause 0x5
	scratch_load_b128 v[74:77], off, off offset:192
	scratch_load_b128 v[78:81], off, off offset:208
	;; [unrolled: 1-line block ×5, first 2 shown]
	scratch_load_b64 v[102:103], off, off offset:272
	ds_load_2addr_b64 v[94:97], v2 offset0:61 offset1:62
	ds_load_2addr_b64 v[98:101], v2 offset0:63 offset1:64
	s_mov_b32 s0, exec_lo
	s_wait_loadcnt_dscnt 0x501
	v_fma_f64 v[94:95], v[76:77], v[94:95], 0
	s_wait_loadcnt 0x4
	s_delay_alu instid0(VALU_DEP_1) | instskip(SKIP_1) | instid1(VALU_DEP_1)
	v_fmac_f64_e32 v[94:95], v[78:79], v[96:97]
	s_wait_dscnt 0x0
	v_fmac_f64_e32 v[94:95], v[80:81], v[98:99]
	s_wait_loadcnt 0x3
	s_delay_alu instid0(VALU_DEP_1)
	v_fmac_f64_e32 v[94:95], v[82:83], v[100:101]
	ds_load_2addr_b64 v[76:79], v2 offset0:65 offset1:66
	ds_load_2addr_b64 v[80:83], v2 offset0:67 offset1:68
	s_wait_dscnt 0x1
	v_fmac_f64_e32 v[94:95], v[84:85], v[76:77]
	s_wait_loadcnt 0x2
	s_delay_alu instid0(VALU_DEP_1) | instskip(SKIP_4) | instid1(VALU_DEP_1)
	v_fmac_f64_e32 v[94:95], v[86:87], v[78:79]
	ds_load_2addr_b64 v[76:79], v2 offset0:69 offset1:70
	s_wait_dscnt 0x1
	v_fmac_f64_e32 v[94:95], v[88:89], v[80:81]
	s_wait_loadcnt 0x1
	v_fmac_f64_e32 v[94:95], v[90:91], v[82:83]
	s_wait_dscnt 0x0
	s_delay_alu instid0(VALU_DEP_1) | instskip(SKIP_1) | instid1(VALU_DEP_1)
	v_fmac_f64_e32 v[94:95], v[92:93], v[76:77]
	s_wait_loadcnt 0x0
	v_fmac_f64_e32 v[94:95], v[102:103], v[78:79]
	s_delay_alu instid0(VALU_DEP_1)
	v_add_f64_e64 v[2:3], v[74:75], -v[94:95]
	scratch_store_b64 off, v[2:3], off offset:192
	s_wait_xcnt 0x0
	v_cmpx_lt_u32_e32 23, v0
	s_cbranch_execz .LBB34_173
; %bb.172:
	scratch_load_b64 v[2:3], off, off offset:184
	v_mov_b64_e32 v[74:75], 0
	scratch_store_b64 off, v[74:75], off offset:184
	s_wait_loadcnt 0x0
	ds_store_b64 v1, v[2:3]
.LBB34_173:
	s_wait_xcnt 0x0
	s_or_b32 exec_lo, exec_lo, s0
	s_wait_storecnt_dscnt 0x0
	s_barrier_signal -1
	s_barrier_wait -1
	s_clause 0x5
	scratch_load_b128 v[74:77], off, off offset:184
	scratch_load_b128 v[78:81], off, off offset:200
	;; [unrolled: 1-line block ×6, first 2 shown]
	v_mov_b32_e32 v2, 0
	ds_load_b128 v[98:101], v2 offset:480
	ds_load_b128 v[102:105], v2 offset:496
	s_mov_b32 s0, exec_lo
	s_wait_loadcnt_dscnt 0x501
	v_fma_f64 v[98:99], v[76:77], v[98:99], 0
	s_wait_loadcnt 0x4
	s_delay_alu instid0(VALU_DEP_1) | instskip(SKIP_1) | instid1(VALU_DEP_1)
	v_fmac_f64_e32 v[98:99], v[78:79], v[100:101]
	s_wait_dscnt 0x0
	v_fmac_f64_e32 v[98:99], v[80:81], v[102:103]
	s_wait_loadcnt 0x3
	s_delay_alu instid0(VALU_DEP_1)
	v_fmac_f64_e32 v[98:99], v[82:83], v[104:105]
	ds_load_b128 v[76:79], v2 offset:512
	ds_load_b128 v[80:83], v2 offset:528
	s_wait_dscnt 0x1
	v_fmac_f64_e32 v[98:99], v[84:85], v[76:77]
	s_wait_loadcnt 0x2
	s_delay_alu instid0(VALU_DEP_1) | instskip(SKIP_1) | instid1(VALU_DEP_1)
	v_fmac_f64_e32 v[98:99], v[86:87], v[78:79]
	s_wait_dscnt 0x0
	v_fmac_f64_e32 v[98:99], v[88:89], v[80:81]
	ds_load_b128 v[76:79], v2 offset:544
	ds_load_b64 v[80:81], v2 offset:560
	s_wait_loadcnt 0x1
	v_fmac_f64_e32 v[98:99], v[90:91], v[82:83]
	s_wait_dscnt 0x1
	s_delay_alu instid0(VALU_DEP_1) | instskip(SKIP_1) | instid1(VALU_DEP_1)
	v_fmac_f64_e32 v[98:99], v[92:93], v[76:77]
	s_wait_loadcnt 0x0
	v_fmac_f64_e32 v[98:99], v[94:95], v[78:79]
	s_wait_dscnt 0x0
	s_delay_alu instid0(VALU_DEP_1) | instskip(NEXT) | instid1(VALU_DEP_1)
	v_fmac_f64_e32 v[98:99], v[96:97], v[80:81]
	v_add_f64_e64 v[74:75], v[74:75], -v[98:99]
	scratch_store_b64 off, v[74:75], off offset:184
	s_wait_xcnt 0x0
	v_cmpx_lt_u32_e32 22, v0
	s_cbranch_execz .LBB34_175
; %bb.174:
	scratch_load_b64 v[74:75], off, off offset:176
	v_mov_b64_e32 v[76:77], 0
	scratch_store_b64 off, v[76:77], off offset:176
	s_wait_loadcnt 0x0
	ds_store_b64 v1, v[74:75]
.LBB34_175:
	s_wait_xcnt 0x0
	s_or_b32 exec_lo, exec_lo, s0
	s_wait_storecnt_dscnt 0x0
	s_barrier_signal -1
	s_barrier_wait -1
	s_clause 0x5
	scratch_load_b128 v[74:77], off, off offset:176
	scratch_load_b128 v[78:81], off, off offset:192
	;; [unrolled: 1-line block ×6, first 2 shown]
	ds_load_2addr_b64 v[98:101], v2 offset0:59 offset1:60
	ds_load_2addr_b64 v[102:105], v2 offset0:61 offset1:62
	s_mov_b32 s0, exec_lo
	s_wait_loadcnt_dscnt 0x501
	v_fma_f64 v[98:99], v[76:77], v[98:99], 0
	s_wait_loadcnt 0x4
	s_delay_alu instid0(VALU_DEP_1) | instskip(SKIP_4) | instid1(VALU_DEP_1)
	v_fmac_f64_e32 v[98:99], v[78:79], v[100:101]
	scratch_load_b64 v[100:101], off, off offset:272
	s_wait_dscnt 0x0
	v_fmac_f64_e32 v[98:99], v[80:81], v[102:103]
	s_wait_loadcnt 0x4
	v_fmac_f64_e32 v[98:99], v[82:83], v[104:105]
	ds_load_2addr_b64 v[76:79], v2 offset0:63 offset1:64
	ds_load_2addr_b64 v[80:83], v2 offset0:65 offset1:66
	s_wait_dscnt 0x1
	v_fmac_f64_e32 v[98:99], v[84:85], v[76:77]
	s_wait_loadcnt 0x3
	s_delay_alu instid0(VALU_DEP_1) | instskip(SKIP_1) | instid1(VALU_DEP_1)
	v_fmac_f64_e32 v[98:99], v[86:87], v[78:79]
	s_wait_dscnt 0x0
	v_fmac_f64_e32 v[98:99], v[88:89], v[80:81]
	s_wait_loadcnt 0x2
	s_delay_alu instid0(VALU_DEP_1)
	v_fmac_f64_e32 v[98:99], v[90:91], v[82:83]
	ds_load_2addr_b64 v[76:79], v2 offset0:67 offset1:68
	ds_load_2addr_b64 v[80:83], v2 offset0:69 offset1:70
	s_wait_dscnt 0x1
	v_fmac_f64_e32 v[98:99], v[92:93], v[76:77]
	s_wait_loadcnt 0x1
	s_delay_alu instid0(VALU_DEP_1) | instskip(SKIP_1) | instid1(VALU_DEP_1)
	v_fmac_f64_e32 v[98:99], v[94:95], v[78:79]
	s_wait_dscnt 0x0
	v_fmac_f64_e32 v[98:99], v[96:97], v[80:81]
	s_wait_loadcnt 0x0
	s_delay_alu instid0(VALU_DEP_1) | instskip(NEXT) | instid1(VALU_DEP_1)
	v_fmac_f64_e32 v[98:99], v[100:101], v[82:83]
	v_add_f64_e64 v[2:3], v[74:75], -v[98:99]
	scratch_store_b64 off, v[2:3], off offset:176
	s_wait_xcnt 0x0
	v_cmpx_lt_u32_e32 21, v0
	s_cbranch_execz .LBB34_177
; %bb.176:
	scratch_load_b64 v[2:3], off, off offset:168
	v_mov_b64_e32 v[74:75], 0
	scratch_store_b64 off, v[74:75], off offset:168
	s_wait_loadcnt 0x0
	ds_store_b64 v1, v[2:3]
.LBB34_177:
	s_wait_xcnt 0x0
	s_or_b32 exec_lo, exec_lo, s0
	s_wait_storecnt_dscnt 0x0
	s_barrier_signal -1
	s_barrier_wait -1
	s_clause 0x5
	scratch_load_b128 v[74:77], off, off offset:168
	scratch_load_b128 v[78:81], off, off offset:184
	;; [unrolled: 1-line block ×6, first 2 shown]
	v_mov_b32_e32 v2, 0
	ds_load_b128 v[98:101], v2 offset:464
	ds_load_b128 v[102:105], v2 offset:480
	s_mov_b32 s0, exec_lo
	s_wait_loadcnt_dscnt 0x501
	v_fma_f64 v[106:107], v[76:77], v[98:99], 0
	s_wait_loadcnt 0x4
	s_delay_alu instid0(VALU_DEP_1) | instskip(SKIP_4) | instid1(VALU_DEP_1)
	v_fmac_f64_e32 v[106:107], v[78:79], v[100:101]
	scratch_load_b128 v[76:79], off, off offset:264
	s_wait_dscnt 0x0
	v_fmac_f64_e32 v[106:107], v[80:81], v[102:103]
	s_wait_loadcnt 0x4
	v_fmac_f64_e32 v[106:107], v[82:83], v[104:105]
	ds_load_b128 v[80:83], v2 offset:496
	ds_load_b128 v[98:101], v2 offset:512
	s_wait_dscnt 0x1
	v_fmac_f64_e32 v[106:107], v[84:85], v[80:81]
	s_wait_loadcnt 0x3
	s_delay_alu instid0(VALU_DEP_1)
	v_fmac_f64_e32 v[106:107], v[86:87], v[82:83]
	ds_load_b128 v[80:83], v2 offset:528
	ds_load_b128 v[84:87], v2 offset:544
	s_wait_dscnt 0x2
	v_fmac_f64_e32 v[106:107], v[88:89], v[98:99]
	s_wait_loadcnt 0x2
	s_delay_alu instid0(VALU_DEP_1) | instskip(SKIP_1) | instid1(VALU_DEP_1)
	v_fmac_f64_e32 v[106:107], v[90:91], v[100:101]
	s_wait_dscnt 0x1
	v_fmac_f64_e32 v[106:107], v[92:93], v[80:81]
	s_wait_loadcnt 0x1
	s_delay_alu instid0(VALU_DEP_1) | instskip(SKIP_1) | instid1(VALU_DEP_1)
	v_fmac_f64_e32 v[106:107], v[94:95], v[82:83]
	s_wait_dscnt 0x0
	v_fmac_f64_e32 v[106:107], v[96:97], v[84:85]
	s_wait_loadcnt 0x0
	s_delay_alu instid0(VALU_DEP_1) | instskip(SKIP_3) | instid1(VALU_DEP_1)
	v_fmac_f64_e32 v[106:107], v[76:77], v[86:87]
	ds_load_b64 v[76:77], v2 offset:560
	s_wait_dscnt 0x0
	v_fmac_f64_e32 v[106:107], v[78:79], v[76:77]
	v_add_f64_e64 v[74:75], v[74:75], -v[106:107]
	scratch_store_b64 off, v[74:75], off offset:168
	s_wait_xcnt 0x0
	v_cmpx_lt_u32_e32 20, v0
	s_cbranch_execz .LBB34_179
; %bb.178:
	scratch_load_b64 v[74:75], off, off offset:160
	v_mov_b64_e32 v[76:77], 0
	scratch_store_b64 off, v[76:77], off offset:160
	s_wait_loadcnt 0x0
	ds_store_b64 v1, v[74:75]
.LBB34_179:
	s_wait_xcnt 0x0
	s_or_b32 exec_lo, exec_lo, s0
	s_wait_storecnt_dscnt 0x0
	s_barrier_signal -1
	s_barrier_wait -1
	s_clause 0x5
	scratch_load_b128 v[74:77], off, off offset:160
	scratch_load_b128 v[78:81], off, off offset:176
	;; [unrolled: 1-line block ×6, first 2 shown]
	ds_load_2addr_b64 v[98:101], v2 offset0:57 offset1:58
	ds_load_2addr_b64 v[102:105], v2 offset0:59 offset1:60
	s_mov_b32 s0, exec_lo
	s_wait_loadcnt_dscnt 0x501
	v_fma_f64 v[106:107], v[76:77], v[98:99], 0
	s_wait_loadcnt 0x4
	s_delay_alu instid0(VALU_DEP_1)
	v_fmac_f64_e32 v[106:107], v[78:79], v[100:101]
	scratch_load_b128 v[76:79], off, off offset:256
	s_wait_dscnt 0x0
	v_fmac_f64_e32 v[106:107], v[80:81], v[102:103]
	scratch_load_b64 v[102:103], off, off offset:272
	s_wait_loadcnt 0x5
	v_fmac_f64_e32 v[106:107], v[82:83], v[104:105]
	ds_load_2addr_b64 v[80:83], v2 offset0:61 offset1:62
	ds_load_2addr_b64 v[98:101], v2 offset0:63 offset1:64
	s_wait_dscnt 0x1
	v_fmac_f64_e32 v[106:107], v[84:85], v[80:81]
	s_wait_loadcnt 0x4
	s_delay_alu instid0(VALU_DEP_1)
	v_fmac_f64_e32 v[106:107], v[86:87], v[82:83]
	ds_load_2addr_b64 v[80:83], v2 offset0:65 offset1:66
	ds_load_2addr_b64 v[84:87], v2 offset0:67 offset1:68
	s_wait_dscnt 0x2
	v_fmac_f64_e32 v[106:107], v[88:89], v[98:99]
	s_wait_loadcnt 0x3
	s_delay_alu instid0(VALU_DEP_1) | instskip(SKIP_1) | instid1(VALU_DEP_1)
	v_fmac_f64_e32 v[106:107], v[90:91], v[100:101]
	s_wait_dscnt 0x1
	v_fmac_f64_e32 v[106:107], v[92:93], v[80:81]
	s_wait_loadcnt 0x2
	s_delay_alu instid0(VALU_DEP_1) | instskip(SKIP_4) | instid1(VALU_DEP_1)
	v_fmac_f64_e32 v[106:107], v[94:95], v[82:83]
	ds_load_2addr_b64 v[80:83], v2 offset0:69 offset1:70
	s_wait_dscnt 0x1
	v_fmac_f64_e32 v[106:107], v[96:97], v[84:85]
	s_wait_loadcnt 0x1
	v_fmac_f64_e32 v[106:107], v[76:77], v[86:87]
	s_wait_dscnt 0x0
	s_delay_alu instid0(VALU_DEP_1) | instskip(SKIP_1) | instid1(VALU_DEP_1)
	v_fmac_f64_e32 v[106:107], v[78:79], v[80:81]
	s_wait_loadcnt 0x0
	v_fmac_f64_e32 v[106:107], v[102:103], v[82:83]
	s_delay_alu instid0(VALU_DEP_1)
	v_add_f64_e64 v[2:3], v[74:75], -v[106:107]
	scratch_store_b64 off, v[2:3], off offset:160
	s_wait_xcnt 0x0
	v_cmpx_lt_u32_e32 19, v0
	s_cbranch_execz .LBB34_181
; %bb.180:
	scratch_load_b64 v[2:3], off, off offset:152
	v_mov_b64_e32 v[74:75], 0
	scratch_store_b64 off, v[74:75], off offset:152
	s_wait_loadcnt 0x0
	ds_store_b64 v1, v[2:3]
.LBB34_181:
	s_wait_xcnt 0x0
	s_or_b32 exec_lo, exec_lo, s0
	s_wait_storecnt_dscnt 0x0
	s_barrier_signal -1
	s_barrier_wait -1
	s_clause 0x5
	scratch_load_b128 v[74:77], off, off offset:152
	scratch_load_b128 v[78:81], off, off offset:168
	scratch_load_b128 v[82:85], off, off offset:184
	scratch_load_b128 v[86:89], off, off offset:200
	scratch_load_b128 v[90:93], off, off offset:216
	scratch_load_b128 v[94:97], off, off offset:232
	v_mov_b32_e32 v2, 0
	ds_load_b128 v[98:101], v2 offset:448
	ds_load_b128 v[102:105], v2 offset:464
	s_mov_b32 s0, exec_lo
	s_wait_loadcnt_dscnt 0x501
	v_fma_f64 v[106:107], v[76:77], v[98:99], 0
	s_wait_loadcnt 0x4
	s_delay_alu instid0(VALU_DEP_1) | instskip(SKIP_4) | instid1(VALU_DEP_1)
	v_fmac_f64_e32 v[106:107], v[78:79], v[100:101]
	scratch_load_b128 v[76:79], off, off offset:248
	s_wait_dscnt 0x0
	v_fmac_f64_e32 v[106:107], v[80:81], v[102:103]
	s_wait_loadcnt 0x4
	v_fmac_f64_e32 v[106:107], v[82:83], v[104:105]
	scratch_load_b128 v[80:83], off, off offset:264
	ds_load_b128 v[98:101], v2 offset:480
	ds_load_b128 v[102:105], v2 offset:496
	s_wait_dscnt 0x1
	v_fmac_f64_e32 v[106:107], v[84:85], v[98:99]
	s_wait_loadcnt 0x4
	s_delay_alu instid0(VALU_DEP_1) | instskip(SKIP_1) | instid1(VALU_DEP_1)
	v_fmac_f64_e32 v[106:107], v[86:87], v[100:101]
	s_wait_dscnt 0x0
	v_fmac_f64_e32 v[106:107], v[88:89], v[102:103]
	s_wait_loadcnt 0x3
	s_delay_alu instid0(VALU_DEP_1)
	v_fmac_f64_e32 v[106:107], v[90:91], v[104:105]
	ds_load_b128 v[84:87], v2 offset:512
	ds_load_b128 v[88:91], v2 offset:528
	s_wait_dscnt 0x1
	v_fmac_f64_e32 v[106:107], v[92:93], v[84:85]
	s_wait_loadcnt 0x2
	s_delay_alu instid0(VALU_DEP_1) | instskip(SKIP_1) | instid1(VALU_DEP_1)
	v_fmac_f64_e32 v[106:107], v[94:95], v[86:87]
	s_wait_dscnt 0x0
	v_fmac_f64_e32 v[106:107], v[96:97], v[88:89]
	s_wait_loadcnt 0x1
	s_delay_alu instid0(VALU_DEP_1)
	v_fmac_f64_e32 v[106:107], v[76:77], v[90:91]
	ds_load_b128 v[84:87], v2 offset:544
	ds_load_b64 v[76:77], v2 offset:560
	s_wait_dscnt 0x1
	v_fmac_f64_e32 v[106:107], v[78:79], v[84:85]
	s_wait_loadcnt 0x0
	s_delay_alu instid0(VALU_DEP_1) | instskip(SKIP_1) | instid1(VALU_DEP_1)
	v_fmac_f64_e32 v[106:107], v[80:81], v[86:87]
	s_wait_dscnt 0x0
	v_fmac_f64_e32 v[106:107], v[82:83], v[76:77]
	s_delay_alu instid0(VALU_DEP_1)
	v_add_f64_e64 v[74:75], v[74:75], -v[106:107]
	scratch_store_b64 off, v[74:75], off offset:152
	s_wait_xcnt 0x0
	v_cmpx_lt_u32_e32 18, v0
	s_cbranch_execz .LBB34_183
; %bb.182:
	scratch_load_b64 v[74:75], off, off offset:144
	v_mov_b64_e32 v[76:77], 0
	scratch_store_b64 off, v[76:77], off offset:144
	s_wait_loadcnt 0x0
	ds_store_b64 v1, v[74:75]
.LBB34_183:
	s_wait_xcnt 0x0
	s_or_b32 exec_lo, exec_lo, s0
	s_wait_storecnt_dscnt 0x0
	s_barrier_signal -1
	s_barrier_wait -1
	s_clause 0x5
	scratch_load_b128 v[74:77], off, off offset:144
	scratch_load_b128 v[78:81], off, off offset:160
	;; [unrolled: 1-line block ×6, first 2 shown]
	ds_load_2addr_b64 v[98:101], v2 offset0:55 offset1:56
	ds_load_2addr_b64 v[102:105], v2 offset0:57 offset1:58
	s_mov_b32 s0, exec_lo
	s_wait_loadcnt_dscnt 0x501
	v_fma_f64 v[106:107], v[76:77], v[98:99], 0
	s_wait_loadcnt 0x4
	s_delay_alu instid0(VALU_DEP_1) | instskip(SKIP_4) | instid1(VALU_DEP_1)
	v_fmac_f64_e32 v[106:107], v[78:79], v[100:101]
	scratch_load_b128 v[76:79], off, off offset:240
	s_wait_dscnt 0x0
	v_fmac_f64_e32 v[106:107], v[80:81], v[102:103]
	s_wait_loadcnt 0x4
	v_fmac_f64_e32 v[106:107], v[82:83], v[104:105]
	scratch_load_b128 v[80:83], off, off offset:256
	ds_load_2addr_b64 v[98:101], v2 offset0:59 offset1:60
	ds_load_2addr_b64 v[102:105], v2 offset0:61 offset1:62
	s_wait_dscnt 0x1
	v_fmac_f64_e32 v[106:107], v[84:85], v[98:99]
	scratch_load_b64 v[98:99], off, off offset:272
	s_wait_loadcnt 0x5
	v_fmac_f64_e32 v[106:107], v[86:87], v[100:101]
	s_wait_dscnt 0x0
	s_delay_alu instid0(VALU_DEP_1) | instskip(SKIP_1) | instid1(VALU_DEP_1)
	v_fmac_f64_e32 v[106:107], v[88:89], v[102:103]
	s_wait_loadcnt 0x4
	v_fmac_f64_e32 v[106:107], v[90:91], v[104:105]
	ds_load_2addr_b64 v[84:87], v2 offset0:63 offset1:64
	ds_load_2addr_b64 v[88:91], v2 offset0:65 offset1:66
	s_wait_dscnt 0x1
	v_fmac_f64_e32 v[106:107], v[92:93], v[84:85]
	s_wait_loadcnt 0x3
	s_delay_alu instid0(VALU_DEP_1) | instskip(SKIP_1) | instid1(VALU_DEP_1)
	v_fmac_f64_e32 v[106:107], v[94:95], v[86:87]
	s_wait_dscnt 0x0
	v_fmac_f64_e32 v[106:107], v[96:97], v[88:89]
	s_wait_loadcnt 0x2
	s_delay_alu instid0(VALU_DEP_1)
	v_fmac_f64_e32 v[106:107], v[76:77], v[90:91]
	ds_load_2addr_b64 v[84:87], v2 offset0:67 offset1:68
	ds_load_2addr_b64 v[88:91], v2 offset0:69 offset1:70
	s_wait_dscnt 0x1
	v_fmac_f64_e32 v[106:107], v[78:79], v[84:85]
	s_wait_loadcnt 0x1
	s_delay_alu instid0(VALU_DEP_1) | instskip(SKIP_1) | instid1(VALU_DEP_1)
	v_fmac_f64_e32 v[106:107], v[80:81], v[86:87]
	s_wait_dscnt 0x0
	v_fmac_f64_e32 v[106:107], v[82:83], v[88:89]
	s_wait_loadcnt 0x0
	s_delay_alu instid0(VALU_DEP_1) | instskip(NEXT) | instid1(VALU_DEP_1)
	v_fmac_f64_e32 v[106:107], v[98:99], v[90:91]
	v_add_f64_e64 v[2:3], v[74:75], -v[106:107]
	scratch_store_b64 off, v[2:3], off offset:144
	s_wait_xcnt 0x0
	v_cmpx_lt_u32_e32 17, v0
	s_cbranch_execz .LBB34_185
; %bb.184:
	scratch_load_b64 v[2:3], off, off offset:136
	v_mov_b64_e32 v[74:75], 0
	scratch_store_b64 off, v[74:75], off offset:136
	s_wait_loadcnt 0x0
	ds_store_b64 v1, v[2:3]
.LBB34_185:
	s_wait_xcnt 0x0
	s_or_b32 exec_lo, exec_lo, s0
	s_wait_storecnt_dscnt 0x0
	s_barrier_signal -1
	s_barrier_wait -1
	s_clause 0x5
	scratch_load_b128 v[74:77], off, off offset:136
	scratch_load_b128 v[78:81], off, off offset:152
	;; [unrolled: 1-line block ×6, first 2 shown]
	v_mov_b32_e32 v2, 0
	ds_load_b128 v[98:101], v2 offset:432
	ds_load_b128 v[102:105], v2 offset:448
	s_mov_b32 s0, exec_lo
	s_wait_loadcnt_dscnt 0x501
	v_fma_f64 v[106:107], v[76:77], v[98:99], 0
	s_wait_loadcnt 0x4
	s_delay_alu instid0(VALU_DEP_1) | instskip(SKIP_4) | instid1(VALU_DEP_1)
	v_fmac_f64_e32 v[106:107], v[78:79], v[100:101]
	scratch_load_b128 v[76:79], off, off offset:232
	s_wait_dscnt 0x0
	v_fmac_f64_e32 v[106:107], v[80:81], v[102:103]
	s_wait_loadcnt 0x4
	v_fmac_f64_e32 v[106:107], v[82:83], v[104:105]
	scratch_load_b128 v[80:83], off, off offset:248
	ds_load_b128 v[98:101], v2 offset:464
	ds_load_b128 v[102:105], v2 offset:480
	s_wait_dscnt 0x1
	v_fmac_f64_e32 v[106:107], v[84:85], v[98:99]
	s_wait_loadcnt 0x4
	s_delay_alu instid0(VALU_DEP_1) | instskip(SKIP_4) | instid1(VALU_DEP_1)
	v_fmac_f64_e32 v[106:107], v[86:87], v[100:101]
	scratch_load_b128 v[84:87], off, off offset:264
	s_wait_dscnt 0x0
	v_fmac_f64_e32 v[106:107], v[88:89], v[102:103]
	s_wait_loadcnt 0x4
	v_fmac_f64_e32 v[106:107], v[90:91], v[104:105]
	ds_load_b128 v[88:91], v2 offset:496
	ds_load_b128 v[98:101], v2 offset:512
	s_wait_dscnt 0x1
	v_fmac_f64_e32 v[106:107], v[92:93], v[88:89]
	s_wait_loadcnt 0x3
	s_delay_alu instid0(VALU_DEP_1)
	v_fmac_f64_e32 v[106:107], v[94:95], v[90:91]
	ds_load_b128 v[88:91], v2 offset:528
	ds_load_b128 v[92:95], v2 offset:544
	s_wait_dscnt 0x2
	v_fmac_f64_e32 v[106:107], v[96:97], v[98:99]
	s_wait_loadcnt 0x2
	s_delay_alu instid0(VALU_DEP_1) | instskip(SKIP_4) | instid1(VALU_DEP_1)
	v_fmac_f64_e32 v[106:107], v[76:77], v[100:101]
	ds_load_b64 v[76:77], v2 offset:560
	s_wait_dscnt 0x2
	v_fmac_f64_e32 v[106:107], v[78:79], v[88:89]
	s_wait_loadcnt 0x1
	v_fmac_f64_e32 v[106:107], v[80:81], v[90:91]
	s_wait_dscnt 0x1
	s_delay_alu instid0(VALU_DEP_1) | instskip(SKIP_1) | instid1(VALU_DEP_1)
	v_fmac_f64_e32 v[106:107], v[82:83], v[92:93]
	s_wait_loadcnt 0x0
	v_fmac_f64_e32 v[106:107], v[84:85], v[94:95]
	s_wait_dscnt 0x0
	s_delay_alu instid0(VALU_DEP_1) | instskip(NEXT) | instid1(VALU_DEP_1)
	v_fmac_f64_e32 v[106:107], v[86:87], v[76:77]
	v_add_f64_e64 v[74:75], v[74:75], -v[106:107]
	scratch_store_b64 off, v[74:75], off offset:136
	s_wait_xcnt 0x0
	v_cmpx_lt_u32_e32 16, v0
	s_cbranch_execz .LBB34_187
; %bb.186:
	scratch_load_b64 v[74:75], off, off offset:128
	v_mov_b64_e32 v[76:77], 0
	scratch_store_b64 off, v[76:77], off offset:128
	s_wait_loadcnt 0x0
	ds_store_b64 v1, v[74:75]
.LBB34_187:
	s_wait_xcnt 0x0
	s_or_b32 exec_lo, exec_lo, s0
	s_wait_storecnt_dscnt 0x0
	s_barrier_signal -1
	s_barrier_wait -1
	s_clause 0x5
	scratch_load_b128 v[74:77], off, off offset:128
	scratch_load_b128 v[78:81], off, off offset:144
	;; [unrolled: 1-line block ×6, first 2 shown]
	ds_load_2addr_b64 v[98:101], v2 offset0:53 offset1:54
	ds_load_2addr_b64 v[102:105], v2 offset0:55 offset1:56
	s_mov_b32 s0, exec_lo
	s_wait_loadcnt_dscnt 0x501
	v_fma_f64 v[106:107], v[76:77], v[98:99], 0
	s_wait_loadcnt 0x4
	s_delay_alu instid0(VALU_DEP_1) | instskip(SKIP_4) | instid1(VALU_DEP_1)
	v_fmac_f64_e32 v[106:107], v[78:79], v[100:101]
	scratch_load_b128 v[76:79], off, off offset:224
	s_wait_dscnt 0x0
	v_fmac_f64_e32 v[106:107], v[80:81], v[102:103]
	s_wait_loadcnt 0x4
	v_fmac_f64_e32 v[106:107], v[82:83], v[104:105]
	scratch_load_b128 v[80:83], off, off offset:240
	ds_load_2addr_b64 v[98:101], v2 offset0:57 offset1:58
	ds_load_2addr_b64 v[102:105], v2 offset0:59 offset1:60
	s_wait_dscnt 0x1
	v_fmac_f64_e32 v[106:107], v[84:85], v[98:99]
	s_wait_loadcnt 0x4
	s_delay_alu instid0(VALU_DEP_1)
	v_fmac_f64_e32 v[106:107], v[86:87], v[100:101]
	scratch_load_b128 v[84:87], off, off offset:256
	s_wait_dscnt 0x0
	v_fmac_f64_e32 v[106:107], v[88:89], v[102:103]
	scratch_load_b64 v[102:103], off, off offset:272
	s_wait_loadcnt 0x5
	v_fmac_f64_e32 v[106:107], v[90:91], v[104:105]
	ds_load_2addr_b64 v[88:91], v2 offset0:61 offset1:62
	ds_load_2addr_b64 v[98:101], v2 offset0:63 offset1:64
	s_wait_dscnt 0x1
	v_fmac_f64_e32 v[106:107], v[92:93], v[88:89]
	s_wait_loadcnt 0x4
	s_delay_alu instid0(VALU_DEP_1)
	v_fmac_f64_e32 v[106:107], v[94:95], v[90:91]
	ds_load_2addr_b64 v[88:91], v2 offset0:65 offset1:66
	ds_load_2addr_b64 v[92:95], v2 offset0:67 offset1:68
	s_wait_dscnt 0x2
	v_fmac_f64_e32 v[106:107], v[96:97], v[98:99]
	s_wait_loadcnt 0x3
	s_delay_alu instid0(VALU_DEP_1) | instskip(SKIP_1) | instid1(VALU_DEP_1)
	v_fmac_f64_e32 v[106:107], v[76:77], v[100:101]
	s_wait_dscnt 0x1
	v_fmac_f64_e32 v[106:107], v[78:79], v[88:89]
	ds_load_2addr_b64 v[76:79], v2 offset0:69 offset1:70
	s_wait_loadcnt 0x2
	v_fmac_f64_e32 v[106:107], v[80:81], v[90:91]
	s_wait_dscnt 0x1
	s_delay_alu instid0(VALU_DEP_1) | instskip(SKIP_1) | instid1(VALU_DEP_1)
	v_fmac_f64_e32 v[106:107], v[82:83], v[92:93]
	s_wait_loadcnt 0x1
	v_fmac_f64_e32 v[106:107], v[84:85], v[94:95]
	s_wait_dscnt 0x0
	s_delay_alu instid0(VALU_DEP_1) | instskip(SKIP_1) | instid1(VALU_DEP_1)
	v_fmac_f64_e32 v[106:107], v[86:87], v[76:77]
	s_wait_loadcnt 0x0
	v_fmac_f64_e32 v[106:107], v[102:103], v[78:79]
	s_delay_alu instid0(VALU_DEP_1)
	v_add_f64_e64 v[2:3], v[74:75], -v[106:107]
	scratch_store_b64 off, v[2:3], off offset:128
	s_wait_xcnt 0x0
	v_cmpx_lt_u32_e32 15, v0
	s_cbranch_execz .LBB34_189
; %bb.188:
	scratch_load_b64 v[2:3], off, off offset:120
	v_mov_b64_e32 v[74:75], 0
	scratch_store_b64 off, v[74:75], off offset:120
	s_wait_loadcnt 0x0
	ds_store_b64 v1, v[2:3]
.LBB34_189:
	s_wait_xcnt 0x0
	s_or_b32 exec_lo, exec_lo, s0
	s_wait_storecnt_dscnt 0x0
	s_barrier_signal -1
	s_barrier_wait -1
	s_clause 0x5
	scratch_load_b128 v[74:77], off, off offset:120
	scratch_load_b128 v[78:81], off, off offset:136
	scratch_load_b128 v[82:85], off, off offset:152
	scratch_load_b128 v[86:89], off, off offset:168
	scratch_load_b128 v[90:93], off, off offset:184
	scratch_load_b128 v[94:97], off, off offset:200
	v_mov_b32_e32 v2, 0
	ds_load_b128 v[98:101], v2 offset:416
	ds_load_b128 v[102:105], v2 offset:432
	s_mov_b32 s0, exec_lo
	s_wait_loadcnt_dscnt 0x501
	v_fma_f64 v[106:107], v[76:77], v[98:99], 0
	s_wait_loadcnt 0x4
	s_delay_alu instid0(VALU_DEP_1) | instskip(SKIP_4) | instid1(VALU_DEP_1)
	v_fmac_f64_e32 v[106:107], v[78:79], v[100:101]
	scratch_load_b128 v[76:79], off, off offset:216
	s_wait_dscnt 0x0
	v_fmac_f64_e32 v[106:107], v[80:81], v[102:103]
	s_wait_loadcnt 0x4
	v_fmac_f64_e32 v[106:107], v[82:83], v[104:105]
	scratch_load_b128 v[80:83], off, off offset:232
	ds_load_b128 v[98:101], v2 offset:448
	ds_load_b128 v[102:105], v2 offset:464
	s_wait_dscnt 0x1
	v_fmac_f64_e32 v[106:107], v[84:85], v[98:99]
	s_wait_loadcnt 0x4
	s_delay_alu instid0(VALU_DEP_1) | instskip(SKIP_4) | instid1(VALU_DEP_1)
	v_fmac_f64_e32 v[106:107], v[86:87], v[100:101]
	scratch_load_b128 v[84:87], off, off offset:248
	s_wait_dscnt 0x0
	v_fmac_f64_e32 v[106:107], v[88:89], v[102:103]
	s_wait_loadcnt 0x4
	v_fmac_f64_e32 v[106:107], v[90:91], v[104:105]
	scratch_load_b128 v[88:91], off, off offset:264
	ds_load_b128 v[98:101], v2 offset:480
	ds_load_b128 v[102:105], v2 offset:496
	s_wait_dscnt 0x1
	v_fmac_f64_e32 v[106:107], v[92:93], v[98:99]
	s_wait_loadcnt 0x4
	s_delay_alu instid0(VALU_DEP_1) | instskip(SKIP_1) | instid1(VALU_DEP_1)
	v_fmac_f64_e32 v[106:107], v[94:95], v[100:101]
	s_wait_dscnt 0x0
	v_fmac_f64_e32 v[106:107], v[96:97], v[102:103]
	ds_load_b128 v[92:95], v2 offset:512
	ds_load_b128 v[96:99], v2 offset:528
	s_wait_loadcnt 0x3
	v_fmac_f64_e32 v[106:107], v[76:77], v[104:105]
	s_wait_dscnt 0x1
	s_delay_alu instid0(VALU_DEP_1) | instskip(SKIP_1) | instid1(VALU_DEP_1)
	v_fmac_f64_e32 v[106:107], v[78:79], v[92:93]
	s_wait_loadcnt 0x2
	v_fmac_f64_e32 v[106:107], v[80:81], v[94:95]
	ds_load_b128 v[76:79], v2 offset:544
	ds_load_b64 v[80:81], v2 offset:560
	s_wait_dscnt 0x2
	v_fmac_f64_e32 v[106:107], v[82:83], v[96:97]
	s_wait_loadcnt 0x1
	s_delay_alu instid0(VALU_DEP_1) | instskip(SKIP_1) | instid1(VALU_DEP_1)
	v_fmac_f64_e32 v[106:107], v[84:85], v[98:99]
	s_wait_dscnt 0x1
	v_fmac_f64_e32 v[106:107], v[86:87], v[76:77]
	s_wait_loadcnt 0x0
	s_delay_alu instid0(VALU_DEP_1) | instskip(SKIP_1) | instid1(VALU_DEP_1)
	v_fmac_f64_e32 v[106:107], v[88:89], v[78:79]
	s_wait_dscnt 0x0
	v_fmac_f64_e32 v[106:107], v[90:91], v[80:81]
	s_delay_alu instid0(VALU_DEP_1)
	v_add_f64_e64 v[74:75], v[74:75], -v[106:107]
	scratch_store_b64 off, v[74:75], off offset:120
	s_wait_xcnt 0x0
	v_cmpx_lt_u32_e32 14, v0
	s_cbranch_execz .LBB34_191
; %bb.190:
	scratch_load_b64 v[74:75], off, off offset:112
	v_mov_b64_e32 v[76:77], 0
	scratch_store_b64 off, v[76:77], off offset:112
	s_wait_loadcnt 0x0
	ds_store_b64 v1, v[74:75]
.LBB34_191:
	s_wait_xcnt 0x0
	s_or_b32 exec_lo, exec_lo, s0
	s_wait_storecnt_dscnt 0x0
	s_barrier_signal -1
	s_barrier_wait -1
	s_clause 0x5
	scratch_load_b128 v[74:77], off, off offset:112
	scratch_load_b128 v[78:81], off, off offset:128
	;; [unrolled: 1-line block ×6, first 2 shown]
	ds_load_2addr_b64 v[98:101], v2 offset0:51 offset1:52
	ds_load_2addr_b64 v[102:105], v2 offset0:53 offset1:54
	s_mov_b32 s0, exec_lo
	s_wait_loadcnt_dscnt 0x501
	v_fma_f64 v[106:107], v[76:77], v[98:99], 0
	s_wait_loadcnt 0x4
	s_delay_alu instid0(VALU_DEP_1) | instskip(SKIP_4) | instid1(VALU_DEP_1)
	v_fmac_f64_e32 v[106:107], v[78:79], v[100:101]
	scratch_load_b128 v[76:79], off, off offset:208
	s_wait_dscnt 0x0
	v_fmac_f64_e32 v[106:107], v[80:81], v[102:103]
	s_wait_loadcnt 0x4
	v_fmac_f64_e32 v[106:107], v[82:83], v[104:105]
	scratch_load_b128 v[80:83], off, off offset:224
	ds_load_2addr_b64 v[98:101], v2 offset0:55 offset1:56
	ds_load_2addr_b64 v[102:105], v2 offset0:57 offset1:58
	s_wait_dscnt 0x1
	v_fmac_f64_e32 v[106:107], v[84:85], v[98:99]
	s_wait_loadcnt 0x4
	s_delay_alu instid0(VALU_DEP_1) | instskip(SKIP_4) | instid1(VALU_DEP_1)
	v_fmac_f64_e32 v[106:107], v[86:87], v[100:101]
	scratch_load_b128 v[84:87], off, off offset:240
	s_wait_dscnt 0x0
	v_fmac_f64_e32 v[106:107], v[88:89], v[102:103]
	s_wait_loadcnt 0x4
	v_fmac_f64_e32 v[106:107], v[90:91], v[104:105]
	scratch_load_b128 v[88:91], off, off offset:256
	ds_load_2addr_b64 v[98:101], v2 offset0:59 offset1:60
	ds_load_2addr_b64 v[102:105], v2 offset0:61 offset1:62
	s_wait_dscnt 0x1
	v_fmac_f64_e32 v[106:107], v[92:93], v[98:99]
	s_wait_loadcnt 0x4
	s_delay_alu instid0(VALU_DEP_1)
	v_fmac_f64_e32 v[106:107], v[94:95], v[100:101]
	scratch_load_b64 v[100:101], off, off offset:272
	s_wait_dscnt 0x0
	v_fmac_f64_e32 v[106:107], v[96:97], v[102:103]
	ds_load_2addr_b64 v[92:95], v2 offset0:63 offset1:64
	ds_load_2addr_b64 v[96:99], v2 offset0:65 offset1:66
	s_wait_loadcnt 0x4
	v_fmac_f64_e32 v[106:107], v[76:77], v[104:105]
	s_wait_dscnt 0x1
	s_delay_alu instid0(VALU_DEP_1) | instskip(SKIP_1) | instid1(VALU_DEP_1)
	v_fmac_f64_e32 v[106:107], v[78:79], v[92:93]
	s_wait_loadcnt 0x3
	v_fmac_f64_e32 v[106:107], v[80:81], v[94:95]
	s_wait_dscnt 0x0
	s_delay_alu instid0(VALU_DEP_1)
	v_fmac_f64_e32 v[106:107], v[82:83], v[96:97]
	ds_load_2addr_b64 v[76:79], v2 offset0:67 offset1:68
	ds_load_2addr_b64 v[80:83], v2 offset0:69 offset1:70
	s_wait_loadcnt 0x2
	v_fmac_f64_e32 v[106:107], v[84:85], v[98:99]
	s_wait_dscnt 0x1
	s_delay_alu instid0(VALU_DEP_1) | instskip(SKIP_1) | instid1(VALU_DEP_1)
	v_fmac_f64_e32 v[106:107], v[86:87], v[76:77]
	s_wait_loadcnt 0x1
	v_fmac_f64_e32 v[106:107], v[88:89], v[78:79]
	s_wait_dscnt 0x0
	s_delay_alu instid0(VALU_DEP_1) | instskip(SKIP_1) | instid1(VALU_DEP_1)
	v_fmac_f64_e32 v[106:107], v[90:91], v[80:81]
	s_wait_loadcnt 0x0
	v_fmac_f64_e32 v[106:107], v[100:101], v[82:83]
	s_delay_alu instid0(VALU_DEP_1)
	v_add_f64_e64 v[2:3], v[74:75], -v[106:107]
	scratch_store_b64 off, v[2:3], off offset:112
	s_wait_xcnt 0x0
	v_cmpx_lt_u32_e32 13, v0
	s_cbranch_execz .LBB34_193
; %bb.192:
	scratch_load_b64 v[2:3], off, off offset:104
	v_mov_b64_e32 v[74:75], 0
	scratch_store_b64 off, v[74:75], off offset:104
	s_wait_loadcnt 0x0
	ds_store_b64 v1, v[2:3]
.LBB34_193:
	s_wait_xcnt 0x0
	s_or_b32 exec_lo, exec_lo, s0
	s_wait_storecnt_dscnt 0x0
	s_barrier_signal -1
	s_barrier_wait -1
	s_clause 0x5
	scratch_load_b128 v[74:77], off, off offset:104
	scratch_load_b128 v[78:81], off, off offset:120
	;; [unrolled: 1-line block ×6, first 2 shown]
	v_mov_b32_e32 v2, 0
	ds_load_b128 v[98:101], v2 offset:400
	ds_load_b128 v[102:105], v2 offset:416
	s_mov_b32 s0, exec_lo
	s_wait_loadcnt_dscnt 0x501
	v_fma_f64 v[106:107], v[76:77], v[98:99], 0
	s_wait_loadcnt 0x4
	s_delay_alu instid0(VALU_DEP_1) | instskip(SKIP_4) | instid1(VALU_DEP_1)
	v_fmac_f64_e32 v[106:107], v[78:79], v[100:101]
	scratch_load_b128 v[76:79], off, off offset:200
	s_wait_dscnt 0x0
	v_fmac_f64_e32 v[106:107], v[80:81], v[102:103]
	s_wait_loadcnt 0x4
	v_fmac_f64_e32 v[106:107], v[82:83], v[104:105]
	scratch_load_b128 v[80:83], off, off offset:216
	ds_load_b128 v[98:101], v2 offset:432
	ds_load_b128 v[102:105], v2 offset:448
	s_wait_dscnt 0x1
	v_fmac_f64_e32 v[106:107], v[84:85], v[98:99]
	s_wait_loadcnt 0x4
	s_delay_alu instid0(VALU_DEP_1) | instskip(SKIP_4) | instid1(VALU_DEP_1)
	v_fmac_f64_e32 v[106:107], v[86:87], v[100:101]
	scratch_load_b128 v[84:87], off, off offset:232
	s_wait_dscnt 0x0
	v_fmac_f64_e32 v[106:107], v[88:89], v[102:103]
	s_wait_loadcnt 0x4
	v_fmac_f64_e32 v[106:107], v[90:91], v[104:105]
	scratch_load_b128 v[88:91], off, off offset:248
	ds_load_b128 v[98:101], v2 offset:464
	ds_load_b128 v[102:105], v2 offset:480
	s_wait_dscnt 0x1
	v_fmac_f64_e32 v[106:107], v[92:93], v[98:99]
	s_wait_loadcnt 0x4
	s_delay_alu instid0(VALU_DEP_1)
	v_fmac_f64_e32 v[106:107], v[94:95], v[100:101]
	scratch_load_b128 v[92:95], off, off offset:264
	s_wait_dscnt 0x0
	v_fmac_f64_e32 v[106:107], v[96:97], v[102:103]
	ds_load_b128 v[96:99], v2 offset:496
	ds_load_b128 v[100:103], v2 offset:512
	s_wait_loadcnt 0x4
	v_fmac_f64_e32 v[106:107], v[76:77], v[104:105]
	s_wait_dscnt 0x1
	s_delay_alu instid0(VALU_DEP_1) | instskip(SKIP_1) | instid1(VALU_DEP_1)
	v_fmac_f64_e32 v[106:107], v[78:79], v[96:97]
	s_wait_loadcnt 0x3
	v_fmac_f64_e32 v[106:107], v[80:81], v[98:99]
	s_wait_dscnt 0x0
	s_delay_alu instid0(VALU_DEP_1)
	v_fmac_f64_e32 v[106:107], v[82:83], v[100:101]
	ds_load_b128 v[76:79], v2 offset:528
	ds_load_b128 v[80:83], v2 offset:544
	s_wait_loadcnt 0x2
	v_fmac_f64_e32 v[106:107], v[84:85], v[102:103]
	s_wait_dscnt 0x1
	s_delay_alu instid0(VALU_DEP_1) | instskip(SKIP_4) | instid1(VALU_DEP_1)
	v_fmac_f64_e32 v[106:107], v[86:87], v[76:77]
	ds_load_b64 v[76:77], v2 offset:560
	s_wait_loadcnt 0x1
	v_fmac_f64_e32 v[106:107], v[88:89], v[78:79]
	s_wait_dscnt 0x1
	v_fmac_f64_e32 v[106:107], v[90:91], v[80:81]
	s_wait_loadcnt 0x0
	s_delay_alu instid0(VALU_DEP_1) | instskip(SKIP_1) | instid1(VALU_DEP_1)
	v_fmac_f64_e32 v[106:107], v[92:93], v[82:83]
	s_wait_dscnt 0x0
	v_fmac_f64_e32 v[106:107], v[94:95], v[76:77]
	s_delay_alu instid0(VALU_DEP_1)
	v_add_f64_e64 v[74:75], v[74:75], -v[106:107]
	scratch_store_b64 off, v[74:75], off offset:104
	s_wait_xcnt 0x0
	v_cmpx_lt_u32_e32 12, v0
	s_cbranch_execz .LBB34_195
; %bb.194:
	scratch_load_b64 v[74:75], off, off offset:96
	v_mov_b64_e32 v[76:77], 0
	scratch_store_b64 off, v[76:77], off offset:96
	s_wait_loadcnt 0x0
	ds_store_b64 v1, v[74:75]
.LBB34_195:
	s_wait_xcnt 0x0
	s_or_b32 exec_lo, exec_lo, s0
	s_wait_storecnt_dscnt 0x0
	s_barrier_signal -1
	s_barrier_wait -1
	s_clause 0x5
	scratch_load_b128 v[74:77], off, off offset:96
	scratch_load_b128 v[78:81], off, off offset:112
	scratch_load_b128 v[82:85], off, off offset:128
	scratch_load_b128 v[86:89], off, off offset:144
	scratch_load_b128 v[90:93], off, off offset:160
	scratch_load_b128 v[94:97], off, off offset:176
	ds_load_2addr_b64 v[98:101], v2 offset0:49 offset1:50
	ds_load_2addr_b64 v[102:105], v2 offset0:51 offset1:52
	scratch_load_b128 v[106:109], off, off offset:192
	s_mov_b32 s0, exec_lo
	s_wait_loadcnt_dscnt 0x601
	v_fma_f64 v[110:111], v[76:77], v[98:99], 0
	s_wait_loadcnt 0x5
	s_delay_alu instid0(VALU_DEP_1) | instskip(SKIP_4) | instid1(VALU_DEP_1)
	v_fmac_f64_e32 v[110:111], v[78:79], v[100:101]
	scratch_load_b128 v[76:79], off, off offset:208
	s_wait_dscnt 0x0
	v_fmac_f64_e32 v[110:111], v[80:81], v[102:103]
	s_wait_loadcnt 0x5
	v_fmac_f64_e32 v[110:111], v[82:83], v[104:105]
	ds_load_2addr_b64 v[80:83], v2 offset0:53 offset1:54
	ds_load_2addr_b64 v[98:101], v2 offset0:55 offset1:56
	s_wait_dscnt 0x1
	v_fmac_f64_e32 v[110:111], v[84:85], v[80:81]
	s_wait_loadcnt 0x4
	s_delay_alu instid0(VALU_DEP_1)
	v_fmac_f64_e32 v[110:111], v[86:87], v[82:83]
	s_clause 0x1
	scratch_load_b128 v[80:83], off, off offset:224
	scratch_load_b128 v[84:87], off, off offset:240
	s_wait_dscnt 0x0
	v_fmac_f64_e32 v[110:111], v[88:89], v[98:99]
	s_wait_loadcnt 0x5
	s_delay_alu instid0(VALU_DEP_1)
	v_fmac_f64_e32 v[110:111], v[90:91], v[100:101]
	ds_load_2addr_b64 v[88:91], v2 offset0:57 offset1:58
	ds_load_2addr_b64 v[98:101], v2 offset0:59 offset1:60
	s_wait_dscnt 0x1
	v_fmac_f64_e32 v[110:111], v[92:93], v[88:89]
	s_wait_loadcnt 0x4
	s_delay_alu instid0(VALU_DEP_1) | instskip(SKIP_4) | instid1(VALU_DEP_1)
	v_fmac_f64_e32 v[110:111], v[94:95], v[90:91]
	scratch_load_b128 v[88:91], off, off offset:256
	s_wait_dscnt 0x0
	v_fmac_f64_e32 v[110:111], v[96:97], v[98:99]
	s_wait_loadcnt 0x4
	v_fmac_f64_e32 v[110:111], v[106:107], v[100:101]
	scratch_load_b64 v[100:101], off, off offset:272
	ds_load_2addr_b64 v[92:95], v2 offset0:61 offset1:62
	ds_load_2addr_b64 v[96:99], v2 offset0:63 offset1:64
	s_wait_dscnt 0x1
	v_fmac_f64_e32 v[110:111], v[108:109], v[92:93]
	s_wait_loadcnt 0x4
	s_delay_alu instid0(VALU_DEP_1) | instskip(SKIP_1) | instid1(VALU_DEP_1)
	v_fmac_f64_e32 v[110:111], v[76:77], v[94:95]
	s_wait_dscnt 0x0
	v_fmac_f64_e32 v[110:111], v[78:79], v[96:97]
	ds_load_2addr_b64 v[76:79], v2 offset0:65 offset1:66
	ds_load_2addr_b64 v[92:95], v2 offset0:67 offset1:68
	s_wait_loadcnt 0x3
	v_fmac_f64_e32 v[110:111], v[80:81], v[98:99]
	s_wait_dscnt 0x1
	s_delay_alu instid0(VALU_DEP_1) | instskip(SKIP_1) | instid1(VALU_DEP_1)
	v_fmac_f64_e32 v[110:111], v[82:83], v[76:77]
	s_wait_loadcnt 0x2
	v_fmac_f64_e32 v[110:111], v[84:85], v[78:79]
	ds_load_2addr_b64 v[76:79], v2 offset0:69 offset1:70
	s_wait_dscnt 0x1
	v_fmac_f64_e32 v[110:111], v[86:87], v[92:93]
	s_wait_loadcnt 0x1
	s_delay_alu instid0(VALU_DEP_1) | instskip(SKIP_1) | instid1(VALU_DEP_1)
	v_fmac_f64_e32 v[110:111], v[88:89], v[94:95]
	s_wait_dscnt 0x0
	v_fmac_f64_e32 v[110:111], v[90:91], v[76:77]
	s_wait_loadcnt 0x0
	s_delay_alu instid0(VALU_DEP_1) | instskip(NEXT) | instid1(VALU_DEP_1)
	v_fmac_f64_e32 v[110:111], v[100:101], v[78:79]
	v_add_f64_e64 v[2:3], v[74:75], -v[110:111]
	scratch_store_b64 off, v[2:3], off offset:96
	s_wait_xcnt 0x0
	v_cmpx_lt_u32_e32 11, v0
	s_cbranch_execz .LBB34_197
; %bb.196:
	scratch_load_b64 v[2:3], off, off offset:88
	v_mov_b64_e32 v[74:75], 0
	scratch_store_b64 off, v[74:75], off offset:88
	s_wait_loadcnt 0x0
	ds_store_b64 v1, v[2:3]
.LBB34_197:
	s_wait_xcnt 0x0
	s_or_b32 exec_lo, exec_lo, s0
	s_wait_storecnt_dscnt 0x0
	s_barrier_signal -1
	s_barrier_wait -1
	s_clause 0x5
	scratch_load_b128 v[74:77], off, off offset:88
	scratch_load_b128 v[78:81], off, off offset:104
	;; [unrolled: 1-line block ×6, first 2 shown]
	v_mov_b32_e32 v2, 0
	ds_load_b128 v[98:101], v2 offset:384
	ds_load_b128 v[102:105], v2 offset:400
	scratch_load_b128 v[106:109], off, off offset:184
	s_mov_b32 s0, exec_lo
	s_wait_loadcnt_dscnt 0x601
	v_fma_f64 v[110:111], v[76:77], v[98:99], 0
	s_wait_loadcnt 0x5
	s_delay_alu instid0(VALU_DEP_1) | instskip(SKIP_4) | instid1(VALU_DEP_1)
	v_fmac_f64_e32 v[110:111], v[78:79], v[100:101]
	scratch_load_b128 v[76:79], off, off offset:200
	s_wait_dscnt 0x0
	v_fmac_f64_e32 v[110:111], v[80:81], v[102:103]
	s_wait_loadcnt 0x5
	v_fmac_f64_e32 v[110:111], v[82:83], v[104:105]
	ds_load_b128 v[80:83], v2 offset:416
	ds_load_b128 v[98:101], v2 offset:432
	s_wait_dscnt 0x1
	v_fmac_f64_e32 v[110:111], v[84:85], v[80:81]
	s_wait_loadcnt 0x4
	s_delay_alu instid0(VALU_DEP_1)
	v_fmac_f64_e32 v[110:111], v[86:87], v[82:83]
	s_clause 0x1
	scratch_load_b128 v[80:83], off, off offset:216
	scratch_load_b128 v[84:87], off, off offset:232
	s_wait_dscnt 0x0
	v_fmac_f64_e32 v[110:111], v[88:89], v[98:99]
	s_wait_loadcnt 0x5
	s_delay_alu instid0(VALU_DEP_1)
	v_fmac_f64_e32 v[110:111], v[90:91], v[100:101]
	ds_load_b128 v[88:91], v2 offset:448
	ds_load_b128 v[98:101], v2 offset:464
	s_wait_dscnt 0x1
	v_fmac_f64_e32 v[110:111], v[92:93], v[88:89]
	s_wait_loadcnt 0x4
	s_delay_alu instid0(VALU_DEP_1)
	v_fmac_f64_e32 v[110:111], v[94:95], v[90:91]
	s_clause 0x1
	scratch_load_b128 v[88:91], off, off offset:248
	scratch_load_b128 v[92:95], off, off offset:264
	s_wait_dscnt 0x0
	v_fmac_f64_e32 v[110:111], v[96:97], v[98:99]
	s_wait_loadcnt 0x5
	s_delay_alu instid0(VALU_DEP_1)
	v_fmac_f64_e32 v[110:111], v[106:107], v[100:101]
	ds_load_b128 v[96:99], v2 offset:480
	ds_load_b128 v[100:103], v2 offset:496
	s_wait_dscnt 0x1
	v_fmac_f64_e32 v[110:111], v[108:109], v[96:97]
	s_wait_loadcnt 0x4
	s_delay_alu instid0(VALU_DEP_1) | instskip(SKIP_1) | instid1(VALU_DEP_1)
	v_fmac_f64_e32 v[110:111], v[76:77], v[98:99]
	s_wait_dscnt 0x0
	v_fmac_f64_e32 v[110:111], v[78:79], v[100:101]
	ds_load_b128 v[76:79], v2 offset:512
	ds_load_b128 v[96:99], v2 offset:528
	s_wait_loadcnt 0x3
	v_fmac_f64_e32 v[110:111], v[80:81], v[102:103]
	s_wait_dscnt 0x1
	s_delay_alu instid0(VALU_DEP_1) | instskip(SKIP_1) | instid1(VALU_DEP_1)
	v_fmac_f64_e32 v[110:111], v[82:83], v[76:77]
	s_wait_loadcnt 0x2
	v_fmac_f64_e32 v[110:111], v[84:85], v[78:79]
	ds_load_b128 v[76:79], v2 offset:544
	ds_load_b64 v[80:81], v2 offset:560
	s_wait_dscnt 0x2
	v_fmac_f64_e32 v[110:111], v[86:87], v[96:97]
	s_wait_loadcnt 0x1
	s_delay_alu instid0(VALU_DEP_1) | instskip(SKIP_1) | instid1(VALU_DEP_1)
	v_fmac_f64_e32 v[110:111], v[88:89], v[98:99]
	s_wait_dscnt 0x1
	v_fmac_f64_e32 v[110:111], v[90:91], v[76:77]
	s_wait_loadcnt 0x0
	s_delay_alu instid0(VALU_DEP_1) | instskip(SKIP_1) | instid1(VALU_DEP_1)
	v_fmac_f64_e32 v[110:111], v[92:93], v[78:79]
	s_wait_dscnt 0x0
	v_fmac_f64_e32 v[110:111], v[94:95], v[80:81]
	s_delay_alu instid0(VALU_DEP_1)
	v_add_f64_e64 v[74:75], v[74:75], -v[110:111]
	scratch_store_b64 off, v[74:75], off offset:88
	s_wait_xcnt 0x0
	v_cmpx_lt_u32_e32 10, v0
	s_cbranch_execz .LBB34_199
; %bb.198:
	scratch_load_b64 v[74:75], off, off offset:80
	v_mov_b64_e32 v[76:77], 0
	scratch_store_b64 off, v[76:77], off offset:80
	s_wait_loadcnt 0x0
	ds_store_b64 v1, v[74:75]
.LBB34_199:
	s_wait_xcnt 0x0
	s_or_b32 exec_lo, exec_lo, s0
	s_wait_storecnt_dscnt 0x0
	s_barrier_signal -1
	s_barrier_wait -1
	s_clause 0x5
	scratch_load_b128 v[74:77], off, off offset:80
	scratch_load_b128 v[78:81], off, off offset:96
	;; [unrolled: 1-line block ×6, first 2 shown]
	ds_load_2addr_b64 v[98:101], v2 offset0:47 offset1:48
	ds_load_2addr_b64 v[102:105], v2 offset0:49 offset1:50
	scratch_load_b128 v[106:109], off, off offset:176
	s_mov_b32 s0, exec_lo
	s_wait_loadcnt_dscnt 0x601
	v_fma_f64 v[110:111], v[76:77], v[98:99], 0
	s_wait_loadcnt 0x5
	s_delay_alu instid0(VALU_DEP_1) | instskip(SKIP_4) | instid1(VALU_DEP_1)
	v_fmac_f64_e32 v[110:111], v[78:79], v[100:101]
	scratch_load_b128 v[76:79], off, off offset:192
	s_wait_dscnt 0x0
	v_fmac_f64_e32 v[110:111], v[80:81], v[102:103]
	s_wait_loadcnt 0x5
	v_fmac_f64_e32 v[110:111], v[82:83], v[104:105]
	ds_load_2addr_b64 v[80:83], v2 offset0:51 offset1:52
	ds_load_2addr_b64 v[98:101], v2 offset0:53 offset1:54
	s_wait_dscnt 0x1
	v_fmac_f64_e32 v[110:111], v[84:85], v[80:81]
	s_wait_loadcnt 0x4
	s_delay_alu instid0(VALU_DEP_1)
	v_fmac_f64_e32 v[110:111], v[86:87], v[82:83]
	s_clause 0x1
	scratch_load_b128 v[80:83], off, off offset:208
	scratch_load_b128 v[84:87], off, off offset:224
	s_wait_dscnt 0x0
	v_fmac_f64_e32 v[110:111], v[88:89], v[98:99]
	s_wait_loadcnt 0x5
	s_delay_alu instid0(VALU_DEP_1)
	v_fmac_f64_e32 v[110:111], v[90:91], v[100:101]
	ds_load_2addr_b64 v[88:91], v2 offset0:55 offset1:56
	ds_load_2addr_b64 v[98:101], v2 offset0:57 offset1:58
	s_wait_dscnt 0x1
	v_fmac_f64_e32 v[110:111], v[92:93], v[88:89]
	s_wait_loadcnt 0x4
	s_delay_alu instid0(VALU_DEP_1)
	v_fmac_f64_e32 v[110:111], v[94:95], v[90:91]
	s_clause 0x1
	scratch_load_b128 v[88:91], off, off offset:240
	scratch_load_b128 v[92:95], off, off offset:256
	s_wait_dscnt 0x0
	v_fmac_f64_e32 v[110:111], v[96:97], v[98:99]
	s_wait_loadcnt 0x5
	s_delay_alu instid0(VALU_DEP_1)
	v_fmac_f64_e32 v[110:111], v[106:107], v[100:101]
	ds_load_2addr_b64 v[96:99], v2 offset0:59 offset1:60
	ds_load_2addr_b64 v[100:103], v2 offset0:61 offset1:62
	scratch_load_b64 v[104:105], off, off offset:272
	s_wait_dscnt 0x1
	v_fmac_f64_e32 v[110:111], v[108:109], v[96:97]
	s_wait_loadcnt 0x5
	s_delay_alu instid0(VALU_DEP_1) | instskip(SKIP_1) | instid1(VALU_DEP_1)
	v_fmac_f64_e32 v[110:111], v[76:77], v[98:99]
	s_wait_dscnt 0x0
	v_fmac_f64_e32 v[110:111], v[78:79], v[100:101]
	ds_load_2addr_b64 v[76:79], v2 offset0:63 offset1:64
	ds_load_2addr_b64 v[96:99], v2 offset0:65 offset1:66
	s_wait_loadcnt 0x4
	v_fmac_f64_e32 v[110:111], v[80:81], v[102:103]
	s_wait_dscnt 0x1
	s_delay_alu instid0(VALU_DEP_1) | instskip(SKIP_1) | instid1(VALU_DEP_1)
	v_fmac_f64_e32 v[110:111], v[82:83], v[76:77]
	s_wait_loadcnt 0x3
	v_fmac_f64_e32 v[110:111], v[84:85], v[78:79]
	ds_load_2addr_b64 v[76:79], v2 offset0:67 offset1:68
	ds_load_2addr_b64 v[80:83], v2 offset0:69 offset1:70
	s_wait_dscnt 0x2
	v_fmac_f64_e32 v[110:111], v[86:87], v[96:97]
	s_wait_loadcnt 0x2
	s_delay_alu instid0(VALU_DEP_1) | instskip(SKIP_1) | instid1(VALU_DEP_1)
	v_fmac_f64_e32 v[110:111], v[88:89], v[98:99]
	s_wait_dscnt 0x1
	v_fmac_f64_e32 v[110:111], v[90:91], v[76:77]
	s_wait_loadcnt 0x1
	s_delay_alu instid0(VALU_DEP_1) | instskip(SKIP_1) | instid1(VALU_DEP_1)
	v_fmac_f64_e32 v[110:111], v[92:93], v[78:79]
	s_wait_dscnt 0x0
	v_fmac_f64_e32 v[110:111], v[94:95], v[80:81]
	s_wait_loadcnt 0x0
	s_delay_alu instid0(VALU_DEP_1) | instskip(NEXT) | instid1(VALU_DEP_1)
	v_fmac_f64_e32 v[110:111], v[104:105], v[82:83]
	v_add_f64_e64 v[2:3], v[74:75], -v[110:111]
	scratch_store_b64 off, v[2:3], off offset:80
	s_wait_xcnt 0x0
	v_cmpx_lt_u32_e32 9, v0
	s_cbranch_execz .LBB34_201
; %bb.200:
	scratch_load_b64 v[2:3], off, off offset:72
	v_mov_b64_e32 v[74:75], 0
	scratch_store_b64 off, v[74:75], off offset:72
	s_wait_loadcnt 0x0
	ds_store_b64 v1, v[2:3]
.LBB34_201:
	s_wait_xcnt 0x0
	s_or_b32 exec_lo, exec_lo, s0
	s_wait_storecnt_dscnt 0x0
	s_barrier_signal -1
	s_barrier_wait -1
	s_clause 0x5
	scratch_load_b128 v[74:77], off, off offset:72
	scratch_load_b128 v[78:81], off, off offset:88
	;; [unrolled: 1-line block ×6, first 2 shown]
	v_mov_b32_e32 v2, 0
	ds_load_b128 v[98:101], v2 offset:368
	ds_load_b128 v[102:105], v2 offset:384
	scratch_load_b128 v[106:109], off, off offset:168
	s_mov_b32 s0, exec_lo
	s_wait_loadcnt_dscnt 0x601
	v_fma_f64 v[110:111], v[76:77], v[98:99], 0
	s_wait_loadcnt 0x5
	s_delay_alu instid0(VALU_DEP_1) | instskip(SKIP_4) | instid1(VALU_DEP_1)
	v_fmac_f64_e32 v[110:111], v[78:79], v[100:101]
	scratch_load_b128 v[76:79], off, off offset:184
	s_wait_dscnt 0x0
	v_fmac_f64_e32 v[110:111], v[80:81], v[102:103]
	s_wait_loadcnt 0x5
	v_fmac_f64_e32 v[110:111], v[82:83], v[104:105]
	ds_load_b128 v[80:83], v2 offset:400
	ds_load_b128 v[98:101], v2 offset:416
	s_wait_dscnt 0x1
	v_fmac_f64_e32 v[110:111], v[84:85], v[80:81]
	s_wait_loadcnt 0x4
	s_delay_alu instid0(VALU_DEP_1)
	v_fmac_f64_e32 v[110:111], v[86:87], v[82:83]
	s_clause 0x1
	scratch_load_b128 v[80:83], off, off offset:200
	scratch_load_b128 v[84:87], off, off offset:216
	s_wait_dscnt 0x0
	v_fmac_f64_e32 v[110:111], v[88:89], v[98:99]
	s_wait_loadcnt 0x5
	s_delay_alu instid0(VALU_DEP_1)
	v_fmac_f64_e32 v[110:111], v[90:91], v[100:101]
	ds_load_b128 v[88:91], v2 offset:432
	ds_load_b128 v[98:101], v2 offset:448
	s_wait_dscnt 0x1
	v_fmac_f64_e32 v[110:111], v[92:93], v[88:89]
	s_wait_loadcnt 0x4
	s_delay_alu instid0(VALU_DEP_1)
	v_fmac_f64_e32 v[110:111], v[94:95], v[90:91]
	s_clause 0x1
	scratch_load_b128 v[88:91], off, off offset:232
	scratch_load_b128 v[92:95], off, off offset:248
	s_wait_dscnt 0x0
	v_fmac_f64_e32 v[110:111], v[96:97], v[98:99]
	s_wait_loadcnt 0x5
	s_delay_alu instid0(VALU_DEP_1)
	v_fmac_f64_e32 v[110:111], v[106:107], v[100:101]
	ds_load_b128 v[96:99], v2 offset:464
	ds_load_b128 v[100:103], v2 offset:480
	s_wait_dscnt 0x1
	v_fmac_f64_e32 v[110:111], v[108:109], v[96:97]
	s_wait_loadcnt 0x4
	s_delay_alu instid0(VALU_DEP_1) | instskip(SKIP_4) | instid1(VALU_DEP_1)
	v_fmac_f64_e32 v[110:111], v[76:77], v[98:99]
	scratch_load_b128 v[96:99], off, off offset:264
	s_wait_dscnt 0x0
	v_fmac_f64_e32 v[110:111], v[78:79], v[100:101]
	s_wait_loadcnt 0x4
	v_fmac_f64_e32 v[110:111], v[80:81], v[102:103]
	ds_load_b128 v[76:79], v2 offset:496
	ds_load_b128 v[100:103], v2 offset:512
	s_wait_dscnt 0x1
	v_fmac_f64_e32 v[110:111], v[82:83], v[76:77]
	s_wait_loadcnt 0x3
	s_delay_alu instid0(VALU_DEP_1)
	v_fmac_f64_e32 v[110:111], v[84:85], v[78:79]
	ds_load_b128 v[76:79], v2 offset:528
	ds_load_b128 v[80:83], v2 offset:544
	s_wait_dscnt 0x2
	v_fmac_f64_e32 v[110:111], v[86:87], v[100:101]
	s_wait_loadcnt 0x2
	s_delay_alu instid0(VALU_DEP_1) | instskip(SKIP_1) | instid1(VALU_DEP_1)
	v_fmac_f64_e32 v[110:111], v[88:89], v[102:103]
	s_wait_dscnt 0x1
	v_fmac_f64_e32 v[110:111], v[90:91], v[76:77]
	ds_load_b64 v[76:77], v2 offset:560
	s_wait_loadcnt 0x1
	v_fmac_f64_e32 v[110:111], v[92:93], v[78:79]
	s_wait_dscnt 0x1
	s_delay_alu instid0(VALU_DEP_1) | instskip(SKIP_1) | instid1(VALU_DEP_1)
	v_fmac_f64_e32 v[110:111], v[94:95], v[80:81]
	s_wait_loadcnt 0x0
	v_fmac_f64_e32 v[110:111], v[96:97], v[82:83]
	s_wait_dscnt 0x0
	s_delay_alu instid0(VALU_DEP_1) | instskip(NEXT) | instid1(VALU_DEP_1)
	v_fmac_f64_e32 v[110:111], v[98:99], v[76:77]
	v_add_f64_e64 v[74:75], v[74:75], -v[110:111]
	scratch_store_b64 off, v[74:75], off offset:72
	s_wait_xcnt 0x0
	v_cmpx_lt_u32_e32 8, v0
	s_cbranch_execz .LBB34_203
; %bb.202:
	scratch_load_b64 v[74:75], off, off offset:64
	v_mov_b64_e32 v[76:77], 0
	scratch_store_b64 off, v[76:77], off offset:64
	s_wait_loadcnt 0x0
	ds_store_b64 v1, v[74:75]
.LBB34_203:
	s_wait_xcnt 0x0
	s_or_b32 exec_lo, exec_lo, s0
	s_wait_storecnt_dscnt 0x0
	s_barrier_signal -1
	s_barrier_wait -1
	s_clause 0x5
	scratch_load_b128 v[74:77], off, off offset:64
	scratch_load_b128 v[78:81], off, off offset:80
	;; [unrolled: 1-line block ×6, first 2 shown]
	ds_load_2addr_b64 v[98:101], v2 offset0:45 offset1:46
	ds_load_2addr_b64 v[102:105], v2 offset0:47 offset1:48
	scratch_load_b128 v[106:109], off, off offset:160
	s_mov_b32 s0, exec_lo
	s_wait_loadcnt_dscnt 0x601
	v_fma_f64 v[110:111], v[76:77], v[98:99], 0
	s_wait_loadcnt 0x5
	s_delay_alu instid0(VALU_DEP_1) | instskip(SKIP_4) | instid1(VALU_DEP_1)
	v_fmac_f64_e32 v[110:111], v[78:79], v[100:101]
	scratch_load_b128 v[76:79], off, off offset:176
	s_wait_dscnt 0x0
	v_fmac_f64_e32 v[110:111], v[80:81], v[102:103]
	s_wait_loadcnt 0x5
	v_fmac_f64_e32 v[110:111], v[82:83], v[104:105]
	ds_load_2addr_b64 v[80:83], v2 offset0:49 offset1:50
	ds_load_2addr_b64 v[98:101], v2 offset0:51 offset1:52
	scratch_load_b128 v[102:105], off, off offset:192
	s_wait_dscnt 0x1
	v_fmac_f64_e32 v[110:111], v[84:85], v[80:81]
	s_wait_loadcnt 0x5
	s_delay_alu instid0(VALU_DEP_1) | instskip(SKIP_4) | instid1(VALU_DEP_1)
	v_fmac_f64_e32 v[110:111], v[86:87], v[82:83]
	scratch_load_b128 v[80:83], off, off offset:208
	s_wait_dscnt 0x0
	v_fmac_f64_e32 v[110:111], v[88:89], v[98:99]
	s_wait_loadcnt 0x5
	v_fmac_f64_e32 v[110:111], v[90:91], v[100:101]
	ds_load_2addr_b64 v[84:87], v2 offset0:53 offset1:54
	ds_load_2addr_b64 v[88:91], v2 offset0:55 offset1:56
	s_wait_dscnt 0x1
	v_fmac_f64_e32 v[110:111], v[92:93], v[84:85]
	s_wait_loadcnt 0x4
	s_delay_alu instid0(VALU_DEP_1) | instskip(SKIP_4) | instid1(VALU_DEP_1)
	v_fmac_f64_e32 v[110:111], v[94:95], v[86:87]
	scratch_load_b128 v[84:87], off, off offset:224
	s_wait_dscnt 0x0
	v_fmac_f64_e32 v[110:111], v[96:97], v[88:89]
	s_wait_loadcnt 0x4
	v_fmac_f64_e32 v[110:111], v[106:107], v[90:91]
	scratch_load_b128 v[88:91], off, off offset:240
	ds_load_2addr_b64 v[92:95], v2 offset0:57 offset1:58
	ds_load_2addr_b64 v[96:99], v2 offset0:59 offset1:60
	scratch_load_b64 v[100:101], off, off offset:272
	s_wait_dscnt 0x1
	v_fmac_f64_e32 v[110:111], v[108:109], v[92:93]
	s_wait_loadcnt 0x5
	s_delay_alu instid0(VALU_DEP_1) | instskip(SKIP_4) | instid1(VALU_DEP_1)
	v_fmac_f64_e32 v[110:111], v[76:77], v[94:95]
	scratch_load_b128 v[92:95], off, off offset:256
	s_wait_dscnt 0x0
	v_fmac_f64_e32 v[110:111], v[78:79], v[96:97]
	s_wait_loadcnt 0x5
	v_fmac_f64_e32 v[110:111], v[102:103], v[98:99]
	ds_load_2addr_b64 v[76:79], v2 offset0:61 offset1:62
	ds_load_2addr_b64 v[96:99], v2 offset0:63 offset1:64
	s_wait_dscnt 0x1
	v_fmac_f64_e32 v[110:111], v[104:105], v[76:77]
	s_wait_loadcnt 0x4
	s_delay_alu instid0(VALU_DEP_1) | instskip(SKIP_1) | instid1(VALU_DEP_1)
	v_fmac_f64_e32 v[110:111], v[80:81], v[78:79]
	s_wait_dscnt 0x0
	v_fmac_f64_e32 v[110:111], v[82:83], v[96:97]
	ds_load_2addr_b64 v[76:79], v2 offset0:65 offset1:66
	ds_load_2addr_b64 v[80:83], v2 offset0:67 offset1:68
	s_wait_loadcnt 0x3
	v_fmac_f64_e32 v[110:111], v[84:85], v[98:99]
	s_wait_dscnt 0x1
	s_delay_alu instid0(VALU_DEP_1) | instskip(SKIP_1) | instid1(VALU_DEP_1)
	v_fmac_f64_e32 v[110:111], v[86:87], v[76:77]
	s_wait_loadcnt 0x2
	v_fmac_f64_e32 v[110:111], v[88:89], v[78:79]
	ds_load_2addr_b64 v[76:79], v2 offset0:69 offset1:70
	s_wait_dscnt 0x1
	v_fmac_f64_e32 v[110:111], v[90:91], v[80:81]
	s_wait_loadcnt 0x0
	s_delay_alu instid0(VALU_DEP_1) | instskip(SKIP_1) | instid1(VALU_DEP_1)
	v_fmac_f64_e32 v[110:111], v[92:93], v[82:83]
	s_wait_dscnt 0x0
	v_fmac_f64_e32 v[110:111], v[94:95], v[76:77]
	s_delay_alu instid0(VALU_DEP_1) | instskip(NEXT) | instid1(VALU_DEP_1)
	v_fmac_f64_e32 v[110:111], v[100:101], v[78:79]
	v_add_f64_e64 v[2:3], v[74:75], -v[110:111]
	scratch_store_b64 off, v[2:3], off offset:64
	s_wait_xcnt 0x0
	v_cmpx_lt_u32_e32 7, v0
	s_cbranch_execz .LBB34_205
; %bb.204:
	scratch_load_b64 v[2:3], off, off offset:56
	v_mov_b64_e32 v[74:75], 0
	scratch_store_b64 off, v[74:75], off offset:56
	s_wait_loadcnt 0x0
	ds_store_b64 v1, v[2:3]
.LBB34_205:
	s_wait_xcnt 0x0
	s_or_b32 exec_lo, exec_lo, s0
	s_wait_storecnt_dscnt 0x0
	s_barrier_signal -1
	s_barrier_wait -1
	s_clause 0x5
	scratch_load_b128 v[74:77], off, off offset:56
	scratch_load_b128 v[78:81], off, off offset:72
	;; [unrolled: 1-line block ×6, first 2 shown]
	v_mov_b32_e32 v2, 0
	ds_load_b128 v[98:101], v2 offset:352
	ds_load_b128 v[102:105], v2 offset:368
	scratch_load_b128 v[106:109], off, off offset:152
	s_mov_b32 s0, exec_lo
	s_wait_loadcnt_dscnt 0x601
	v_fma_f64 v[110:111], v[76:77], v[98:99], 0
	s_wait_loadcnt 0x5
	s_delay_alu instid0(VALU_DEP_1) | instskip(SKIP_4) | instid1(VALU_DEP_1)
	v_fmac_f64_e32 v[110:111], v[78:79], v[100:101]
	scratch_load_b128 v[76:79], off, off offset:168
	s_wait_dscnt 0x0
	v_fmac_f64_e32 v[110:111], v[80:81], v[102:103]
	s_wait_loadcnt 0x5
	v_fmac_f64_e32 v[110:111], v[82:83], v[104:105]
	ds_load_b128 v[80:83], v2 offset:384
	ds_load_b128 v[98:101], v2 offset:400
	scratch_load_b128 v[102:105], off, off offset:184
	s_wait_dscnt 0x1
	v_fmac_f64_e32 v[110:111], v[84:85], v[80:81]
	s_wait_loadcnt 0x5
	s_delay_alu instid0(VALU_DEP_1) | instskip(SKIP_4) | instid1(VALU_DEP_1)
	v_fmac_f64_e32 v[110:111], v[86:87], v[82:83]
	scratch_load_b128 v[80:83], off, off offset:200
	s_wait_dscnt 0x0
	v_fmac_f64_e32 v[110:111], v[88:89], v[98:99]
	s_wait_loadcnt 0x5
	v_fmac_f64_e32 v[110:111], v[90:91], v[100:101]
	ds_load_b128 v[84:87], v2 offset:416
	ds_load_b128 v[88:91], v2 offset:432
	s_wait_dscnt 0x1
	v_fmac_f64_e32 v[110:111], v[92:93], v[84:85]
	s_wait_loadcnt 0x4
	s_delay_alu instid0(VALU_DEP_1) | instskip(SKIP_4) | instid1(VALU_DEP_1)
	v_fmac_f64_e32 v[110:111], v[94:95], v[86:87]
	scratch_load_b128 v[84:87], off, off offset:216
	s_wait_dscnt 0x0
	v_fmac_f64_e32 v[110:111], v[96:97], v[88:89]
	s_wait_loadcnt 0x4
	v_fmac_f64_e32 v[110:111], v[106:107], v[90:91]
	scratch_load_b128 v[88:91], off, off offset:232
	ds_load_b128 v[92:95], v2 offset:448
	ds_load_b128 v[96:99], v2 offset:464
	s_wait_dscnt 0x1
	v_fmac_f64_e32 v[110:111], v[108:109], v[92:93]
	s_wait_loadcnt 0x4
	s_delay_alu instid0(VALU_DEP_1)
	v_fmac_f64_e32 v[110:111], v[76:77], v[94:95]
	scratch_load_b128 v[92:95], off, off offset:248
	s_wait_dscnt 0x0
	v_fmac_f64_e32 v[110:111], v[78:79], v[96:97]
	scratch_load_b128 v[76:79], off, off offset:264
	s_wait_loadcnt 0x5
	v_fmac_f64_e32 v[110:111], v[102:103], v[98:99]
	ds_load_b128 v[96:99], v2 offset:480
	ds_load_b128 v[100:103], v2 offset:496
	s_wait_dscnt 0x1
	v_fmac_f64_e32 v[110:111], v[104:105], v[96:97]
	s_wait_loadcnt 0x4
	s_delay_alu instid0(VALU_DEP_1) | instskip(SKIP_1) | instid1(VALU_DEP_1)
	v_fmac_f64_e32 v[110:111], v[80:81], v[98:99]
	s_wait_dscnt 0x0
	v_fmac_f64_e32 v[110:111], v[82:83], v[100:101]
	ds_load_b128 v[80:83], v2 offset:512
	ds_load_b128 v[96:99], v2 offset:528
	s_wait_loadcnt 0x3
	v_fmac_f64_e32 v[110:111], v[84:85], v[102:103]
	s_wait_dscnt 0x1
	s_delay_alu instid0(VALU_DEP_1) | instskip(SKIP_1) | instid1(VALU_DEP_1)
	v_fmac_f64_e32 v[110:111], v[86:87], v[80:81]
	s_wait_loadcnt 0x2
	v_fmac_f64_e32 v[110:111], v[88:89], v[82:83]
	ds_load_b128 v[80:83], v2 offset:544
	ds_load_b64 v[84:85], v2 offset:560
	s_wait_dscnt 0x2
	v_fmac_f64_e32 v[110:111], v[90:91], v[96:97]
	s_wait_loadcnt 0x1
	s_delay_alu instid0(VALU_DEP_1) | instskip(SKIP_1) | instid1(VALU_DEP_1)
	v_fmac_f64_e32 v[110:111], v[92:93], v[98:99]
	s_wait_dscnt 0x1
	v_fmac_f64_e32 v[110:111], v[94:95], v[80:81]
	s_wait_loadcnt 0x0
	s_delay_alu instid0(VALU_DEP_1) | instskip(SKIP_1) | instid1(VALU_DEP_1)
	v_fmac_f64_e32 v[110:111], v[76:77], v[82:83]
	s_wait_dscnt 0x0
	v_fmac_f64_e32 v[110:111], v[78:79], v[84:85]
	s_delay_alu instid0(VALU_DEP_1)
	v_add_f64_e64 v[74:75], v[74:75], -v[110:111]
	scratch_store_b64 off, v[74:75], off offset:56
	s_wait_xcnt 0x0
	v_cmpx_lt_u32_e32 6, v0
	s_cbranch_execz .LBB34_207
; %bb.206:
	scratch_load_b64 v[74:75], off, off offset:48
	v_mov_b64_e32 v[76:77], 0
	scratch_store_b64 off, v[76:77], off offset:48
	s_wait_loadcnt 0x0
	ds_store_b64 v1, v[74:75]
.LBB34_207:
	s_wait_xcnt 0x0
	s_or_b32 exec_lo, exec_lo, s0
	s_wait_storecnt_dscnt 0x0
	s_barrier_signal -1
	s_barrier_wait -1
	s_clause 0x5
	scratch_load_b128 v[74:77], off, off offset:48
	scratch_load_b128 v[78:81], off, off offset:64
	;; [unrolled: 1-line block ×6, first 2 shown]
	ds_load_2addr_b64 v[98:101], v2 offset0:43 offset1:44
	ds_load_2addr_b64 v[102:105], v2 offset0:45 offset1:46
	scratch_load_b128 v[106:109], off, off offset:144
	s_mov_b32 s0, exec_lo
	s_wait_loadcnt_dscnt 0x601
	v_fma_f64 v[110:111], v[76:77], v[98:99], 0
	s_wait_loadcnt 0x5
	s_delay_alu instid0(VALU_DEP_1) | instskip(SKIP_4) | instid1(VALU_DEP_1)
	v_fmac_f64_e32 v[110:111], v[78:79], v[100:101]
	scratch_load_b128 v[76:79], off, off offset:160
	s_wait_dscnt 0x0
	v_fmac_f64_e32 v[110:111], v[80:81], v[102:103]
	s_wait_loadcnt 0x5
	v_fmac_f64_e32 v[110:111], v[82:83], v[104:105]
	ds_load_2addr_b64 v[80:83], v2 offset0:47 offset1:48
	ds_load_2addr_b64 v[98:101], v2 offset0:49 offset1:50
	scratch_load_b128 v[102:105], off, off offset:176
	s_wait_dscnt 0x1
	v_fmac_f64_e32 v[110:111], v[84:85], v[80:81]
	s_wait_loadcnt 0x5
	s_delay_alu instid0(VALU_DEP_1) | instskip(SKIP_4) | instid1(VALU_DEP_1)
	v_fmac_f64_e32 v[110:111], v[86:87], v[82:83]
	scratch_load_b128 v[80:83], off, off offset:192
	s_wait_dscnt 0x0
	v_fmac_f64_e32 v[110:111], v[88:89], v[98:99]
	s_wait_loadcnt 0x5
	v_fmac_f64_e32 v[110:111], v[90:91], v[100:101]
	ds_load_2addr_b64 v[84:87], v2 offset0:51 offset1:52
	ds_load_2addr_b64 v[88:91], v2 offset0:53 offset1:54
	s_wait_dscnt 0x1
	v_fmac_f64_e32 v[110:111], v[92:93], v[84:85]
	s_wait_loadcnt 0x4
	s_delay_alu instid0(VALU_DEP_1) | instskip(SKIP_4) | instid1(VALU_DEP_1)
	v_fmac_f64_e32 v[110:111], v[94:95], v[86:87]
	scratch_load_b128 v[84:87], off, off offset:208
	s_wait_dscnt 0x0
	v_fmac_f64_e32 v[110:111], v[96:97], v[88:89]
	s_wait_loadcnt 0x4
	v_fmac_f64_e32 v[110:111], v[106:107], v[90:91]
	scratch_load_b128 v[88:91], off, off offset:224
	ds_load_2addr_b64 v[92:95], v2 offset0:55 offset1:56
	ds_load_2addr_b64 v[96:99], v2 offset0:57 offset1:58
	s_wait_dscnt 0x1
	v_fmac_f64_e32 v[110:111], v[108:109], v[92:93]
	s_wait_loadcnt 0x4
	s_delay_alu instid0(VALU_DEP_1)
	v_fmac_f64_e32 v[110:111], v[76:77], v[94:95]
	scratch_load_b128 v[92:95], off, off offset:240
	s_wait_dscnt 0x0
	v_fmac_f64_e32 v[110:111], v[78:79], v[96:97]
	scratch_load_b128 v[76:79], off, off offset:256
	s_wait_loadcnt 0x5
	v_fmac_f64_e32 v[110:111], v[102:103], v[98:99]
	ds_load_2addr_b64 v[96:99], v2 offset0:59 offset1:60
	ds_load_2addr_b64 v[100:103], v2 offset0:61 offset1:62
	s_wait_dscnt 0x1
	v_fmac_f64_e32 v[110:111], v[104:105], v[96:97]
	scratch_load_b64 v[104:105], off, off offset:272
	s_wait_loadcnt 0x5
	v_fmac_f64_e32 v[110:111], v[80:81], v[98:99]
	s_wait_dscnt 0x0
	s_delay_alu instid0(VALU_DEP_1)
	v_fmac_f64_e32 v[110:111], v[82:83], v[100:101]
	ds_load_2addr_b64 v[80:83], v2 offset0:63 offset1:64
	ds_load_2addr_b64 v[96:99], v2 offset0:65 offset1:66
	s_wait_loadcnt 0x4
	v_fmac_f64_e32 v[110:111], v[84:85], v[102:103]
	s_wait_dscnt 0x1
	s_delay_alu instid0(VALU_DEP_1) | instskip(SKIP_1) | instid1(VALU_DEP_1)
	v_fmac_f64_e32 v[110:111], v[86:87], v[80:81]
	s_wait_loadcnt 0x3
	v_fmac_f64_e32 v[110:111], v[88:89], v[82:83]
	ds_load_2addr_b64 v[80:83], v2 offset0:67 offset1:68
	ds_load_2addr_b64 v[84:87], v2 offset0:69 offset1:70
	s_wait_dscnt 0x2
	v_fmac_f64_e32 v[110:111], v[90:91], v[96:97]
	s_wait_loadcnt 0x2
	s_delay_alu instid0(VALU_DEP_1) | instskip(SKIP_1) | instid1(VALU_DEP_1)
	v_fmac_f64_e32 v[110:111], v[92:93], v[98:99]
	s_wait_dscnt 0x1
	v_fmac_f64_e32 v[110:111], v[94:95], v[80:81]
	s_wait_loadcnt 0x1
	s_delay_alu instid0(VALU_DEP_1) | instskip(SKIP_1) | instid1(VALU_DEP_1)
	v_fmac_f64_e32 v[110:111], v[76:77], v[82:83]
	s_wait_dscnt 0x0
	v_fmac_f64_e32 v[110:111], v[78:79], v[84:85]
	s_wait_loadcnt 0x0
	s_delay_alu instid0(VALU_DEP_1) | instskip(NEXT) | instid1(VALU_DEP_1)
	v_fmac_f64_e32 v[110:111], v[104:105], v[86:87]
	v_add_f64_e64 v[2:3], v[74:75], -v[110:111]
	scratch_store_b64 off, v[2:3], off offset:48
	s_wait_xcnt 0x0
	v_cmpx_lt_u32_e32 5, v0
	s_cbranch_execz .LBB34_209
; %bb.208:
	scratch_load_b64 v[2:3], off, off offset:40
	v_mov_b64_e32 v[74:75], 0
	scratch_store_b64 off, v[74:75], off offset:40
	s_wait_loadcnt 0x0
	ds_store_b64 v1, v[2:3]
.LBB34_209:
	s_wait_xcnt 0x0
	s_or_b32 exec_lo, exec_lo, s0
	s_wait_storecnt_dscnt 0x0
	s_barrier_signal -1
	s_barrier_wait -1
	s_clause 0x5
	scratch_load_b128 v[74:77], off, off offset:40
	scratch_load_b128 v[78:81], off, off offset:56
	;; [unrolled: 1-line block ×6, first 2 shown]
	v_mov_b32_e32 v2, 0
	ds_load_b128 v[98:101], v2 offset:336
	ds_load_b128 v[102:105], v2 offset:352
	scratch_load_b128 v[106:109], off, off offset:136
	s_mov_b32 s0, exec_lo
	s_wait_loadcnt_dscnt 0x601
	v_fma_f64 v[110:111], v[76:77], v[98:99], 0
	s_wait_loadcnt 0x5
	s_delay_alu instid0(VALU_DEP_1) | instskip(SKIP_4) | instid1(VALU_DEP_1)
	v_fmac_f64_e32 v[110:111], v[78:79], v[100:101]
	scratch_load_b128 v[76:79], off, off offset:152
	s_wait_dscnt 0x0
	v_fmac_f64_e32 v[110:111], v[80:81], v[102:103]
	s_wait_loadcnt 0x5
	v_fmac_f64_e32 v[110:111], v[82:83], v[104:105]
	ds_load_b128 v[80:83], v2 offset:368
	ds_load_b128 v[98:101], v2 offset:384
	scratch_load_b128 v[102:105], off, off offset:168
	s_wait_dscnt 0x1
	v_fmac_f64_e32 v[110:111], v[84:85], v[80:81]
	s_wait_loadcnt 0x5
	s_delay_alu instid0(VALU_DEP_1) | instskip(SKIP_4) | instid1(VALU_DEP_1)
	v_fmac_f64_e32 v[110:111], v[86:87], v[82:83]
	scratch_load_b128 v[80:83], off, off offset:184
	s_wait_dscnt 0x0
	v_fmac_f64_e32 v[110:111], v[88:89], v[98:99]
	s_wait_loadcnt 0x5
	v_fmac_f64_e32 v[110:111], v[90:91], v[100:101]
	ds_load_b128 v[84:87], v2 offset:400
	ds_load_b128 v[88:91], v2 offset:416
	s_wait_dscnt 0x1
	v_fmac_f64_e32 v[110:111], v[92:93], v[84:85]
	s_wait_loadcnt 0x4
	s_delay_alu instid0(VALU_DEP_1) | instskip(SKIP_4) | instid1(VALU_DEP_1)
	v_fmac_f64_e32 v[110:111], v[94:95], v[86:87]
	scratch_load_b128 v[84:87], off, off offset:200
	s_wait_dscnt 0x0
	v_fmac_f64_e32 v[110:111], v[96:97], v[88:89]
	s_wait_loadcnt 0x4
	v_fmac_f64_e32 v[110:111], v[106:107], v[90:91]
	scratch_load_b128 v[88:91], off, off offset:216
	ds_load_b128 v[92:95], v2 offset:432
	ds_load_b128 v[96:99], v2 offset:448
	s_wait_dscnt 0x1
	v_fmac_f64_e32 v[110:111], v[108:109], v[92:93]
	s_wait_loadcnt 0x4
	s_delay_alu instid0(VALU_DEP_1)
	v_fmac_f64_e32 v[110:111], v[76:77], v[94:95]
	scratch_load_b128 v[92:95], off, off offset:232
	s_wait_dscnt 0x0
	v_fmac_f64_e32 v[110:111], v[78:79], v[96:97]
	scratch_load_b128 v[76:79], off, off offset:248
	s_wait_loadcnt 0x5
	v_fmac_f64_e32 v[110:111], v[102:103], v[98:99]
	ds_load_b128 v[96:99], v2 offset:464
	ds_load_b128 v[100:103], v2 offset:480
	s_wait_dscnt 0x1
	v_fmac_f64_e32 v[110:111], v[104:105], v[96:97]
	s_wait_loadcnt 0x4
	s_delay_alu instid0(VALU_DEP_1) | instskip(SKIP_4) | instid1(VALU_DEP_1)
	v_fmac_f64_e32 v[110:111], v[80:81], v[98:99]
	scratch_load_b128 v[96:99], off, off offset:264
	s_wait_dscnt 0x0
	v_fmac_f64_e32 v[110:111], v[82:83], v[100:101]
	s_wait_loadcnt 0x4
	v_fmac_f64_e32 v[110:111], v[84:85], v[102:103]
	ds_load_b128 v[80:83], v2 offset:496
	ds_load_b128 v[100:103], v2 offset:512
	s_wait_dscnt 0x1
	v_fmac_f64_e32 v[110:111], v[86:87], v[80:81]
	s_wait_loadcnt 0x3
	s_delay_alu instid0(VALU_DEP_1)
	v_fmac_f64_e32 v[110:111], v[88:89], v[82:83]
	ds_load_b128 v[80:83], v2 offset:528
	ds_load_b128 v[84:87], v2 offset:544
	s_wait_dscnt 0x2
	v_fmac_f64_e32 v[110:111], v[90:91], v[100:101]
	s_wait_loadcnt 0x2
	s_delay_alu instid0(VALU_DEP_1) | instskip(SKIP_1) | instid1(VALU_DEP_1)
	v_fmac_f64_e32 v[110:111], v[92:93], v[102:103]
	s_wait_dscnt 0x1
	v_fmac_f64_e32 v[110:111], v[94:95], v[80:81]
	s_wait_loadcnt 0x1
	s_delay_alu instid0(VALU_DEP_1) | instskip(SKIP_4) | instid1(VALU_DEP_1)
	v_fmac_f64_e32 v[110:111], v[76:77], v[82:83]
	ds_load_b64 v[76:77], v2 offset:560
	s_wait_dscnt 0x1
	v_fmac_f64_e32 v[110:111], v[78:79], v[84:85]
	s_wait_loadcnt 0x0
	v_fmac_f64_e32 v[110:111], v[96:97], v[86:87]
	s_wait_dscnt 0x0
	s_delay_alu instid0(VALU_DEP_1) | instskip(NEXT) | instid1(VALU_DEP_1)
	v_fmac_f64_e32 v[110:111], v[98:99], v[76:77]
	v_add_f64_e64 v[74:75], v[74:75], -v[110:111]
	scratch_store_b64 off, v[74:75], off offset:40
	s_wait_xcnt 0x0
	v_cmpx_lt_u32_e32 4, v0
	s_cbranch_execz .LBB34_211
; %bb.210:
	scratch_load_b64 v[74:75], off, off offset:32
	v_mov_b64_e32 v[76:77], 0
	scratch_store_b64 off, v[76:77], off offset:32
	s_wait_loadcnt 0x0
	ds_store_b64 v1, v[74:75]
.LBB34_211:
	s_wait_xcnt 0x0
	s_or_b32 exec_lo, exec_lo, s0
	s_wait_storecnt_dscnt 0x0
	s_barrier_signal -1
	s_barrier_wait -1
	s_clause 0x5
	scratch_load_b128 v[74:77], off, off offset:32
	scratch_load_b128 v[78:81], off, off offset:48
	;; [unrolled: 1-line block ×6, first 2 shown]
	ds_load_2addr_b64 v[98:101], v2 offset0:41 offset1:42
	ds_load_2addr_b64 v[102:105], v2 offset0:43 offset1:44
	scratch_load_b128 v[106:109], off, off offset:128
	s_mov_b32 s0, exec_lo
	s_wait_loadcnt_dscnt 0x601
	v_fma_f64 v[110:111], v[76:77], v[98:99], 0
	s_wait_loadcnt 0x5
	s_delay_alu instid0(VALU_DEP_1) | instskip(SKIP_4) | instid1(VALU_DEP_1)
	v_fmac_f64_e32 v[110:111], v[78:79], v[100:101]
	scratch_load_b128 v[76:79], off, off offset:144
	s_wait_dscnt 0x0
	v_fmac_f64_e32 v[110:111], v[80:81], v[102:103]
	s_wait_loadcnt 0x5
	v_fmac_f64_e32 v[110:111], v[82:83], v[104:105]
	ds_load_2addr_b64 v[80:83], v2 offset0:45 offset1:46
	ds_load_2addr_b64 v[98:101], v2 offset0:47 offset1:48
	scratch_load_b128 v[102:105], off, off offset:160
	s_wait_dscnt 0x1
	v_fmac_f64_e32 v[110:111], v[84:85], v[80:81]
	s_wait_loadcnt 0x5
	s_delay_alu instid0(VALU_DEP_1) | instskip(SKIP_4) | instid1(VALU_DEP_1)
	v_fmac_f64_e32 v[110:111], v[86:87], v[82:83]
	scratch_load_b128 v[80:83], off, off offset:176
	s_wait_dscnt 0x0
	v_fmac_f64_e32 v[110:111], v[88:89], v[98:99]
	s_wait_loadcnt 0x5
	v_fmac_f64_e32 v[110:111], v[90:91], v[100:101]
	ds_load_2addr_b64 v[84:87], v2 offset0:49 offset1:50
	ds_load_2addr_b64 v[88:91], v2 offset0:51 offset1:52
	scratch_load_b128 v[98:101], off, off offset:192
	s_wait_dscnt 0x1
	v_fmac_f64_e32 v[110:111], v[92:93], v[84:85]
	s_wait_loadcnt 0x5
	s_delay_alu instid0(VALU_DEP_1) | instskip(SKIP_4) | instid1(VALU_DEP_1)
	v_fmac_f64_e32 v[110:111], v[94:95], v[86:87]
	scratch_load_b128 v[84:87], off, off offset:208
	s_wait_dscnt 0x0
	v_fmac_f64_e32 v[110:111], v[96:97], v[88:89]
	s_wait_loadcnt 0x5
	v_fmac_f64_e32 v[110:111], v[106:107], v[90:91]
	ds_load_2addr_b64 v[88:91], v2 offset0:53 offset1:54
	ds_load_2addr_b64 v[92:95], v2 offset0:55 offset1:56
	s_wait_dscnt 0x1
	v_fmac_f64_e32 v[110:111], v[108:109], v[88:89]
	s_wait_loadcnt 0x4
	s_delay_alu instid0(VALU_DEP_1)
	v_fmac_f64_e32 v[110:111], v[76:77], v[90:91]
	scratch_load_b128 v[88:91], off, off offset:224
	s_wait_dscnt 0x0
	v_fmac_f64_e32 v[110:111], v[78:79], v[92:93]
	scratch_load_b128 v[76:79], off, off offset:240
	s_wait_loadcnt 0x5
	v_fmac_f64_e32 v[110:111], v[102:103], v[94:95]
	ds_load_2addr_b64 v[92:95], v2 offset0:57 offset1:58
	ds_load_2addr_b64 v[106:109], v2 offset0:59 offset1:60
	scratch_load_b64 v[102:103], off, off offset:272
	s_wait_dscnt 0x1
	v_fmac_f64_e32 v[110:111], v[104:105], v[92:93]
	s_wait_loadcnt 0x5
	s_delay_alu instid0(VALU_DEP_1) | instskip(SKIP_4) | instid1(VALU_DEP_1)
	v_fmac_f64_e32 v[110:111], v[80:81], v[94:95]
	scratch_load_b128 v[92:95], off, off offset:256
	s_wait_dscnt 0x0
	v_fmac_f64_e32 v[110:111], v[82:83], v[106:107]
	s_wait_loadcnt 0x5
	v_fmac_f64_e32 v[110:111], v[98:99], v[108:109]
	ds_load_2addr_b64 v[80:83], v2 offset0:61 offset1:62
	ds_load_2addr_b64 v[96:99], v2 offset0:63 offset1:64
	s_wait_dscnt 0x1
	v_fmac_f64_e32 v[110:111], v[100:101], v[80:81]
	s_wait_loadcnt 0x4
	s_delay_alu instid0(VALU_DEP_1) | instskip(SKIP_1) | instid1(VALU_DEP_1)
	v_fmac_f64_e32 v[110:111], v[84:85], v[82:83]
	s_wait_dscnt 0x0
	v_fmac_f64_e32 v[110:111], v[86:87], v[96:97]
	ds_load_2addr_b64 v[80:83], v2 offset0:65 offset1:66
	ds_load_2addr_b64 v[84:87], v2 offset0:67 offset1:68
	s_wait_loadcnt 0x3
	v_fmac_f64_e32 v[110:111], v[88:89], v[98:99]
	s_wait_dscnt 0x1
	s_delay_alu instid0(VALU_DEP_1) | instskip(SKIP_1) | instid1(VALU_DEP_1)
	v_fmac_f64_e32 v[110:111], v[90:91], v[80:81]
	s_wait_loadcnt 0x2
	v_fmac_f64_e32 v[110:111], v[76:77], v[82:83]
	s_wait_dscnt 0x0
	s_delay_alu instid0(VALU_DEP_1) | instskip(SKIP_4) | instid1(VALU_DEP_1)
	v_fmac_f64_e32 v[110:111], v[78:79], v[84:85]
	ds_load_2addr_b64 v[76:79], v2 offset0:69 offset1:70
	s_wait_loadcnt 0x0
	v_fmac_f64_e32 v[110:111], v[92:93], v[86:87]
	s_wait_dscnt 0x0
	v_fmac_f64_e32 v[110:111], v[94:95], v[76:77]
	s_delay_alu instid0(VALU_DEP_1) | instskip(NEXT) | instid1(VALU_DEP_1)
	v_fmac_f64_e32 v[110:111], v[102:103], v[78:79]
	v_add_f64_e64 v[2:3], v[74:75], -v[110:111]
	scratch_store_b64 off, v[2:3], off offset:32
	s_wait_xcnt 0x0
	v_cmpx_lt_u32_e32 3, v0
	s_cbranch_execz .LBB34_213
; %bb.212:
	scratch_load_b64 v[2:3], off, off offset:24
	v_mov_b64_e32 v[74:75], 0
	scratch_store_b64 off, v[74:75], off offset:24
	s_wait_loadcnt 0x0
	ds_store_b64 v1, v[2:3]
.LBB34_213:
	s_wait_xcnt 0x0
	s_or_b32 exec_lo, exec_lo, s0
	s_wait_storecnt_dscnt 0x0
	s_barrier_signal -1
	s_barrier_wait -1
	s_clause 0x5
	scratch_load_b128 v[74:77], off, off offset:24
	scratch_load_b128 v[78:81], off, off offset:40
	;; [unrolled: 1-line block ×6, first 2 shown]
	v_mov_b32_e32 v2, 0
	ds_load_b128 v[98:101], v2 offset:320
	ds_load_b128 v[102:105], v2 offset:336
	scratch_load_b128 v[106:109], off, off offset:120
	s_mov_b32 s0, exec_lo
	s_wait_loadcnt_dscnt 0x601
	v_fma_f64 v[110:111], v[76:77], v[98:99], 0
	s_wait_loadcnt 0x5
	s_delay_alu instid0(VALU_DEP_1) | instskip(SKIP_4) | instid1(VALU_DEP_1)
	v_fmac_f64_e32 v[110:111], v[78:79], v[100:101]
	scratch_load_b128 v[76:79], off, off offset:136
	s_wait_dscnt 0x0
	v_fmac_f64_e32 v[110:111], v[80:81], v[102:103]
	s_wait_loadcnt 0x5
	v_fmac_f64_e32 v[110:111], v[82:83], v[104:105]
	ds_load_b128 v[80:83], v2 offset:352
	ds_load_b128 v[98:101], v2 offset:368
	scratch_load_b128 v[102:105], off, off offset:152
	s_wait_dscnt 0x1
	v_fmac_f64_e32 v[110:111], v[84:85], v[80:81]
	s_wait_loadcnt 0x5
	s_delay_alu instid0(VALU_DEP_1) | instskip(SKIP_4) | instid1(VALU_DEP_1)
	v_fmac_f64_e32 v[110:111], v[86:87], v[82:83]
	scratch_load_b128 v[80:83], off, off offset:168
	s_wait_dscnt 0x0
	v_fmac_f64_e32 v[110:111], v[88:89], v[98:99]
	s_wait_loadcnt 0x5
	v_fmac_f64_e32 v[110:111], v[90:91], v[100:101]
	ds_load_b128 v[84:87], v2 offset:384
	ds_load_b128 v[88:91], v2 offset:400
	scratch_load_b128 v[98:101], off, off offset:184
	s_wait_dscnt 0x1
	v_fmac_f64_e32 v[110:111], v[92:93], v[84:85]
	s_wait_loadcnt 0x5
	s_delay_alu instid0(VALU_DEP_1) | instskip(SKIP_4) | instid1(VALU_DEP_1)
	v_fmac_f64_e32 v[110:111], v[94:95], v[86:87]
	scratch_load_b128 v[84:87], off, off offset:200
	s_wait_dscnt 0x0
	v_fmac_f64_e32 v[110:111], v[96:97], v[88:89]
	s_wait_loadcnt 0x5
	v_fmac_f64_e32 v[110:111], v[106:107], v[90:91]
	ds_load_b128 v[88:91], v2 offset:416
	ds_load_b128 v[92:95], v2 offset:432
	s_wait_dscnt 0x1
	v_fmac_f64_e32 v[110:111], v[108:109], v[88:89]
	s_wait_loadcnt 0x4
	s_delay_alu instid0(VALU_DEP_1)
	v_fmac_f64_e32 v[110:111], v[76:77], v[90:91]
	scratch_load_b128 v[88:91], off, off offset:216
	s_wait_dscnt 0x0
	v_fmac_f64_e32 v[110:111], v[78:79], v[92:93]
	scratch_load_b128 v[76:79], off, off offset:232
	s_wait_loadcnt 0x5
	v_fmac_f64_e32 v[110:111], v[102:103], v[94:95]
	ds_load_b128 v[92:95], v2 offset:448
	ds_load_b128 v[106:109], v2 offset:464
	s_wait_dscnt 0x1
	v_fmac_f64_e32 v[110:111], v[104:105], v[92:93]
	s_wait_loadcnt 0x4
	s_delay_alu instid0(VALU_DEP_1)
	v_fmac_f64_e32 v[110:111], v[80:81], v[94:95]
	scratch_load_b128 v[92:95], off, off offset:248
	s_wait_dscnt 0x0
	v_fmac_f64_e32 v[110:111], v[82:83], v[106:107]
	scratch_load_b128 v[80:83], off, off offset:264
	s_wait_loadcnt 0x5
	v_fmac_f64_e32 v[110:111], v[98:99], v[108:109]
	ds_load_b128 v[96:99], v2 offset:480
	ds_load_b128 v[102:105], v2 offset:496
	s_wait_dscnt 0x1
	v_fmac_f64_e32 v[110:111], v[100:101], v[96:97]
	s_wait_loadcnt 0x4
	s_delay_alu instid0(VALU_DEP_1) | instskip(SKIP_1) | instid1(VALU_DEP_1)
	v_fmac_f64_e32 v[110:111], v[84:85], v[98:99]
	s_wait_dscnt 0x0
	v_fmac_f64_e32 v[110:111], v[86:87], v[102:103]
	ds_load_b128 v[84:87], v2 offset:512
	ds_load_b128 v[96:99], v2 offset:528
	s_wait_loadcnt 0x3
	v_fmac_f64_e32 v[110:111], v[88:89], v[104:105]
	s_wait_dscnt 0x1
	s_delay_alu instid0(VALU_DEP_1) | instskip(SKIP_1) | instid1(VALU_DEP_1)
	v_fmac_f64_e32 v[110:111], v[90:91], v[84:85]
	s_wait_loadcnt 0x2
	v_fmac_f64_e32 v[110:111], v[76:77], v[86:87]
	s_wait_dscnt 0x0
	s_delay_alu instid0(VALU_DEP_1)
	v_fmac_f64_e32 v[110:111], v[78:79], v[96:97]
	ds_load_b128 v[76:79], v2 offset:544
	ds_load_b64 v[84:85], v2 offset:560
	s_wait_loadcnt 0x1
	v_fmac_f64_e32 v[110:111], v[92:93], v[98:99]
	s_wait_dscnt 0x1
	s_delay_alu instid0(VALU_DEP_1) | instskip(SKIP_1) | instid1(VALU_DEP_1)
	v_fmac_f64_e32 v[110:111], v[94:95], v[76:77]
	s_wait_loadcnt 0x0
	v_fmac_f64_e32 v[110:111], v[80:81], v[78:79]
	s_wait_dscnt 0x0
	s_delay_alu instid0(VALU_DEP_1) | instskip(NEXT) | instid1(VALU_DEP_1)
	v_fmac_f64_e32 v[110:111], v[82:83], v[84:85]
	v_add_f64_e64 v[74:75], v[74:75], -v[110:111]
	scratch_store_b64 off, v[74:75], off offset:24
	s_wait_xcnt 0x0
	v_cmpx_lt_u32_e32 2, v0
	s_cbranch_execz .LBB34_215
; %bb.214:
	scratch_load_b64 v[74:75], off, off offset:16
	v_mov_b64_e32 v[76:77], 0
	scratch_store_b64 off, v[76:77], off offset:16
	s_wait_loadcnt 0x0
	ds_store_b64 v1, v[74:75]
.LBB34_215:
	s_wait_xcnt 0x0
	s_or_b32 exec_lo, exec_lo, s0
	s_wait_storecnt_dscnt 0x0
	s_barrier_signal -1
	s_barrier_wait -1
	s_clause 0x5
	scratch_load_b128 v[74:77], off, off offset:16
	scratch_load_b128 v[78:81], off, off offset:32
	;; [unrolled: 1-line block ×6, first 2 shown]
	ds_load_2addr_b64 v[98:101], v2 offset0:39 offset1:40
	ds_load_2addr_b64 v[102:105], v2 offset0:41 offset1:42
	scratch_load_b128 v[106:109], off, off offset:112
	s_mov_b32 s0, exec_lo
	s_wait_loadcnt_dscnt 0x601
	v_fma_f64 v[110:111], v[76:77], v[98:99], 0
	s_wait_loadcnt 0x5
	s_delay_alu instid0(VALU_DEP_1) | instskip(SKIP_4) | instid1(VALU_DEP_1)
	v_fmac_f64_e32 v[110:111], v[78:79], v[100:101]
	scratch_load_b128 v[76:79], off, off offset:128
	s_wait_dscnt 0x0
	v_fmac_f64_e32 v[110:111], v[80:81], v[102:103]
	s_wait_loadcnt 0x5
	v_fmac_f64_e32 v[110:111], v[82:83], v[104:105]
	ds_load_2addr_b64 v[80:83], v2 offset0:43 offset1:44
	ds_load_2addr_b64 v[98:101], v2 offset0:45 offset1:46
	scratch_load_b128 v[102:105], off, off offset:144
	s_wait_dscnt 0x1
	v_fmac_f64_e32 v[110:111], v[84:85], v[80:81]
	s_wait_loadcnt 0x5
	s_delay_alu instid0(VALU_DEP_1) | instskip(SKIP_4) | instid1(VALU_DEP_1)
	v_fmac_f64_e32 v[110:111], v[86:87], v[82:83]
	scratch_load_b128 v[80:83], off, off offset:160
	s_wait_dscnt 0x0
	v_fmac_f64_e32 v[110:111], v[88:89], v[98:99]
	s_wait_loadcnt 0x5
	v_fmac_f64_e32 v[110:111], v[90:91], v[100:101]
	ds_load_2addr_b64 v[84:87], v2 offset0:47 offset1:48
	ds_load_2addr_b64 v[88:91], v2 offset0:49 offset1:50
	scratch_load_b128 v[98:101], off, off offset:176
	s_wait_dscnt 0x1
	v_fmac_f64_e32 v[110:111], v[92:93], v[84:85]
	s_wait_loadcnt 0x5
	s_delay_alu instid0(VALU_DEP_1) | instskip(SKIP_4) | instid1(VALU_DEP_1)
	v_fmac_f64_e32 v[110:111], v[94:95], v[86:87]
	scratch_load_b128 v[84:87], off, off offset:192
	s_wait_dscnt 0x0
	v_fmac_f64_e32 v[110:111], v[96:97], v[88:89]
	s_wait_loadcnt 0x5
	v_fmac_f64_e32 v[110:111], v[106:107], v[90:91]
	ds_load_2addr_b64 v[88:91], v2 offset0:51 offset1:52
	ds_load_2addr_b64 v[92:95], v2 offset0:53 offset1:54
	s_wait_dscnt 0x1
	v_fmac_f64_e32 v[110:111], v[108:109], v[88:89]
	s_wait_loadcnt 0x4
	s_delay_alu instid0(VALU_DEP_1)
	v_fmac_f64_e32 v[110:111], v[76:77], v[90:91]
	scratch_load_b128 v[88:91], off, off offset:208
	s_wait_dscnt 0x0
	v_fmac_f64_e32 v[110:111], v[78:79], v[92:93]
	scratch_load_b128 v[76:79], off, off offset:224
	s_wait_loadcnt 0x5
	v_fmac_f64_e32 v[110:111], v[102:103], v[94:95]
	ds_load_2addr_b64 v[92:95], v2 offset0:55 offset1:56
	ds_load_2addr_b64 v[106:109], v2 offset0:57 offset1:58
	s_wait_dscnt 0x1
	v_fmac_f64_e32 v[110:111], v[104:105], v[92:93]
	s_wait_loadcnt 0x4
	s_delay_alu instid0(VALU_DEP_1)
	v_fmac_f64_e32 v[110:111], v[80:81], v[94:95]
	scratch_load_b128 v[92:95], off, off offset:240
	s_wait_dscnt 0x0
	v_fmac_f64_e32 v[110:111], v[82:83], v[106:107]
	scratch_load_b128 v[80:83], off, off offset:256
	s_wait_loadcnt 0x5
	v_fmac_f64_e32 v[110:111], v[98:99], v[108:109]
	ds_load_2addr_b64 v[96:99], v2 offset0:59 offset1:60
	ds_load_2addr_b64 v[102:105], v2 offset0:61 offset1:62
	s_wait_dscnt 0x1
	v_fmac_f64_e32 v[110:111], v[100:101], v[96:97]
	scratch_load_b64 v[100:101], off, off offset:272
	s_wait_loadcnt 0x5
	v_fmac_f64_e32 v[110:111], v[84:85], v[98:99]
	s_wait_dscnt 0x0
	s_delay_alu instid0(VALU_DEP_1)
	v_fmac_f64_e32 v[110:111], v[86:87], v[102:103]
	ds_load_2addr_b64 v[84:87], v2 offset0:63 offset1:64
	ds_load_2addr_b64 v[96:99], v2 offset0:65 offset1:66
	s_wait_loadcnt 0x4
	v_fmac_f64_e32 v[110:111], v[88:89], v[104:105]
	s_wait_dscnt 0x1
	s_delay_alu instid0(VALU_DEP_1) | instskip(SKIP_1) | instid1(VALU_DEP_1)
	v_fmac_f64_e32 v[110:111], v[90:91], v[84:85]
	s_wait_loadcnt 0x3
	v_fmac_f64_e32 v[110:111], v[76:77], v[86:87]
	s_wait_dscnt 0x0
	s_delay_alu instid0(VALU_DEP_1)
	v_fmac_f64_e32 v[110:111], v[78:79], v[96:97]
	ds_load_2addr_b64 v[76:79], v2 offset0:67 offset1:68
	ds_load_2addr_b64 v[84:87], v2 offset0:69 offset1:70
	s_wait_loadcnt 0x2
	v_fmac_f64_e32 v[110:111], v[92:93], v[98:99]
	s_wait_dscnt 0x1
	s_delay_alu instid0(VALU_DEP_1) | instskip(SKIP_1) | instid1(VALU_DEP_1)
	v_fmac_f64_e32 v[110:111], v[94:95], v[76:77]
	s_wait_loadcnt 0x1
	v_fmac_f64_e32 v[110:111], v[80:81], v[78:79]
	s_wait_dscnt 0x0
	s_delay_alu instid0(VALU_DEP_1) | instskip(SKIP_1) | instid1(VALU_DEP_1)
	v_fmac_f64_e32 v[110:111], v[82:83], v[84:85]
	s_wait_loadcnt 0x0
	v_fmac_f64_e32 v[110:111], v[100:101], v[86:87]
	s_delay_alu instid0(VALU_DEP_1)
	v_add_f64_e64 v[2:3], v[74:75], -v[110:111]
	scratch_store_b64 off, v[2:3], off offset:16
	s_wait_xcnt 0x0
	v_cmpx_lt_u32_e32 1, v0
	s_cbranch_execz .LBB34_217
; %bb.216:
	scratch_load_b64 v[2:3], off, off offset:8
	v_mov_b64_e32 v[74:75], 0
	scratch_store_b64 off, v[74:75], off offset:8
	s_wait_loadcnt 0x0
	ds_store_b64 v1, v[2:3]
.LBB34_217:
	s_wait_xcnt 0x0
	s_or_b32 exec_lo, exec_lo, s0
	s_wait_storecnt_dscnt 0x0
	s_barrier_signal -1
	s_barrier_wait -1
	s_clause 0x5
	scratch_load_b128 v[76:79], off, off offset:8
	scratch_load_b128 v[80:83], off, off offset:24
	scratch_load_b128 v[84:87], off, off offset:40
	scratch_load_b128 v[88:91], off, off offset:56
	scratch_load_b128 v[92:95], off, off offset:72
	scratch_load_b128 v[96:99], off, off offset:88
	v_dual_mov_b32 v74, 0 :: v_dual_ashrrev_i32 v9, 31, v8
	ds_load_b128 v[100:103], v74 offset:304
	ds_load_b128 v[104:107], v74 offset:320
	scratch_load_b128 v[108:111], off, off offset:104
	v_dual_ashrrev_i32 v11, 31, v10 :: v_dual_ashrrev_i32 v13, 31, v12
	v_dual_ashrrev_i32 v15, 31, v14 :: v_dual_ashrrev_i32 v17, 31, v16
	;; [unrolled: 1-line block ×15, first 2 shown]
	v_ashrrev_i32_e32 v71, 31, v70
	s_mov_b32 s0, exec_lo
	v_ashrrev_i32_e32 v25, 31, v24
	s_wait_loadcnt_dscnt 0x601
	v_fma_f64 v[2:3], v[78:79], v[100:101], 0
	s_wait_loadcnt 0x5
	s_delay_alu instid0(VALU_DEP_1) | instskip(SKIP_4) | instid1(VALU_DEP_1)
	v_fmac_f64_e32 v[2:3], v[80:81], v[102:103]
	scratch_load_b128 v[78:81], off, off offset:120
	s_wait_dscnt 0x0
	v_fmac_f64_e32 v[2:3], v[82:83], v[104:105]
	s_wait_loadcnt 0x5
	v_fmac_f64_e32 v[2:3], v[84:85], v[106:107]
	ds_load_b128 v[82:85], v74 offset:336
	ds_load_b128 v[100:103], v74 offset:352
	scratch_load_b128 v[104:107], off, off offset:136
	s_wait_dscnt 0x1
	v_fmac_f64_e32 v[2:3], v[86:87], v[82:83]
	s_wait_loadcnt 0x5
	s_delay_alu instid0(VALU_DEP_1) | instskip(SKIP_4) | instid1(VALU_DEP_1)
	v_fmac_f64_e32 v[2:3], v[88:89], v[84:85]
	scratch_load_b128 v[82:85], off, off offset:152
	s_wait_dscnt 0x0
	v_fmac_f64_e32 v[2:3], v[90:91], v[100:101]
	s_wait_loadcnt 0x5
	v_fmac_f64_e32 v[2:3], v[92:93], v[102:103]
	ds_load_b128 v[86:89], v74 offset:368
	ds_load_b128 v[90:93], v74 offset:384
	scratch_load_b128 v[100:103], off, off offset:168
	s_wait_dscnt 0x1
	v_fmac_f64_e32 v[2:3], v[94:95], v[86:87]
	s_wait_loadcnt 0x5
	s_delay_alu instid0(VALU_DEP_1) | instskip(SKIP_4) | instid1(VALU_DEP_1)
	v_fmac_f64_e32 v[2:3], v[96:97], v[88:89]
	scratch_load_b128 v[86:89], off, off offset:184
	s_wait_dscnt 0x0
	v_fmac_f64_e32 v[2:3], v[98:99], v[90:91]
	s_wait_loadcnt 0x5
	v_fmac_f64_e32 v[2:3], v[108:109], v[92:93]
	ds_load_b128 v[90:93], v74 offset:400
	ds_load_b128 v[94:97], v74 offset:416
	s_wait_dscnt 0x1
	v_fmac_f64_e32 v[2:3], v[110:111], v[90:91]
	s_wait_loadcnt 0x4
	s_delay_alu instid0(VALU_DEP_1)
	v_fmac_f64_e32 v[2:3], v[78:79], v[92:93]
	scratch_load_b128 v[90:93], off, off offset:200
	s_wait_dscnt 0x0
	v_fmac_f64_e32 v[2:3], v[80:81], v[94:95]
	scratch_load_b128 v[78:81], off, off offset:216
	s_wait_loadcnt 0x5
	v_fmac_f64_e32 v[2:3], v[104:105], v[96:97]
	ds_load_b128 v[94:97], v74 offset:432
	ds_load_b128 v[108:111], v74 offset:448
	s_wait_dscnt 0x1
	v_fmac_f64_e32 v[2:3], v[106:107], v[94:95]
	s_wait_loadcnt 0x4
	s_delay_alu instid0(VALU_DEP_1)
	v_fmac_f64_e32 v[2:3], v[82:83], v[96:97]
	scratch_load_b128 v[94:97], off, off offset:232
	s_wait_dscnt 0x0
	v_fmac_f64_e32 v[2:3], v[84:85], v[108:109]
	scratch_load_b128 v[82:85], off, off offset:248
	s_wait_loadcnt 0x5
	v_fmac_f64_e32 v[2:3], v[100:101], v[110:111]
	ds_load_b128 v[98:101], v74 offset:464
	ds_load_b128 v[104:107], v74 offset:480
	s_wait_dscnt 0x1
	v_fmac_f64_e32 v[2:3], v[102:103], v[98:99]
	s_wait_loadcnt 0x4
	s_delay_alu instid0(VALU_DEP_1)
	v_fmac_f64_e32 v[2:3], v[86:87], v[100:101]
	scratch_load_b128 v[98:101], off, off offset:264
	s_wait_dscnt 0x0
	v_fmac_f64_e32 v[2:3], v[88:89], v[104:105]
	ds_load_b128 v[86:89], v74 offset:496
	ds_load_b128 v[102:105], v74 offset:512
	s_wait_loadcnt 0x4
	v_fmac_f64_e32 v[2:3], v[90:91], v[106:107]
	s_wait_dscnt 0x1
	s_delay_alu instid0(VALU_DEP_1) | instskip(SKIP_1) | instid1(VALU_DEP_1)
	v_fmac_f64_e32 v[2:3], v[92:93], v[86:87]
	s_wait_loadcnt 0x3
	v_fmac_f64_e32 v[2:3], v[78:79], v[88:89]
	s_wait_dscnt 0x0
	s_delay_alu instid0(VALU_DEP_1)
	v_fmac_f64_e32 v[2:3], v[80:81], v[102:103]
	ds_load_b128 v[78:81], v74 offset:528
	ds_load_b128 v[86:89], v74 offset:544
	s_wait_loadcnt 0x2
	v_fmac_f64_e32 v[2:3], v[94:95], v[104:105]
	s_wait_dscnt 0x1
	s_delay_alu instid0(VALU_DEP_1) | instskip(SKIP_4) | instid1(VALU_DEP_1)
	v_fmac_f64_e32 v[2:3], v[96:97], v[78:79]
	ds_load_b64 v[78:79], v74 offset:560
	s_wait_loadcnt 0x1
	v_fmac_f64_e32 v[2:3], v[82:83], v[80:81]
	s_wait_dscnt 0x1
	v_fmac_f64_e32 v[2:3], v[84:85], v[86:87]
	s_wait_loadcnt 0x0
	s_delay_alu instid0(VALU_DEP_1) | instskip(SKIP_1) | instid1(VALU_DEP_1)
	v_fmac_f64_e32 v[2:3], v[98:99], v[88:89]
	s_wait_dscnt 0x0
	v_fmac_f64_e32 v[2:3], v[100:101], v[78:79]
	s_delay_alu instid0(VALU_DEP_1)
	v_add_f64_e64 v[2:3], v[76:77], -v[2:3]
	scratch_store_b64 off, v[2:3], off offset:8
	s_wait_xcnt 0x0
	v_cmpx_ne_u32_e32 0, v0
	s_cbranch_execz .LBB34_219
; %bb.218:
	scratch_load_b64 v[2:3], off, off
	v_mov_b64_e32 v[76:77], 0
	scratch_store_b64 off, v[76:77], off
	s_wait_loadcnt 0x0
	ds_store_b64 v1, v[2:3]
.LBB34_219:
	s_wait_xcnt 0x0
	s_or_b32 exec_lo, exec_lo, s0
	s_wait_storecnt_dscnt 0x0
	s_barrier_signal -1
	s_barrier_wait -1
	s_clause 0x5
	scratch_load_b128 v[76:79], off, off
	scratch_load_b128 v[0:3], off, off offset:16
	scratch_load_b128 v[80:83], off, off offset:32
	;; [unrolled: 1-line block ×5, first 2 shown]
	ds_load_2addr_b64 v[96:99], v74 offset0:37 offset1:38
	scratch_load_b128 v[100:103], off, off offset:96
	s_and_b32 vcc_lo, exec_lo, s18
	scratch_load_b128 v[104:107], off, off offset:208
	s_wait_loadcnt_dscnt 0x700
	v_fma_f64 v[108:109], v[78:79], v[96:97], 0
	s_wait_loadcnt 0x6
	s_delay_alu instid0(VALU_DEP_1)
	v_fmac_f64_e32 v[108:109], v[0:1], v[98:99]
	ds_load_2addr_b64 v[96:99], v74 offset0:39 offset1:40
	s_wait_dscnt 0x0
	v_fmac_f64_e32 v[108:109], v[2:3], v[96:97]
	scratch_load_b128 v[0:3], off, off offset:112
	s_wait_loadcnt 0x6
	v_fmac_f64_e32 v[108:109], v[80:81], v[98:99]
	ds_load_2addr_b64 v[78:81], v74 offset0:41 offset1:42
	scratch_load_b128 v[96:99], off, off offset:128
	s_wait_dscnt 0x0
	v_fmac_f64_e32 v[108:109], v[82:83], v[78:79]
	s_wait_loadcnt 0x6
	s_delay_alu instid0(VALU_DEP_1)
	v_fmac_f64_e32 v[108:109], v[84:85], v[80:81]
	ds_load_2addr_b64 v[78:81], v74 offset0:43 offset1:44
	scratch_load_b128 v[82:85], off, off offset:144
	s_wait_dscnt 0x0
	v_fmac_f64_e32 v[108:109], v[86:87], v[78:79]
	s_wait_loadcnt 0x6
	s_delay_alu instid0(VALU_DEP_1)
	;; [unrolled: 7-line block ×4, first 2 shown]
	v_fmac_f64_e32 v[108:109], v[100:101], v[80:81]
	ds_load_2addr_b64 v[78:81], v74 offset0:49 offset1:50
	s_wait_dscnt 0x0
	v_fmac_f64_e32 v[108:109], v[102:103], v[78:79]
	scratch_load_b128 v[100:103], off, off offset:192
	s_wait_loadcnt 0x5
	v_fmac_f64_e32 v[108:109], v[0:1], v[80:81]
	ds_load_2addr_b64 v[78:81], v74 offset0:51 offset1:52
	s_wait_dscnt 0x0
	v_fmac_f64_e32 v[108:109], v[2:3], v[78:79]
	ds_load_2addr_b64 v[0:3], v74 offset0:53 offset1:54
	s_wait_loadcnt 0x4
	v_fmac_f64_e32 v[108:109], v[96:97], v[80:81]
	ds_load_2addr_b64 v[94:97], v74 offset0:57 offset1:58
	scratch_load_b128 v[78:81], off, off offset:224
	s_wait_dscnt 0x1
	v_fmac_f64_e32 v[108:109], v[98:99], v[0:1]
	s_wait_loadcnt 0x4
	s_delay_alu instid0(VALU_DEP_1)
	v_fmac_f64_e32 v[108:109], v[82:83], v[2:3]
	ds_load_2addr_b64 v[0:3], v74 offset0:55 offset1:56
	s_wait_dscnt 0x0
	v_fmac_f64_e32 v[108:109], v[84:85], v[0:1]
	scratch_load_b128 v[82:85], off, off offset:240
	s_wait_loadcnt 0x4
	v_fmac_f64_e32 v[108:109], v[86:87], v[2:3]
	scratch_load_b128 v[0:3], off, off offset:256
	v_fmac_f64_e32 v[108:109], v[88:89], v[94:95]
	ds_load_2addr_b64 v[86:89], v74 offset0:59 offset1:60
	s_wait_loadcnt 0x4
	v_fmac_f64_e32 v[108:109], v[90:91], v[96:97]
	scratch_load_b64 v[90:91], off, off offset:272
	s_wait_dscnt 0x0
	v_fmac_f64_e32 v[108:109], v[92:93], v[86:87]
	s_wait_loadcnt 0x4
	s_delay_alu instid0(VALU_DEP_1) | instskip(SKIP_3) | instid1(VALU_DEP_1)
	v_fmac_f64_e32 v[108:109], v[100:101], v[88:89]
	ds_load_2addr_b64 v[86:89], v74 offset0:61 offset1:62
	s_wait_dscnt 0x0
	v_fmac_f64_e32 v[108:109], v[102:103], v[86:87]
	v_fmac_f64_e32 v[108:109], v[104:105], v[88:89]
	ds_load_2addr_b64 v[86:89], v74 offset0:63 offset1:64
	s_wait_dscnt 0x0
	v_fmac_f64_e32 v[108:109], v[106:107], v[86:87]
	s_wait_loadcnt 0x3
	s_delay_alu instid0(VALU_DEP_1)
	v_fmac_f64_e32 v[108:109], v[78:79], v[88:89]
	ds_load_2addr_b64 v[86:89], v74 offset0:65 offset1:66
	s_wait_dscnt 0x0
	v_fmac_f64_e32 v[108:109], v[80:81], v[86:87]
	ds_load_2addr_b64 v[78:81], v74 offset0:67 offset1:68
	s_wait_loadcnt 0x2
	v_fmac_f64_e32 v[108:109], v[82:83], v[88:89]
	s_wait_dscnt 0x0
	s_delay_alu instid0(VALU_DEP_1) | instskip(SKIP_1) | instid1(VALU_DEP_1)
	v_fmac_f64_e32 v[108:109], v[84:85], v[78:79]
	s_wait_loadcnt 0x1
	v_fmac_f64_e32 v[108:109], v[0:1], v[80:81]
	ds_load_2addr_b64 v[78:81], v74 offset0:69 offset1:70
	s_wait_dscnt 0x0
	v_fmac_f64_e32 v[108:109], v[2:3], v[78:79]
	s_wait_loadcnt 0x0
	s_delay_alu instid0(VALU_DEP_1) | instskip(NEXT) | instid1(VALU_DEP_1)
	v_fmac_f64_e32 v[108:109], v[90:91], v[80:81]
	v_add_f64_e64 v[86:87], v[76:77], -v[108:109]
	scratch_store_b64 off, v[86:87], off
	s_cbranch_vccz .LBB34_288
; %bb.220:
	v_mov_b32_e32 v0, 0
	global_load_b32 v1, v0, s[2:3] offset:132
	s_wait_loadcnt 0x0
	v_cmp_ne_u32_e32 vcc_lo, 34, v1
	s_cbranch_vccz .LBB34_222
; %bb.221:
	v_lshlrev_b32_e32 v1, 3, v1
	scratch_load_b64 v[74:75], v1, off offset:-8
	s_wait_loadcnt 0x0
	scratch_store_b64 off, v[74:75], off offset:264
	scratch_store_b64 v1, v[2:3], off offset:-8
.LBB34_222:
	global_load_b32 v0, v0, s[2:3] offset:128
	s_wait_loadcnt 0x0
	v_cmp_eq_u32_e32 vcc_lo, 33, v0
	s_cbranch_vccnz .LBB34_224
; %bb.223:
	s_wait_xcnt 0x0
	v_lshlrev_b32_e32 v0, 3, v0
	s_delay_alu instid0(VALU_DEP_1)
	v_mov_b32_e32 v74, v0
	scratch_load_b64 v[0:1], v74, off offset:-8
	scratch_load_b64 v[2:3], off, off offset:256
	s_wait_loadcnt 0x1
	scratch_store_b64 off, v[0:1], off offset:256
	s_wait_loadcnt 0x0
	scratch_store_b64 v74, v[2:3], off offset:-8
.LBB34_224:
	s_wait_xcnt 0x0
	v_mov_b32_e32 v0, 0
	global_load_b32 v1, v0, s[2:3] offset:124
	s_wait_loadcnt 0x0
	v_cmp_eq_u32_e32 vcc_lo, 32, v1
	s_cbranch_vccnz .LBB34_226
; %bb.225:
	v_lshlrev_b32_e32 v1, 3, v1
	scratch_load_b64 v[2:3], v1, off offset:-8
	scratch_load_b64 v[74:75], off, off offset:248
	s_wait_loadcnt 0x1
	scratch_store_b64 off, v[2:3], off offset:248
	s_wait_loadcnt 0x0
	scratch_store_b64 v1, v[74:75], off offset:-8
.LBB34_226:
	global_load_b32 v0, v0, s[2:3] offset:120
	s_wait_loadcnt 0x0
	v_cmp_eq_u32_e32 vcc_lo, 31, v0
	s_cbranch_vccnz .LBB34_228
; %bb.227:
	s_wait_xcnt 0x0
	v_lshlrev_b32_e32 v0, 3, v0
	s_delay_alu instid0(VALU_DEP_1)
	v_mov_b32_e32 v74, v0
	scratch_load_b64 v[0:1], v74, off offset:-8
	scratch_load_b64 v[2:3], off, off offset:240
	s_wait_loadcnt 0x1
	scratch_store_b64 off, v[0:1], off offset:240
	s_wait_loadcnt 0x0
	scratch_store_b64 v74, v[2:3], off offset:-8
.LBB34_228:
	s_wait_xcnt 0x0
	v_mov_b32_e32 v0, 0
	global_load_b32 v1, v0, s[2:3] offset:116
	s_wait_loadcnt 0x0
	v_cmp_eq_u32_e32 vcc_lo, 30, v1
	s_cbranch_vccnz .LBB34_230
; %bb.229:
	v_lshlrev_b32_e32 v1, 3, v1
	scratch_load_b64 v[2:3], v1, off offset:-8
	scratch_load_b64 v[74:75], off, off offset:232
	s_wait_loadcnt 0x1
	scratch_store_b64 off, v[2:3], off offset:232
	s_wait_loadcnt 0x0
	scratch_store_b64 v1, v[74:75], off offset:-8
.LBB34_230:
	;; [unrolled: 31-line block ×16, first 2 shown]
	global_load_b32 v0, v0, s[2:3]
	scratch_load_b64 v[86:87], off, off
	s_wait_loadcnt 0x1
	v_cmp_eq_u32_e32 vcc_lo, 1, v0
	s_cbranch_vccnz .LBB34_288
; %bb.287:
	s_wait_xcnt 0x1
	v_lshlrev_b32_e32 v0, 3, v0
	s_delay_alu instid0(VALU_DEP_1)
	v_mov_b32_e32 v2, v0
	scratch_load_b64 v[0:1], v2, off offset:-8
	s_wait_loadcnt 0x0
	scratch_store_b64 off, v[0:1], off
	scratch_store_b64 v2, v[86:87], off offset:-8
	scratch_load_b64 v[86:87], off, off
.LBB34_288:
	v_lshl_add_u64 v[88:89], v[8:9], 3, s[4:5]
	v_lshl_add_u64 v[82:83], v[10:11], 3, s[4:5]
	;; [unrolled: 1-line block ×31, first 2 shown]
	s_wait_xcnt 0x1
	v_lshl_add_u64 v[0:1], v[70:71], 3, s[4:5]
	s_clause 0x7
	scratch_load_b128 v[56:59], off, off offset:8
	scratch_load_b128 v[60:63], off, off offset:24
	;; [unrolled: 1-line block ×8, first 2 shown]
	s_wait_loadcnt 0x8
	global_store_b64 v[6:7], v[86:87], off
	s_clause 0x1
	scratch_load_b128 v[106:109], off, off offset:136
	scratch_load_b128 v[110:113], off, off offset:152
	v_lshl_add_u64 v[2:3], v[72:73], 3, s[4:5]
	s_wait_loadcnt 0x9
	s_clause 0x1
	global_store_b64 v[4:5], v[56:57], off
	global_store_b64 v[88:89], v[58:59], off
	s_clause 0x1
	scratch_load_b128 v[4:7], off, off offset:168
	scratch_load_b128 v[56:59], off, off offset:184
	s_wait_loadcnt 0xa
	s_clause 0x1
	global_store_b64 v[82:83], v[60:61], off
	global_store_b64 v[84:85], v[62:63], off
	s_clause 0x1
	scratch_load_b128 v[60:63], off, off offset:200
	scratch_load_b128 v[82:85], off, off offset:216
	;; [unrolled: 7-line block ×3, first 2 shown]
	s_wait_loadcnt 0xc
	s_clause 0x1
	global_store_b64 v[74:75], v[68:69], off
	global_store_b64 v[76:77], v[70:71], off
	scratch_load_b128 v[68:71], off, off offset:264
	s_wait_loadcnt 0xc
	s_clause 0x1
	global_store_b64 v[8:9], v[90:91], off
	global_store_b64 v[10:11], v[92:93], off
	s_wait_loadcnt 0xb
	s_clause 0x1
	global_store_b64 v[12:13], v[94:95], off
	global_store_b64 v[14:15], v[96:97], off
	;; [unrolled: 4-line block ×13, first 2 shown]
	s_sendmsg sendmsg(MSG_DEALLOC_VGPRS)
	s_endpgm
	.section	.rodata,"a",@progbits
	.p2align	6, 0x0
	.amdhsa_kernel _ZN9rocsolver6v33100L18getri_kernel_smallILi35EdPdEEvT1_iilPiilS4_bb
		.amdhsa_group_segment_fixed_size 568
		.amdhsa_private_segment_fixed_size 288
		.amdhsa_kernarg_size 60
		.amdhsa_user_sgpr_count 2
		.amdhsa_user_sgpr_dispatch_ptr 0
		.amdhsa_user_sgpr_queue_ptr 0
		.amdhsa_user_sgpr_kernarg_segment_ptr 1
		.amdhsa_user_sgpr_dispatch_id 0
		.amdhsa_user_sgpr_kernarg_preload_length 0
		.amdhsa_user_sgpr_kernarg_preload_offset 0
		.amdhsa_user_sgpr_private_segment_size 0
		.amdhsa_wavefront_size32 1
		.amdhsa_uses_dynamic_stack 0
		.amdhsa_enable_private_segment 1
		.amdhsa_system_sgpr_workgroup_id_x 1
		.amdhsa_system_sgpr_workgroup_id_y 0
		.amdhsa_system_sgpr_workgroup_id_z 0
		.amdhsa_system_sgpr_workgroup_info 0
		.amdhsa_system_vgpr_workitem_id 0
		.amdhsa_next_free_vgpr 114
		.amdhsa_next_free_sgpr 19
		.amdhsa_named_barrier_count 0
		.amdhsa_reserve_vcc 1
		.amdhsa_float_round_mode_32 0
		.amdhsa_float_round_mode_16_64 0
		.amdhsa_float_denorm_mode_32 3
		.amdhsa_float_denorm_mode_16_64 3
		.amdhsa_fp16_overflow 0
		.amdhsa_memory_ordered 1
		.amdhsa_forward_progress 1
		.amdhsa_inst_pref_size 222
		.amdhsa_round_robin_scheduling 0
		.amdhsa_exception_fp_ieee_invalid_op 0
		.amdhsa_exception_fp_denorm_src 0
		.amdhsa_exception_fp_ieee_div_zero 0
		.amdhsa_exception_fp_ieee_overflow 0
		.amdhsa_exception_fp_ieee_underflow 0
		.amdhsa_exception_fp_ieee_inexact 0
		.amdhsa_exception_int_div_zero 0
	.end_amdhsa_kernel
	.section	.text._ZN9rocsolver6v33100L18getri_kernel_smallILi35EdPdEEvT1_iilPiilS4_bb,"axG",@progbits,_ZN9rocsolver6v33100L18getri_kernel_smallILi35EdPdEEvT1_iilPiilS4_bb,comdat
.Lfunc_end34:
	.size	_ZN9rocsolver6v33100L18getri_kernel_smallILi35EdPdEEvT1_iilPiilS4_bb, .Lfunc_end34-_ZN9rocsolver6v33100L18getri_kernel_smallILi35EdPdEEvT1_iilPiilS4_bb
                                        ; -- End function
	.set _ZN9rocsolver6v33100L18getri_kernel_smallILi35EdPdEEvT1_iilPiilS4_bb.num_vgpr, 114
	.set _ZN9rocsolver6v33100L18getri_kernel_smallILi35EdPdEEvT1_iilPiilS4_bb.num_agpr, 0
	.set _ZN9rocsolver6v33100L18getri_kernel_smallILi35EdPdEEvT1_iilPiilS4_bb.numbered_sgpr, 19
	.set _ZN9rocsolver6v33100L18getri_kernel_smallILi35EdPdEEvT1_iilPiilS4_bb.num_named_barrier, 0
	.set _ZN9rocsolver6v33100L18getri_kernel_smallILi35EdPdEEvT1_iilPiilS4_bb.private_seg_size, 288
	.set _ZN9rocsolver6v33100L18getri_kernel_smallILi35EdPdEEvT1_iilPiilS4_bb.uses_vcc, 1
	.set _ZN9rocsolver6v33100L18getri_kernel_smallILi35EdPdEEvT1_iilPiilS4_bb.uses_flat_scratch, 1
	.set _ZN9rocsolver6v33100L18getri_kernel_smallILi35EdPdEEvT1_iilPiilS4_bb.has_dyn_sized_stack, 0
	.set _ZN9rocsolver6v33100L18getri_kernel_smallILi35EdPdEEvT1_iilPiilS4_bb.has_recursion, 0
	.set _ZN9rocsolver6v33100L18getri_kernel_smallILi35EdPdEEvT1_iilPiilS4_bb.has_indirect_call, 0
	.section	.AMDGPU.csdata,"",@progbits
; Kernel info:
; codeLenInByte = 28408
; TotalNumSgprs: 21
; NumVgprs: 114
; ScratchSize: 288
; MemoryBound: 0
; FloatMode: 240
; IeeeMode: 1
; LDSByteSize: 568 bytes/workgroup (compile time only)
; SGPRBlocks: 0
; VGPRBlocks: 7
; NumSGPRsForWavesPerEU: 21
; NumVGPRsForWavesPerEU: 114
; NamedBarCnt: 0
; Occupancy: 8
; WaveLimiterHint : 1
; COMPUTE_PGM_RSRC2:SCRATCH_EN: 1
; COMPUTE_PGM_RSRC2:USER_SGPR: 2
; COMPUTE_PGM_RSRC2:TRAP_HANDLER: 0
; COMPUTE_PGM_RSRC2:TGID_X_EN: 1
; COMPUTE_PGM_RSRC2:TGID_Y_EN: 0
; COMPUTE_PGM_RSRC2:TGID_Z_EN: 0
; COMPUTE_PGM_RSRC2:TIDIG_COMP_CNT: 0
	.section	.text._ZN9rocsolver6v33100L18getri_kernel_smallILi36EdPdEEvT1_iilPiilS4_bb,"axG",@progbits,_ZN9rocsolver6v33100L18getri_kernel_smallILi36EdPdEEvT1_iilPiilS4_bb,comdat
	.globl	_ZN9rocsolver6v33100L18getri_kernel_smallILi36EdPdEEvT1_iilPiilS4_bb ; -- Begin function _ZN9rocsolver6v33100L18getri_kernel_smallILi36EdPdEEvT1_iilPiilS4_bb
	.p2align	8
	.type	_ZN9rocsolver6v33100L18getri_kernel_smallILi36EdPdEEvT1_iilPiilS4_bb,@function
_ZN9rocsolver6v33100L18getri_kernel_smallILi36EdPdEEvT1_iilPiilS4_bb: ; @_ZN9rocsolver6v33100L18getri_kernel_smallILi36EdPdEEvT1_iilPiilS4_bb
; %bb.0:
	s_mov_b32 s2, exec_lo
	v_cmpx_gt_u32_e32 36, v0
	s_cbranch_execz .LBB35_154
; %bb.1:
	s_clause 0x2
	s_load_b32 s2, s[0:1], 0x38
	s_load_b128 s[12:15], s[0:1], 0x10
	s_load_b128 s[4:7], s[0:1], 0x28
	s_getreg_b32 s9, hwreg(HW_REG_IB_STS2, 6, 4)
	s_wait_kmcnt 0x0
	s_bitcmp1_b32 s2, 8
	s_cselect_b32 s18, -1, 0
	s_bfe_u32 s3, ttmp6, 0x4000c
	s_and_b32 s8, ttmp6, 15
	s_add_co_i32 s3, s3, 1
	s_delay_alu instid0(SALU_CYCLE_1) | instskip(NEXT) | instid1(SALU_CYCLE_1)
	s_mul_i32 s3, ttmp9, s3
	s_add_co_i32 s8, s8, s3
	s_cmp_eq_u32 s9, 0
	s_cselect_b32 s16, ttmp9, s8
	s_bfe_u32 s2, s2, 0x10008
	s_ashr_i32 s17, s16, 31
	s_cmp_eq_u32 s2, 0
                                        ; implicit-def: $sgpr2_sgpr3
	s_cbranch_scc1 .LBB35_3
; %bb.2:
	s_load_b32 s2, s[0:1], 0x20
	s_mul_u64 s[4:5], s[4:5], s[16:17]
	s_delay_alu instid0(SALU_CYCLE_1) | instskip(NEXT) | instid1(SALU_CYCLE_1)
	s_lshl_b64 s[4:5], s[4:5], 2
	s_add_nc_u64 s[4:5], s[14:15], s[4:5]
	s_wait_kmcnt 0x0
	s_ashr_i32 s3, s2, 31
	s_delay_alu instid0(SALU_CYCLE_1) | instskip(NEXT) | instid1(SALU_CYCLE_1)
	s_lshl_b64 s[2:3], s[2:3], 2
	s_add_nc_u64 s[2:3], s[4:5], s[2:3]
.LBB35_3:
	s_clause 0x1
	s_load_b128 s[8:11], s[0:1], 0x0
	s_load_b32 s14, s[0:1], 0x38
	s_wait_xcnt 0x0
	s_mul_u64 s[0:1], s[12:13], s[16:17]
	v_mov_b32_e32 v3, 0
	s_lshl_b64 s[0:1], s[0:1], 3
	s_wait_kmcnt 0x0
	v_add3_u32 v8, s11, s11, v0
	s_ashr_i32 s5, s10, 31
	s_mov_b32 s4, s10
	s_add_nc_u64 s[0:1], s[8:9], s[0:1]
	s_lshl_b64 s[4:5], s[4:5], 3
	v_add_nc_u32_e32 v10, s11, v8
	s_add_nc_u64 s[4:5], s[0:1], s[4:5]
	s_ashr_i32 s1, s11, 31
	s_mov_b32 s0, s11
	s_bitcmp0_b32 s14, 0
	v_add_nc_u32_e32 v12, s11, v10
	s_delay_alu instid0(VALU_DEP_1) | instskip(NEXT) | instid1(VALU_DEP_1)
	v_add_nc_u32_e32 v14, s11, v12
	v_add_nc_u32_e32 v16, s11, v14
	s_delay_alu instid0(VALU_DEP_1) | instskip(NEXT) | instid1(VALU_DEP_1)
	v_add_nc_u32_e32 v18, s11, v16
	;; [unrolled: 3-line block ×3, first 2 shown]
	v_dual_lshlrev_b32 v2, 3, v0 :: v_dual_add_nc_u32 v24, s11, v22
	s_delay_alu instid0(VALU_DEP_1) | instskip(NEXT) | instid1(VALU_DEP_2)
	v_add_nc_u64_e32 v[6:7], s[4:5], v[2:3]
	v_add_nc_u32_e32 v26, s11, v24
	s_delay_alu instid0(VALU_DEP_2) | instskip(SKIP_1) | instid1(VALU_DEP_2)
	v_lshl_add_u64 v[4:5], s[0:1], 3, v[6:7]
	s_mov_b32 s1, -1
	v_add_nc_u32_e32 v28, s11, v26
	s_clause 0x9
	global_load_b64 v[68:69], v0, s[4:5] scale_offset
	global_load_b64 v[70:71], v[4:5], off
	global_load_b64 v[72:73], v8, s[4:5] scale_offset
	global_load_b64 v[74:75], v10, s[4:5] scale_offset
	global_load_b64 v[76:77], v12, s[4:5] scale_offset
	global_load_b64 v[78:79], v14, s[4:5] scale_offset
	global_load_b64 v[80:81], v16, s[4:5] scale_offset
	global_load_b64 v[82:83], v18, s[4:5] scale_offset
	global_load_b64 v[84:85], v20, s[4:5] scale_offset
	global_load_b64 v[86:87], v22, s[4:5] scale_offset
	v_add_nc_u32_e32 v30, s11, v28
	s_delay_alu instid0(VALU_DEP_1) | instskip(NEXT) | instid1(VALU_DEP_1)
	v_add_nc_u32_e32 v32, s11, v30
	v_add_nc_u32_e32 v34, s11, v32
	s_delay_alu instid0(VALU_DEP_1)
	v_add_nc_u32_e32 v36, s11, v34
	s_clause 0x3
	global_load_b64 v[88:89], v24, s[4:5] scale_offset
	global_load_b64 v[90:91], v26, s[4:5] scale_offset
	;; [unrolled: 1-line block ×4, first 2 shown]
	v_add_nc_u32_e32 v38, s11, v36
	s_delay_alu instid0(VALU_DEP_1) | instskip(NEXT) | instid1(VALU_DEP_1)
	v_add_nc_u32_e32 v40, s11, v38
	v_add_nc_u32_e32 v42, s11, v40
	s_delay_alu instid0(VALU_DEP_1)
	v_add_nc_u32_e32 v44, s11, v42
	s_clause 0x3
	global_load_b64 v[96:97], v32, s[4:5] scale_offset
	global_load_b64 v[98:99], v34, s[4:5] scale_offset
	;; [unrolled: 1-line block ×4, first 2 shown]
	v_add_nc_u32_e32 v46, s11, v44
	s_delay_alu instid0(VALU_DEP_1) | instskip(SKIP_4) | instid1(VALU_DEP_1)
	v_add_nc_u32_e32 v48, s11, v46
	s_clause 0x1
	global_load_b64 v[104:105], v40, s[4:5] scale_offset
	global_load_b64 v[106:107], v42, s[4:5] scale_offset
	v_add_nc_u32_e32 v50, s11, v48
	v_add_nc_u32_e32 v52, s11, v50
	s_delay_alu instid0(VALU_DEP_1) | instskip(NEXT) | instid1(VALU_DEP_1)
	v_add_nc_u32_e32 v54, s11, v52
	v_add_nc_u32_e32 v56, s11, v54
	s_delay_alu instid0(VALU_DEP_1) | instskip(NEXT) | instid1(VALU_DEP_1)
	v_add_nc_u32_e32 v58, s11, v56
	v_add_nc_u32_e32 v60, s11, v58
	s_delay_alu instid0(VALU_DEP_1) | instskip(NEXT) | instid1(VALU_DEP_1)
	v_add_nc_u32_e32 v62, s11, v60
	v_add_nc_u32_e32 v64, s11, v62
	s_delay_alu instid0(VALU_DEP_1)
	v_add_nc_u32_e32 v66, s11, v64
	s_wait_loadcnt 0x10
	s_clause 0x1
	scratch_store_b128 off, v[72:75], off offset:16
	scratch_store_b128 off, v[68:71], off
	s_wait_xcnt 0x0
	v_add_nc_u32_e32 v68, s11, v66
	s_clause 0x1
	global_load_b64 v[108:109], v44, s[4:5] scale_offset
	global_load_b64 v[110:111], v46, s[4:5] scale_offset
	s_wait_loadcnt 0x10
	scratch_store_b128 off, v[76:79], off offset:32
	s_wait_loadcnt 0xe
	scratch_store_b128 off, v[80:83], off offset:48
	s_clause 0x3
	global_load_b64 v[76:77], v48, s[4:5] scale_offset
	global_load_b64 v[78:79], v50, s[4:5] scale_offset
	;; [unrolled: 1-line block ×4, first 2 shown]
	s_wait_loadcnt 0x10
	scratch_store_b128 off, v[84:87], off offset:64
	v_add_nc_u32_e32 v70, s11, v68
	s_wait_loadcnt 0xe
	scratch_store_b128 off, v[88:91], off offset:80
	s_wait_loadcnt 0xc
	scratch_store_b128 off, v[92:95], off offset:96
	v_add_nc_u32_e32 v72, s11, v70
	s_clause 0x3
	global_load_b64 v[84:85], v56, s[4:5] scale_offset
	global_load_b64 v[86:87], v58, s[4:5] scale_offset
	;; [unrolled: 1-line block ×4, first 2 shown]
	s_wait_loadcnt 0xe
	scratch_store_b128 off, v[96:99], off offset:112
	s_wait_loadcnt 0xc
	scratch_store_b128 off, v[100:103], off offset:128
	v_add_nc_u32_e32 v74, s11, v72
	s_clause 0x3
	global_load_b64 v[92:93], v64, s[4:5] scale_offset
	global_load_b64 v[94:95], v66, s[4:5] scale_offset
	;; [unrolled: 1-line block ×4, first 2 shown]
	s_wait_loadcnt 0xe
	scratch_store_b128 off, v[104:107], off offset:144
	s_clause 0x1
	global_load_b64 v[100:101], v72, s[4:5] scale_offset
	global_load_b64 v[102:103], v74, s[4:5] scale_offset
	s_wait_loadcnt 0xe
	scratch_store_b128 off, v[108:111], off offset:160
	s_wait_loadcnt 0xc
	scratch_store_b128 off, v[76:79], off offset:176
	;; [unrolled: 2-line block ×8, first 2 shown]
	s_cbranch_scc1 .LBB35_152
; %bb.4:
	v_cmp_eq_u32_e64 s0, 0, v0
	s_wait_xcnt 0x0
	s_and_saveexec_b32 s1, s0
; %bb.5:
	v_mov_b32_e32 v1, 0
	ds_store_b32 v1, v1 offset:576
; %bb.6:
	s_or_b32 exec_lo, exec_lo, s1
	s_wait_storecnt_dscnt 0x0
	s_barrier_signal -1
	s_barrier_wait -1
	scratch_load_b64 v[76:77], v0, off scale_offset
	s_mov_b32 s8, exec_lo
	s_wait_loadcnt 0x0
	v_cmpx_eq_f64_e32 0, v[76:77]
	s_cbranch_execz .LBB35_10
; %bb.7:
	v_mov_b32_e32 v1, 0
	s_mov_b32 s9, 0
	ds_load_b32 v3, v1 offset:576
	s_wait_dscnt 0x0
	v_readfirstlane_b32 s1, v3
	v_add_nc_u32_e32 v3, 1, v0
	s_cmp_eq_u32 s1, 0
	s_delay_alu instid0(VALU_DEP_1) | instskip(SKIP_1) | instid1(SALU_CYCLE_1)
	v_cmp_gt_i32_e32 vcc_lo, s1, v3
	s_cselect_b32 s10, -1, 0
	s_or_b32 s10, s10, vcc_lo
	s_delay_alu instid0(SALU_CYCLE_1)
	s_and_b32 exec_lo, exec_lo, s10
	s_cbranch_execz .LBB35_10
; %bb.8:
	v_mov_b32_e32 v9, s1
.LBB35_9:                               ; =>This Inner Loop Header: Depth=1
	ds_cmpstore_rtn_b32 v9, v1, v3, v9 offset:576
	s_wait_dscnt 0x0
	v_cmp_ne_u32_e32 vcc_lo, 0, v9
	v_cmp_le_i32_e64 s1, v9, v3
	s_and_b32 s1, vcc_lo, s1
	s_delay_alu instid0(SALU_CYCLE_1) | instskip(NEXT) | instid1(SALU_CYCLE_1)
	s_and_b32 s1, exec_lo, s1
	s_or_b32 s9, s1, s9
	s_delay_alu instid0(SALU_CYCLE_1)
	s_and_not1_b32 exec_lo, exec_lo, s9
	s_cbranch_execnz .LBB35_9
.LBB35_10:
	s_or_b32 exec_lo, exec_lo, s8
	v_mov_b32_e32 v1, 0
	s_barrier_signal -1
	s_barrier_wait -1
	ds_load_b32 v3, v1 offset:576
	s_and_saveexec_b32 s1, s0
	s_cbranch_execz .LBB35_12
; %bb.11:
	s_lshl_b64 s[8:9], s[16:17], 2
	s_delay_alu instid0(SALU_CYCLE_1)
	s_add_nc_u64 s[8:9], s[6:7], s[8:9]
	s_wait_dscnt 0x0
	global_store_b32 v1, v3, s[8:9]
.LBB35_12:
	s_wait_xcnt 0x0
	s_or_b32 exec_lo, exec_lo, s1
	s_wait_dscnt 0x0
	v_cmp_ne_u32_e32 vcc_lo, 0, v3
	s_mov_b32 s1, 0
	s_cbranch_vccnz .LBB35_152
; %bb.13:
	v_lshl_add_u32 v3, v0, 3, 0
	v_add_nc_u32_e32 v1, 0x120, v2
	scratch_load_b64 v[76:77], v3, off
	s_wait_loadcnt 0x0
	v_div_scale_f64 v[78:79], null, v[76:77], v[76:77], 1.0
	v_div_scale_f64 v[84:85], vcc_lo, 1.0, v[76:77], 1.0
	s_delay_alu instid0(VALU_DEP_2) | instskip(SKIP_1) | instid1(TRANS32_DEP_1)
	v_rcp_f64_e32 v[80:81], v[78:79]
	v_nop
	v_fma_f64 v[82:83], -v[78:79], v[80:81], 1.0
	s_delay_alu instid0(VALU_DEP_1) | instskip(NEXT) | instid1(VALU_DEP_1)
	v_fmac_f64_e32 v[80:81], v[80:81], v[82:83]
	v_fma_f64 v[82:83], -v[78:79], v[80:81], 1.0
	s_delay_alu instid0(VALU_DEP_1) | instskip(NEXT) | instid1(VALU_DEP_1)
	v_fmac_f64_e32 v[80:81], v[80:81], v[82:83]
	v_mul_f64_e32 v[82:83], v[84:85], v[80:81]
	s_delay_alu instid0(VALU_DEP_1) | instskip(NEXT) | instid1(VALU_DEP_1)
	v_fma_f64 v[78:79], -v[78:79], v[82:83], v[84:85]
	v_div_fmas_f64 v[78:79], v[78:79], v[80:81], v[82:83]
	s_delay_alu instid0(VALU_DEP_1)
	v_div_fixup_f64 v[76:77], v[78:79], v[76:77], 1.0
	scratch_store_b64 v3, v[76:77], off
	scratch_load_b64 v[78:79], off, off offset:8
	s_wait_xcnt 0x1
	v_xor_b32_e32 v77, 0x80000000, v77
	s_wait_loadcnt 0x0
	ds_store_2addr_b64 v2, v[76:77], v[78:79] offset1:36
	s_wait_storecnt_dscnt 0x0
	s_barrier_signal -1
	s_barrier_wait -1
	s_wait_xcnt 0x0
	s_and_saveexec_b32 s1, s0
	s_cbranch_execz .LBB35_15
; %bb.14:
	scratch_load_b64 v[76:77], v3, off
	ds_load_b64 v[78:79], v1
	s_wait_loadcnt_dscnt 0x0
	v_fma_f64 v[76:77], v[76:77], v[78:79], 0
	v_mov_b32_e32 v9, 0
	ds_load_b64 v[80:81], v9 offset:8
	s_wait_dscnt 0x0
	v_mul_f64_e32 v[76:77], v[76:77], v[80:81]
	scratch_store_b64 off, v[76:77], off offset:8
.LBB35_15:
	s_wait_xcnt 0x0
	s_or_b32 exec_lo, exec_lo, s1
	s_wait_storecnt 0x0
	s_barrier_signal -1
	s_barrier_wait -1
	scratch_load_b64 v[76:77], off, off offset:16
	s_mov_b32 s1, exec_lo
	s_wait_loadcnt 0x0
	ds_store_b64 v1, v[76:77]
	s_wait_dscnt 0x0
	s_barrier_signal -1
	s_barrier_wait -1
	v_cmpx_gt_u32_e32 2, v0
	s_cbranch_execz .LBB35_19
; %bb.16:
	scratch_load_b64 v[76:77], v3, off
	ds_load_b64 v[78:79], v1
	s_wait_loadcnt_dscnt 0x0
	v_fma_f64 v[76:77], v[76:77], v[78:79], 0
	s_and_saveexec_b32 s8, s0
	s_cbranch_execz .LBB35_18
; %bb.17:
	scratch_load_b64 v[78:79], off, off offset:8
	v_mov_b32_e32 v3, 0
	ds_load_b64 v[80:81], v3 offset:296
	s_wait_loadcnt_dscnt 0x0
	v_fmac_f64_e32 v[76:77], v[78:79], v[80:81]
.LBB35_18:
	s_or_b32 exec_lo, exec_lo, s8
	v_mov_b32_e32 v3, 0
	ds_load_b64 v[78:79], v3 offset:16
	s_wait_dscnt 0x0
	v_mul_f64_e32 v[76:77], v[76:77], v[78:79]
	scratch_store_b64 off, v[76:77], off offset:16
.LBB35_19:
	s_wait_xcnt 0x0
	s_or_b32 exec_lo, exec_lo, s1
	s_wait_storecnt 0x0
	s_barrier_signal -1
	s_barrier_wait -1
	scratch_load_b64 v[76:77], off, off offset:24
	v_add_nc_u32_e32 v3, -1, v0
	s_mov_b32 s0, exec_lo
	s_wait_loadcnt 0x0
	ds_store_b64 v1, v[76:77]
	s_wait_dscnt 0x0
	s_barrier_signal -1
	s_barrier_wait -1
	v_cmpx_gt_u32_e32 3, v0
	s_cbranch_execz .LBB35_23
; %bb.20:
	v_mov_b64_e32 v[76:77], 0
	v_dual_add_nc_u32 v9, -1, v0 :: v_dual_mov_b32 v13, v2
	v_add_nc_u32_e32 v11, 0x120, v2
	s_mov_b32 s1, 0
.LBB35_21:                              ; =>This Inner Loop Header: Depth=1
	scratch_load_b64 v[78:79], v13, off
	ds_load_b64 v[80:81], v11
	v_dual_add_nc_u32 v9, 1, v9 :: v_dual_add_nc_u32 v11, 8, v11
	s_wait_xcnt 0x0
	v_add_nc_u32_e32 v13, 8, v13
	s_delay_alu instid0(VALU_DEP_2)
	v_cmp_lt_u32_e32 vcc_lo, 1, v9
	s_or_b32 s1, vcc_lo, s1
	s_wait_loadcnt_dscnt 0x0
	v_fmac_f64_e32 v[76:77], v[78:79], v[80:81]
	s_and_not1_b32 exec_lo, exec_lo, s1
	s_cbranch_execnz .LBB35_21
; %bb.22:
	s_or_b32 exec_lo, exec_lo, s1
	v_mov_b32_e32 v9, 0
	ds_load_b64 v[78:79], v9 offset:24
	s_wait_dscnt 0x0
	v_mul_f64_e32 v[76:77], v[76:77], v[78:79]
	scratch_store_b64 off, v[76:77], off offset:24
.LBB35_23:
	s_wait_xcnt 0x0
	s_or_b32 exec_lo, exec_lo, s0
	s_wait_storecnt 0x0
	s_barrier_signal -1
	s_barrier_wait -1
	scratch_load_b64 v[76:77], off, off offset:32
	s_mov_b32 s0, exec_lo
	s_wait_loadcnt 0x0
	ds_store_b64 v1, v[76:77]
	s_wait_dscnt 0x0
	s_barrier_signal -1
	s_barrier_wait -1
	v_cmpx_gt_u32_e32 4, v0
	s_cbranch_execz .LBB35_27
; %bb.24:
	v_mov_b64_e32 v[76:77], 0
	v_dual_add_nc_u32 v9, -1, v0 :: v_dual_mov_b32 v13, v2
	v_add_nc_u32_e32 v11, 0x120, v2
	s_mov_b32 s1, 0
.LBB35_25:                              ; =>This Inner Loop Header: Depth=1
	scratch_load_b64 v[78:79], v13, off
	ds_load_b64 v[80:81], v11
	v_dual_add_nc_u32 v9, 1, v9 :: v_dual_add_nc_u32 v11, 8, v11
	s_wait_xcnt 0x0
	v_add_nc_u32_e32 v13, 8, v13
	s_delay_alu instid0(VALU_DEP_2)
	v_cmp_lt_u32_e32 vcc_lo, 2, v9
	s_or_b32 s1, vcc_lo, s1
	s_wait_loadcnt_dscnt 0x0
	v_fmac_f64_e32 v[76:77], v[78:79], v[80:81]
	s_and_not1_b32 exec_lo, exec_lo, s1
	s_cbranch_execnz .LBB35_25
; %bb.26:
	s_or_b32 exec_lo, exec_lo, s1
	v_mov_b32_e32 v9, 0
	ds_load_b64 v[78:79], v9 offset:32
	s_wait_dscnt 0x0
	v_mul_f64_e32 v[76:77], v[76:77], v[78:79]
	scratch_store_b64 off, v[76:77], off offset:32
.LBB35_27:
	s_wait_xcnt 0x0
	s_or_b32 exec_lo, exec_lo, s0
	s_wait_storecnt 0x0
	s_barrier_signal -1
	s_barrier_wait -1
	scratch_load_b64 v[76:77], off, off offset:40
	;; [unrolled: 40-line block ×20, first 2 shown]
	s_mov_b32 s0, exec_lo
	s_wait_loadcnt 0x0
	ds_store_b64 v1, v[76:77]
	s_wait_dscnt 0x0
	s_barrier_signal -1
	s_barrier_wait -1
	v_cmpx_gt_u32_e32 23, v0
	s_cbranch_execz .LBB35_103
; %bb.100:
	v_mov_b64_e32 v[76:77], 0
	v_dual_add_nc_u32 v9, -1, v0 :: v_dual_mov_b32 v13, v2
	v_add_nc_u32_e32 v11, 0x120, v2
	s_mov_b32 s1, 0
.LBB35_101:                             ; =>This Inner Loop Header: Depth=1
	scratch_load_b64 v[78:79], v13, off
	ds_load_b64 v[80:81], v11
	v_dual_add_nc_u32 v9, 1, v9 :: v_dual_add_nc_u32 v11, 8, v11
	s_wait_xcnt 0x0
	v_add_nc_u32_e32 v13, 8, v13
	s_delay_alu instid0(VALU_DEP_2)
	v_cmp_lt_u32_e32 vcc_lo, 21, v9
	s_or_b32 s1, vcc_lo, s1
	s_wait_loadcnt_dscnt 0x0
	v_fmac_f64_e32 v[76:77], v[78:79], v[80:81]
	s_and_not1_b32 exec_lo, exec_lo, s1
	s_cbranch_execnz .LBB35_101
; %bb.102:
	s_or_b32 exec_lo, exec_lo, s1
	v_mov_b32_e32 v9, 0
	ds_load_b64 v[78:79], v9 offset:184
	s_wait_dscnt 0x0
	v_mul_f64_e32 v[76:77], v[76:77], v[78:79]
	scratch_store_b64 off, v[76:77], off offset:184
.LBB35_103:
	s_wait_xcnt 0x0
	s_or_b32 exec_lo, exec_lo, s0
	s_wait_storecnt 0x0
	s_barrier_signal -1
	s_barrier_wait -1
	scratch_load_b64 v[76:77], off, off offset:192
	s_mov_b32 s0, exec_lo
	s_wait_loadcnt 0x0
	ds_store_b64 v1, v[76:77]
	s_wait_dscnt 0x0
	s_barrier_signal -1
	s_barrier_wait -1
	v_cmpx_gt_u32_e32 24, v0
	s_cbranch_execz .LBB35_107
; %bb.104:
	v_mov_b64_e32 v[76:77], 0
	v_dual_add_nc_u32 v9, -1, v0 :: v_dual_mov_b32 v13, v2
	v_add_nc_u32_e32 v11, 0x120, v2
	s_mov_b32 s1, 0
.LBB35_105:                             ; =>This Inner Loop Header: Depth=1
	scratch_load_b64 v[78:79], v13, off
	ds_load_b64 v[80:81], v11
	v_dual_add_nc_u32 v9, 1, v9 :: v_dual_add_nc_u32 v11, 8, v11
	s_wait_xcnt 0x0
	v_add_nc_u32_e32 v13, 8, v13
	s_delay_alu instid0(VALU_DEP_2)
	v_cmp_lt_u32_e32 vcc_lo, 22, v9
	s_or_b32 s1, vcc_lo, s1
	s_wait_loadcnt_dscnt 0x0
	v_fmac_f64_e32 v[76:77], v[78:79], v[80:81]
	s_and_not1_b32 exec_lo, exec_lo, s1
	s_cbranch_execnz .LBB35_105
; %bb.106:
	s_or_b32 exec_lo, exec_lo, s1
	v_mov_b32_e32 v9, 0
	ds_load_b64 v[78:79], v9 offset:192
	s_wait_dscnt 0x0
	v_mul_f64_e32 v[76:77], v[76:77], v[78:79]
	scratch_store_b64 off, v[76:77], off offset:192
.LBB35_107:
	s_wait_xcnt 0x0
	s_or_b32 exec_lo, exec_lo, s0
	s_wait_storecnt 0x0
	s_barrier_signal -1
	s_barrier_wait -1
	scratch_load_b64 v[76:77], off, off offset:200
	;; [unrolled: 40-line block ×12, first 2 shown]
	s_mov_b32 s0, exec_lo
	s_wait_loadcnt 0x0
	ds_store_b64 v1, v[76:77]
	s_wait_dscnt 0x0
	s_barrier_signal -1
	s_barrier_wait -1
	v_cmpx_ne_u32_e32 35, v0
	s_cbranch_execz .LBB35_151
; %bb.148:
	v_mov_b64_e32 v[76:77], 0
	s_mov_b32 s1, 0
.LBB35_149:                             ; =>This Inner Loop Header: Depth=1
	scratch_load_b64 v[78:79], v2, off
	ds_load_b64 v[80:81], v1
	v_dual_add_nc_u32 v3, 1, v3 :: v_dual_add_nc_u32 v1, 8, v1
	s_wait_xcnt 0x0
	v_add_nc_u32_e32 v2, 8, v2
	s_delay_alu instid0(VALU_DEP_2)
	v_cmp_lt_u32_e32 vcc_lo, 33, v3
	s_or_b32 s1, vcc_lo, s1
	s_wait_loadcnt_dscnt 0x0
	v_fmac_f64_e32 v[76:77], v[78:79], v[80:81]
	s_and_not1_b32 exec_lo, exec_lo, s1
	s_cbranch_execnz .LBB35_149
; %bb.150:
	s_or_b32 exec_lo, exec_lo, s1
	v_mov_b32_e32 v1, 0
	ds_load_b64 v[2:3], v1 offset:280
	s_wait_dscnt 0x0
	v_mul_f64_e32 v[2:3], v[76:77], v[2:3]
	scratch_store_b64 off, v[2:3], off offset:280
.LBB35_151:
	s_wait_xcnt 0x0
	s_or_b32 exec_lo, exec_lo, s0
	s_mov_b32 s1, -1
	s_wait_storecnt 0x0
	s_barrier_signal -1
	s_barrier_wait -1
.LBB35_152:
	s_and_b32 vcc_lo, exec_lo, s1
	s_cbranch_vccz .LBB35_154
; %bb.153:
	v_mov_b32_e32 v1, 0
	s_lshl_b64 s[0:1], s[16:17], 2
	s_delay_alu instid0(SALU_CYCLE_1)
	s_add_nc_u64 s[0:1], s[6:7], s[0:1]
	global_load_b32 v1, v1, s[0:1]
	s_wait_loadcnt 0x0
	v_cmp_ne_u32_e32 vcc_lo, 0, v1
	s_cbranch_vccz .LBB35_155
.LBB35_154:
	s_sendmsg sendmsg(MSG_DEALLOC_VGPRS)
	s_endpgm
.LBB35_155:
	s_wait_xcnt 0x0
	v_lshl_add_u32 v1, v0, 3, 0x120
	s_mov_b32 s0, exec_lo
	v_cmpx_eq_u32_e32 35, v0
	s_cbranch_execz .LBB35_157
; %bb.156:
	scratch_load_b64 v[2:3], off, off offset:272
	v_mov_b64_e32 v[76:77], 0
	scratch_store_b64 off, v[76:77], off offset:272
	s_wait_loadcnt 0x0
	ds_store_b64 v1, v[2:3]
.LBB35_157:
	s_wait_xcnt 0x0
	s_or_b32 exec_lo, exec_lo, s0
	s_wait_storecnt_dscnt 0x0
	s_barrier_signal -1
	s_barrier_wait -1
	scratch_load_b128 v[76:79], off, off offset:272
	v_mov_b32_e32 v2, 0
	s_mov_b32 s0, exec_lo
	ds_load_b64 v[80:81], v2 offset:568
	s_wait_loadcnt_dscnt 0x0
	v_fma_f64 v[78:79], v[78:79], v[80:81], 0
	s_delay_alu instid0(VALU_DEP_1)
	v_add_f64_e64 v[76:77], v[76:77], -v[78:79]
	scratch_store_b64 off, v[76:77], off offset:272
	s_wait_xcnt 0x0
	v_cmpx_lt_u32_e32 33, v0
	s_cbranch_execz .LBB35_159
; %bb.158:
	scratch_load_b64 v[76:77], off, off offset:264
	v_mov_b64_e32 v[78:79], 0
	scratch_store_b64 off, v[78:79], off offset:264
	s_wait_loadcnt 0x0
	ds_store_b64 v1, v[76:77]
.LBB35_159:
	s_wait_xcnt 0x0
	s_or_b32 exec_lo, exec_lo, s0
	s_wait_storecnt_dscnt 0x0
	s_barrier_signal -1
	s_barrier_wait -1
	s_clause 0x1
	scratch_load_b128 v[76:79], off, off offset:264
	scratch_load_b64 v[84:85], off, off offset:280
	ds_load_b128 v[80:83], v2 offset:560
	s_mov_b32 s0, exec_lo
	s_wait_loadcnt_dscnt 0x100
	v_fma_f64 v[2:3], v[78:79], v[80:81], 0
	s_wait_loadcnt 0x0
	s_delay_alu instid0(VALU_DEP_1) | instskip(NEXT) | instid1(VALU_DEP_1)
	v_fmac_f64_e32 v[2:3], v[84:85], v[82:83]
	v_add_f64_e64 v[2:3], v[76:77], -v[2:3]
	scratch_store_b64 off, v[2:3], off offset:264
	s_wait_xcnt 0x0
	v_cmpx_lt_u32_e32 32, v0
	s_cbranch_execz .LBB35_161
; %bb.160:
	scratch_load_b64 v[2:3], off, off offset:256
	v_mov_b64_e32 v[76:77], 0
	scratch_store_b64 off, v[76:77], off offset:256
	s_wait_loadcnt 0x0
	ds_store_b64 v1, v[2:3]
.LBB35_161:
	s_wait_xcnt 0x0
	s_or_b32 exec_lo, exec_lo, s0
	s_wait_storecnt_dscnt 0x0
	s_barrier_signal -1
	s_barrier_wait -1
	s_clause 0x1
	scratch_load_b128 v[76:79], off, off offset:256
	scratch_load_b128 v[80:83], off, off offset:272
	v_mov_b32_e32 v2, 0
	ds_load_2addr_b64 v[84:87], v2 offset0:69 offset1:70
	ds_load_b64 v[88:89], v2 offset:568
	s_mov_b32 s0, exec_lo
	s_wait_loadcnt_dscnt 0x101
	v_fma_f64 v[78:79], v[78:79], v[84:85], 0
	s_wait_loadcnt 0x0
	s_delay_alu instid0(VALU_DEP_1) | instskip(SKIP_1) | instid1(VALU_DEP_1)
	v_fmac_f64_e32 v[78:79], v[80:81], v[86:87]
	s_wait_dscnt 0x0
	v_fmac_f64_e32 v[78:79], v[82:83], v[88:89]
	s_delay_alu instid0(VALU_DEP_1)
	v_add_f64_e64 v[76:77], v[76:77], -v[78:79]
	scratch_store_b64 off, v[76:77], off offset:256
	s_wait_xcnt 0x0
	v_cmpx_lt_u32_e32 31, v0
	s_cbranch_execz .LBB35_163
; %bb.162:
	scratch_load_b64 v[76:77], off, off offset:248
	v_mov_b64_e32 v[78:79], 0
	scratch_store_b64 off, v[78:79], off offset:248
	s_wait_loadcnt 0x0
	ds_store_b64 v1, v[76:77]
.LBB35_163:
	s_wait_xcnt 0x0
	s_or_b32 exec_lo, exec_lo, s0
	s_wait_storecnt_dscnt 0x0
	s_barrier_signal -1
	s_barrier_wait -1
	s_clause 0x2
	scratch_load_b128 v[76:79], off, off offset:248
	scratch_load_b128 v[80:83], off, off offset:264
	scratch_load_b64 v[92:93], off, off offset:280
	ds_load_b128 v[84:87], v2 offset:544
	ds_load_b128 v[88:91], v2 offset:560
	s_mov_b32 s0, exec_lo
	s_wait_loadcnt_dscnt 0x201
	v_fma_f64 v[2:3], v[78:79], v[84:85], 0
	s_wait_loadcnt 0x1
	s_delay_alu instid0(VALU_DEP_1) | instskip(SKIP_1) | instid1(VALU_DEP_1)
	v_fmac_f64_e32 v[2:3], v[80:81], v[86:87]
	s_wait_dscnt 0x0
	v_fmac_f64_e32 v[2:3], v[82:83], v[88:89]
	s_wait_loadcnt 0x0
	s_delay_alu instid0(VALU_DEP_1) | instskip(NEXT) | instid1(VALU_DEP_1)
	v_fmac_f64_e32 v[2:3], v[92:93], v[90:91]
	v_add_f64_e64 v[2:3], v[76:77], -v[2:3]
	scratch_store_b64 off, v[2:3], off offset:248
	s_wait_xcnt 0x0
	v_cmpx_lt_u32_e32 30, v0
	s_cbranch_execz .LBB35_165
; %bb.164:
	scratch_load_b64 v[2:3], off, off offset:240
	v_mov_b64_e32 v[76:77], 0
	scratch_store_b64 off, v[76:77], off offset:240
	s_wait_loadcnt 0x0
	ds_store_b64 v1, v[2:3]
.LBB35_165:
	s_wait_xcnt 0x0
	s_or_b32 exec_lo, exec_lo, s0
	s_wait_storecnt_dscnt 0x0
	s_barrier_signal -1
	s_barrier_wait -1
	s_clause 0x2
	scratch_load_b128 v[76:79], off, off offset:240
	scratch_load_b128 v[80:83], off, off offset:256
	;; [unrolled: 1-line block ×3, first 2 shown]
	v_mov_b32_e32 v2, 0
	ds_load_2addr_b64 v[88:91], v2 offset0:67 offset1:68
	ds_load_2addr_b64 v[92:95], v2 offset0:69 offset1:70
	s_mov_b32 s0, exec_lo
	s_wait_loadcnt_dscnt 0x201
	v_fma_f64 v[78:79], v[78:79], v[88:89], 0
	s_wait_loadcnt 0x1
	s_delay_alu instid0(VALU_DEP_1) | instskip(SKIP_4) | instid1(VALU_DEP_1)
	v_fmac_f64_e32 v[78:79], v[80:81], v[90:91]
	ds_load_b64 v[80:81], v2 offset:568
	s_wait_dscnt 0x1
	v_fmac_f64_e32 v[78:79], v[82:83], v[92:93]
	s_wait_loadcnt 0x0
	v_fmac_f64_e32 v[78:79], v[84:85], v[94:95]
	s_wait_dscnt 0x0
	s_delay_alu instid0(VALU_DEP_1) | instskip(NEXT) | instid1(VALU_DEP_1)
	v_fmac_f64_e32 v[78:79], v[86:87], v[80:81]
	v_add_f64_e64 v[76:77], v[76:77], -v[78:79]
	scratch_store_b64 off, v[76:77], off offset:240
	s_wait_xcnt 0x0
	v_cmpx_lt_u32_e32 29, v0
	s_cbranch_execz .LBB35_167
; %bb.166:
	scratch_load_b64 v[76:77], off, off offset:232
	v_mov_b64_e32 v[78:79], 0
	scratch_store_b64 off, v[78:79], off offset:232
	s_wait_loadcnt 0x0
	ds_store_b64 v1, v[76:77]
.LBB35_167:
	s_wait_xcnt 0x0
	s_or_b32 exec_lo, exec_lo, s0
	s_wait_storecnt_dscnt 0x0
	s_barrier_signal -1
	s_barrier_wait -1
	s_clause 0x3
	scratch_load_b128 v[76:79], off, off offset:232
	scratch_load_b128 v[80:83], off, off offset:248
	;; [unrolled: 1-line block ×3, first 2 shown]
	scratch_load_b64 v[96:97], off, off offset:280
	ds_load_b128 v[88:91], v2 offset:528
	ds_load_b128 v[92:95], v2 offset:544
	s_mov_b32 s0, exec_lo
	s_wait_loadcnt_dscnt 0x301
	v_fma_f64 v[88:89], v[78:79], v[88:89], 0
	s_wait_loadcnt 0x2
	s_delay_alu instid0(VALU_DEP_1) | instskip(SKIP_4) | instid1(VALU_DEP_1)
	v_fmac_f64_e32 v[88:89], v[80:81], v[90:91]
	ds_load_b128 v[78:81], v2 offset:560
	s_wait_dscnt 0x1
	v_fmac_f64_e32 v[88:89], v[82:83], v[92:93]
	s_wait_loadcnt 0x1
	v_fmac_f64_e32 v[88:89], v[84:85], v[94:95]
	s_wait_dscnt 0x0
	s_delay_alu instid0(VALU_DEP_1) | instskip(SKIP_1) | instid1(VALU_DEP_1)
	v_fmac_f64_e32 v[88:89], v[86:87], v[78:79]
	s_wait_loadcnt 0x0
	v_fmac_f64_e32 v[88:89], v[96:97], v[80:81]
	s_delay_alu instid0(VALU_DEP_1)
	v_add_f64_e64 v[2:3], v[76:77], -v[88:89]
	scratch_store_b64 off, v[2:3], off offset:232
	s_wait_xcnt 0x0
	v_cmpx_lt_u32_e32 28, v0
	s_cbranch_execz .LBB35_169
; %bb.168:
	scratch_load_b64 v[2:3], off, off offset:224
	v_mov_b64_e32 v[76:77], 0
	scratch_store_b64 off, v[76:77], off offset:224
	s_wait_loadcnt 0x0
	ds_store_b64 v1, v[2:3]
.LBB35_169:
	s_wait_xcnt 0x0
	s_or_b32 exec_lo, exec_lo, s0
	s_wait_storecnt_dscnt 0x0
	s_barrier_signal -1
	s_barrier_wait -1
	s_clause 0x3
	scratch_load_b128 v[76:79], off, off offset:224
	scratch_load_b128 v[80:83], off, off offset:240
	;; [unrolled: 1-line block ×4, first 2 shown]
	v_mov_b32_e32 v2, 0
	ds_load_2addr_b64 v[92:95], v2 offset0:65 offset1:66
	ds_load_2addr_b64 v[96:99], v2 offset0:67 offset1:68
	s_mov_b32 s0, exec_lo
	s_wait_loadcnt_dscnt 0x301
	v_fma_f64 v[92:93], v[78:79], v[92:93], 0
	s_wait_loadcnt 0x2
	s_delay_alu instid0(VALU_DEP_1) | instskip(SKIP_1) | instid1(VALU_DEP_1)
	v_fmac_f64_e32 v[92:93], v[80:81], v[94:95]
	s_wait_dscnt 0x0
	v_fmac_f64_e32 v[92:93], v[82:83], v[96:97]
	ds_load_2addr_b64 v[78:81], v2 offset0:69 offset1:70
	ds_load_b64 v[82:83], v2 offset:568
	s_wait_loadcnt 0x1
	v_fmac_f64_e32 v[92:93], v[84:85], v[98:99]
	s_wait_dscnt 0x1
	s_delay_alu instid0(VALU_DEP_1) | instskip(SKIP_1) | instid1(VALU_DEP_1)
	v_fmac_f64_e32 v[92:93], v[86:87], v[78:79]
	s_wait_loadcnt 0x0
	v_fmac_f64_e32 v[92:93], v[88:89], v[80:81]
	s_wait_dscnt 0x0
	s_delay_alu instid0(VALU_DEP_1) | instskip(NEXT) | instid1(VALU_DEP_1)
	v_fmac_f64_e32 v[92:93], v[90:91], v[82:83]
	v_add_f64_e64 v[76:77], v[76:77], -v[92:93]
	scratch_store_b64 off, v[76:77], off offset:224
	s_wait_xcnt 0x0
	v_cmpx_lt_u32_e32 27, v0
	s_cbranch_execz .LBB35_171
; %bb.170:
	scratch_load_b64 v[76:77], off, off offset:216
	v_mov_b64_e32 v[78:79], 0
	scratch_store_b64 off, v[78:79], off offset:216
	s_wait_loadcnt 0x0
	ds_store_b64 v1, v[76:77]
.LBB35_171:
	s_wait_xcnt 0x0
	s_or_b32 exec_lo, exec_lo, s0
	s_wait_storecnt_dscnt 0x0
	s_barrier_signal -1
	s_barrier_wait -1
	s_clause 0x4
	scratch_load_b128 v[76:79], off, off offset:216
	scratch_load_b128 v[80:83], off, off offset:232
	;; [unrolled: 1-line block ×4, first 2 shown]
	scratch_load_b64 v[100:101], off, off offset:280
	ds_load_b128 v[92:95], v2 offset:512
	ds_load_b128 v[96:99], v2 offset:528
	s_mov_b32 s0, exec_lo
	s_wait_loadcnt_dscnt 0x401
	v_fma_f64 v[92:93], v[78:79], v[92:93], 0
	s_wait_loadcnt 0x3
	s_delay_alu instid0(VALU_DEP_1) | instskip(SKIP_1) | instid1(VALU_DEP_1)
	v_fmac_f64_e32 v[92:93], v[80:81], v[94:95]
	s_wait_dscnt 0x0
	v_fmac_f64_e32 v[92:93], v[82:83], v[96:97]
	s_wait_loadcnt 0x2
	s_delay_alu instid0(VALU_DEP_1)
	v_fmac_f64_e32 v[92:93], v[84:85], v[98:99]
	ds_load_b128 v[78:81], v2 offset:544
	ds_load_b128 v[82:85], v2 offset:560
	s_wait_dscnt 0x1
	v_fmac_f64_e32 v[92:93], v[86:87], v[78:79]
	s_wait_loadcnt 0x1
	s_delay_alu instid0(VALU_DEP_1) | instskip(SKIP_1) | instid1(VALU_DEP_1)
	v_fmac_f64_e32 v[92:93], v[88:89], v[80:81]
	s_wait_dscnt 0x0
	v_fmac_f64_e32 v[92:93], v[90:91], v[82:83]
	s_wait_loadcnt 0x0
	s_delay_alu instid0(VALU_DEP_1) | instskip(NEXT) | instid1(VALU_DEP_1)
	v_fmac_f64_e32 v[92:93], v[100:101], v[84:85]
	v_add_f64_e64 v[2:3], v[76:77], -v[92:93]
	scratch_store_b64 off, v[2:3], off offset:216
	s_wait_xcnt 0x0
	v_cmpx_lt_u32_e32 26, v0
	s_cbranch_execz .LBB35_173
; %bb.172:
	scratch_load_b64 v[2:3], off, off offset:208
	v_mov_b64_e32 v[76:77], 0
	scratch_store_b64 off, v[76:77], off offset:208
	s_wait_loadcnt 0x0
	ds_store_b64 v1, v[2:3]
.LBB35_173:
	s_wait_xcnt 0x0
	s_or_b32 exec_lo, exec_lo, s0
	s_wait_storecnt_dscnt 0x0
	s_barrier_signal -1
	s_barrier_wait -1
	s_clause 0x4
	scratch_load_b128 v[76:79], off, off offset:208
	scratch_load_b128 v[80:83], off, off offset:224
	scratch_load_b128 v[84:87], off, off offset:240
	scratch_load_b128 v[88:91], off, off offset:256
	scratch_load_b128 v[92:95], off, off offset:272
	v_mov_b32_e32 v2, 0
	ds_load_2addr_b64 v[96:99], v2 offset0:63 offset1:64
	ds_load_2addr_b64 v[100:103], v2 offset0:65 offset1:66
	s_mov_b32 s0, exec_lo
	s_wait_loadcnt_dscnt 0x401
	v_fma_f64 v[96:97], v[78:79], v[96:97], 0
	s_wait_loadcnt 0x3
	s_delay_alu instid0(VALU_DEP_1) | instskip(SKIP_1) | instid1(VALU_DEP_1)
	v_fmac_f64_e32 v[96:97], v[80:81], v[98:99]
	s_wait_dscnt 0x0
	v_fmac_f64_e32 v[96:97], v[82:83], v[100:101]
	s_wait_loadcnt 0x2
	s_delay_alu instid0(VALU_DEP_1)
	v_fmac_f64_e32 v[96:97], v[84:85], v[102:103]
	ds_load_2addr_b64 v[78:81], v2 offset0:67 offset1:68
	ds_load_2addr_b64 v[82:85], v2 offset0:69 offset1:70
	s_wait_dscnt 0x1
	v_fmac_f64_e32 v[96:97], v[86:87], v[78:79]
	ds_load_b64 v[78:79], v2 offset:568
	s_wait_loadcnt 0x1
	v_fmac_f64_e32 v[96:97], v[88:89], v[80:81]
	s_wait_dscnt 0x1
	s_delay_alu instid0(VALU_DEP_1) | instskip(SKIP_1) | instid1(VALU_DEP_1)
	v_fmac_f64_e32 v[96:97], v[90:91], v[82:83]
	s_wait_loadcnt 0x0
	v_fmac_f64_e32 v[96:97], v[92:93], v[84:85]
	s_wait_dscnt 0x0
	s_delay_alu instid0(VALU_DEP_1) | instskip(NEXT) | instid1(VALU_DEP_1)
	v_fmac_f64_e32 v[96:97], v[94:95], v[78:79]
	v_add_f64_e64 v[76:77], v[76:77], -v[96:97]
	scratch_store_b64 off, v[76:77], off offset:208
	s_wait_xcnt 0x0
	v_cmpx_lt_u32_e32 25, v0
	s_cbranch_execz .LBB35_175
; %bb.174:
	scratch_load_b64 v[76:77], off, off offset:200
	v_mov_b64_e32 v[78:79], 0
	scratch_store_b64 off, v[78:79], off offset:200
	s_wait_loadcnt 0x0
	ds_store_b64 v1, v[76:77]
.LBB35_175:
	s_wait_xcnt 0x0
	s_or_b32 exec_lo, exec_lo, s0
	s_wait_storecnt_dscnt 0x0
	s_barrier_signal -1
	s_barrier_wait -1
	s_clause 0x5
	scratch_load_b128 v[76:79], off, off offset:200
	scratch_load_b128 v[80:83], off, off offset:216
	;; [unrolled: 1-line block ×5, first 2 shown]
	scratch_load_b64 v[104:105], off, off offset:280
	ds_load_b128 v[96:99], v2 offset:496
	ds_load_b128 v[100:103], v2 offset:512
	s_mov_b32 s0, exec_lo
	s_wait_loadcnt_dscnt 0x501
	v_fma_f64 v[96:97], v[78:79], v[96:97], 0
	s_wait_loadcnt 0x4
	s_delay_alu instid0(VALU_DEP_1) | instskip(SKIP_1) | instid1(VALU_DEP_1)
	v_fmac_f64_e32 v[96:97], v[80:81], v[98:99]
	s_wait_dscnt 0x0
	v_fmac_f64_e32 v[96:97], v[82:83], v[100:101]
	s_wait_loadcnt 0x3
	s_delay_alu instid0(VALU_DEP_1)
	v_fmac_f64_e32 v[96:97], v[84:85], v[102:103]
	ds_load_b128 v[78:81], v2 offset:528
	ds_load_b128 v[82:85], v2 offset:544
	s_wait_dscnt 0x1
	v_fmac_f64_e32 v[96:97], v[86:87], v[78:79]
	s_wait_loadcnt 0x2
	s_delay_alu instid0(VALU_DEP_1) | instskip(SKIP_4) | instid1(VALU_DEP_1)
	v_fmac_f64_e32 v[96:97], v[88:89], v[80:81]
	ds_load_b128 v[78:81], v2 offset:560
	s_wait_dscnt 0x1
	v_fmac_f64_e32 v[96:97], v[90:91], v[82:83]
	s_wait_loadcnt 0x1
	v_fmac_f64_e32 v[96:97], v[92:93], v[84:85]
	s_wait_dscnt 0x0
	s_delay_alu instid0(VALU_DEP_1) | instskip(SKIP_1) | instid1(VALU_DEP_1)
	v_fmac_f64_e32 v[96:97], v[94:95], v[78:79]
	s_wait_loadcnt 0x0
	v_fmac_f64_e32 v[96:97], v[104:105], v[80:81]
	s_delay_alu instid0(VALU_DEP_1)
	v_add_f64_e64 v[2:3], v[76:77], -v[96:97]
	scratch_store_b64 off, v[2:3], off offset:200
	s_wait_xcnt 0x0
	v_cmpx_lt_u32_e32 24, v0
	s_cbranch_execz .LBB35_177
; %bb.176:
	scratch_load_b64 v[2:3], off, off offset:192
	v_mov_b64_e32 v[76:77], 0
	scratch_store_b64 off, v[76:77], off offset:192
	s_wait_loadcnt 0x0
	ds_store_b64 v1, v[2:3]
.LBB35_177:
	s_wait_xcnt 0x0
	s_or_b32 exec_lo, exec_lo, s0
	s_wait_storecnt_dscnt 0x0
	s_barrier_signal -1
	s_barrier_wait -1
	s_clause 0x5
	scratch_load_b128 v[76:79], off, off offset:192
	scratch_load_b128 v[80:83], off, off offset:208
	scratch_load_b128 v[84:87], off, off offset:224
	scratch_load_b128 v[88:91], off, off offset:240
	scratch_load_b128 v[92:95], off, off offset:256
	scratch_load_b128 v[96:99], off, off offset:272
	v_mov_b32_e32 v2, 0
	ds_load_2addr_b64 v[100:103], v2 offset0:61 offset1:62
	ds_load_2addr_b64 v[104:107], v2 offset0:63 offset1:64
	s_mov_b32 s0, exec_lo
	s_wait_loadcnt_dscnt 0x501
	v_fma_f64 v[100:101], v[78:79], v[100:101], 0
	s_wait_loadcnt 0x4
	s_delay_alu instid0(VALU_DEP_1) | instskip(SKIP_1) | instid1(VALU_DEP_1)
	v_fmac_f64_e32 v[100:101], v[80:81], v[102:103]
	s_wait_dscnt 0x0
	v_fmac_f64_e32 v[100:101], v[82:83], v[104:105]
	s_wait_loadcnt 0x3
	s_delay_alu instid0(VALU_DEP_1)
	v_fmac_f64_e32 v[100:101], v[84:85], v[106:107]
	ds_load_2addr_b64 v[78:81], v2 offset0:65 offset1:66
	ds_load_2addr_b64 v[82:85], v2 offset0:67 offset1:68
	s_wait_dscnt 0x1
	v_fmac_f64_e32 v[100:101], v[86:87], v[78:79]
	s_wait_loadcnt 0x2
	s_delay_alu instid0(VALU_DEP_1) | instskip(SKIP_1) | instid1(VALU_DEP_1)
	v_fmac_f64_e32 v[100:101], v[88:89], v[80:81]
	s_wait_dscnt 0x0
	v_fmac_f64_e32 v[100:101], v[90:91], v[82:83]
	ds_load_2addr_b64 v[78:81], v2 offset0:69 offset1:70
	ds_load_b64 v[82:83], v2 offset:568
	s_wait_loadcnt 0x1
	v_fmac_f64_e32 v[100:101], v[92:93], v[84:85]
	s_wait_dscnt 0x1
	s_delay_alu instid0(VALU_DEP_1) | instskip(SKIP_1) | instid1(VALU_DEP_1)
	v_fmac_f64_e32 v[100:101], v[94:95], v[78:79]
	s_wait_loadcnt 0x0
	v_fmac_f64_e32 v[100:101], v[96:97], v[80:81]
	s_wait_dscnt 0x0
	s_delay_alu instid0(VALU_DEP_1) | instskip(NEXT) | instid1(VALU_DEP_1)
	v_fmac_f64_e32 v[100:101], v[98:99], v[82:83]
	v_add_f64_e64 v[76:77], v[76:77], -v[100:101]
	scratch_store_b64 off, v[76:77], off offset:192
	s_wait_xcnt 0x0
	v_cmpx_lt_u32_e32 23, v0
	s_cbranch_execz .LBB35_179
; %bb.178:
	scratch_load_b64 v[76:77], off, off offset:184
	v_mov_b64_e32 v[78:79], 0
	scratch_store_b64 off, v[78:79], off offset:184
	s_wait_loadcnt 0x0
	ds_store_b64 v1, v[76:77]
.LBB35_179:
	s_wait_xcnt 0x0
	s_or_b32 exec_lo, exec_lo, s0
	s_wait_storecnt_dscnt 0x0
	s_barrier_signal -1
	s_barrier_wait -1
	s_clause 0x5
	scratch_load_b128 v[76:79], off, off offset:184
	scratch_load_b128 v[80:83], off, off offset:200
	;; [unrolled: 1-line block ×6, first 2 shown]
	ds_load_b128 v[100:103], v2 offset:480
	ds_load_b128 v[104:107], v2 offset:496
	s_mov_b32 s0, exec_lo
	s_wait_loadcnt_dscnt 0x501
	v_fma_f64 v[100:101], v[78:79], v[100:101], 0
	s_wait_loadcnt 0x4
	s_delay_alu instid0(VALU_DEP_1) | instskip(SKIP_4) | instid1(VALU_DEP_1)
	v_fmac_f64_e32 v[100:101], v[80:81], v[102:103]
	scratch_load_b64 v[102:103], off, off offset:280
	s_wait_dscnt 0x0
	v_fmac_f64_e32 v[100:101], v[82:83], v[104:105]
	s_wait_loadcnt 0x4
	v_fmac_f64_e32 v[100:101], v[84:85], v[106:107]
	ds_load_b128 v[78:81], v2 offset:512
	ds_load_b128 v[82:85], v2 offset:528
	s_wait_dscnt 0x1
	v_fmac_f64_e32 v[100:101], v[86:87], v[78:79]
	s_wait_loadcnt 0x3
	s_delay_alu instid0(VALU_DEP_1) | instskip(SKIP_1) | instid1(VALU_DEP_1)
	v_fmac_f64_e32 v[100:101], v[88:89], v[80:81]
	s_wait_dscnt 0x0
	v_fmac_f64_e32 v[100:101], v[90:91], v[82:83]
	s_wait_loadcnt 0x2
	s_delay_alu instid0(VALU_DEP_1)
	v_fmac_f64_e32 v[100:101], v[92:93], v[84:85]
	ds_load_b128 v[78:81], v2 offset:544
	ds_load_b128 v[82:85], v2 offset:560
	s_wait_dscnt 0x1
	v_fmac_f64_e32 v[100:101], v[94:95], v[78:79]
	s_wait_loadcnt 0x1
	s_delay_alu instid0(VALU_DEP_1) | instskip(SKIP_1) | instid1(VALU_DEP_1)
	v_fmac_f64_e32 v[100:101], v[96:97], v[80:81]
	s_wait_dscnt 0x0
	v_fmac_f64_e32 v[100:101], v[98:99], v[82:83]
	s_wait_loadcnt 0x0
	s_delay_alu instid0(VALU_DEP_1) | instskip(NEXT) | instid1(VALU_DEP_1)
	v_fmac_f64_e32 v[100:101], v[102:103], v[84:85]
	v_add_f64_e64 v[2:3], v[76:77], -v[100:101]
	scratch_store_b64 off, v[2:3], off offset:184
	s_wait_xcnt 0x0
	v_cmpx_lt_u32_e32 22, v0
	s_cbranch_execz .LBB35_181
; %bb.180:
	scratch_load_b64 v[2:3], off, off offset:176
	v_mov_b64_e32 v[76:77], 0
	scratch_store_b64 off, v[76:77], off offset:176
	s_wait_loadcnt 0x0
	ds_store_b64 v1, v[2:3]
.LBB35_181:
	s_wait_xcnt 0x0
	s_or_b32 exec_lo, exec_lo, s0
	s_wait_storecnt_dscnt 0x0
	s_barrier_signal -1
	s_barrier_wait -1
	s_clause 0x5
	scratch_load_b128 v[76:79], off, off offset:176
	scratch_load_b128 v[80:83], off, off offset:192
	;; [unrolled: 1-line block ×6, first 2 shown]
	v_mov_b32_e32 v2, 0
	ds_load_2addr_b64 v[100:103], v2 offset0:59 offset1:60
	ds_load_2addr_b64 v[104:107], v2 offset0:61 offset1:62
	s_mov_b32 s0, exec_lo
	s_wait_loadcnt_dscnt 0x501
	v_fma_f64 v[108:109], v[78:79], v[100:101], 0
	s_wait_loadcnt 0x4
	s_delay_alu instid0(VALU_DEP_1) | instskip(SKIP_4) | instid1(VALU_DEP_1)
	v_fmac_f64_e32 v[108:109], v[80:81], v[102:103]
	scratch_load_b128 v[78:81], off, off offset:272
	s_wait_dscnt 0x0
	v_fmac_f64_e32 v[108:109], v[82:83], v[104:105]
	s_wait_loadcnt 0x4
	v_fmac_f64_e32 v[108:109], v[84:85], v[106:107]
	ds_load_2addr_b64 v[82:85], v2 offset0:63 offset1:64
	ds_load_2addr_b64 v[100:103], v2 offset0:65 offset1:66
	s_wait_dscnt 0x1
	v_fmac_f64_e32 v[108:109], v[86:87], v[82:83]
	s_wait_loadcnt 0x3
	s_delay_alu instid0(VALU_DEP_1)
	v_fmac_f64_e32 v[108:109], v[88:89], v[84:85]
	ds_load_2addr_b64 v[82:85], v2 offset0:67 offset1:68
	ds_load_2addr_b64 v[86:89], v2 offset0:69 offset1:70
	s_wait_dscnt 0x2
	v_fmac_f64_e32 v[108:109], v[90:91], v[100:101]
	s_wait_loadcnt 0x2
	s_delay_alu instid0(VALU_DEP_1) | instskip(SKIP_1) | instid1(VALU_DEP_1)
	v_fmac_f64_e32 v[108:109], v[92:93], v[102:103]
	s_wait_dscnt 0x1
	v_fmac_f64_e32 v[108:109], v[94:95], v[82:83]
	s_wait_loadcnt 0x1
	s_delay_alu instid0(VALU_DEP_1) | instskip(SKIP_1) | instid1(VALU_DEP_1)
	v_fmac_f64_e32 v[108:109], v[96:97], v[84:85]
	s_wait_dscnt 0x0
	v_fmac_f64_e32 v[108:109], v[98:99], v[86:87]
	s_wait_loadcnt 0x0
	s_delay_alu instid0(VALU_DEP_1) | instskip(SKIP_3) | instid1(VALU_DEP_1)
	v_fmac_f64_e32 v[108:109], v[78:79], v[88:89]
	ds_load_b64 v[78:79], v2 offset:568
	s_wait_dscnt 0x0
	v_fmac_f64_e32 v[108:109], v[80:81], v[78:79]
	v_add_f64_e64 v[76:77], v[76:77], -v[108:109]
	scratch_store_b64 off, v[76:77], off offset:176
	s_wait_xcnt 0x0
	v_cmpx_lt_u32_e32 21, v0
	s_cbranch_execz .LBB35_183
; %bb.182:
	scratch_load_b64 v[76:77], off, off offset:168
	v_mov_b64_e32 v[78:79], 0
	scratch_store_b64 off, v[78:79], off offset:168
	s_wait_loadcnt 0x0
	ds_store_b64 v1, v[76:77]
.LBB35_183:
	s_wait_xcnt 0x0
	s_or_b32 exec_lo, exec_lo, s0
	s_wait_storecnt_dscnt 0x0
	s_barrier_signal -1
	s_barrier_wait -1
	s_clause 0x5
	scratch_load_b128 v[76:79], off, off offset:168
	scratch_load_b128 v[80:83], off, off offset:184
	;; [unrolled: 1-line block ×6, first 2 shown]
	ds_load_b128 v[100:103], v2 offset:464
	ds_load_b128 v[104:107], v2 offset:480
	s_mov_b32 s0, exec_lo
	s_wait_loadcnt_dscnt 0x501
	v_fma_f64 v[108:109], v[78:79], v[100:101], 0
	s_wait_loadcnt 0x4
	s_delay_alu instid0(VALU_DEP_1)
	v_fmac_f64_e32 v[108:109], v[80:81], v[102:103]
	scratch_load_b128 v[78:81], off, off offset:264
	s_wait_dscnt 0x0
	v_fmac_f64_e32 v[108:109], v[82:83], v[104:105]
	scratch_load_b64 v[104:105], off, off offset:280
	s_wait_loadcnt 0x5
	v_fmac_f64_e32 v[108:109], v[84:85], v[106:107]
	ds_load_b128 v[82:85], v2 offset:496
	ds_load_b128 v[100:103], v2 offset:512
	s_wait_dscnt 0x1
	v_fmac_f64_e32 v[108:109], v[86:87], v[82:83]
	s_wait_loadcnt 0x4
	s_delay_alu instid0(VALU_DEP_1)
	v_fmac_f64_e32 v[108:109], v[88:89], v[84:85]
	ds_load_b128 v[82:85], v2 offset:528
	ds_load_b128 v[86:89], v2 offset:544
	s_wait_dscnt 0x2
	v_fmac_f64_e32 v[108:109], v[90:91], v[100:101]
	s_wait_loadcnt 0x3
	s_delay_alu instid0(VALU_DEP_1) | instskip(SKIP_1) | instid1(VALU_DEP_1)
	v_fmac_f64_e32 v[108:109], v[92:93], v[102:103]
	s_wait_dscnt 0x1
	v_fmac_f64_e32 v[108:109], v[94:95], v[82:83]
	s_wait_loadcnt 0x2
	s_delay_alu instid0(VALU_DEP_1) | instskip(SKIP_4) | instid1(VALU_DEP_1)
	v_fmac_f64_e32 v[108:109], v[96:97], v[84:85]
	ds_load_b128 v[82:85], v2 offset:560
	s_wait_dscnt 0x1
	v_fmac_f64_e32 v[108:109], v[98:99], v[86:87]
	s_wait_loadcnt 0x1
	v_fmac_f64_e32 v[108:109], v[78:79], v[88:89]
	s_wait_dscnt 0x0
	s_delay_alu instid0(VALU_DEP_1) | instskip(SKIP_1) | instid1(VALU_DEP_1)
	v_fmac_f64_e32 v[108:109], v[80:81], v[82:83]
	s_wait_loadcnt 0x0
	v_fmac_f64_e32 v[108:109], v[104:105], v[84:85]
	s_delay_alu instid0(VALU_DEP_1)
	v_add_f64_e64 v[2:3], v[76:77], -v[108:109]
	scratch_store_b64 off, v[2:3], off offset:168
	s_wait_xcnt 0x0
	v_cmpx_lt_u32_e32 20, v0
	s_cbranch_execz .LBB35_185
; %bb.184:
	scratch_load_b64 v[2:3], off, off offset:160
	v_mov_b64_e32 v[76:77], 0
	scratch_store_b64 off, v[76:77], off offset:160
	s_wait_loadcnt 0x0
	ds_store_b64 v1, v[2:3]
.LBB35_185:
	s_wait_xcnt 0x0
	s_or_b32 exec_lo, exec_lo, s0
	s_wait_storecnt_dscnt 0x0
	s_barrier_signal -1
	s_barrier_wait -1
	s_clause 0x5
	scratch_load_b128 v[76:79], off, off offset:160
	scratch_load_b128 v[80:83], off, off offset:176
	;; [unrolled: 1-line block ×6, first 2 shown]
	v_mov_b32_e32 v2, 0
	ds_load_2addr_b64 v[100:103], v2 offset0:57 offset1:58
	ds_load_2addr_b64 v[104:107], v2 offset0:59 offset1:60
	s_mov_b32 s0, exec_lo
	s_wait_loadcnt_dscnt 0x501
	v_fma_f64 v[108:109], v[78:79], v[100:101], 0
	s_wait_loadcnt 0x4
	s_delay_alu instid0(VALU_DEP_1) | instskip(SKIP_4) | instid1(VALU_DEP_1)
	v_fmac_f64_e32 v[108:109], v[80:81], v[102:103]
	scratch_load_b128 v[78:81], off, off offset:256
	s_wait_dscnt 0x0
	v_fmac_f64_e32 v[108:109], v[82:83], v[104:105]
	s_wait_loadcnt 0x4
	v_fmac_f64_e32 v[108:109], v[84:85], v[106:107]
	scratch_load_b128 v[82:85], off, off offset:272
	ds_load_2addr_b64 v[100:103], v2 offset0:61 offset1:62
	ds_load_2addr_b64 v[104:107], v2 offset0:63 offset1:64
	s_wait_dscnt 0x1
	v_fmac_f64_e32 v[108:109], v[86:87], v[100:101]
	s_wait_loadcnt 0x4
	s_delay_alu instid0(VALU_DEP_1) | instskip(SKIP_1) | instid1(VALU_DEP_1)
	v_fmac_f64_e32 v[108:109], v[88:89], v[102:103]
	s_wait_dscnt 0x0
	v_fmac_f64_e32 v[108:109], v[90:91], v[104:105]
	s_wait_loadcnt 0x3
	s_delay_alu instid0(VALU_DEP_1)
	v_fmac_f64_e32 v[108:109], v[92:93], v[106:107]
	ds_load_2addr_b64 v[86:89], v2 offset0:65 offset1:66
	ds_load_2addr_b64 v[90:93], v2 offset0:67 offset1:68
	s_wait_dscnt 0x1
	v_fmac_f64_e32 v[108:109], v[94:95], v[86:87]
	s_wait_loadcnt 0x2
	s_delay_alu instid0(VALU_DEP_1) | instskip(SKIP_1) | instid1(VALU_DEP_1)
	v_fmac_f64_e32 v[108:109], v[96:97], v[88:89]
	s_wait_dscnt 0x0
	v_fmac_f64_e32 v[108:109], v[98:99], v[90:91]
	s_wait_loadcnt 0x1
	s_delay_alu instid0(VALU_DEP_1)
	v_fmac_f64_e32 v[108:109], v[78:79], v[92:93]
	ds_load_2addr_b64 v[86:89], v2 offset0:69 offset1:70
	ds_load_b64 v[78:79], v2 offset:568
	s_wait_dscnt 0x1
	v_fmac_f64_e32 v[108:109], v[80:81], v[86:87]
	s_wait_loadcnt 0x0
	s_delay_alu instid0(VALU_DEP_1) | instskip(SKIP_1) | instid1(VALU_DEP_1)
	v_fmac_f64_e32 v[108:109], v[82:83], v[88:89]
	s_wait_dscnt 0x0
	v_fmac_f64_e32 v[108:109], v[84:85], v[78:79]
	s_delay_alu instid0(VALU_DEP_1)
	v_add_f64_e64 v[76:77], v[76:77], -v[108:109]
	scratch_store_b64 off, v[76:77], off offset:160
	s_wait_xcnt 0x0
	v_cmpx_lt_u32_e32 19, v0
	s_cbranch_execz .LBB35_187
; %bb.186:
	scratch_load_b64 v[76:77], off, off offset:152
	v_mov_b64_e32 v[78:79], 0
	scratch_store_b64 off, v[78:79], off offset:152
	s_wait_loadcnt 0x0
	ds_store_b64 v1, v[76:77]
.LBB35_187:
	s_wait_xcnt 0x0
	s_or_b32 exec_lo, exec_lo, s0
	s_wait_storecnt_dscnt 0x0
	s_barrier_signal -1
	s_barrier_wait -1
	s_clause 0x5
	scratch_load_b128 v[76:79], off, off offset:152
	scratch_load_b128 v[80:83], off, off offset:168
	;; [unrolled: 1-line block ×6, first 2 shown]
	ds_load_b128 v[100:103], v2 offset:448
	ds_load_b128 v[104:107], v2 offset:464
	s_mov_b32 s0, exec_lo
	s_wait_loadcnt_dscnt 0x501
	v_fma_f64 v[108:109], v[78:79], v[100:101], 0
	s_wait_loadcnt 0x4
	s_delay_alu instid0(VALU_DEP_1) | instskip(SKIP_4) | instid1(VALU_DEP_1)
	v_fmac_f64_e32 v[108:109], v[80:81], v[102:103]
	scratch_load_b128 v[78:81], off, off offset:248
	s_wait_dscnt 0x0
	v_fmac_f64_e32 v[108:109], v[82:83], v[104:105]
	s_wait_loadcnt 0x4
	v_fmac_f64_e32 v[108:109], v[84:85], v[106:107]
	scratch_load_b128 v[82:85], off, off offset:264
	ds_load_b128 v[100:103], v2 offset:480
	ds_load_b128 v[104:107], v2 offset:496
	s_wait_dscnt 0x1
	v_fmac_f64_e32 v[108:109], v[86:87], v[100:101]
	scratch_load_b64 v[100:101], off, off offset:280
	s_wait_loadcnt 0x5
	v_fmac_f64_e32 v[108:109], v[88:89], v[102:103]
	s_wait_dscnt 0x0
	s_delay_alu instid0(VALU_DEP_1) | instskip(SKIP_1) | instid1(VALU_DEP_1)
	v_fmac_f64_e32 v[108:109], v[90:91], v[104:105]
	s_wait_loadcnt 0x4
	v_fmac_f64_e32 v[108:109], v[92:93], v[106:107]
	ds_load_b128 v[86:89], v2 offset:512
	ds_load_b128 v[90:93], v2 offset:528
	s_wait_dscnt 0x1
	v_fmac_f64_e32 v[108:109], v[94:95], v[86:87]
	s_wait_loadcnt 0x3
	s_delay_alu instid0(VALU_DEP_1) | instskip(SKIP_1) | instid1(VALU_DEP_1)
	v_fmac_f64_e32 v[108:109], v[96:97], v[88:89]
	s_wait_dscnt 0x0
	v_fmac_f64_e32 v[108:109], v[98:99], v[90:91]
	s_wait_loadcnt 0x2
	s_delay_alu instid0(VALU_DEP_1)
	v_fmac_f64_e32 v[108:109], v[78:79], v[92:93]
	ds_load_b128 v[86:89], v2 offset:544
	ds_load_b128 v[90:93], v2 offset:560
	s_wait_dscnt 0x1
	v_fmac_f64_e32 v[108:109], v[80:81], v[86:87]
	s_wait_loadcnt 0x1
	s_delay_alu instid0(VALU_DEP_1) | instskip(SKIP_1) | instid1(VALU_DEP_1)
	v_fmac_f64_e32 v[108:109], v[82:83], v[88:89]
	s_wait_dscnt 0x0
	v_fmac_f64_e32 v[108:109], v[84:85], v[90:91]
	s_wait_loadcnt 0x0
	s_delay_alu instid0(VALU_DEP_1) | instskip(NEXT) | instid1(VALU_DEP_1)
	v_fmac_f64_e32 v[108:109], v[100:101], v[92:93]
	v_add_f64_e64 v[2:3], v[76:77], -v[108:109]
	scratch_store_b64 off, v[2:3], off offset:152
	s_wait_xcnt 0x0
	v_cmpx_lt_u32_e32 18, v0
	s_cbranch_execz .LBB35_189
; %bb.188:
	scratch_load_b64 v[2:3], off, off offset:144
	v_mov_b64_e32 v[76:77], 0
	scratch_store_b64 off, v[76:77], off offset:144
	s_wait_loadcnt 0x0
	ds_store_b64 v1, v[2:3]
.LBB35_189:
	s_wait_xcnt 0x0
	s_or_b32 exec_lo, exec_lo, s0
	s_wait_storecnt_dscnt 0x0
	s_barrier_signal -1
	s_barrier_wait -1
	s_clause 0x5
	scratch_load_b128 v[76:79], off, off offset:144
	scratch_load_b128 v[80:83], off, off offset:160
	;; [unrolled: 1-line block ×6, first 2 shown]
	v_mov_b32_e32 v2, 0
	ds_load_2addr_b64 v[100:103], v2 offset0:55 offset1:56
	ds_load_2addr_b64 v[104:107], v2 offset0:57 offset1:58
	s_mov_b32 s0, exec_lo
	s_wait_loadcnt_dscnt 0x501
	v_fma_f64 v[108:109], v[78:79], v[100:101], 0
	s_wait_loadcnt 0x4
	s_delay_alu instid0(VALU_DEP_1) | instskip(SKIP_4) | instid1(VALU_DEP_1)
	v_fmac_f64_e32 v[108:109], v[80:81], v[102:103]
	scratch_load_b128 v[78:81], off, off offset:240
	s_wait_dscnt 0x0
	v_fmac_f64_e32 v[108:109], v[82:83], v[104:105]
	s_wait_loadcnt 0x4
	v_fmac_f64_e32 v[108:109], v[84:85], v[106:107]
	scratch_load_b128 v[82:85], off, off offset:256
	ds_load_2addr_b64 v[100:103], v2 offset0:59 offset1:60
	ds_load_2addr_b64 v[104:107], v2 offset0:61 offset1:62
	s_wait_dscnt 0x1
	v_fmac_f64_e32 v[108:109], v[86:87], v[100:101]
	s_wait_loadcnt 0x4
	s_delay_alu instid0(VALU_DEP_1) | instskip(SKIP_4) | instid1(VALU_DEP_1)
	v_fmac_f64_e32 v[108:109], v[88:89], v[102:103]
	scratch_load_b128 v[86:89], off, off offset:272
	s_wait_dscnt 0x0
	v_fmac_f64_e32 v[108:109], v[90:91], v[104:105]
	s_wait_loadcnt 0x4
	v_fmac_f64_e32 v[108:109], v[92:93], v[106:107]
	ds_load_2addr_b64 v[90:93], v2 offset0:63 offset1:64
	ds_load_2addr_b64 v[100:103], v2 offset0:65 offset1:66
	s_wait_dscnt 0x1
	v_fmac_f64_e32 v[108:109], v[94:95], v[90:91]
	s_wait_loadcnt 0x3
	s_delay_alu instid0(VALU_DEP_1)
	v_fmac_f64_e32 v[108:109], v[96:97], v[92:93]
	ds_load_2addr_b64 v[90:93], v2 offset0:67 offset1:68
	ds_load_2addr_b64 v[94:97], v2 offset0:69 offset1:70
	s_wait_dscnt 0x2
	v_fmac_f64_e32 v[108:109], v[98:99], v[100:101]
	s_wait_loadcnt 0x2
	s_delay_alu instid0(VALU_DEP_1) | instskip(SKIP_4) | instid1(VALU_DEP_1)
	v_fmac_f64_e32 v[108:109], v[78:79], v[102:103]
	ds_load_b64 v[78:79], v2 offset:568
	s_wait_dscnt 0x2
	v_fmac_f64_e32 v[108:109], v[80:81], v[90:91]
	s_wait_loadcnt 0x1
	v_fmac_f64_e32 v[108:109], v[82:83], v[92:93]
	s_wait_dscnt 0x1
	s_delay_alu instid0(VALU_DEP_1) | instskip(SKIP_1) | instid1(VALU_DEP_1)
	v_fmac_f64_e32 v[108:109], v[84:85], v[94:95]
	s_wait_loadcnt 0x0
	v_fmac_f64_e32 v[108:109], v[86:87], v[96:97]
	s_wait_dscnt 0x0
	s_delay_alu instid0(VALU_DEP_1) | instskip(NEXT) | instid1(VALU_DEP_1)
	v_fmac_f64_e32 v[108:109], v[88:89], v[78:79]
	v_add_f64_e64 v[76:77], v[76:77], -v[108:109]
	scratch_store_b64 off, v[76:77], off offset:144
	s_wait_xcnt 0x0
	v_cmpx_lt_u32_e32 17, v0
	s_cbranch_execz .LBB35_191
; %bb.190:
	scratch_load_b64 v[76:77], off, off offset:136
	v_mov_b64_e32 v[78:79], 0
	scratch_store_b64 off, v[78:79], off offset:136
	s_wait_loadcnt 0x0
	ds_store_b64 v1, v[76:77]
.LBB35_191:
	s_wait_xcnt 0x0
	s_or_b32 exec_lo, exec_lo, s0
	s_wait_storecnt_dscnt 0x0
	s_barrier_signal -1
	s_barrier_wait -1
	s_clause 0x5
	scratch_load_b128 v[76:79], off, off offset:136
	scratch_load_b128 v[80:83], off, off offset:152
	;; [unrolled: 1-line block ×6, first 2 shown]
	ds_load_b128 v[100:103], v2 offset:432
	ds_load_b128 v[104:107], v2 offset:448
	s_mov_b32 s0, exec_lo
	s_wait_loadcnt_dscnt 0x501
	v_fma_f64 v[108:109], v[78:79], v[100:101], 0
	s_wait_loadcnt 0x4
	s_delay_alu instid0(VALU_DEP_1) | instskip(SKIP_4) | instid1(VALU_DEP_1)
	v_fmac_f64_e32 v[108:109], v[80:81], v[102:103]
	scratch_load_b128 v[78:81], off, off offset:232
	s_wait_dscnt 0x0
	v_fmac_f64_e32 v[108:109], v[82:83], v[104:105]
	s_wait_loadcnt 0x4
	v_fmac_f64_e32 v[108:109], v[84:85], v[106:107]
	scratch_load_b128 v[82:85], off, off offset:248
	ds_load_b128 v[100:103], v2 offset:464
	ds_load_b128 v[104:107], v2 offset:480
	s_wait_dscnt 0x1
	v_fmac_f64_e32 v[108:109], v[86:87], v[100:101]
	s_wait_loadcnt 0x4
	s_delay_alu instid0(VALU_DEP_1)
	v_fmac_f64_e32 v[108:109], v[88:89], v[102:103]
	scratch_load_b128 v[86:89], off, off offset:264
	s_wait_dscnt 0x0
	v_fmac_f64_e32 v[108:109], v[90:91], v[104:105]
	scratch_load_b64 v[104:105], off, off offset:280
	s_wait_loadcnt 0x5
	v_fmac_f64_e32 v[108:109], v[92:93], v[106:107]
	ds_load_b128 v[90:93], v2 offset:496
	ds_load_b128 v[100:103], v2 offset:512
	s_wait_dscnt 0x1
	v_fmac_f64_e32 v[108:109], v[94:95], v[90:91]
	s_wait_loadcnt 0x4
	s_delay_alu instid0(VALU_DEP_1)
	v_fmac_f64_e32 v[108:109], v[96:97], v[92:93]
	ds_load_b128 v[90:93], v2 offset:528
	ds_load_b128 v[94:97], v2 offset:544
	s_wait_dscnt 0x2
	v_fmac_f64_e32 v[108:109], v[98:99], v[100:101]
	s_wait_loadcnt 0x3
	s_delay_alu instid0(VALU_DEP_1) | instskip(SKIP_1) | instid1(VALU_DEP_1)
	v_fmac_f64_e32 v[108:109], v[78:79], v[102:103]
	s_wait_dscnt 0x1
	v_fmac_f64_e32 v[108:109], v[80:81], v[90:91]
	ds_load_b128 v[78:81], v2 offset:560
	s_wait_loadcnt 0x2
	v_fmac_f64_e32 v[108:109], v[82:83], v[92:93]
	s_wait_dscnt 0x1
	s_delay_alu instid0(VALU_DEP_1) | instskip(SKIP_1) | instid1(VALU_DEP_1)
	v_fmac_f64_e32 v[108:109], v[84:85], v[94:95]
	s_wait_loadcnt 0x1
	v_fmac_f64_e32 v[108:109], v[86:87], v[96:97]
	s_wait_dscnt 0x0
	s_delay_alu instid0(VALU_DEP_1) | instskip(SKIP_1) | instid1(VALU_DEP_1)
	v_fmac_f64_e32 v[108:109], v[88:89], v[78:79]
	s_wait_loadcnt 0x0
	v_fmac_f64_e32 v[108:109], v[104:105], v[80:81]
	s_delay_alu instid0(VALU_DEP_1)
	v_add_f64_e64 v[2:3], v[76:77], -v[108:109]
	scratch_store_b64 off, v[2:3], off offset:136
	s_wait_xcnt 0x0
	v_cmpx_lt_u32_e32 16, v0
	s_cbranch_execz .LBB35_193
; %bb.192:
	scratch_load_b64 v[2:3], off, off offset:128
	v_mov_b64_e32 v[76:77], 0
	scratch_store_b64 off, v[76:77], off offset:128
	s_wait_loadcnt 0x0
	ds_store_b64 v1, v[2:3]
.LBB35_193:
	s_wait_xcnt 0x0
	s_or_b32 exec_lo, exec_lo, s0
	s_wait_storecnt_dscnt 0x0
	s_barrier_signal -1
	s_barrier_wait -1
	s_clause 0x5
	scratch_load_b128 v[76:79], off, off offset:128
	scratch_load_b128 v[80:83], off, off offset:144
	;; [unrolled: 1-line block ×6, first 2 shown]
	v_mov_b32_e32 v2, 0
	ds_load_2addr_b64 v[100:103], v2 offset0:53 offset1:54
	ds_load_2addr_b64 v[104:107], v2 offset0:55 offset1:56
	s_mov_b32 s0, exec_lo
	s_wait_loadcnt_dscnt 0x501
	v_fma_f64 v[108:109], v[78:79], v[100:101], 0
	s_wait_loadcnt 0x4
	s_delay_alu instid0(VALU_DEP_1) | instskip(SKIP_4) | instid1(VALU_DEP_1)
	v_fmac_f64_e32 v[108:109], v[80:81], v[102:103]
	scratch_load_b128 v[78:81], off, off offset:224
	s_wait_dscnt 0x0
	v_fmac_f64_e32 v[108:109], v[82:83], v[104:105]
	s_wait_loadcnt 0x4
	v_fmac_f64_e32 v[108:109], v[84:85], v[106:107]
	scratch_load_b128 v[82:85], off, off offset:240
	ds_load_2addr_b64 v[100:103], v2 offset0:57 offset1:58
	ds_load_2addr_b64 v[104:107], v2 offset0:59 offset1:60
	s_wait_dscnt 0x1
	v_fmac_f64_e32 v[108:109], v[86:87], v[100:101]
	s_wait_loadcnt 0x4
	s_delay_alu instid0(VALU_DEP_1) | instskip(SKIP_4) | instid1(VALU_DEP_1)
	v_fmac_f64_e32 v[108:109], v[88:89], v[102:103]
	scratch_load_b128 v[86:89], off, off offset:256
	s_wait_dscnt 0x0
	v_fmac_f64_e32 v[108:109], v[90:91], v[104:105]
	s_wait_loadcnt 0x4
	v_fmac_f64_e32 v[108:109], v[92:93], v[106:107]
	scratch_load_b128 v[90:93], off, off offset:272
	ds_load_2addr_b64 v[100:103], v2 offset0:61 offset1:62
	ds_load_2addr_b64 v[104:107], v2 offset0:63 offset1:64
	s_wait_dscnt 0x1
	v_fmac_f64_e32 v[108:109], v[94:95], v[100:101]
	s_wait_loadcnt 0x4
	s_delay_alu instid0(VALU_DEP_1) | instskip(SKIP_1) | instid1(VALU_DEP_1)
	v_fmac_f64_e32 v[108:109], v[96:97], v[102:103]
	s_wait_dscnt 0x0
	v_fmac_f64_e32 v[108:109], v[98:99], v[104:105]
	ds_load_2addr_b64 v[94:97], v2 offset0:65 offset1:66
	ds_load_2addr_b64 v[98:101], v2 offset0:67 offset1:68
	s_wait_loadcnt 0x3
	v_fmac_f64_e32 v[108:109], v[78:79], v[106:107]
	s_wait_dscnt 0x1
	s_delay_alu instid0(VALU_DEP_1) | instskip(SKIP_1) | instid1(VALU_DEP_1)
	v_fmac_f64_e32 v[108:109], v[80:81], v[94:95]
	s_wait_loadcnt 0x2
	v_fmac_f64_e32 v[108:109], v[82:83], v[96:97]
	ds_load_2addr_b64 v[78:81], v2 offset0:69 offset1:70
	ds_load_b64 v[82:83], v2 offset:568
	s_wait_dscnt 0x2
	v_fmac_f64_e32 v[108:109], v[84:85], v[98:99]
	s_wait_loadcnt 0x1
	s_delay_alu instid0(VALU_DEP_1) | instskip(SKIP_1) | instid1(VALU_DEP_1)
	v_fmac_f64_e32 v[108:109], v[86:87], v[100:101]
	s_wait_dscnt 0x1
	v_fmac_f64_e32 v[108:109], v[88:89], v[78:79]
	s_wait_loadcnt 0x0
	s_delay_alu instid0(VALU_DEP_1) | instskip(SKIP_1) | instid1(VALU_DEP_1)
	v_fmac_f64_e32 v[108:109], v[90:91], v[80:81]
	s_wait_dscnt 0x0
	v_fmac_f64_e32 v[108:109], v[92:93], v[82:83]
	s_delay_alu instid0(VALU_DEP_1)
	v_add_f64_e64 v[76:77], v[76:77], -v[108:109]
	scratch_store_b64 off, v[76:77], off offset:128
	s_wait_xcnt 0x0
	v_cmpx_lt_u32_e32 15, v0
	s_cbranch_execz .LBB35_195
; %bb.194:
	scratch_load_b64 v[76:77], off, off offset:120
	v_mov_b64_e32 v[78:79], 0
	scratch_store_b64 off, v[78:79], off offset:120
	s_wait_loadcnt 0x0
	ds_store_b64 v1, v[76:77]
.LBB35_195:
	s_wait_xcnt 0x0
	s_or_b32 exec_lo, exec_lo, s0
	s_wait_storecnt_dscnt 0x0
	s_barrier_signal -1
	s_barrier_wait -1
	s_clause 0x5
	scratch_load_b128 v[76:79], off, off offset:120
	scratch_load_b128 v[80:83], off, off offset:136
	;; [unrolled: 1-line block ×6, first 2 shown]
	ds_load_b128 v[100:103], v2 offset:416
	ds_load_b128 v[104:107], v2 offset:432
	s_mov_b32 s0, exec_lo
	s_wait_loadcnt_dscnt 0x501
	v_fma_f64 v[108:109], v[78:79], v[100:101], 0
	s_wait_loadcnt 0x4
	s_delay_alu instid0(VALU_DEP_1) | instskip(SKIP_4) | instid1(VALU_DEP_1)
	v_fmac_f64_e32 v[108:109], v[80:81], v[102:103]
	scratch_load_b128 v[78:81], off, off offset:216
	s_wait_dscnt 0x0
	v_fmac_f64_e32 v[108:109], v[82:83], v[104:105]
	s_wait_loadcnt 0x4
	v_fmac_f64_e32 v[108:109], v[84:85], v[106:107]
	scratch_load_b128 v[82:85], off, off offset:232
	ds_load_b128 v[100:103], v2 offset:448
	ds_load_b128 v[104:107], v2 offset:464
	s_wait_dscnt 0x1
	v_fmac_f64_e32 v[108:109], v[86:87], v[100:101]
	s_wait_loadcnt 0x4
	s_delay_alu instid0(VALU_DEP_1) | instskip(SKIP_4) | instid1(VALU_DEP_1)
	v_fmac_f64_e32 v[108:109], v[88:89], v[102:103]
	scratch_load_b128 v[86:89], off, off offset:248
	s_wait_dscnt 0x0
	v_fmac_f64_e32 v[108:109], v[90:91], v[104:105]
	s_wait_loadcnt 0x4
	v_fmac_f64_e32 v[108:109], v[92:93], v[106:107]
	scratch_load_b128 v[90:93], off, off offset:264
	ds_load_b128 v[100:103], v2 offset:480
	ds_load_b128 v[104:107], v2 offset:496
	s_wait_dscnt 0x1
	v_fmac_f64_e32 v[108:109], v[94:95], v[100:101]
	s_wait_loadcnt 0x4
	s_delay_alu instid0(VALU_DEP_1)
	v_fmac_f64_e32 v[108:109], v[96:97], v[102:103]
	scratch_load_b64 v[102:103], off, off offset:280
	s_wait_dscnt 0x0
	v_fmac_f64_e32 v[108:109], v[98:99], v[104:105]
	ds_load_b128 v[94:97], v2 offset:512
	ds_load_b128 v[98:101], v2 offset:528
	s_wait_loadcnt 0x4
	v_fmac_f64_e32 v[108:109], v[78:79], v[106:107]
	s_wait_dscnt 0x1
	s_delay_alu instid0(VALU_DEP_1) | instskip(SKIP_1) | instid1(VALU_DEP_1)
	v_fmac_f64_e32 v[108:109], v[80:81], v[94:95]
	s_wait_loadcnt 0x3
	v_fmac_f64_e32 v[108:109], v[82:83], v[96:97]
	s_wait_dscnt 0x0
	s_delay_alu instid0(VALU_DEP_1)
	v_fmac_f64_e32 v[108:109], v[84:85], v[98:99]
	ds_load_b128 v[78:81], v2 offset:544
	ds_load_b128 v[82:85], v2 offset:560
	s_wait_loadcnt 0x2
	v_fmac_f64_e32 v[108:109], v[86:87], v[100:101]
	s_wait_dscnt 0x1
	s_delay_alu instid0(VALU_DEP_1) | instskip(SKIP_1) | instid1(VALU_DEP_1)
	v_fmac_f64_e32 v[108:109], v[88:89], v[78:79]
	s_wait_loadcnt 0x1
	v_fmac_f64_e32 v[108:109], v[90:91], v[80:81]
	s_wait_dscnt 0x0
	s_delay_alu instid0(VALU_DEP_1) | instskip(SKIP_1) | instid1(VALU_DEP_1)
	v_fmac_f64_e32 v[108:109], v[92:93], v[82:83]
	s_wait_loadcnt 0x0
	v_fmac_f64_e32 v[108:109], v[102:103], v[84:85]
	s_delay_alu instid0(VALU_DEP_1)
	v_add_f64_e64 v[2:3], v[76:77], -v[108:109]
	scratch_store_b64 off, v[2:3], off offset:120
	s_wait_xcnt 0x0
	v_cmpx_lt_u32_e32 14, v0
	s_cbranch_execz .LBB35_197
; %bb.196:
	scratch_load_b64 v[2:3], off, off offset:112
	v_mov_b64_e32 v[76:77], 0
	scratch_store_b64 off, v[76:77], off offset:112
	s_wait_loadcnt 0x0
	ds_store_b64 v1, v[2:3]
.LBB35_197:
	s_wait_xcnt 0x0
	s_or_b32 exec_lo, exec_lo, s0
	s_wait_storecnt_dscnt 0x0
	s_barrier_signal -1
	s_barrier_wait -1
	s_clause 0x5
	scratch_load_b128 v[76:79], off, off offset:112
	scratch_load_b128 v[80:83], off, off offset:128
	;; [unrolled: 1-line block ×6, first 2 shown]
	v_mov_b32_e32 v2, 0
	ds_load_2addr_b64 v[100:103], v2 offset0:51 offset1:52
	ds_load_2addr_b64 v[104:107], v2 offset0:53 offset1:54
	s_mov_b32 s0, exec_lo
	s_wait_loadcnt_dscnt 0x501
	v_fma_f64 v[108:109], v[78:79], v[100:101], 0
	s_wait_loadcnt 0x4
	s_delay_alu instid0(VALU_DEP_1) | instskip(SKIP_4) | instid1(VALU_DEP_1)
	v_fmac_f64_e32 v[108:109], v[80:81], v[102:103]
	scratch_load_b128 v[78:81], off, off offset:208
	s_wait_dscnt 0x0
	v_fmac_f64_e32 v[108:109], v[82:83], v[104:105]
	s_wait_loadcnt 0x4
	v_fmac_f64_e32 v[108:109], v[84:85], v[106:107]
	scratch_load_b128 v[82:85], off, off offset:224
	ds_load_2addr_b64 v[100:103], v2 offset0:55 offset1:56
	ds_load_2addr_b64 v[104:107], v2 offset0:57 offset1:58
	s_wait_dscnt 0x1
	v_fmac_f64_e32 v[108:109], v[86:87], v[100:101]
	s_wait_loadcnt 0x4
	s_delay_alu instid0(VALU_DEP_1) | instskip(SKIP_4) | instid1(VALU_DEP_1)
	v_fmac_f64_e32 v[108:109], v[88:89], v[102:103]
	scratch_load_b128 v[86:89], off, off offset:240
	s_wait_dscnt 0x0
	v_fmac_f64_e32 v[108:109], v[90:91], v[104:105]
	s_wait_loadcnt 0x4
	v_fmac_f64_e32 v[108:109], v[92:93], v[106:107]
	scratch_load_b128 v[90:93], off, off offset:256
	ds_load_2addr_b64 v[100:103], v2 offset0:59 offset1:60
	ds_load_2addr_b64 v[104:107], v2 offset0:61 offset1:62
	s_wait_dscnt 0x1
	v_fmac_f64_e32 v[108:109], v[94:95], v[100:101]
	s_wait_loadcnt 0x4
	s_delay_alu instid0(VALU_DEP_1)
	v_fmac_f64_e32 v[108:109], v[96:97], v[102:103]
	scratch_load_b128 v[94:97], off, off offset:272
	s_wait_dscnt 0x0
	v_fmac_f64_e32 v[108:109], v[98:99], v[104:105]
	ds_load_2addr_b64 v[98:101], v2 offset0:63 offset1:64
	ds_load_2addr_b64 v[102:105], v2 offset0:65 offset1:66
	s_wait_loadcnt 0x4
	v_fmac_f64_e32 v[108:109], v[78:79], v[106:107]
	s_wait_dscnt 0x1
	s_delay_alu instid0(VALU_DEP_1) | instskip(SKIP_1) | instid1(VALU_DEP_1)
	v_fmac_f64_e32 v[108:109], v[80:81], v[98:99]
	s_wait_loadcnt 0x3
	v_fmac_f64_e32 v[108:109], v[82:83], v[100:101]
	s_wait_dscnt 0x0
	s_delay_alu instid0(VALU_DEP_1)
	v_fmac_f64_e32 v[108:109], v[84:85], v[102:103]
	ds_load_2addr_b64 v[78:81], v2 offset0:67 offset1:68
	ds_load_2addr_b64 v[82:85], v2 offset0:69 offset1:70
	s_wait_loadcnt 0x2
	v_fmac_f64_e32 v[108:109], v[86:87], v[104:105]
	s_wait_dscnt 0x1
	s_delay_alu instid0(VALU_DEP_1) | instskip(SKIP_4) | instid1(VALU_DEP_1)
	v_fmac_f64_e32 v[108:109], v[88:89], v[78:79]
	ds_load_b64 v[78:79], v2 offset:568
	s_wait_loadcnt 0x1
	v_fmac_f64_e32 v[108:109], v[90:91], v[80:81]
	s_wait_dscnt 0x1
	v_fmac_f64_e32 v[108:109], v[92:93], v[82:83]
	s_wait_loadcnt 0x0
	s_delay_alu instid0(VALU_DEP_1) | instskip(SKIP_1) | instid1(VALU_DEP_1)
	v_fmac_f64_e32 v[108:109], v[94:95], v[84:85]
	s_wait_dscnt 0x0
	v_fmac_f64_e32 v[108:109], v[96:97], v[78:79]
	s_delay_alu instid0(VALU_DEP_1)
	v_add_f64_e64 v[76:77], v[76:77], -v[108:109]
	scratch_store_b64 off, v[76:77], off offset:112
	s_wait_xcnt 0x0
	v_cmpx_lt_u32_e32 13, v0
	s_cbranch_execz .LBB35_199
; %bb.198:
	scratch_load_b64 v[76:77], off, off offset:104
	v_mov_b64_e32 v[78:79], 0
	scratch_store_b64 off, v[78:79], off offset:104
	s_wait_loadcnt 0x0
	ds_store_b64 v1, v[76:77]
.LBB35_199:
	s_wait_xcnt 0x0
	s_or_b32 exec_lo, exec_lo, s0
	s_wait_storecnt_dscnt 0x0
	s_barrier_signal -1
	s_barrier_wait -1
	s_clause 0x5
	scratch_load_b128 v[76:79], off, off offset:104
	scratch_load_b128 v[80:83], off, off offset:120
	;; [unrolled: 1-line block ×6, first 2 shown]
	ds_load_b128 v[100:103], v2 offset:400
	ds_load_b128 v[104:107], v2 offset:416
	scratch_load_b128 v[108:111], off, off offset:200
	s_mov_b32 s0, exec_lo
	s_wait_loadcnt_dscnt 0x601
	v_fma_f64 v[112:113], v[78:79], v[100:101], 0
	s_wait_loadcnt 0x5
	s_delay_alu instid0(VALU_DEP_1) | instskip(SKIP_4) | instid1(VALU_DEP_1)
	v_fmac_f64_e32 v[112:113], v[80:81], v[102:103]
	scratch_load_b128 v[78:81], off, off offset:216
	s_wait_dscnt 0x0
	v_fmac_f64_e32 v[112:113], v[82:83], v[104:105]
	s_wait_loadcnt 0x5
	v_fmac_f64_e32 v[112:113], v[84:85], v[106:107]
	ds_load_b128 v[82:85], v2 offset:432
	ds_load_b128 v[100:103], v2 offset:448
	s_wait_dscnt 0x1
	v_fmac_f64_e32 v[112:113], v[86:87], v[82:83]
	s_wait_loadcnt 0x4
	s_delay_alu instid0(VALU_DEP_1)
	v_fmac_f64_e32 v[112:113], v[88:89], v[84:85]
	s_clause 0x1
	scratch_load_b128 v[82:85], off, off offset:232
	scratch_load_b128 v[86:89], off, off offset:248
	s_wait_dscnt 0x0
	v_fmac_f64_e32 v[112:113], v[90:91], v[100:101]
	s_wait_loadcnt 0x5
	s_delay_alu instid0(VALU_DEP_1)
	v_fmac_f64_e32 v[112:113], v[92:93], v[102:103]
	ds_load_b128 v[90:93], v2 offset:464
	ds_load_b128 v[100:103], v2 offset:480
	s_wait_dscnt 0x1
	v_fmac_f64_e32 v[112:113], v[94:95], v[90:91]
	s_wait_loadcnt 0x4
	s_delay_alu instid0(VALU_DEP_1) | instskip(SKIP_4) | instid1(VALU_DEP_1)
	v_fmac_f64_e32 v[112:113], v[96:97], v[92:93]
	scratch_load_b128 v[90:93], off, off offset:264
	s_wait_dscnt 0x0
	v_fmac_f64_e32 v[112:113], v[98:99], v[100:101]
	s_wait_loadcnt 0x4
	v_fmac_f64_e32 v[112:113], v[108:109], v[102:103]
	scratch_load_b64 v[102:103], off, off offset:280
	ds_load_b128 v[94:97], v2 offset:496
	ds_load_b128 v[98:101], v2 offset:512
	s_wait_dscnt 0x1
	v_fmac_f64_e32 v[112:113], v[110:111], v[94:95]
	s_wait_loadcnt 0x4
	s_delay_alu instid0(VALU_DEP_1) | instskip(SKIP_1) | instid1(VALU_DEP_1)
	v_fmac_f64_e32 v[112:113], v[78:79], v[96:97]
	s_wait_dscnt 0x0
	v_fmac_f64_e32 v[112:113], v[80:81], v[98:99]
	ds_load_b128 v[78:81], v2 offset:528
	ds_load_b128 v[94:97], v2 offset:544
	s_wait_loadcnt 0x3
	v_fmac_f64_e32 v[112:113], v[82:83], v[100:101]
	s_wait_dscnt 0x1
	s_delay_alu instid0(VALU_DEP_1) | instskip(SKIP_1) | instid1(VALU_DEP_1)
	v_fmac_f64_e32 v[112:113], v[84:85], v[78:79]
	s_wait_loadcnt 0x2
	v_fmac_f64_e32 v[112:113], v[86:87], v[80:81]
	ds_load_b128 v[78:81], v2 offset:560
	s_wait_dscnt 0x1
	v_fmac_f64_e32 v[112:113], v[88:89], v[94:95]
	s_wait_loadcnt 0x1
	s_delay_alu instid0(VALU_DEP_1) | instskip(SKIP_1) | instid1(VALU_DEP_1)
	v_fmac_f64_e32 v[112:113], v[90:91], v[96:97]
	s_wait_dscnt 0x0
	v_fmac_f64_e32 v[112:113], v[92:93], v[78:79]
	s_wait_loadcnt 0x0
	s_delay_alu instid0(VALU_DEP_1) | instskip(NEXT) | instid1(VALU_DEP_1)
	v_fmac_f64_e32 v[112:113], v[102:103], v[80:81]
	v_add_f64_e64 v[2:3], v[76:77], -v[112:113]
	scratch_store_b64 off, v[2:3], off offset:104
	s_wait_xcnt 0x0
	v_cmpx_lt_u32_e32 12, v0
	s_cbranch_execz .LBB35_201
; %bb.200:
	scratch_load_b64 v[2:3], off, off offset:96
	v_mov_b64_e32 v[76:77], 0
	scratch_store_b64 off, v[76:77], off offset:96
	s_wait_loadcnt 0x0
	ds_store_b64 v1, v[2:3]
.LBB35_201:
	s_wait_xcnt 0x0
	s_or_b32 exec_lo, exec_lo, s0
	s_wait_storecnt_dscnt 0x0
	s_barrier_signal -1
	s_barrier_wait -1
	s_clause 0x5
	scratch_load_b128 v[76:79], off, off offset:96
	scratch_load_b128 v[80:83], off, off offset:112
	;; [unrolled: 1-line block ×6, first 2 shown]
	v_mov_b32_e32 v2, 0
	ds_load_2addr_b64 v[100:103], v2 offset0:49 offset1:50
	ds_load_2addr_b64 v[104:107], v2 offset0:51 offset1:52
	scratch_load_b128 v[108:111], off, off offset:192
	s_mov_b32 s0, exec_lo
	s_wait_loadcnt_dscnt 0x601
	v_fma_f64 v[112:113], v[78:79], v[100:101], 0
	s_wait_loadcnt 0x5
	s_delay_alu instid0(VALU_DEP_1) | instskip(SKIP_4) | instid1(VALU_DEP_1)
	v_fmac_f64_e32 v[112:113], v[80:81], v[102:103]
	scratch_load_b128 v[78:81], off, off offset:208
	s_wait_dscnt 0x0
	v_fmac_f64_e32 v[112:113], v[82:83], v[104:105]
	s_wait_loadcnt 0x5
	v_fmac_f64_e32 v[112:113], v[84:85], v[106:107]
	ds_load_2addr_b64 v[82:85], v2 offset0:53 offset1:54
	ds_load_2addr_b64 v[100:103], v2 offset0:55 offset1:56
	s_wait_dscnt 0x1
	v_fmac_f64_e32 v[112:113], v[86:87], v[82:83]
	s_wait_loadcnt 0x4
	s_delay_alu instid0(VALU_DEP_1)
	v_fmac_f64_e32 v[112:113], v[88:89], v[84:85]
	s_clause 0x1
	scratch_load_b128 v[82:85], off, off offset:224
	scratch_load_b128 v[86:89], off, off offset:240
	s_wait_dscnt 0x0
	v_fmac_f64_e32 v[112:113], v[90:91], v[100:101]
	s_wait_loadcnt 0x5
	s_delay_alu instid0(VALU_DEP_1)
	v_fmac_f64_e32 v[112:113], v[92:93], v[102:103]
	ds_load_2addr_b64 v[90:93], v2 offset0:57 offset1:58
	ds_load_2addr_b64 v[100:103], v2 offset0:59 offset1:60
	s_wait_dscnt 0x1
	v_fmac_f64_e32 v[112:113], v[94:95], v[90:91]
	s_wait_loadcnt 0x4
	s_delay_alu instid0(VALU_DEP_1)
	v_fmac_f64_e32 v[112:113], v[96:97], v[92:93]
	s_clause 0x1
	scratch_load_b128 v[90:93], off, off offset:256
	scratch_load_b128 v[94:97], off, off offset:272
	s_wait_dscnt 0x0
	v_fmac_f64_e32 v[112:113], v[98:99], v[100:101]
	s_wait_loadcnt 0x5
	s_delay_alu instid0(VALU_DEP_1)
	v_fmac_f64_e32 v[112:113], v[108:109], v[102:103]
	ds_load_2addr_b64 v[98:101], v2 offset0:61 offset1:62
	ds_load_2addr_b64 v[102:105], v2 offset0:63 offset1:64
	s_wait_dscnt 0x1
	v_fmac_f64_e32 v[112:113], v[110:111], v[98:99]
	s_wait_loadcnt 0x4
	s_delay_alu instid0(VALU_DEP_1) | instskip(SKIP_1) | instid1(VALU_DEP_1)
	v_fmac_f64_e32 v[112:113], v[78:79], v[100:101]
	s_wait_dscnt 0x0
	v_fmac_f64_e32 v[112:113], v[80:81], v[102:103]
	ds_load_2addr_b64 v[78:81], v2 offset0:65 offset1:66
	ds_load_2addr_b64 v[98:101], v2 offset0:67 offset1:68
	s_wait_loadcnt 0x3
	v_fmac_f64_e32 v[112:113], v[82:83], v[104:105]
	s_wait_dscnt 0x1
	s_delay_alu instid0(VALU_DEP_1) | instskip(SKIP_1) | instid1(VALU_DEP_1)
	v_fmac_f64_e32 v[112:113], v[84:85], v[78:79]
	s_wait_loadcnt 0x2
	v_fmac_f64_e32 v[112:113], v[86:87], v[80:81]
	ds_load_2addr_b64 v[78:81], v2 offset0:69 offset1:70
	ds_load_b64 v[82:83], v2 offset:568
	s_wait_dscnt 0x2
	v_fmac_f64_e32 v[112:113], v[88:89], v[98:99]
	s_wait_loadcnt 0x1
	s_delay_alu instid0(VALU_DEP_1) | instskip(SKIP_1) | instid1(VALU_DEP_1)
	v_fmac_f64_e32 v[112:113], v[90:91], v[100:101]
	s_wait_dscnt 0x1
	v_fmac_f64_e32 v[112:113], v[92:93], v[78:79]
	s_wait_loadcnt 0x0
	s_delay_alu instid0(VALU_DEP_1) | instskip(SKIP_1) | instid1(VALU_DEP_1)
	v_fmac_f64_e32 v[112:113], v[94:95], v[80:81]
	s_wait_dscnt 0x0
	v_fmac_f64_e32 v[112:113], v[96:97], v[82:83]
	s_delay_alu instid0(VALU_DEP_1)
	v_add_f64_e64 v[76:77], v[76:77], -v[112:113]
	scratch_store_b64 off, v[76:77], off offset:96
	s_wait_xcnt 0x0
	v_cmpx_lt_u32_e32 11, v0
	s_cbranch_execz .LBB35_203
; %bb.202:
	scratch_load_b64 v[76:77], off, off offset:88
	v_mov_b64_e32 v[78:79], 0
	scratch_store_b64 off, v[78:79], off offset:88
	s_wait_loadcnt 0x0
	ds_store_b64 v1, v[76:77]
.LBB35_203:
	s_wait_xcnt 0x0
	s_or_b32 exec_lo, exec_lo, s0
	s_wait_storecnt_dscnt 0x0
	s_barrier_signal -1
	s_barrier_wait -1
	s_clause 0x5
	scratch_load_b128 v[76:79], off, off offset:88
	scratch_load_b128 v[80:83], off, off offset:104
	;; [unrolled: 1-line block ×6, first 2 shown]
	ds_load_b128 v[100:103], v2 offset:384
	ds_load_b128 v[104:107], v2 offset:400
	scratch_load_b128 v[108:111], off, off offset:184
	s_mov_b32 s0, exec_lo
	s_wait_loadcnt_dscnt 0x601
	v_fma_f64 v[112:113], v[78:79], v[100:101], 0
	s_wait_loadcnt 0x5
	s_delay_alu instid0(VALU_DEP_1) | instskip(SKIP_4) | instid1(VALU_DEP_1)
	v_fmac_f64_e32 v[112:113], v[80:81], v[102:103]
	scratch_load_b128 v[78:81], off, off offset:200
	s_wait_dscnt 0x0
	v_fmac_f64_e32 v[112:113], v[82:83], v[104:105]
	s_wait_loadcnt 0x5
	v_fmac_f64_e32 v[112:113], v[84:85], v[106:107]
	ds_load_b128 v[82:85], v2 offset:416
	ds_load_b128 v[100:103], v2 offset:432
	s_wait_dscnt 0x1
	v_fmac_f64_e32 v[112:113], v[86:87], v[82:83]
	s_wait_loadcnt 0x4
	s_delay_alu instid0(VALU_DEP_1)
	v_fmac_f64_e32 v[112:113], v[88:89], v[84:85]
	s_clause 0x1
	scratch_load_b128 v[82:85], off, off offset:216
	scratch_load_b128 v[86:89], off, off offset:232
	s_wait_dscnt 0x0
	v_fmac_f64_e32 v[112:113], v[90:91], v[100:101]
	s_wait_loadcnt 0x5
	s_delay_alu instid0(VALU_DEP_1)
	v_fmac_f64_e32 v[112:113], v[92:93], v[102:103]
	ds_load_b128 v[90:93], v2 offset:448
	ds_load_b128 v[100:103], v2 offset:464
	s_wait_dscnt 0x1
	v_fmac_f64_e32 v[112:113], v[94:95], v[90:91]
	s_wait_loadcnt 0x4
	s_delay_alu instid0(VALU_DEP_1)
	v_fmac_f64_e32 v[112:113], v[96:97], v[92:93]
	s_clause 0x1
	scratch_load_b128 v[90:93], off, off offset:248
	scratch_load_b128 v[94:97], off, off offset:264
	s_wait_dscnt 0x0
	v_fmac_f64_e32 v[112:113], v[98:99], v[100:101]
	s_wait_loadcnt 0x5
	s_delay_alu instid0(VALU_DEP_1)
	v_fmac_f64_e32 v[112:113], v[108:109], v[102:103]
	ds_load_b128 v[98:101], v2 offset:480
	ds_load_b128 v[102:105], v2 offset:496
	scratch_load_b64 v[106:107], off, off offset:280
	s_wait_dscnt 0x1
	v_fmac_f64_e32 v[112:113], v[110:111], v[98:99]
	s_wait_loadcnt 0x5
	s_delay_alu instid0(VALU_DEP_1) | instskip(SKIP_1) | instid1(VALU_DEP_1)
	v_fmac_f64_e32 v[112:113], v[78:79], v[100:101]
	s_wait_dscnt 0x0
	v_fmac_f64_e32 v[112:113], v[80:81], v[102:103]
	ds_load_b128 v[78:81], v2 offset:512
	ds_load_b128 v[98:101], v2 offset:528
	s_wait_loadcnt 0x4
	v_fmac_f64_e32 v[112:113], v[82:83], v[104:105]
	s_wait_dscnt 0x1
	s_delay_alu instid0(VALU_DEP_1) | instskip(SKIP_1) | instid1(VALU_DEP_1)
	v_fmac_f64_e32 v[112:113], v[84:85], v[78:79]
	s_wait_loadcnt 0x3
	v_fmac_f64_e32 v[112:113], v[86:87], v[80:81]
	ds_load_b128 v[78:81], v2 offset:544
	ds_load_b128 v[82:85], v2 offset:560
	s_wait_dscnt 0x2
	v_fmac_f64_e32 v[112:113], v[88:89], v[98:99]
	s_wait_loadcnt 0x2
	s_delay_alu instid0(VALU_DEP_1) | instskip(SKIP_1) | instid1(VALU_DEP_1)
	v_fmac_f64_e32 v[112:113], v[90:91], v[100:101]
	s_wait_dscnt 0x1
	v_fmac_f64_e32 v[112:113], v[92:93], v[78:79]
	s_wait_loadcnt 0x1
	s_delay_alu instid0(VALU_DEP_1) | instskip(SKIP_1) | instid1(VALU_DEP_1)
	v_fmac_f64_e32 v[112:113], v[94:95], v[80:81]
	s_wait_dscnt 0x0
	v_fmac_f64_e32 v[112:113], v[96:97], v[82:83]
	s_wait_loadcnt 0x0
	s_delay_alu instid0(VALU_DEP_1) | instskip(NEXT) | instid1(VALU_DEP_1)
	v_fmac_f64_e32 v[112:113], v[106:107], v[84:85]
	v_add_f64_e64 v[2:3], v[76:77], -v[112:113]
	scratch_store_b64 off, v[2:3], off offset:88
	s_wait_xcnt 0x0
	v_cmpx_lt_u32_e32 10, v0
	s_cbranch_execz .LBB35_205
; %bb.204:
	scratch_load_b64 v[2:3], off, off offset:80
	v_mov_b64_e32 v[76:77], 0
	scratch_store_b64 off, v[76:77], off offset:80
	s_wait_loadcnt 0x0
	ds_store_b64 v1, v[2:3]
.LBB35_205:
	s_wait_xcnt 0x0
	s_or_b32 exec_lo, exec_lo, s0
	s_wait_storecnt_dscnt 0x0
	s_barrier_signal -1
	s_barrier_wait -1
	s_clause 0x5
	scratch_load_b128 v[76:79], off, off offset:80
	scratch_load_b128 v[80:83], off, off offset:96
	;; [unrolled: 1-line block ×6, first 2 shown]
	v_mov_b32_e32 v2, 0
	ds_load_2addr_b64 v[100:103], v2 offset0:47 offset1:48
	ds_load_2addr_b64 v[104:107], v2 offset0:49 offset1:50
	scratch_load_b128 v[108:111], off, off offset:176
	s_mov_b32 s0, exec_lo
	s_wait_loadcnt_dscnt 0x601
	v_fma_f64 v[112:113], v[78:79], v[100:101], 0
	s_wait_loadcnt 0x5
	s_delay_alu instid0(VALU_DEP_1) | instskip(SKIP_4) | instid1(VALU_DEP_1)
	v_fmac_f64_e32 v[112:113], v[80:81], v[102:103]
	scratch_load_b128 v[78:81], off, off offset:192
	s_wait_dscnt 0x0
	v_fmac_f64_e32 v[112:113], v[82:83], v[104:105]
	s_wait_loadcnt 0x5
	v_fmac_f64_e32 v[112:113], v[84:85], v[106:107]
	ds_load_2addr_b64 v[82:85], v2 offset0:51 offset1:52
	ds_load_2addr_b64 v[100:103], v2 offset0:53 offset1:54
	s_wait_dscnt 0x1
	v_fmac_f64_e32 v[112:113], v[86:87], v[82:83]
	s_wait_loadcnt 0x4
	s_delay_alu instid0(VALU_DEP_1)
	v_fmac_f64_e32 v[112:113], v[88:89], v[84:85]
	s_clause 0x1
	scratch_load_b128 v[82:85], off, off offset:208
	scratch_load_b128 v[86:89], off, off offset:224
	s_wait_dscnt 0x0
	v_fmac_f64_e32 v[112:113], v[90:91], v[100:101]
	s_wait_loadcnt 0x5
	s_delay_alu instid0(VALU_DEP_1)
	v_fmac_f64_e32 v[112:113], v[92:93], v[102:103]
	ds_load_2addr_b64 v[90:93], v2 offset0:55 offset1:56
	ds_load_2addr_b64 v[100:103], v2 offset0:57 offset1:58
	s_wait_dscnt 0x1
	v_fmac_f64_e32 v[112:113], v[94:95], v[90:91]
	s_wait_loadcnt 0x4
	s_delay_alu instid0(VALU_DEP_1)
	v_fmac_f64_e32 v[112:113], v[96:97], v[92:93]
	s_clause 0x1
	scratch_load_b128 v[90:93], off, off offset:240
	scratch_load_b128 v[94:97], off, off offset:256
	s_wait_dscnt 0x0
	v_fmac_f64_e32 v[112:113], v[98:99], v[100:101]
	s_wait_loadcnt 0x5
	s_delay_alu instid0(VALU_DEP_1)
	v_fmac_f64_e32 v[112:113], v[108:109], v[102:103]
	ds_load_2addr_b64 v[98:101], v2 offset0:59 offset1:60
	ds_load_2addr_b64 v[102:105], v2 offset0:61 offset1:62
	s_wait_dscnt 0x1
	v_fmac_f64_e32 v[112:113], v[110:111], v[98:99]
	s_wait_loadcnt 0x4
	s_delay_alu instid0(VALU_DEP_1) | instskip(SKIP_4) | instid1(VALU_DEP_1)
	v_fmac_f64_e32 v[112:113], v[78:79], v[100:101]
	scratch_load_b128 v[98:101], off, off offset:272
	s_wait_dscnt 0x0
	v_fmac_f64_e32 v[112:113], v[80:81], v[102:103]
	s_wait_loadcnt 0x4
	v_fmac_f64_e32 v[112:113], v[82:83], v[104:105]
	ds_load_2addr_b64 v[78:81], v2 offset0:63 offset1:64
	ds_load_2addr_b64 v[102:105], v2 offset0:65 offset1:66
	s_wait_dscnt 0x1
	v_fmac_f64_e32 v[112:113], v[84:85], v[78:79]
	s_wait_loadcnt 0x3
	s_delay_alu instid0(VALU_DEP_1)
	v_fmac_f64_e32 v[112:113], v[86:87], v[80:81]
	ds_load_2addr_b64 v[78:81], v2 offset0:67 offset1:68
	ds_load_2addr_b64 v[82:85], v2 offset0:69 offset1:70
	s_wait_dscnt 0x2
	v_fmac_f64_e32 v[112:113], v[88:89], v[102:103]
	s_wait_loadcnt 0x2
	s_delay_alu instid0(VALU_DEP_1) | instskip(SKIP_1) | instid1(VALU_DEP_1)
	v_fmac_f64_e32 v[112:113], v[90:91], v[104:105]
	s_wait_dscnt 0x1
	v_fmac_f64_e32 v[112:113], v[92:93], v[78:79]
	ds_load_b64 v[78:79], v2 offset:568
	s_wait_loadcnt 0x1
	v_fmac_f64_e32 v[112:113], v[94:95], v[80:81]
	s_wait_dscnt 0x1
	s_delay_alu instid0(VALU_DEP_1) | instskip(SKIP_1) | instid1(VALU_DEP_1)
	v_fmac_f64_e32 v[112:113], v[96:97], v[82:83]
	s_wait_loadcnt 0x0
	v_fmac_f64_e32 v[112:113], v[98:99], v[84:85]
	s_wait_dscnt 0x0
	s_delay_alu instid0(VALU_DEP_1) | instskip(NEXT) | instid1(VALU_DEP_1)
	v_fmac_f64_e32 v[112:113], v[100:101], v[78:79]
	v_add_f64_e64 v[76:77], v[76:77], -v[112:113]
	scratch_store_b64 off, v[76:77], off offset:80
	s_wait_xcnt 0x0
	v_cmpx_lt_u32_e32 9, v0
	s_cbranch_execz .LBB35_207
; %bb.206:
	scratch_load_b64 v[76:77], off, off offset:72
	v_mov_b64_e32 v[78:79], 0
	scratch_store_b64 off, v[78:79], off offset:72
	s_wait_loadcnt 0x0
	ds_store_b64 v1, v[76:77]
.LBB35_207:
	s_wait_xcnt 0x0
	s_or_b32 exec_lo, exec_lo, s0
	s_wait_storecnt_dscnt 0x0
	s_barrier_signal -1
	s_barrier_wait -1
	s_clause 0x5
	scratch_load_b128 v[76:79], off, off offset:72
	scratch_load_b128 v[80:83], off, off offset:88
	;; [unrolled: 1-line block ×6, first 2 shown]
	ds_load_b128 v[100:103], v2 offset:368
	ds_load_b128 v[104:107], v2 offset:384
	scratch_load_b128 v[108:111], off, off offset:168
	s_mov_b32 s0, exec_lo
	s_wait_loadcnt_dscnt 0x601
	v_fma_f64 v[112:113], v[78:79], v[100:101], 0
	s_wait_loadcnt 0x5
	s_delay_alu instid0(VALU_DEP_1) | instskip(SKIP_4) | instid1(VALU_DEP_1)
	v_fmac_f64_e32 v[112:113], v[80:81], v[102:103]
	scratch_load_b128 v[78:81], off, off offset:184
	s_wait_dscnt 0x0
	v_fmac_f64_e32 v[112:113], v[82:83], v[104:105]
	s_wait_loadcnt 0x5
	v_fmac_f64_e32 v[112:113], v[84:85], v[106:107]
	ds_load_b128 v[82:85], v2 offset:400
	ds_load_b128 v[100:103], v2 offset:416
	scratch_load_b128 v[104:107], off, off offset:200
	s_wait_dscnt 0x1
	v_fmac_f64_e32 v[112:113], v[86:87], v[82:83]
	s_wait_loadcnt 0x5
	s_delay_alu instid0(VALU_DEP_1) | instskip(SKIP_4) | instid1(VALU_DEP_1)
	v_fmac_f64_e32 v[112:113], v[88:89], v[84:85]
	scratch_load_b128 v[82:85], off, off offset:216
	s_wait_dscnt 0x0
	v_fmac_f64_e32 v[112:113], v[90:91], v[100:101]
	s_wait_loadcnt 0x5
	v_fmac_f64_e32 v[112:113], v[92:93], v[102:103]
	ds_load_b128 v[86:89], v2 offset:432
	ds_load_b128 v[90:93], v2 offset:448
	s_wait_dscnt 0x1
	v_fmac_f64_e32 v[112:113], v[94:95], v[86:87]
	s_wait_loadcnt 0x4
	s_delay_alu instid0(VALU_DEP_1) | instskip(SKIP_4) | instid1(VALU_DEP_1)
	v_fmac_f64_e32 v[112:113], v[96:97], v[88:89]
	scratch_load_b128 v[86:89], off, off offset:232
	s_wait_dscnt 0x0
	v_fmac_f64_e32 v[112:113], v[98:99], v[90:91]
	s_wait_loadcnt 0x4
	v_fmac_f64_e32 v[112:113], v[108:109], v[92:93]
	scratch_load_b128 v[90:93], off, off offset:248
	ds_load_b128 v[94:97], v2 offset:464
	ds_load_b128 v[98:101], v2 offset:480
	scratch_load_b64 v[102:103], off, off offset:280
	s_wait_dscnt 0x1
	v_fmac_f64_e32 v[112:113], v[110:111], v[94:95]
	s_wait_loadcnt 0x5
	s_delay_alu instid0(VALU_DEP_1) | instskip(SKIP_4) | instid1(VALU_DEP_1)
	v_fmac_f64_e32 v[112:113], v[78:79], v[96:97]
	scratch_load_b128 v[94:97], off, off offset:264
	s_wait_dscnt 0x0
	v_fmac_f64_e32 v[112:113], v[80:81], v[98:99]
	s_wait_loadcnt 0x5
	v_fmac_f64_e32 v[112:113], v[104:105], v[100:101]
	ds_load_b128 v[78:81], v2 offset:496
	ds_load_b128 v[98:101], v2 offset:512
	s_wait_dscnt 0x1
	v_fmac_f64_e32 v[112:113], v[106:107], v[78:79]
	s_wait_loadcnt 0x4
	s_delay_alu instid0(VALU_DEP_1) | instskip(SKIP_1) | instid1(VALU_DEP_1)
	v_fmac_f64_e32 v[112:113], v[82:83], v[80:81]
	s_wait_dscnt 0x0
	v_fmac_f64_e32 v[112:113], v[84:85], v[98:99]
	ds_load_b128 v[78:81], v2 offset:528
	ds_load_b128 v[82:85], v2 offset:544
	s_wait_loadcnt 0x3
	v_fmac_f64_e32 v[112:113], v[86:87], v[100:101]
	s_wait_dscnt 0x1
	s_delay_alu instid0(VALU_DEP_1) | instskip(SKIP_1) | instid1(VALU_DEP_1)
	v_fmac_f64_e32 v[112:113], v[88:89], v[78:79]
	s_wait_loadcnt 0x2
	v_fmac_f64_e32 v[112:113], v[90:91], v[80:81]
	ds_load_b128 v[78:81], v2 offset:560
	s_wait_dscnt 0x1
	v_fmac_f64_e32 v[112:113], v[92:93], v[82:83]
	s_wait_loadcnt 0x0
	s_delay_alu instid0(VALU_DEP_1) | instskip(SKIP_1) | instid1(VALU_DEP_1)
	v_fmac_f64_e32 v[112:113], v[94:95], v[84:85]
	s_wait_dscnt 0x0
	v_fmac_f64_e32 v[112:113], v[96:97], v[78:79]
	s_delay_alu instid0(VALU_DEP_1) | instskip(NEXT) | instid1(VALU_DEP_1)
	v_fmac_f64_e32 v[112:113], v[102:103], v[80:81]
	v_add_f64_e64 v[2:3], v[76:77], -v[112:113]
	scratch_store_b64 off, v[2:3], off offset:72
	s_wait_xcnt 0x0
	v_cmpx_lt_u32_e32 8, v0
	s_cbranch_execz .LBB35_209
; %bb.208:
	scratch_load_b64 v[2:3], off, off offset:64
	v_mov_b64_e32 v[76:77], 0
	scratch_store_b64 off, v[76:77], off offset:64
	s_wait_loadcnt 0x0
	ds_store_b64 v1, v[2:3]
.LBB35_209:
	s_wait_xcnt 0x0
	s_or_b32 exec_lo, exec_lo, s0
	s_wait_storecnt_dscnt 0x0
	s_barrier_signal -1
	s_barrier_wait -1
	s_clause 0x5
	scratch_load_b128 v[76:79], off, off offset:64
	scratch_load_b128 v[80:83], off, off offset:80
	;; [unrolled: 1-line block ×6, first 2 shown]
	v_mov_b32_e32 v2, 0
	ds_load_2addr_b64 v[100:103], v2 offset0:45 offset1:46
	ds_load_2addr_b64 v[104:107], v2 offset0:47 offset1:48
	scratch_load_b128 v[108:111], off, off offset:160
	s_mov_b32 s0, exec_lo
	s_wait_loadcnt_dscnt 0x601
	v_fma_f64 v[112:113], v[78:79], v[100:101], 0
	s_wait_loadcnt 0x5
	s_delay_alu instid0(VALU_DEP_1) | instskip(SKIP_4) | instid1(VALU_DEP_1)
	v_fmac_f64_e32 v[112:113], v[80:81], v[102:103]
	scratch_load_b128 v[78:81], off, off offset:176
	s_wait_dscnt 0x0
	v_fmac_f64_e32 v[112:113], v[82:83], v[104:105]
	s_wait_loadcnt 0x5
	v_fmac_f64_e32 v[112:113], v[84:85], v[106:107]
	ds_load_2addr_b64 v[82:85], v2 offset0:49 offset1:50
	ds_load_2addr_b64 v[100:103], v2 offset0:51 offset1:52
	scratch_load_b128 v[104:107], off, off offset:192
	s_wait_dscnt 0x1
	v_fmac_f64_e32 v[112:113], v[86:87], v[82:83]
	s_wait_loadcnt 0x5
	s_delay_alu instid0(VALU_DEP_1) | instskip(SKIP_4) | instid1(VALU_DEP_1)
	v_fmac_f64_e32 v[112:113], v[88:89], v[84:85]
	scratch_load_b128 v[82:85], off, off offset:208
	s_wait_dscnt 0x0
	v_fmac_f64_e32 v[112:113], v[90:91], v[100:101]
	s_wait_loadcnt 0x5
	v_fmac_f64_e32 v[112:113], v[92:93], v[102:103]
	ds_load_2addr_b64 v[86:89], v2 offset0:53 offset1:54
	ds_load_2addr_b64 v[90:93], v2 offset0:55 offset1:56
	s_wait_dscnt 0x1
	v_fmac_f64_e32 v[112:113], v[94:95], v[86:87]
	s_wait_loadcnt 0x4
	s_delay_alu instid0(VALU_DEP_1) | instskip(SKIP_4) | instid1(VALU_DEP_1)
	v_fmac_f64_e32 v[112:113], v[96:97], v[88:89]
	scratch_load_b128 v[86:89], off, off offset:224
	s_wait_dscnt 0x0
	v_fmac_f64_e32 v[112:113], v[98:99], v[90:91]
	s_wait_loadcnt 0x4
	v_fmac_f64_e32 v[112:113], v[108:109], v[92:93]
	scratch_load_b128 v[90:93], off, off offset:240
	ds_load_2addr_b64 v[94:97], v2 offset0:57 offset1:58
	ds_load_2addr_b64 v[98:101], v2 offset0:59 offset1:60
	s_wait_dscnt 0x1
	v_fmac_f64_e32 v[112:113], v[110:111], v[94:95]
	s_wait_loadcnt 0x4
	s_delay_alu instid0(VALU_DEP_1)
	v_fmac_f64_e32 v[112:113], v[78:79], v[96:97]
	scratch_load_b128 v[94:97], off, off offset:256
	s_wait_dscnt 0x0
	v_fmac_f64_e32 v[112:113], v[80:81], v[98:99]
	scratch_load_b128 v[78:81], off, off offset:272
	s_wait_loadcnt 0x5
	v_fmac_f64_e32 v[112:113], v[104:105], v[100:101]
	ds_load_2addr_b64 v[98:101], v2 offset0:61 offset1:62
	ds_load_2addr_b64 v[102:105], v2 offset0:63 offset1:64
	s_wait_dscnt 0x1
	v_fmac_f64_e32 v[112:113], v[106:107], v[98:99]
	s_wait_loadcnt 0x4
	s_delay_alu instid0(VALU_DEP_1) | instskip(SKIP_1) | instid1(VALU_DEP_1)
	v_fmac_f64_e32 v[112:113], v[82:83], v[100:101]
	s_wait_dscnt 0x0
	v_fmac_f64_e32 v[112:113], v[84:85], v[102:103]
	ds_load_2addr_b64 v[82:85], v2 offset0:65 offset1:66
	ds_load_2addr_b64 v[98:101], v2 offset0:67 offset1:68
	s_wait_loadcnt 0x3
	v_fmac_f64_e32 v[112:113], v[86:87], v[104:105]
	s_wait_dscnt 0x1
	s_delay_alu instid0(VALU_DEP_1) | instskip(SKIP_1) | instid1(VALU_DEP_1)
	v_fmac_f64_e32 v[112:113], v[88:89], v[82:83]
	s_wait_loadcnt 0x2
	v_fmac_f64_e32 v[112:113], v[90:91], v[84:85]
	ds_load_2addr_b64 v[82:85], v2 offset0:69 offset1:70
	ds_load_b64 v[86:87], v2 offset:568
	s_wait_dscnt 0x2
	v_fmac_f64_e32 v[112:113], v[92:93], v[98:99]
	s_wait_loadcnt 0x1
	s_delay_alu instid0(VALU_DEP_1) | instskip(SKIP_1) | instid1(VALU_DEP_1)
	v_fmac_f64_e32 v[112:113], v[94:95], v[100:101]
	s_wait_dscnt 0x1
	v_fmac_f64_e32 v[112:113], v[96:97], v[82:83]
	s_wait_loadcnt 0x0
	s_delay_alu instid0(VALU_DEP_1) | instskip(SKIP_1) | instid1(VALU_DEP_1)
	v_fmac_f64_e32 v[112:113], v[78:79], v[84:85]
	s_wait_dscnt 0x0
	v_fmac_f64_e32 v[112:113], v[80:81], v[86:87]
	s_delay_alu instid0(VALU_DEP_1)
	v_add_f64_e64 v[76:77], v[76:77], -v[112:113]
	scratch_store_b64 off, v[76:77], off offset:64
	s_wait_xcnt 0x0
	v_cmpx_lt_u32_e32 7, v0
	s_cbranch_execz .LBB35_211
; %bb.210:
	scratch_load_b64 v[76:77], off, off offset:56
	v_mov_b64_e32 v[78:79], 0
	scratch_store_b64 off, v[78:79], off offset:56
	s_wait_loadcnt 0x0
	ds_store_b64 v1, v[76:77]
.LBB35_211:
	s_wait_xcnt 0x0
	s_or_b32 exec_lo, exec_lo, s0
	s_wait_storecnt_dscnt 0x0
	s_barrier_signal -1
	s_barrier_wait -1
	s_clause 0x5
	scratch_load_b128 v[76:79], off, off offset:56
	scratch_load_b128 v[80:83], off, off offset:72
	;; [unrolled: 1-line block ×6, first 2 shown]
	ds_load_b128 v[100:103], v2 offset:352
	ds_load_b128 v[104:107], v2 offset:368
	scratch_load_b128 v[108:111], off, off offset:152
	s_mov_b32 s0, exec_lo
	s_wait_loadcnt_dscnt 0x601
	v_fma_f64 v[112:113], v[78:79], v[100:101], 0
	s_wait_loadcnt 0x5
	s_delay_alu instid0(VALU_DEP_1) | instskip(SKIP_4) | instid1(VALU_DEP_1)
	v_fmac_f64_e32 v[112:113], v[80:81], v[102:103]
	scratch_load_b128 v[78:81], off, off offset:168
	s_wait_dscnt 0x0
	v_fmac_f64_e32 v[112:113], v[82:83], v[104:105]
	s_wait_loadcnt 0x5
	v_fmac_f64_e32 v[112:113], v[84:85], v[106:107]
	ds_load_b128 v[82:85], v2 offset:384
	ds_load_b128 v[100:103], v2 offset:400
	scratch_load_b128 v[104:107], off, off offset:184
	s_wait_dscnt 0x1
	v_fmac_f64_e32 v[112:113], v[86:87], v[82:83]
	s_wait_loadcnt 0x5
	s_delay_alu instid0(VALU_DEP_1) | instskip(SKIP_4) | instid1(VALU_DEP_1)
	v_fmac_f64_e32 v[112:113], v[88:89], v[84:85]
	scratch_load_b128 v[82:85], off, off offset:200
	s_wait_dscnt 0x0
	v_fmac_f64_e32 v[112:113], v[90:91], v[100:101]
	s_wait_loadcnt 0x5
	v_fmac_f64_e32 v[112:113], v[92:93], v[102:103]
	ds_load_b128 v[86:89], v2 offset:416
	ds_load_b128 v[90:93], v2 offset:432
	s_wait_dscnt 0x1
	v_fmac_f64_e32 v[112:113], v[94:95], v[86:87]
	s_wait_loadcnt 0x4
	s_delay_alu instid0(VALU_DEP_1) | instskip(SKIP_4) | instid1(VALU_DEP_1)
	v_fmac_f64_e32 v[112:113], v[96:97], v[88:89]
	scratch_load_b128 v[86:89], off, off offset:216
	s_wait_dscnt 0x0
	v_fmac_f64_e32 v[112:113], v[98:99], v[90:91]
	s_wait_loadcnt 0x4
	v_fmac_f64_e32 v[112:113], v[108:109], v[92:93]
	scratch_load_b128 v[90:93], off, off offset:232
	ds_load_b128 v[94:97], v2 offset:448
	ds_load_b128 v[98:101], v2 offset:464
	s_wait_dscnt 0x1
	v_fmac_f64_e32 v[112:113], v[110:111], v[94:95]
	s_wait_loadcnt 0x4
	s_delay_alu instid0(VALU_DEP_1)
	v_fmac_f64_e32 v[112:113], v[78:79], v[96:97]
	scratch_load_b128 v[94:97], off, off offset:248
	s_wait_dscnt 0x0
	v_fmac_f64_e32 v[112:113], v[80:81], v[98:99]
	scratch_load_b128 v[78:81], off, off offset:264
	s_wait_loadcnt 0x5
	v_fmac_f64_e32 v[112:113], v[104:105], v[100:101]
	ds_load_b128 v[98:101], v2 offset:480
	ds_load_b128 v[102:105], v2 offset:496
	s_wait_dscnt 0x1
	v_fmac_f64_e32 v[112:113], v[106:107], v[98:99]
	scratch_load_b64 v[106:107], off, off offset:280
	s_wait_loadcnt 0x5
	v_fmac_f64_e32 v[112:113], v[82:83], v[100:101]
	s_wait_dscnt 0x0
	s_delay_alu instid0(VALU_DEP_1)
	v_fmac_f64_e32 v[112:113], v[84:85], v[102:103]
	ds_load_b128 v[82:85], v2 offset:512
	ds_load_b128 v[98:101], v2 offset:528
	s_wait_loadcnt 0x4
	v_fmac_f64_e32 v[112:113], v[86:87], v[104:105]
	s_wait_dscnt 0x1
	s_delay_alu instid0(VALU_DEP_1) | instskip(SKIP_1) | instid1(VALU_DEP_1)
	v_fmac_f64_e32 v[112:113], v[88:89], v[82:83]
	s_wait_loadcnt 0x3
	v_fmac_f64_e32 v[112:113], v[90:91], v[84:85]
	ds_load_b128 v[82:85], v2 offset:544
	ds_load_b128 v[86:89], v2 offset:560
	s_wait_dscnt 0x2
	v_fmac_f64_e32 v[112:113], v[92:93], v[98:99]
	s_wait_loadcnt 0x2
	s_delay_alu instid0(VALU_DEP_1) | instskip(SKIP_1) | instid1(VALU_DEP_1)
	v_fmac_f64_e32 v[112:113], v[94:95], v[100:101]
	s_wait_dscnt 0x1
	v_fmac_f64_e32 v[112:113], v[96:97], v[82:83]
	s_wait_loadcnt 0x1
	s_delay_alu instid0(VALU_DEP_1) | instskip(SKIP_1) | instid1(VALU_DEP_1)
	v_fmac_f64_e32 v[112:113], v[78:79], v[84:85]
	s_wait_dscnt 0x0
	v_fmac_f64_e32 v[112:113], v[80:81], v[86:87]
	s_wait_loadcnt 0x0
	s_delay_alu instid0(VALU_DEP_1) | instskip(NEXT) | instid1(VALU_DEP_1)
	v_fmac_f64_e32 v[112:113], v[106:107], v[88:89]
	v_add_f64_e64 v[2:3], v[76:77], -v[112:113]
	scratch_store_b64 off, v[2:3], off offset:56
	s_wait_xcnt 0x0
	v_cmpx_lt_u32_e32 6, v0
	s_cbranch_execz .LBB35_213
; %bb.212:
	scratch_load_b64 v[2:3], off, off offset:48
	v_mov_b64_e32 v[76:77], 0
	scratch_store_b64 off, v[76:77], off offset:48
	s_wait_loadcnt 0x0
	ds_store_b64 v1, v[2:3]
.LBB35_213:
	s_wait_xcnt 0x0
	s_or_b32 exec_lo, exec_lo, s0
	s_wait_storecnt_dscnt 0x0
	s_barrier_signal -1
	s_barrier_wait -1
	s_clause 0x5
	scratch_load_b128 v[76:79], off, off offset:48
	scratch_load_b128 v[80:83], off, off offset:64
	;; [unrolled: 1-line block ×6, first 2 shown]
	v_mov_b32_e32 v2, 0
	ds_load_2addr_b64 v[100:103], v2 offset0:43 offset1:44
	ds_load_2addr_b64 v[104:107], v2 offset0:45 offset1:46
	scratch_load_b128 v[108:111], off, off offset:144
	s_mov_b32 s0, exec_lo
	s_wait_loadcnt_dscnt 0x601
	v_fma_f64 v[112:113], v[78:79], v[100:101], 0
	s_wait_loadcnt 0x5
	s_delay_alu instid0(VALU_DEP_1) | instskip(SKIP_4) | instid1(VALU_DEP_1)
	v_fmac_f64_e32 v[112:113], v[80:81], v[102:103]
	scratch_load_b128 v[78:81], off, off offset:160
	s_wait_dscnt 0x0
	v_fmac_f64_e32 v[112:113], v[82:83], v[104:105]
	s_wait_loadcnt 0x5
	v_fmac_f64_e32 v[112:113], v[84:85], v[106:107]
	ds_load_2addr_b64 v[82:85], v2 offset0:47 offset1:48
	ds_load_2addr_b64 v[100:103], v2 offset0:49 offset1:50
	scratch_load_b128 v[104:107], off, off offset:176
	s_wait_dscnt 0x1
	v_fmac_f64_e32 v[112:113], v[86:87], v[82:83]
	s_wait_loadcnt 0x5
	s_delay_alu instid0(VALU_DEP_1) | instskip(SKIP_4) | instid1(VALU_DEP_1)
	v_fmac_f64_e32 v[112:113], v[88:89], v[84:85]
	scratch_load_b128 v[82:85], off, off offset:192
	s_wait_dscnt 0x0
	v_fmac_f64_e32 v[112:113], v[90:91], v[100:101]
	s_wait_loadcnt 0x5
	v_fmac_f64_e32 v[112:113], v[92:93], v[102:103]
	ds_load_2addr_b64 v[86:89], v2 offset0:51 offset1:52
	ds_load_2addr_b64 v[90:93], v2 offset0:53 offset1:54
	s_wait_dscnt 0x1
	v_fmac_f64_e32 v[112:113], v[94:95], v[86:87]
	s_wait_loadcnt 0x4
	s_delay_alu instid0(VALU_DEP_1) | instskip(SKIP_4) | instid1(VALU_DEP_1)
	v_fmac_f64_e32 v[112:113], v[96:97], v[88:89]
	scratch_load_b128 v[86:89], off, off offset:208
	s_wait_dscnt 0x0
	v_fmac_f64_e32 v[112:113], v[98:99], v[90:91]
	s_wait_loadcnt 0x4
	v_fmac_f64_e32 v[112:113], v[108:109], v[92:93]
	scratch_load_b128 v[90:93], off, off offset:224
	ds_load_2addr_b64 v[94:97], v2 offset0:55 offset1:56
	ds_load_2addr_b64 v[98:101], v2 offset0:57 offset1:58
	s_wait_dscnt 0x1
	v_fmac_f64_e32 v[112:113], v[110:111], v[94:95]
	s_wait_loadcnt 0x4
	s_delay_alu instid0(VALU_DEP_1)
	v_fmac_f64_e32 v[112:113], v[78:79], v[96:97]
	scratch_load_b128 v[94:97], off, off offset:240
	s_wait_dscnt 0x0
	v_fmac_f64_e32 v[112:113], v[80:81], v[98:99]
	scratch_load_b128 v[78:81], off, off offset:256
	s_wait_loadcnt 0x5
	v_fmac_f64_e32 v[112:113], v[104:105], v[100:101]
	ds_load_2addr_b64 v[98:101], v2 offset0:59 offset1:60
	ds_load_2addr_b64 v[102:105], v2 offset0:61 offset1:62
	s_wait_dscnt 0x1
	v_fmac_f64_e32 v[112:113], v[106:107], v[98:99]
	s_wait_loadcnt 0x4
	s_delay_alu instid0(VALU_DEP_1) | instskip(SKIP_4) | instid1(VALU_DEP_1)
	v_fmac_f64_e32 v[112:113], v[82:83], v[100:101]
	scratch_load_b128 v[98:101], off, off offset:272
	s_wait_dscnt 0x0
	v_fmac_f64_e32 v[112:113], v[84:85], v[102:103]
	s_wait_loadcnt 0x4
	v_fmac_f64_e32 v[112:113], v[86:87], v[104:105]
	ds_load_2addr_b64 v[82:85], v2 offset0:63 offset1:64
	ds_load_2addr_b64 v[102:105], v2 offset0:65 offset1:66
	s_wait_dscnt 0x1
	v_fmac_f64_e32 v[112:113], v[88:89], v[82:83]
	s_wait_loadcnt 0x3
	s_delay_alu instid0(VALU_DEP_1)
	v_fmac_f64_e32 v[112:113], v[90:91], v[84:85]
	ds_load_2addr_b64 v[82:85], v2 offset0:67 offset1:68
	ds_load_2addr_b64 v[86:89], v2 offset0:69 offset1:70
	s_wait_dscnt 0x2
	v_fmac_f64_e32 v[112:113], v[92:93], v[102:103]
	s_wait_loadcnt 0x2
	s_delay_alu instid0(VALU_DEP_1) | instskip(SKIP_1) | instid1(VALU_DEP_1)
	v_fmac_f64_e32 v[112:113], v[94:95], v[104:105]
	s_wait_dscnt 0x1
	v_fmac_f64_e32 v[112:113], v[96:97], v[82:83]
	s_wait_loadcnt 0x1
	s_delay_alu instid0(VALU_DEP_1) | instskip(SKIP_4) | instid1(VALU_DEP_1)
	v_fmac_f64_e32 v[112:113], v[78:79], v[84:85]
	ds_load_b64 v[78:79], v2 offset:568
	s_wait_dscnt 0x1
	v_fmac_f64_e32 v[112:113], v[80:81], v[86:87]
	s_wait_loadcnt 0x0
	v_fmac_f64_e32 v[112:113], v[98:99], v[88:89]
	s_wait_dscnt 0x0
	s_delay_alu instid0(VALU_DEP_1) | instskip(NEXT) | instid1(VALU_DEP_1)
	v_fmac_f64_e32 v[112:113], v[100:101], v[78:79]
	v_add_f64_e64 v[76:77], v[76:77], -v[112:113]
	scratch_store_b64 off, v[76:77], off offset:48
	s_wait_xcnt 0x0
	v_cmpx_lt_u32_e32 5, v0
	s_cbranch_execz .LBB35_215
; %bb.214:
	scratch_load_b64 v[76:77], off, off offset:40
	v_mov_b64_e32 v[78:79], 0
	scratch_store_b64 off, v[78:79], off offset:40
	s_wait_loadcnt 0x0
	ds_store_b64 v1, v[76:77]
.LBB35_215:
	s_wait_xcnt 0x0
	s_or_b32 exec_lo, exec_lo, s0
	s_wait_storecnt_dscnt 0x0
	s_barrier_signal -1
	s_barrier_wait -1
	s_clause 0x5
	scratch_load_b128 v[76:79], off, off offset:40
	scratch_load_b128 v[80:83], off, off offset:56
	;; [unrolled: 1-line block ×6, first 2 shown]
	ds_load_b128 v[100:103], v2 offset:336
	ds_load_b128 v[104:107], v2 offset:352
	scratch_load_b128 v[108:111], off, off offset:136
	s_mov_b32 s0, exec_lo
	s_wait_loadcnt_dscnt 0x601
	v_fma_f64 v[112:113], v[78:79], v[100:101], 0
	s_wait_loadcnt 0x5
	s_delay_alu instid0(VALU_DEP_1) | instskip(SKIP_4) | instid1(VALU_DEP_1)
	v_fmac_f64_e32 v[112:113], v[80:81], v[102:103]
	scratch_load_b128 v[78:81], off, off offset:152
	s_wait_dscnt 0x0
	v_fmac_f64_e32 v[112:113], v[82:83], v[104:105]
	s_wait_loadcnt 0x5
	v_fmac_f64_e32 v[112:113], v[84:85], v[106:107]
	ds_load_b128 v[82:85], v2 offset:368
	ds_load_b128 v[100:103], v2 offset:384
	scratch_load_b128 v[104:107], off, off offset:168
	s_wait_dscnt 0x1
	v_fmac_f64_e32 v[112:113], v[86:87], v[82:83]
	s_wait_loadcnt 0x5
	s_delay_alu instid0(VALU_DEP_1) | instskip(SKIP_4) | instid1(VALU_DEP_1)
	v_fmac_f64_e32 v[112:113], v[88:89], v[84:85]
	scratch_load_b128 v[82:85], off, off offset:184
	s_wait_dscnt 0x0
	v_fmac_f64_e32 v[112:113], v[90:91], v[100:101]
	s_wait_loadcnt 0x5
	v_fmac_f64_e32 v[112:113], v[92:93], v[102:103]
	ds_load_b128 v[86:89], v2 offset:400
	ds_load_b128 v[90:93], v2 offset:416
	scratch_load_b128 v[100:103], off, off offset:200
	s_wait_dscnt 0x1
	v_fmac_f64_e32 v[112:113], v[94:95], v[86:87]
	s_wait_loadcnt 0x5
	s_delay_alu instid0(VALU_DEP_1) | instskip(SKIP_4) | instid1(VALU_DEP_1)
	v_fmac_f64_e32 v[112:113], v[96:97], v[88:89]
	scratch_load_b128 v[86:89], off, off offset:216
	s_wait_dscnt 0x0
	v_fmac_f64_e32 v[112:113], v[98:99], v[90:91]
	s_wait_loadcnt 0x5
	v_fmac_f64_e32 v[112:113], v[108:109], v[92:93]
	ds_load_b128 v[90:93], v2 offset:432
	ds_load_b128 v[94:97], v2 offset:448
	s_wait_dscnt 0x1
	v_fmac_f64_e32 v[112:113], v[110:111], v[90:91]
	s_wait_loadcnt 0x4
	s_delay_alu instid0(VALU_DEP_1)
	v_fmac_f64_e32 v[112:113], v[78:79], v[92:93]
	scratch_load_b128 v[90:93], off, off offset:232
	s_wait_dscnt 0x0
	v_fmac_f64_e32 v[112:113], v[80:81], v[94:95]
	scratch_load_b128 v[78:81], off, off offset:248
	s_wait_loadcnt 0x5
	v_fmac_f64_e32 v[112:113], v[104:105], v[96:97]
	ds_load_b128 v[94:97], v2 offset:464
	ds_load_b128 v[108:111], v2 offset:480
	scratch_load_b64 v[104:105], off, off offset:280
	s_wait_dscnt 0x1
	v_fmac_f64_e32 v[112:113], v[106:107], v[94:95]
	s_wait_loadcnt 0x5
	s_delay_alu instid0(VALU_DEP_1) | instskip(SKIP_4) | instid1(VALU_DEP_1)
	v_fmac_f64_e32 v[112:113], v[82:83], v[96:97]
	scratch_load_b128 v[94:97], off, off offset:264
	s_wait_dscnt 0x0
	v_fmac_f64_e32 v[112:113], v[84:85], v[108:109]
	s_wait_loadcnt 0x5
	v_fmac_f64_e32 v[112:113], v[100:101], v[110:111]
	ds_load_b128 v[82:85], v2 offset:496
	ds_load_b128 v[98:101], v2 offset:512
	s_wait_dscnt 0x1
	v_fmac_f64_e32 v[112:113], v[102:103], v[82:83]
	s_wait_loadcnt 0x4
	s_delay_alu instid0(VALU_DEP_1) | instskip(SKIP_1) | instid1(VALU_DEP_1)
	v_fmac_f64_e32 v[112:113], v[86:87], v[84:85]
	s_wait_dscnt 0x0
	v_fmac_f64_e32 v[112:113], v[88:89], v[98:99]
	ds_load_b128 v[82:85], v2 offset:528
	ds_load_b128 v[86:89], v2 offset:544
	s_wait_loadcnt 0x3
	v_fmac_f64_e32 v[112:113], v[90:91], v[100:101]
	s_wait_dscnt 0x1
	s_delay_alu instid0(VALU_DEP_1) | instskip(SKIP_1) | instid1(VALU_DEP_1)
	v_fmac_f64_e32 v[112:113], v[92:93], v[82:83]
	s_wait_loadcnt 0x2
	v_fmac_f64_e32 v[112:113], v[78:79], v[84:85]
	s_wait_dscnt 0x0
	s_delay_alu instid0(VALU_DEP_1) | instskip(SKIP_4) | instid1(VALU_DEP_1)
	v_fmac_f64_e32 v[112:113], v[80:81], v[86:87]
	ds_load_b128 v[78:81], v2 offset:560
	s_wait_loadcnt 0x0
	v_fmac_f64_e32 v[112:113], v[94:95], v[88:89]
	s_wait_dscnt 0x0
	v_fmac_f64_e32 v[112:113], v[96:97], v[78:79]
	s_delay_alu instid0(VALU_DEP_1) | instskip(NEXT) | instid1(VALU_DEP_1)
	v_fmac_f64_e32 v[112:113], v[104:105], v[80:81]
	v_add_f64_e64 v[2:3], v[76:77], -v[112:113]
	scratch_store_b64 off, v[2:3], off offset:40
	s_wait_xcnt 0x0
	v_cmpx_lt_u32_e32 4, v0
	s_cbranch_execz .LBB35_217
; %bb.216:
	scratch_load_b64 v[2:3], off, off offset:32
	v_mov_b64_e32 v[76:77], 0
	scratch_store_b64 off, v[76:77], off offset:32
	s_wait_loadcnt 0x0
	ds_store_b64 v1, v[2:3]
.LBB35_217:
	s_wait_xcnt 0x0
	s_or_b32 exec_lo, exec_lo, s0
	s_wait_storecnt_dscnt 0x0
	s_barrier_signal -1
	s_barrier_wait -1
	s_clause 0x5
	scratch_load_b128 v[76:79], off, off offset:32
	scratch_load_b128 v[80:83], off, off offset:48
	;; [unrolled: 1-line block ×6, first 2 shown]
	v_mov_b32_e32 v2, 0
	ds_load_2addr_b64 v[100:103], v2 offset0:41 offset1:42
	ds_load_2addr_b64 v[104:107], v2 offset0:43 offset1:44
	scratch_load_b128 v[108:111], off, off offset:128
	s_mov_b32 s0, exec_lo
	s_wait_loadcnt_dscnt 0x601
	v_fma_f64 v[112:113], v[78:79], v[100:101], 0
	s_wait_loadcnt 0x5
	s_delay_alu instid0(VALU_DEP_1) | instskip(SKIP_4) | instid1(VALU_DEP_1)
	v_fmac_f64_e32 v[112:113], v[80:81], v[102:103]
	scratch_load_b128 v[78:81], off, off offset:144
	s_wait_dscnt 0x0
	v_fmac_f64_e32 v[112:113], v[82:83], v[104:105]
	s_wait_loadcnt 0x5
	v_fmac_f64_e32 v[112:113], v[84:85], v[106:107]
	ds_load_2addr_b64 v[82:85], v2 offset0:45 offset1:46
	ds_load_2addr_b64 v[100:103], v2 offset0:47 offset1:48
	scratch_load_b128 v[104:107], off, off offset:160
	s_wait_dscnt 0x1
	v_fmac_f64_e32 v[112:113], v[86:87], v[82:83]
	s_wait_loadcnt 0x5
	s_delay_alu instid0(VALU_DEP_1) | instskip(SKIP_4) | instid1(VALU_DEP_1)
	v_fmac_f64_e32 v[112:113], v[88:89], v[84:85]
	scratch_load_b128 v[82:85], off, off offset:176
	s_wait_dscnt 0x0
	v_fmac_f64_e32 v[112:113], v[90:91], v[100:101]
	s_wait_loadcnt 0x5
	v_fmac_f64_e32 v[112:113], v[92:93], v[102:103]
	ds_load_2addr_b64 v[86:89], v2 offset0:49 offset1:50
	ds_load_2addr_b64 v[90:93], v2 offset0:51 offset1:52
	scratch_load_b128 v[100:103], off, off offset:192
	s_wait_dscnt 0x1
	v_fmac_f64_e32 v[112:113], v[94:95], v[86:87]
	s_wait_loadcnt 0x5
	s_delay_alu instid0(VALU_DEP_1) | instskip(SKIP_4) | instid1(VALU_DEP_1)
	v_fmac_f64_e32 v[112:113], v[96:97], v[88:89]
	scratch_load_b128 v[86:89], off, off offset:208
	s_wait_dscnt 0x0
	v_fmac_f64_e32 v[112:113], v[98:99], v[90:91]
	s_wait_loadcnt 0x5
	v_fmac_f64_e32 v[112:113], v[108:109], v[92:93]
	ds_load_2addr_b64 v[90:93], v2 offset0:53 offset1:54
	ds_load_2addr_b64 v[94:97], v2 offset0:55 offset1:56
	s_wait_dscnt 0x1
	v_fmac_f64_e32 v[112:113], v[110:111], v[90:91]
	s_wait_loadcnt 0x4
	s_delay_alu instid0(VALU_DEP_1)
	v_fmac_f64_e32 v[112:113], v[78:79], v[92:93]
	scratch_load_b128 v[90:93], off, off offset:224
	s_wait_dscnt 0x0
	v_fmac_f64_e32 v[112:113], v[80:81], v[94:95]
	scratch_load_b128 v[78:81], off, off offset:240
	s_wait_loadcnt 0x5
	v_fmac_f64_e32 v[112:113], v[104:105], v[96:97]
	ds_load_2addr_b64 v[94:97], v2 offset0:57 offset1:58
	ds_load_2addr_b64 v[108:111], v2 offset0:59 offset1:60
	s_wait_dscnt 0x1
	v_fmac_f64_e32 v[112:113], v[106:107], v[94:95]
	s_wait_loadcnt 0x4
	s_delay_alu instid0(VALU_DEP_1)
	v_fmac_f64_e32 v[112:113], v[82:83], v[96:97]
	scratch_load_b128 v[94:97], off, off offset:256
	s_wait_dscnt 0x0
	v_fmac_f64_e32 v[112:113], v[84:85], v[108:109]
	scratch_load_b128 v[82:85], off, off offset:272
	s_wait_loadcnt 0x5
	v_fmac_f64_e32 v[112:113], v[100:101], v[110:111]
	ds_load_2addr_b64 v[98:101], v2 offset0:61 offset1:62
	ds_load_2addr_b64 v[104:107], v2 offset0:63 offset1:64
	s_wait_dscnt 0x1
	v_fmac_f64_e32 v[112:113], v[102:103], v[98:99]
	s_wait_loadcnt 0x4
	s_delay_alu instid0(VALU_DEP_1) | instskip(SKIP_1) | instid1(VALU_DEP_1)
	v_fmac_f64_e32 v[112:113], v[86:87], v[100:101]
	s_wait_dscnt 0x0
	v_fmac_f64_e32 v[112:113], v[88:89], v[104:105]
	ds_load_2addr_b64 v[86:89], v2 offset0:65 offset1:66
	ds_load_2addr_b64 v[98:101], v2 offset0:67 offset1:68
	s_wait_loadcnt 0x3
	v_fmac_f64_e32 v[112:113], v[90:91], v[106:107]
	s_wait_dscnt 0x1
	s_delay_alu instid0(VALU_DEP_1) | instskip(SKIP_1) | instid1(VALU_DEP_1)
	v_fmac_f64_e32 v[112:113], v[92:93], v[86:87]
	s_wait_loadcnt 0x2
	v_fmac_f64_e32 v[112:113], v[78:79], v[88:89]
	s_wait_dscnt 0x0
	s_delay_alu instid0(VALU_DEP_1)
	v_fmac_f64_e32 v[112:113], v[80:81], v[98:99]
	ds_load_2addr_b64 v[78:81], v2 offset0:69 offset1:70
	ds_load_b64 v[86:87], v2 offset:568
	s_wait_loadcnt 0x1
	v_fmac_f64_e32 v[112:113], v[94:95], v[100:101]
	s_wait_dscnt 0x1
	s_delay_alu instid0(VALU_DEP_1) | instskip(SKIP_1) | instid1(VALU_DEP_1)
	v_fmac_f64_e32 v[112:113], v[96:97], v[78:79]
	s_wait_loadcnt 0x0
	v_fmac_f64_e32 v[112:113], v[82:83], v[80:81]
	s_wait_dscnt 0x0
	s_delay_alu instid0(VALU_DEP_1) | instskip(NEXT) | instid1(VALU_DEP_1)
	v_fmac_f64_e32 v[112:113], v[84:85], v[86:87]
	v_add_f64_e64 v[76:77], v[76:77], -v[112:113]
	scratch_store_b64 off, v[76:77], off offset:32
	s_wait_xcnt 0x0
	v_cmpx_lt_u32_e32 3, v0
	s_cbranch_execz .LBB35_219
; %bb.218:
	scratch_load_b64 v[76:77], off, off offset:24
	v_mov_b64_e32 v[78:79], 0
	scratch_store_b64 off, v[78:79], off offset:24
	s_wait_loadcnt 0x0
	ds_store_b64 v1, v[76:77]
.LBB35_219:
	s_wait_xcnt 0x0
	s_or_b32 exec_lo, exec_lo, s0
	s_wait_storecnt_dscnt 0x0
	s_barrier_signal -1
	s_barrier_wait -1
	s_clause 0x5
	scratch_load_b128 v[76:79], off, off offset:24
	scratch_load_b128 v[80:83], off, off offset:40
	;; [unrolled: 1-line block ×6, first 2 shown]
	ds_load_b128 v[100:103], v2 offset:320
	ds_load_b128 v[104:107], v2 offset:336
	scratch_load_b128 v[108:111], off, off offset:120
	s_mov_b32 s0, exec_lo
	s_wait_loadcnt_dscnt 0x601
	v_fma_f64 v[112:113], v[78:79], v[100:101], 0
	s_wait_loadcnt 0x5
	s_delay_alu instid0(VALU_DEP_1) | instskip(SKIP_4) | instid1(VALU_DEP_1)
	v_fmac_f64_e32 v[112:113], v[80:81], v[102:103]
	scratch_load_b128 v[78:81], off, off offset:136
	s_wait_dscnt 0x0
	v_fmac_f64_e32 v[112:113], v[82:83], v[104:105]
	s_wait_loadcnt 0x5
	v_fmac_f64_e32 v[112:113], v[84:85], v[106:107]
	ds_load_b128 v[82:85], v2 offset:352
	ds_load_b128 v[100:103], v2 offset:368
	scratch_load_b128 v[104:107], off, off offset:152
	s_wait_dscnt 0x1
	v_fmac_f64_e32 v[112:113], v[86:87], v[82:83]
	s_wait_loadcnt 0x5
	s_delay_alu instid0(VALU_DEP_1) | instskip(SKIP_4) | instid1(VALU_DEP_1)
	v_fmac_f64_e32 v[112:113], v[88:89], v[84:85]
	scratch_load_b128 v[82:85], off, off offset:168
	s_wait_dscnt 0x0
	v_fmac_f64_e32 v[112:113], v[90:91], v[100:101]
	s_wait_loadcnt 0x5
	v_fmac_f64_e32 v[112:113], v[92:93], v[102:103]
	ds_load_b128 v[86:89], v2 offset:384
	ds_load_b128 v[90:93], v2 offset:400
	scratch_load_b128 v[100:103], off, off offset:184
	s_wait_dscnt 0x1
	v_fmac_f64_e32 v[112:113], v[94:95], v[86:87]
	s_wait_loadcnt 0x5
	s_delay_alu instid0(VALU_DEP_1) | instskip(SKIP_4) | instid1(VALU_DEP_1)
	v_fmac_f64_e32 v[112:113], v[96:97], v[88:89]
	scratch_load_b128 v[86:89], off, off offset:200
	s_wait_dscnt 0x0
	v_fmac_f64_e32 v[112:113], v[98:99], v[90:91]
	s_wait_loadcnt 0x5
	v_fmac_f64_e32 v[112:113], v[108:109], v[92:93]
	ds_load_b128 v[90:93], v2 offset:416
	ds_load_b128 v[94:97], v2 offset:432
	s_wait_dscnt 0x1
	v_fmac_f64_e32 v[112:113], v[110:111], v[90:91]
	s_wait_loadcnt 0x4
	s_delay_alu instid0(VALU_DEP_1)
	v_fmac_f64_e32 v[112:113], v[78:79], v[92:93]
	scratch_load_b128 v[90:93], off, off offset:216
	s_wait_dscnt 0x0
	v_fmac_f64_e32 v[112:113], v[80:81], v[94:95]
	scratch_load_b128 v[78:81], off, off offset:232
	s_wait_loadcnt 0x5
	v_fmac_f64_e32 v[112:113], v[104:105], v[96:97]
	ds_load_b128 v[94:97], v2 offset:448
	ds_load_b128 v[108:111], v2 offset:464
	s_wait_dscnt 0x1
	v_fmac_f64_e32 v[112:113], v[106:107], v[94:95]
	s_wait_loadcnt 0x4
	s_delay_alu instid0(VALU_DEP_1)
	v_fmac_f64_e32 v[112:113], v[82:83], v[96:97]
	scratch_load_b128 v[94:97], off, off offset:248
	s_wait_dscnt 0x0
	v_fmac_f64_e32 v[112:113], v[84:85], v[108:109]
	scratch_load_b128 v[82:85], off, off offset:264
	s_wait_loadcnt 0x5
	v_fmac_f64_e32 v[112:113], v[100:101], v[110:111]
	ds_load_b128 v[98:101], v2 offset:480
	ds_load_b128 v[104:107], v2 offset:496
	s_wait_dscnt 0x1
	v_fmac_f64_e32 v[112:113], v[102:103], v[98:99]
	scratch_load_b64 v[102:103], off, off offset:280
	s_wait_loadcnt 0x5
	v_fmac_f64_e32 v[112:113], v[86:87], v[100:101]
	s_wait_dscnt 0x0
	s_delay_alu instid0(VALU_DEP_1)
	v_fmac_f64_e32 v[112:113], v[88:89], v[104:105]
	ds_load_b128 v[86:89], v2 offset:512
	ds_load_b128 v[98:101], v2 offset:528
	s_wait_loadcnt 0x4
	v_fmac_f64_e32 v[112:113], v[90:91], v[106:107]
	s_wait_dscnt 0x1
	s_delay_alu instid0(VALU_DEP_1) | instskip(SKIP_1) | instid1(VALU_DEP_1)
	v_fmac_f64_e32 v[112:113], v[92:93], v[86:87]
	s_wait_loadcnt 0x3
	v_fmac_f64_e32 v[112:113], v[78:79], v[88:89]
	s_wait_dscnt 0x0
	s_delay_alu instid0(VALU_DEP_1)
	v_fmac_f64_e32 v[112:113], v[80:81], v[98:99]
	ds_load_b128 v[78:81], v2 offset:544
	ds_load_b128 v[86:89], v2 offset:560
	s_wait_loadcnt 0x2
	v_fmac_f64_e32 v[112:113], v[94:95], v[100:101]
	s_wait_dscnt 0x1
	s_delay_alu instid0(VALU_DEP_1) | instskip(SKIP_1) | instid1(VALU_DEP_1)
	v_fmac_f64_e32 v[112:113], v[96:97], v[78:79]
	s_wait_loadcnt 0x1
	v_fmac_f64_e32 v[112:113], v[82:83], v[80:81]
	s_wait_dscnt 0x0
	s_delay_alu instid0(VALU_DEP_1) | instskip(SKIP_1) | instid1(VALU_DEP_1)
	v_fmac_f64_e32 v[112:113], v[84:85], v[86:87]
	s_wait_loadcnt 0x0
	v_fmac_f64_e32 v[112:113], v[102:103], v[88:89]
	s_delay_alu instid0(VALU_DEP_1)
	v_add_f64_e64 v[2:3], v[76:77], -v[112:113]
	scratch_store_b64 off, v[2:3], off offset:24
	s_wait_xcnt 0x0
	v_cmpx_lt_u32_e32 2, v0
	s_cbranch_execz .LBB35_221
; %bb.220:
	scratch_load_b64 v[2:3], off, off offset:16
	v_mov_b64_e32 v[76:77], 0
	scratch_store_b64 off, v[76:77], off offset:16
	s_wait_loadcnt 0x0
	ds_store_b64 v1, v[2:3]
.LBB35_221:
	s_wait_xcnt 0x0
	s_or_b32 exec_lo, exec_lo, s0
	s_wait_storecnt_dscnt 0x0
	s_barrier_signal -1
	s_barrier_wait -1
	s_clause 0x5
	scratch_load_b128 v[76:79], off, off offset:16
	scratch_load_b128 v[80:83], off, off offset:32
	;; [unrolled: 1-line block ×6, first 2 shown]
	v_mov_b32_e32 v2, 0
	ds_load_2addr_b64 v[100:103], v2 offset0:39 offset1:40
	ds_load_2addr_b64 v[104:107], v2 offset0:41 offset1:42
	scratch_load_b128 v[108:111], off, off offset:112
	s_mov_b32 s0, exec_lo
	s_wait_loadcnt_dscnt 0x601
	v_fma_f64 v[112:113], v[78:79], v[100:101], 0
	s_wait_loadcnt 0x5
	s_delay_alu instid0(VALU_DEP_1) | instskip(SKIP_4) | instid1(VALU_DEP_1)
	v_fmac_f64_e32 v[112:113], v[80:81], v[102:103]
	scratch_load_b128 v[78:81], off, off offset:128
	s_wait_dscnt 0x0
	v_fmac_f64_e32 v[112:113], v[82:83], v[104:105]
	s_wait_loadcnt 0x5
	v_fmac_f64_e32 v[112:113], v[84:85], v[106:107]
	ds_load_2addr_b64 v[82:85], v2 offset0:43 offset1:44
	ds_load_2addr_b64 v[100:103], v2 offset0:45 offset1:46
	scratch_load_b128 v[104:107], off, off offset:144
	s_wait_dscnt 0x1
	v_fmac_f64_e32 v[112:113], v[86:87], v[82:83]
	s_wait_loadcnt 0x5
	s_delay_alu instid0(VALU_DEP_1) | instskip(SKIP_4) | instid1(VALU_DEP_1)
	v_fmac_f64_e32 v[112:113], v[88:89], v[84:85]
	scratch_load_b128 v[82:85], off, off offset:160
	s_wait_dscnt 0x0
	v_fmac_f64_e32 v[112:113], v[90:91], v[100:101]
	s_wait_loadcnt 0x5
	v_fmac_f64_e32 v[112:113], v[92:93], v[102:103]
	ds_load_2addr_b64 v[86:89], v2 offset0:47 offset1:48
	ds_load_2addr_b64 v[90:93], v2 offset0:49 offset1:50
	scratch_load_b128 v[100:103], off, off offset:176
	s_wait_dscnt 0x1
	v_fmac_f64_e32 v[112:113], v[94:95], v[86:87]
	s_wait_loadcnt 0x5
	s_delay_alu instid0(VALU_DEP_1) | instskip(SKIP_4) | instid1(VALU_DEP_1)
	v_fmac_f64_e32 v[112:113], v[96:97], v[88:89]
	scratch_load_b128 v[86:89], off, off offset:192
	s_wait_dscnt 0x0
	v_fmac_f64_e32 v[112:113], v[98:99], v[90:91]
	s_wait_loadcnt 0x5
	v_fmac_f64_e32 v[112:113], v[108:109], v[92:93]
	ds_load_2addr_b64 v[90:93], v2 offset0:51 offset1:52
	ds_load_2addr_b64 v[94:97], v2 offset0:53 offset1:54
	s_wait_dscnt 0x1
	v_fmac_f64_e32 v[112:113], v[110:111], v[90:91]
	s_wait_loadcnt 0x4
	s_delay_alu instid0(VALU_DEP_1)
	v_fmac_f64_e32 v[112:113], v[78:79], v[92:93]
	scratch_load_b128 v[90:93], off, off offset:208
	s_wait_dscnt 0x0
	v_fmac_f64_e32 v[112:113], v[80:81], v[94:95]
	scratch_load_b128 v[78:81], off, off offset:224
	s_wait_loadcnt 0x5
	v_fmac_f64_e32 v[112:113], v[104:105], v[96:97]
	ds_load_2addr_b64 v[94:97], v2 offset0:55 offset1:56
	ds_load_2addr_b64 v[108:111], v2 offset0:57 offset1:58
	s_wait_dscnt 0x1
	v_fmac_f64_e32 v[112:113], v[106:107], v[94:95]
	s_wait_loadcnt 0x4
	s_delay_alu instid0(VALU_DEP_1)
	v_fmac_f64_e32 v[112:113], v[82:83], v[96:97]
	scratch_load_b128 v[94:97], off, off offset:240
	s_wait_dscnt 0x0
	v_fmac_f64_e32 v[112:113], v[84:85], v[108:109]
	scratch_load_b128 v[82:85], off, off offset:256
	s_wait_loadcnt 0x5
	v_fmac_f64_e32 v[112:113], v[100:101], v[110:111]
	ds_load_2addr_b64 v[98:101], v2 offset0:59 offset1:60
	ds_load_2addr_b64 v[104:107], v2 offset0:61 offset1:62
	s_wait_dscnt 0x1
	v_fmac_f64_e32 v[112:113], v[102:103], v[98:99]
	s_wait_loadcnt 0x4
	s_delay_alu instid0(VALU_DEP_1)
	v_fmac_f64_e32 v[112:113], v[86:87], v[100:101]
	scratch_load_b128 v[98:101], off, off offset:272
	s_wait_dscnt 0x0
	v_fmac_f64_e32 v[112:113], v[88:89], v[104:105]
	ds_load_2addr_b64 v[86:89], v2 offset0:63 offset1:64
	ds_load_2addr_b64 v[102:105], v2 offset0:65 offset1:66
	s_wait_loadcnt 0x4
	v_fmac_f64_e32 v[112:113], v[90:91], v[106:107]
	s_wait_dscnt 0x1
	s_delay_alu instid0(VALU_DEP_1) | instskip(SKIP_1) | instid1(VALU_DEP_1)
	v_fmac_f64_e32 v[112:113], v[92:93], v[86:87]
	s_wait_loadcnt 0x3
	v_fmac_f64_e32 v[112:113], v[78:79], v[88:89]
	s_wait_dscnt 0x0
	s_delay_alu instid0(VALU_DEP_1)
	v_fmac_f64_e32 v[112:113], v[80:81], v[102:103]
	ds_load_2addr_b64 v[78:81], v2 offset0:67 offset1:68
	ds_load_2addr_b64 v[86:89], v2 offset0:69 offset1:70
	s_wait_loadcnt 0x2
	v_fmac_f64_e32 v[112:113], v[94:95], v[104:105]
	s_wait_dscnt 0x1
	s_delay_alu instid0(VALU_DEP_1) | instskip(SKIP_4) | instid1(VALU_DEP_1)
	v_fmac_f64_e32 v[112:113], v[96:97], v[78:79]
	ds_load_b64 v[78:79], v2 offset:568
	s_wait_loadcnt 0x1
	v_fmac_f64_e32 v[112:113], v[82:83], v[80:81]
	s_wait_dscnt 0x1
	v_fmac_f64_e32 v[112:113], v[84:85], v[86:87]
	s_wait_loadcnt 0x0
	s_delay_alu instid0(VALU_DEP_1) | instskip(SKIP_1) | instid1(VALU_DEP_1)
	v_fmac_f64_e32 v[112:113], v[98:99], v[88:89]
	s_wait_dscnt 0x0
	v_fmac_f64_e32 v[112:113], v[100:101], v[78:79]
	s_delay_alu instid0(VALU_DEP_1)
	v_add_f64_e64 v[76:77], v[76:77], -v[112:113]
	scratch_store_b64 off, v[76:77], off offset:16
	s_wait_xcnt 0x0
	v_cmpx_lt_u32_e32 1, v0
	s_cbranch_execz .LBB35_223
; %bb.222:
	scratch_load_b64 v[76:77], off, off offset:8
	v_mov_b64_e32 v[78:79], 0
	scratch_store_b64 off, v[78:79], off offset:8
	s_wait_loadcnt 0x0
	ds_store_b64 v1, v[76:77]
.LBB35_223:
	s_wait_xcnt 0x0
	s_or_b32 exec_lo, exec_lo, s0
	s_wait_storecnt_dscnt 0x0
	s_barrier_signal -1
	s_barrier_wait -1
	s_clause 0x5
	scratch_load_b128 v[76:79], off, off offset:8
	scratch_load_b128 v[80:83], off, off offset:24
	;; [unrolled: 1-line block ×6, first 2 shown]
	ds_load_b128 v[100:103], v2 offset:304
	ds_load_b128 v[104:107], v2 offset:320
	scratch_load_b128 v[108:111], off, off offset:104
	v_dual_ashrrev_i32 v9, 31, v8 :: v_dual_ashrrev_i32 v11, 31, v10
	v_dual_ashrrev_i32 v13, 31, v12 :: v_dual_ashrrev_i32 v15, 31, v14
	;; [unrolled: 1-line block ×16, first 2 shown]
	v_ashrrev_i32_e32 v73, 31, v72
	s_mov_b32 s0, exec_lo
	v_ashrrev_i32_e32 v27, 31, v26
	s_wait_loadcnt_dscnt 0x601
	v_fma_f64 v[112:113], v[78:79], v[100:101], 0
	s_wait_loadcnt 0x5
	s_delay_alu instid0(VALU_DEP_1) | instskip(SKIP_4) | instid1(VALU_DEP_1)
	v_fmac_f64_e32 v[112:113], v[80:81], v[102:103]
	scratch_load_b128 v[78:81], off, off offset:120
	s_wait_dscnt 0x0
	v_fmac_f64_e32 v[112:113], v[82:83], v[104:105]
	s_wait_loadcnt 0x5
	v_fmac_f64_e32 v[112:113], v[84:85], v[106:107]
	ds_load_b128 v[82:85], v2 offset:336
	ds_load_b128 v[100:103], v2 offset:352
	scratch_load_b128 v[104:107], off, off offset:136
	s_wait_dscnt 0x1
	v_fmac_f64_e32 v[112:113], v[86:87], v[82:83]
	s_wait_loadcnt 0x5
	s_delay_alu instid0(VALU_DEP_1) | instskip(SKIP_4) | instid1(VALU_DEP_1)
	v_fmac_f64_e32 v[112:113], v[88:89], v[84:85]
	scratch_load_b128 v[82:85], off, off offset:152
	s_wait_dscnt 0x0
	v_fmac_f64_e32 v[112:113], v[90:91], v[100:101]
	s_wait_loadcnt 0x5
	v_fmac_f64_e32 v[112:113], v[92:93], v[102:103]
	ds_load_b128 v[86:89], v2 offset:368
	ds_load_b128 v[90:93], v2 offset:384
	scratch_load_b128 v[100:103], off, off offset:168
	s_wait_dscnt 0x1
	v_fmac_f64_e32 v[112:113], v[94:95], v[86:87]
	s_wait_loadcnt 0x5
	s_delay_alu instid0(VALU_DEP_1) | instskip(SKIP_4) | instid1(VALU_DEP_1)
	v_fmac_f64_e32 v[112:113], v[96:97], v[88:89]
	scratch_load_b128 v[86:89], off, off offset:184
	s_wait_dscnt 0x0
	v_fmac_f64_e32 v[112:113], v[98:99], v[90:91]
	s_wait_loadcnt 0x5
	v_fmac_f64_e32 v[112:113], v[108:109], v[92:93]
	ds_load_b128 v[90:93], v2 offset:400
	ds_load_b128 v[94:97], v2 offset:416
	s_wait_dscnt 0x1
	v_fmac_f64_e32 v[112:113], v[110:111], v[90:91]
	s_wait_loadcnt 0x4
	s_delay_alu instid0(VALU_DEP_1)
	v_fmac_f64_e32 v[112:113], v[78:79], v[92:93]
	scratch_load_b128 v[90:93], off, off offset:200
	s_wait_dscnt 0x0
	v_fmac_f64_e32 v[112:113], v[80:81], v[94:95]
	scratch_load_b128 v[78:81], off, off offset:216
	s_wait_loadcnt 0x5
	v_fmac_f64_e32 v[112:113], v[104:105], v[96:97]
	ds_load_b128 v[94:97], v2 offset:432
	ds_load_b128 v[108:111], v2 offset:448
	s_wait_dscnt 0x1
	v_fmac_f64_e32 v[112:113], v[106:107], v[94:95]
	s_wait_loadcnt 0x4
	s_delay_alu instid0(VALU_DEP_1)
	v_fmac_f64_e32 v[112:113], v[82:83], v[96:97]
	scratch_load_b128 v[94:97], off, off offset:232
	s_wait_dscnt 0x0
	v_fmac_f64_e32 v[112:113], v[84:85], v[108:109]
	scratch_load_b128 v[82:85], off, off offset:248
	s_wait_loadcnt 0x5
	v_fmac_f64_e32 v[112:113], v[100:101], v[110:111]
	ds_load_b128 v[98:101], v2 offset:464
	ds_load_b128 v[104:107], v2 offset:480
	scratch_load_b64 v[108:109], off, off offset:280
	s_wait_dscnt 0x1
	v_fmac_f64_e32 v[112:113], v[102:103], v[98:99]
	s_wait_loadcnt 0x5
	s_delay_alu instid0(VALU_DEP_1)
	v_fmac_f64_e32 v[112:113], v[86:87], v[100:101]
	scratch_load_b128 v[98:101], off, off offset:264
	s_wait_dscnt 0x0
	v_fmac_f64_e32 v[112:113], v[88:89], v[104:105]
	ds_load_b128 v[86:89], v2 offset:496
	ds_load_b128 v[102:105], v2 offset:512
	s_wait_loadcnt 0x5
	v_fmac_f64_e32 v[112:113], v[90:91], v[106:107]
	s_wait_dscnt 0x1
	s_delay_alu instid0(VALU_DEP_1) | instskip(SKIP_1) | instid1(VALU_DEP_1)
	v_fmac_f64_e32 v[112:113], v[92:93], v[86:87]
	s_wait_loadcnt 0x4
	v_fmac_f64_e32 v[112:113], v[78:79], v[88:89]
	s_wait_dscnt 0x0
	s_delay_alu instid0(VALU_DEP_1)
	v_fmac_f64_e32 v[112:113], v[80:81], v[102:103]
	ds_load_b128 v[78:81], v2 offset:528
	ds_load_b128 v[86:89], v2 offset:544
	s_wait_loadcnt 0x3
	v_fmac_f64_e32 v[112:113], v[94:95], v[104:105]
	s_wait_dscnt 0x1
	s_delay_alu instid0(VALU_DEP_1) | instskip(SKIP_1) | instid1(VALU_DEP_1)
	v_fmac_f64_e32 v[112:113], v[96:97], v[78:79]
	s_wait_loadcnt 0x2
	v_fmac_f64_e32 v[112:113], v[82:83], v[80:81]
	ds_load_b128 v[78:81], v2 offset:560
	s_wait_dscnt 0x1
	v_fmac_f64_e32 v[112:113], v[84:85], v[86:87]
	s_wait_loadcnt 0x0
	s_delay_alu instid0(VALU_DEP_1) | instskip(SKIP_1) | instid1(VALU_DEP_1)
	v_fmac_f64_e32 v[112:113], v[98:99], v[88:89]
	s_wait_dscnt 0x0
	v_fmac_f64_e32 v[112:113], v[100:101], v[78:79]
	s_delay_alu instid0(VALU_DEP_1) | instskip(NEXT) | instid1(VALU_DEP_1)
	v_fmac_f64_e32 v[112:113], v[108:109], v[80:81]
	v_add_f64_e64 v[2:3], v[76:77], -v[112:113]
	scratch_store_b64 off, v[2:3], off offset:8
	s_wait_xcnt 0x0
	v_cmpx_ne_u32_e32 0, v0
	s_cbranch_execz .LBB35_225
; %bb.224:
	scratch_load_b64 v[2:3], off, off
	v_mov_b64_e32 v[76:77], 0
	scratch_store_b64 off, v[76:77], off
	s_wait_loadcnt 0x0
	ds_store_b64 v1, v[2:3]
.LBB35_225:
	s_wait_xcnt 0x0
	s_or_b32 exec_lo, exec_lo, s0
	s_wait_storecnt_dscnt 0x0
	s_barrier_signal -1
	s_barrier_wait -1
	s_clause 0x5
	scratch_load_b128 v[78:81], off, off
	scratch_load_b128 v[0:3], off, off offset:16
	scratch_load_b128 v[82:85], off, off offset:32
	;; [unrolled: 1-line block ×5, first 2 shown]
	v_mov_b32_e32 v76, 0
	scratch_load_b128 v[102:105], off, off offset:96
	s_and_b32 vcc_lo, exec_lo, s18
	scratch_load_b128 v[106:109], off, off offset:208
	ds_load_2addr_b64 v[98:101], v76 offset0:37 offset1:38
	s_wait_loadcnt_dscnt 0x700
	v_fma_f64 v[110:111], v[80:81], v[98:99], 0
	s_wait_loadcnt 0x6
	s_delay_alu instid0(VALU_DEP_1)
	v_fmac_f64_e32 v[110:111], v[0:1], v[100:101]
	ds_load_2addr_b64 v[98:101], v76 offset0:39 offset1:40
	s_wait_dscnt 0x0
	v_fmac_f64_e32 v[110:111], v[2:3], v[98:99]
	scratch_load_b128 v[0:3], off, off offset:112
	s_wait_loadcnt 0x6
	v_fmac_f64_e32 v[110:111], v[82:83], v[100:101]
	ds_load_2addr_b64 v[80:83], v76 offset0:41 offset1:42
	scratch_load_b128 v[98:101], off, off offset:128
	s_wait_dscnt 0x0
	v_fmac_f64_e32 v[110:111], v[84:85], v[80:81]
	s_wait_loadcnt 0x6
	s_delay_alu instid0(VALU_DEP_1)
	v_fmac_f64_e32 v[110:111], v[86:87], v[82:83]
	ds_load_2addr_b64 v[80:83], v76 offset0:43 offset1:44
	scratch_load_b128 v[84:87], off, off offset:144
	s_wait_dscnt 0x0
	v_fmac_f64_e32 v[110:111], v[88:89], v[80:81]
	s_wait_loadcnt 0x6
	s_delay_alu instid0(VALU_DEP_1)
	;; [unrolled: 7-line block ×4, first 2 shown]
	v_fmac_f64_e32 v[110:111], v[102:103], v[82:83]
	ds_load_2addr_b64 v[80:83], v76 offset0:49 offset1:50
	s_wait_dscnt 0x0
	v_fmac_f64_e32 v[110:111], v[104:105], v[80:81]
	scratch_load_b128 v[102:105], off, off offset:192
	s_wait_loadcnt 0x5
	v_fmac_f64_e32 v[110:111], v[0:1], v[82:83]
	ds_load_2addr_b64 v[80:83], v76 offset0:51 offset1:52
	s_wait_dscnt 0x0
	v_fmac_f64_e32 v[110:111], v[2:3], v[80:81]
	ds_load_2addr_b64 v[0:3], v76 offset0:53 offset1:54
	s_wait_loadcnt 0x4
	v_fmac_f64_e32 v[110:111], v[98:99], v[82:83]
	ds_load_2addr_b64 v[96:99], v76 offset0:59 offset1:60
	scratch_load_b128 v[80:83], off, off offset:224
	s_wait_dscnt 0x1
	v_fmac_f64_e32 v[110:111], v[100:101], v[0:1]
	s_wait_loadcnt 0x4
	s_delay_alu instid0(VALU_DEP_1)
	v_fmac_f64_e32 v[110:111], v[84:85], v[2:3]
	ds_load_2addr_b64 v[0:3], v76 offset0:55 offset1:56
	s_wait_dscnt 0x0
	v_fmac_f64_e32 v[110:111], v[86:87], v[0:1]
	scratch_load_b128 v[84:87], off, off offset:240
	s_wait_loadcnt 0x4
	v_fmac_f64_e32 v[110:111], v[88:89], v[2:3]
	ds_load_2addr_b64 v[0:3], v76 offset0:57 offset1:58
	s_wait_dscnt 0x0
	v_fmac_f64_e32 v[110:111], v[90:91], v[0:1]
	scratch_load_b128 v[88:91], off, off offset:256
	s_wait_loadcnt 0x4
	v_fmac_f64_e32 v[110:111], v[92:93], v[2:3]
	scratch_load_b128 v[0:3], off, off offset:272
	v_fmac_f64_e32 v[110:111], v[94:95], v[96:97]
	ds_load_2addr_b64 v[92:95], v76 offset0:61 offset1:62
	s_wait_loadcnt 0x4
	v_fmac_f64_e32 v[110:111], v[102:103], v[98:99]
	s_wait_dscnt 0x0
	s_delay_alu instid0(VALU_DEP_1) | instskip(NEXT) | instid1(VALU_DEP_1)
	v_fmac_f64_e32 v[110:111], v[104:105], v[92:93]
	v_fmac_f64_e32 v[110:111], v[106:107], v[94:95]
	ds_load_2addr_b64 v[92:95], v76 offset0:63 offset1:64
	s_wait_dscnt 0x0
	v_fmac_f64_e32 v[110:111], v[108:109], v[92:93]
	s_wait_loadcnt 0x3
	s_delay_alu instid0(VALU_DEP_1)
	v_fmac_f64_e32 v[110:111], v[80:81], v[94:95]
	ds_load_2addr_b64 v[92:95], v76 offset0:65 offset1:66
	s_wait_dscnt 0x0
	v_fmac_f64_e32 v[110:111], v[82:83], v[92:93]
	ds_load_2addr_b64 v[80:83], v76 offset0:67 offset1:68
	s_wait_loadcnt 0x2
	v_fmac_f64_e32 v[110:111], v[84:85], v[94:95]
	s_wait_dscnt 0x0
	s_delay_alu instid0(VALU_DEP_1) | instskip(SKIP_1) | instid1(VALU_DEP_1)
	v_fmac_f64_e32 v[110:111], v[86:87], v[80:81]
	s_wait_loadcnt 0x1
	v_fmac_f64_e32 v[110:111], v[88:89], v[82:83]
	ds_load_2addr_b64 v[80:83], v76 offset0:69 offset1:70
	s_wait_dscnt 0x0
	v_fmac_f64_e32 v[110:111], v[90:91], v[80:81]
	ds_load_b64 v[80:81], v76 offset:568
	s_wait_loadcnt 0x0
	v_fmac_f64_e32 v[110:111], v[0:1], v[82:83]
	s_wait_dscnt 0x0
	s_delay_alu instid0(VALU_DEP_1) | instskip(NEXT) | instid1(VALU_DEP_1)
	v_fmac_f64_e32 v[110:111], v[2:3], v[80:81]
	v_add_f64_e64 v[86:87], v[78:79], -v[110:111]
	scratch_store_b64 off, v[86:87], off
	s_cbranch_vccz .LBB35_296
; %bb.226:
	global_load_b32 v2, v76, s[2:3] offset:136
	s_wait_loadcnt 0x0
	v_cmp_ne_u32_e32 vcc_lo, 35, v2
	s_cbranch_vccz .LBB35_228
; %bb.227:
	v_lshlrev_b32_e32 v2, 3, v2
	s_wait_xcnt 0x0
	s_delay_alu instid0(VALU_DEP_1)
	v_mov_b32_e32 v76, v2
	scratch_load_b64 v[2:3], v76, off offset:-8
	s_wait_loadcnt 0x0
	scratch_store_b64 off, v[2:3], off offset:272
	scratch_store_b64 v76, v[0:1], off offset:-8
.LBB35_228:
	s_wait_xcnt 0x0
	v_mov_b32_e32 v0, 0
	global_load_b32 v1, v0, s[2:3] offset:132
	s_wait_loadcnt 0x0
	v_cmp_eq_u32_e32 vcc_lo, 34, v1
	s_cbranch_vccnz .LBB35_230
; %bb.229:
	v_lshlrev_b32_e32 v1, 3, v1
	scratch_load_b64 v[2:3], v1, off offset:-8
	scratch_load_b64 v[76:77], off, off offset:264
	s_wait_loadcnt 0x1
	scratch_store_b64 off, v[2:3], off offset:264
	s_wait_loadcnt 0x0
	scratch_store_b64 v1, v[76:77], off offset:-8
.LBB35_230:
	global_load_b32 v0, v0, s[2:3] offset:128
	s_wait_loadcnt 0x0
	v_cmp_eq_u32_e32 vcc_lo, 33, v0
	s_cbranch_vccnz .LBB35_232
; %bb.231:
	s_wait_xcnt 0x0
	v_lshlrev_b32_e32 v0, 3, v0
	s_delay_alu instid0(VALU_DEP_1)
	v_mov_b32_e32 v76, v0
	scratch_load_b64 v[0:1], v76, off offset:-8
	scratch_load_b64 v[2:3], off, off offset:256
	s_wait_loadcnt 0x1
	scratch_store_b64 off, v[0:1], off offset:256
	s_wait_loadcnt 0x0
	scratch_store_b64 v76, v[2:3], off offset:-8
.LBB35_232:
	s_wait_xcnt 0x0
	v_mov_b32_e32 v0, 0
	global_load_b32 v1, v0, s[2:3] offset:124
	s_wait_loadcnt 0x0
	v_cmp_eq_u32_e32 vcc_lo, 32, v1
	s_cbranch_vccnz .LBB35_234
; %bb.233:
	v_lshlrev_b32_e32 v1, 3, v1
	scratch_load_b64 v[2:3], v1, off offset:-8
	scratch_load_b64 v[76:77], off, off offset:248
	s_wait_loadcnt 0x1
	scratch_store_b64 off, v[2:3], off offset:248
	s_wait_loadcnt 0x0
	scratch_store_b64 v1, v[76:77], off offset:-8
.LBB35_234:
	global_load_b32 v0, v0, s[2:3] offset:120
	s_wait_loadcnt 0x0
	v_cmp_eq_u32_e32 vcc_lo, 31, v0
	s_cbranch_vccnz .LBB35_236
; %bb.235:
	s_wait_xcnt 0x0
	v_lshlrev_b32_e32 v0, 3, v0
	s_delay_alu instid0(VALU_DEP_1)
	v_mov_b32_e32 v76, v0
	scratch_load_b64 v[0:1], v76, off offset:-8
	scratch_load_b64 v[2:3], off, off offset:240
	s_wait_loadcnt 0x1
	scratch_store_b64 off, v[0:1], off offset:240
	s_wait_loadcnt 0x0
	scratch_store_b64 v76, v[2:3], off offset:-8
.LBB35_236:
	;; [unrolled: 31-line block ×16, first 2 shown]
	s_wait_xcnt 0x0
	v_mov_b32_e32 v0, 0
	global_load_b32 v1, v0, s[2:3] offset:4
	s_wait_loadcnt 0x0
	v_cmp_eq_u32_e32 vcc_lo, 2, v1
	s_cbranch_vccnz .LBB35_294
; %bb.293:
	v_lshlrev_b32_e32 v1, 3, v1
	scratch_load_b64 v[2:3], v1, off offset:-8
	scratch_load_b64 v[76:77], off, off offset:8
	s_wait_loadcnt 0x1
	scratch_store_b64 off, v[2:3], off offset:8
	s_wait_loadcnt 0x0
	scratch_store_b64 v1, v[76:77], off offset:-8
.LBB35_294:
	global_load_b32 v0, v0, s[2:3]
	scratch_load_b64 v[86:87], off, off
	s_wait_loadcnt 0x1
	v_cmp_eq_u32_e32 vcc_lo, 1, v0
	s_cbranch_vccnz .LBB35_296
; %bb.295:
	s_wait_xcnt 0x1
	v_lshlrev_b32_e32 v0, 3, v0
	s_delay_alu instid0(VALU_DEP_1)
	v_mov_b32_e32 v2, v0
	scratch_load_b64 v[0:1], v2, off offset:-8
	s_wait_loadcnt 0x0
	scratch_store_b64 off, v[0:1], off
	scratch_store_b64 v2, v[86:87], off offset:-8
	scratch_load_b64 v[86:87], off, off
.LBB35_296:
	v_lshl_add_u64 v[90:91], v[8:9], 3, s[4:5]
	v_lshl_add_u64 v[88:89], v[10:11], 3, s[4:5]
	;; [unrolled: 1-line block ×6, first 2 shown]
	s_wait_xcnt 0x1
	v_lshl_add_u64 v[0:1], v[22:23], 3, s[4:5]
	v_lshl_add_u64 v[2:3], v[24:25], 3, s[4:5]
	;; [unrolled: 1-line block ×24, first 2 shown]
	s_clause 0x7
	scratch_load_b128 v[58:61], off, off offset:8
	scratch_load_b128 v[62:65], off, off offset:24
	;; [unrolled: 1-line block ×8, first 2 shown]
	v_lshl_add_u64 v[76:77], v[20:21], 3, s[4:5]
	s_wait_loadcnt 0x8
	global_store_b64 v[6:7], v[86:87], off
	v_lshl_add_u64 v[20:21], v[38:39], 3, s[4:5]
	v_lshl_add_u64 v[38:39], v[56:57], 3, s[4:5]
	;; [unrolled: 1-line block ×3, first 2 shown]
	scratch_load_b128 v[108:111], off, off offset:136
	s_wait_loadcnt 0x8
	s_clause 0x1
	global_store_b64 v[4:5], v[58:59], off
	global_store_b64 v[90:91], v[60:61], off
	s_wait_loadcnt 0x7
	s_clause 0x1
	global_store_b64 v[88:89], v[62:63], off
	global_store_b64 v[84:85], v[64:65], off
	;; [unrolled: 4-line block ×4, first 2 shown]
	s_clause 0x8
	scratch_load_b128 v[4:7], off, off offset:152
	scratch_load_b128 v[58:61], off, off offset:168
	;; [unrolled: 1-line block ×8, first 2 shown]
	scratch_load_b64 v[74:75], off, off offset:280
	s_wait_loadcnt 0xd
	s_clause 0x1
	global_store_b64 v[0:1], v[92:93], off
	global_store_b64 v[2:3], v[94:95], off
	s_wait_loadcnt 0xc
	s_clause 0x1
	global_store_b64 v[8:9], v[96:97], off
	global_store_b64 v[10:11], v[98:99], off
	s_wait_loadcnt 0xb
	s_clause 0x1
	global_store_b64 v[12:13], v[100:101], off
	global_store_b64 v[14:15], v[102:103], off
	s_wait_loadcnt 0xa
	s_clause 0x1
	global_store_b64 v[16:17], v[104:105], off
	global_store_b64 v[18:19], v[106:107], off
	s_wait_loadcnt 0x9
	s_clause 0x1
	global_store_b64 v[20:21], v[108:109], off
	global_store_b64 v[22:23], v[110:111], off
	s_wait_loadcnt 0x8
	s_clause 0x1
	global_store_b64 v[24:25], v[4:5], off
	global_store_b64 v[26:27], v[6:7], off
	s_wait_loadcnt 0x7
	s_clause 0x1
	global_store_b64 v[28:29], v[58:59], off
	global_store_b64 v[30:31], v[60:61], off
	s_wait_loadcnt 0x6
	s_clause 0x1
	global_store_b64 v[32:33], v[86:87], off
	global_store_b64 v[34:35], v[88:89], off
	s_wait_loadcnt 0x5
	s_clause 0x1
	global_store_b64 v[36:37], v[62:63], off
	global_store_b64 v[38:39], v[64:65], off
	s_wait_loadcnt 0x4
	s_clause 0x1
	global_store_b64 v[40:41], v[82:83], off
	global_store_b64 v[42:43], v[84:85], off
	s_wait_loadcnt 0x3
	s_clause 0x1
	global_store_b64 v[44:45], v[66:67], off
	global_store_b64 v[46:47], v[68:69], off
	s_wait_loadcnt 0x2
	s_clause 0x1
	global_store_b64 v[48:49], v[78:79], off
	global_store_b64 v[50:51], v[80:81], off
	s_wait_loadcnt 0x1
	s_clause 0x1
	global_store_b64 v[52:53], v[70:71], off
	global_store_b64 v[54:55], v[72:73], off
	s_wait_loadcnt 0x0
	global_store_b64 v[56:57], v[74:75], off
	s_sendmsg sendmsg(MSG_DEALLOC_VGPRS)
	s_endpgm
	.section	.rodata,"a",@progbits
	.p2align	6, 0x0
	.amdhsa_kernel _ZN9rocsolver6v33100L18getri_kernel_smallILi36EdPdEEvT1_iilPiilS4_bb
		.amdhsa_group_segment_fixed_size 584
		.amdhsa_private_segment_fixed_size 304
		.amdhsa_kernarg_size 60
		.amdhsa_user_sgpr_count 2
		.amdhsa_user_sgpr_dispatch_ptr 0
		.amdhsa_user_sgpr_queue_ptr 0
		.amdhsa_user_sgpr_kernarg_segment_ptr 1
		.amdhsa_user_sgpr_dispatch_id 0
		.amdhsa_user_sgpr_kernarg_preload_length 0
		.amdhsa_user_sgpr_kernarg_preload_offset 0
		.amdhsa_user_sgpr_private_segment_size 0
		.amdhsa_wavefront_size32 1
		.amdhsa_uses_dynamic_stack 0
		.amdhsa_enable_private_segment 1
		.amdhsa_system_sgpr_workgroup_id_x 1
		.amdhsa_system_sgpr_workgroup_id_y 0
		.amdhsa_system_sgpr_workgroup_id_z 0
		.amdhsa_system_sgpr_workgroup_info 0
		.amdhsa_system_vgpr_workitem_id 0
		.amdhsa_next_free_vgpr 114
		.amdhsa_next_free_sgpr 19
		.amdhsa_named_barrier_count 0
		.amdhsa_reserve_vcc 1
		.amdhsa_float_round_mode_32 0
		.amdhsa_float_round_mode_16_64 0
		.amdhsa_float_denorm_mode_32 3
		.amdhsa_float_denorm_mode_16_64 3
		.amdhsa_fp16_overflow 0
		.amdhsa_memory_ordered 1
		.amdhsa_forward_progress 1
		.amdhsa_inst_pref_size 231
		.amdhsa_round_robin_scheduling 0
		.amdhsa_exception_fp_ieee_invalid_op 0
		.amdhsa_exception_fp_denorm_src 0
		.amdhsa_exception_fp_ieee_div_zero 0
		.amdhsa_exception_fp_ieee_overflow 0
		.amdhsa_exception_fp_ieee_underflow 0
		.amdhsa_exception_fp_ieee_inexact 0
		.amdhsa_exception_int_div_zero 0
	.end_amdhsa_kernel
	.section	.text._ZN9rocsolver6v33100L18getri_kernel_smallILi36EdPdEEvT1_iilPiilS4_bb,"axG",@progbits,_ZN9rocsolver6v33100L18getri_kernel_smallILi36EdPdEEvT1_iilPiilS4_bb,comdat
.Lfunc_end35:
	.size	_ZN9rocsolver6v33100L18getri_kernel_smallILi36EdPdEEvT1_iilPiilS4_bb, .Lfunc_end35-_ZN9rocsolver6v33100L18getri_kernel_smallILi36EdPdEEvT1_iilPiilS4_bb
                                        ; -- End function
	.set _ZN9rocsolver6v33100L18getri_kernel_smallILi36EdPdEEvT1_iilPiilS4_bb.num_vgpr, 114
	.set _ZN9rocsolver6v33100L18getri_kernel_smallILi36EdPdEEvT1_iilPiilS4_bb.num_agpr, 0
	.set _ZN9rocsolver6v33100L18getri_kernel_smallILi36EdPdEEvT1_iilPiilS4_bb.numbered_sgpr, 19
	.set _ZN9rocsolver6v33100L18getri_kernel_smallILi36EdPdEEvT1_iilPiilS4_bb.num_named_barrier, 0
	.set _ZN9rocsolver6v33100L18getri_kernel_smallILi36EdPdEEvT1_iilPiilS4_bb.private_seg_size, 304
	.set _ZN9rocsolver6v33100L18getri_kernel_smallILi36EdPdEEvT1_iilPiilS4_bb.uses_vcc, 1
	.set _ZN9rocsolver6v33100L18getri_kernel_smallILi36EdPdEEvT1_iilPiilS4_bb.uses_flat_scratch, 1
	.set _ZN9rocsolver6v33100L18getri_kernel_smallILi36EdPdEEvT1_iilPiilS4_bb.has_dyn_sized_stack, 0
	.set _ZN9rocsolver6v33100L18getri_kernel_smallILi36EdPdEEvT1_iilPiilS4_bb.has_recursion, 0
	.set _ZN9rocsolver6v33100L18getri_kernel_smallILi36EdPdEEvT1_iilPiilS4_bb.has_indirect_call, 0
	.section	.AMDGPU.csdata,"",@progbits
; Kernel info:
; codeLenInByte = 29544
; TotalNumSgprs: 21
; NumVgprs: 114
; ScratchSize: 304
; MemoryBound: 0
; FloatMode: 240
; IeeeMode: 1
; LDSByteSize: 584 bytes/workgroup (compile time only)
; SGPRBlocks: 0
; VGPRBlocks: 7
; NumSGPRsForWavesPerEU: 21
; NumVGPRsForWavesPerEU: 114
; NamedBarCnt: 0
; Occupancy: 8
; WaveLimiterHint : 1
; COMPUTE_PGM_RSRC2:SCRATCH_EN: 1
; COMPUTE_PGM_RSRC2:USER_SGPR: 2
; COMPUTE_PGM_RSRC2:TRAP_HANDLER: 0
; COMPUTE_PGM_RSRC2:TGID_X_EN: 1
; COMPUTE_PGM_RSRC2:TGID_Y_EN: 0
; COMPUTE_PGM_RSRC2:TGID_Z_EN: 0
; COMPUTE_PGM_RSRC2:TIDIG_COMP_CNT: 0
	.section	.text._ZN9rocsolver6v33100L18getri_kernel_smallILi37EdPdEEvT1_iilPiilS4_bb,"axG",@progbits,_ZN9rocsolver6v33100L18getri_kernel_smallILi37EdPdEEvT1_iilPiilS4_bb,comdat
	.globl	_ZN9rocsolver6v33100L18getri_kernel_smallILi37EdPdEEvT1_iilPiilS4_bb ; -- Begin function _ZN9rocsolver6v33100L18getri_kernel_smallILi37EdPdEEvT1_iilPiilS4_bb
	.p2align	8
	.type	_ZN9rocsolver6v33100L18getri_kernel_smallILi37EdPdEEvT1_iilPiilS4_bb,@function
_ZN9rocsolver6v33100L18getri_kernel_smallILi37EdPdEEvT1_iilPiilS4_bb: ; @_ZN9rocsolver6v33100L18getri_kernel_smallILi37EdPdEEvT1_iilPiilS4_bb
; %bb.0:
	s_mov_b32 s2, exec_lo
	v_cmpx_gt_u32_e32 37, v0
	s_cbranch_execz .LBB36_158
; %bb.1:
	s_clause 0x2
	s_load_b32 s2, s[0:1], 0x38
	s_load_b128 s[12:15], s[0:1], 0x10
	s_load_b128 s[4:7], s[0:1], 0x28
	s_getreg_b32 s9, hwreg(HW_REG_IB_STS2, 6, 4)
	s_wait_kmcnt 0x0
	s_bitcmp1_b32 s2, 8
	s_cselect_b32 s18, -1, 0
	s_bfe_u32 s3, ttmp6, 0x4000c
	s_and_b32 s8, ttmp6, 15
	s_add_co_i32 s3, s3, 1
	s_delay_alu instid0(SALU_CYCLE_1) | instskip(NEXT) | instid1(SALU_CYCLE_1)
	s_mul_i32 s3, ttmp9, s3
	s_add_co_i32 s8, s8, s3
	s_cmp_eq_u32 s9, 0
	s_cselect_b32 s16, ttmp9, s8
	s_bfe_u32 s2, s2, 0x10008
	s_ashr_i32 s17, s16, 31
	s_cmp_eq_u32 s2, 0
                                        ; implicit-def: $sgpr2_sgpr3
	s_cbranch_scc1 .LBB36_3
; %bb.2:
	s_load_b32 s2, s[0:1], 0x20
	s_mul_u64 s[4:5], s[4:5], s[16:17]
	s_delay_alu instid0(SALU_CYCLE_1) | instskip(NEXT) | instid1(SALU_CYCLE_1)
	s_lshl_b64 s[4:5], s[4:5], 2
	s_add_nc_u64 s[4:5], s[14:15], s[4:5]
	s_wait_kmcnt 0x0
	s_ashr_i32 s3, s2, 31
	s_delay_alu instid0(SALU_CYCLE_1) | instskip(NEXT) | instid1(SALU_CYCLE_1)
	s_lshl_b64 s[2:3], s[2:3], 2
	s_add_nc_u64 s[2:3], s[4:5], s[2:3]
.LBB36_3:
	s_clause 0x1
	s_load_b128 s[8:11], s[0:1], 0x0
	s_load_b32 s14, s[0:1], 0x38
	s_wait_xcnt 0x0
	s_mul_u64 s[0:1], s[12:13], s[16:17]
	v_mov_b32_e32 v3, 0
	s_lshl_b64 s[0:1], s[0:1], 3
	s_wait_kmcnt 0x0
	v_add3_u32 v8, s11, s11, v0
	s_ashr_i32 s5, s10, 31
	s_mov_b32 s4, s10
	s_add_nc_u64 s[0:1], s[8:9], s[0:1]
	s_lshl_b64 s[4:5], s[4:5], 3
	v_add_nc_u32_e32 v10, s11, v8
	s_add_nc_u64 s[4:5], s[0:1], s[4:5]
	s_ashr_i32 s1, s11, 31
	s_mov_b32 s0, s11
	s_bitcmp0_b32 s14, 0
	v_add_nc_u32_e32 v12, s11, v10
	s_delay_alu instid0(VALU_DEP_1) | instskip(NEXT) | instid1(VALU_DEP_1)
	v_add_nc_u32_e32 v14, s11, v12
	v_add_nc_u32_e32 v16, s11, v14
	s_delay_alu instid0(VALU_DEP_1) | instskip(NEXT) | instid1(VALU_DEP_1)
	v_add_nc_u32_e32 v18, s11, v16
	;; [unrolled: 3-line block ×3, first 2 shown]
	v_dual_lshlrev_b32 v2, 3, v0 :: v_dual_add_nc_u32 v24, s11, v22
	s_delay_alu instid0(VALU_DEP_1) | instskip(NEXT) | instid1(VALU_DEP_2)
	v_add_nc_u64_e32 v[6:7], s[4:5], v[2:3]
	v_add_nc_u32_e32 v26, s11, v24
	s_delay_alu instid0(VALU_DEP_2) | instskip(SKIP_1) | instid1(VALU_DEP_2)
	v_lshl_add_u64 v[4:5], s[0:1], 3, v[6:7]
	s_mov_b32 s1, -1
	v_add_nc_u32_e32 v28, s11, v26
	s_clause 0x5
	global_load_b64 v[64:65], v0, s[4:5] scale_offset
	global_load_b64 v[66:67], v[4:5], off
	global_load_b64 v[68:69], v8, s[4:5] scale_offset
	global_load_b64 v[70:71], v10, s[4:5] scale_offset
	;; [unrolled: 1-line block ×4, first 2 shown]
	v_add_nc_u32_e32 v30, s11, v28
	s_clause 0x3
	global_load_b64 v[76:77], v16, s[4:5] scale_offset
	global_load_b64 v[78:79], v18, s[4:5] scale_offset
	;; [unrolled: 1-line block ×4, first 2 shown]
	v_add_nc_u32_e32 v32, s11, v30
	s_delay_alu instid0(VALU_DEP_1) | instskip(NEXT) | instid1(VALU_DEP_1)
	v_add_nc_u32_e32 v34, s11, v32
	v_add_nc_u32_e32 v36, s11, v34
	s_clause 0x3
	global_load_b64 v[84:85], v24, s[4:5] scale_offset
	global_load_b64 v[86:87], v26, s[4:5] scale_offset
	;; [unrolled: 1-line block ×4, first 2 shown]
	v_add_nc_u32_e32 v38, s11, v36
	s_delay_alu instid0(VALU_DEP_1) | instskip(NEXT) | instid1(VALU_DEP_1)
	v_add_nc_u32_e32 v40, s11, v38
	v_add_nc_u32_e32 v42, s11, v40
	s_delay_alu instid0(VALU_DEP_1)
	v_add_nc_u32_e32 v44, s11, v42
	s_clause 0x3
	global_load_b64 v[92:93], v32, s[4:5] scale_offset
	global_load_b64 v[94:95], v34, s[4:5] scale_offset
	;; [unrolled: 1-line block ×4, first 2 shown]
	v_add_nc_u32_e32 v46, s11, v44
	s_delay_alu instid0(VALU_DEP_1)
	v_add_nc_u32_e32 v48, s11, v46
	s_clause 0x3
	global_load_b64 v[100:101], v40, s[4:5] scale_offset
	global_load_b64 v[102:103], v42, s[4:5] scale_offset
	;; [unrolled: 1-line block ×4, first 2 shown]
	v_add_nc_u32_e32 v50, s11, v48
	s_delay_alu instid0(VALU_DEP_1) | instskip(NEXT) | instid1(VALU_DEP_1)
	v_add_nc_u32_e32 v52, s11, v50
	v_add_nc_u32_e32 v54, s11, v52
	s_delay_alu instid0(VALU_DEP_1) | instskip(NEXT) | instid1(VALU_DEP_1)
	v_add_nc_u32_e32 v56, s11, v54
	;; [unrolled: 3-line block ×3, first 2 shown]
	v_add_nc_u32_e32 v62, s11, v60
	s_wait_loadcnt 0x14
	scratch_store_b128 off, v[64:67], off
	s_wait_loadcnt 0x12
	scratch_store_b128 off, v[68:71], off offset:16
	s_wait_xcnt 0x1
	v_add_nc_u32_e32 v64, s11, v62
	s_wait_loadcnt 0x10
	scratch_store_b128 off, v[72:75], off offset:32
	s_wait_loadcnt 0xe
	scratch_store_b128 off, v[76:79], off offset:48
	s_clause 0x3
	global_load_b64 v[108:109], v48, s[4:5] scale_offset
	global_load_b64 v[110:111], v50, s[4:5] scale_offset
	;; [unrolled: 1-line block ×4, first 2 shown]
	s_wait_loadcnt 0x10
	scratch_store_b128 off, v[80:83], off offset:64
	s_wait_loadcnt 0xe
	scratch_store_b128 off, v[84:87], off offset:80
	s_wait_loadcnt 0xc
	scratch_store_b128 off, v[88:91], off offset:96
	v_add_nc_u32_e32 v66, s11, v64
	s_wait_xcnt 0x9
	s_delay_alu instid0(VALU_DEP_1)
	v_add_nc_u32_e32 v68, s11, v66
	s_clause 0x3
	global_load_b64 v[78:79], v56, s[4:5] scale_offset
	global_load_b64 v[80:81], v58, s[4:5] scale_offset
	;; [unrolled: 1-line block ×4, first 2 shown]
	s_wait_loadcnt 0xe
	scratch_store_b128 off, v[92:95], off offset:112
	s_wait_loadcnt 0xc
	scratch_store_b128 off, v[96:99], off offset:128
	v_add_nc_u32_e32 v70, s11, v68
	s_delay_alu instid0(VALU_DEP_1)
	v_add_nc_u32_e32 v72, s11, v70
	s_clause 0x3
	global_load_b64 v[86:87], v64, s[4:5] scale_offset
	global_load_b64 v[88:89], v66, s[4:5] scale_offset
	;; [unrolled: 1-line block ×4, first 2 shown]
	s_wait_loadcnt 0xe
	scratch_store_b128 off, v[100:103], off offset:144
	s_wait_loadcnt 0xc
	scratch_store_b128 off, v[104:107], off offset:160
	v_add_nc_u32_e32 v74, s11, v72
	s_delay_alu instid0(VALU_DEP_1)
	v_add_nc_u32_e32 v76, s11, v74
	s_clause 0x2
	global_load_b64 v[94:95], v72, s[4:5] scale_offset
	global_load_b64 v[96:97], v74, s[4:5] scale_offset
	global_load_b64 v[98:99], v76, s[4:5] scale_offset
	s_wait_loadcnt 0xd
	scratch_store_b128 off, v[108:111], off offset:176
	s_wait_loadcnt 0xb
	scratch_store_b128 off, v[112:115], off offset:192
	;; [unrolled: 2-line block ×7, first 2 shown]
	s_wait_loadcnt 0x0
	scratch_store_b64 off, v[98:99], off offset:288
	s_cbranch_scc1 .LBB36_156
; %bb.4:
	v_cmp_eq_u32_e64 s0, 0, v0
	s_wait_xcnt 0x0
	s_and_saveexec_b32 s1, s0
; %bb.5:
	v_mov_b32_e32 v1, 0
	ds_store_b32 v1, v1 offset:296
; %bb.6:
	s_or_b32 exec_lo, exec_lo, s1
	s_wait_storecnt_dscnt 0x0
	s_barrier_signal -1
	s_barrier_wait -1
	scratch_load_b64 v[78:79], v0, off scale_offset
	s_mov_b32 s8, exec_lo
	s_wait_loadcnt 0x0
	v_cmpx_eq_f64_e32 0, v[78:79]
	s_cbranch_execz .LBB36_10
; %bb.7:
	v_mov_b32_e32 v1, 0
	s_mov_b32 s9, 0
	ds_load_b32 v3, v1 offset:296
	s_wait_dscnt 0x0
	v_readfirstlane_b32 s1, v3
	v_add_nc_u32_e32 v3, 1, v0
	s_cmp_eq_u32 s1, 0
	s_delay_alu instid0(VALU_DEP_1) | instskip(SKIP_1) | instid1(SALU_CYCLE_1)
	v_cmp_gt_i32_e32 vcc_lo, s1, v3
	s_cselect_b32 s10, -1, 0
	s_or_b32 s10, s10, vcc_lo
	s_delay_alu instid0(SALU_CYCLE_1)
	s_and_b32 exec_lo, exec_lo, s10
	s_cbranch_execz .LBB36_10
; %bb.8:
	v_mov_b32_e32 v9, s1
.LBB36_9:                               ; =>This Inner Loop Header: Depth=1
	ds_cmpstore_rtn_b32 v9, v1, v3, v9 offset:296
	s_wait_dscnt 0x0
	v_cmp_ne_u32_e32 vcc_lo, 0, v9
	v_cmp_le_i32_e64 s1, v9, v3
	s_and_b32 s1, vcc_lo, s1
	s_delay_alu instid0(SALU_CYCLE_1) | instskip(NEXT) | instid1(SALU_CYCLE_1)
	s_and_b32 s1, exec_lo, s1
	s_or_b32 s9, s1, s9
	s_delay_alu instid0(SALU_CYCLE_1)
	s_and_not1_b32 exec_lo, exec_lo, s9
	s_cbranch_execnz .LBB36_9
.LBB36_10:
	s_or_b32 exec_lo, exec_lo, s8
	v_mov_b32_e32 v1, 0
	s_barrier_signal -1
	s_barrier_wait -1
	ds_load_b32 v3, v1 offset:296
	s_and_saveexec_b32 s1, s0
	s_cbranch_execz .LBB36_12
; %bb.11:
	s_lshl_b64 s[8:9], s[16:17], 2
	s_delay_alu instid0(SALU_CYCLE_1)
	s_add_nc_u64 s[8:9], s[6:7], s[8:9]
	s_wait_dscnt 0x0
	global_store_b32 v1, v3, s[8:9]
.LBB36_12:
	s_wait_xcnt 0x0
	s_or_b32 exec_lo, exec_lo, s1
	s_wait_dscnt 0x0
	v_cmp_ne_u32_e32 vcc_lo, 0, v3
	s_mov_b32 s1, 0
	s_cbranch_vccnz .LBB36_156
; %bb.13:
	v_lshl_add_u32 v3, v0, 3, 0
	v_add_nc_u32_e32 v1, 0x130, v2
	scratch_load_b64 v[78:79], v3, off
	s_wait_loadcnt 0x0
	v_div_scale_f64 v[80:81], null, v[78:79], v[78:79], 1.0
	v_div_scale_f64 v[86:87], vcc_lo, 1.0, v[78:79], 1.0
	s_delay_alu instid0(VALU_DEP_2) | instskip(SKIP_1) | instid1(TRANS32_DEP_1)
	v_rcp_f64_e32 v[82:83], v[80:81]
	v_nop
	v_fma_f64 v[84:85], -v[80:81], v[82:83], 1.0
	s_delay_alu instid0(VALU_DEP_1) | instskip(NEXT) | instid1(VALU_DEP_1)
	v_fmac_f64_e32 v[82:83], v[82:83], v[84:85]
	v_fma_f64 v[84:85], -v[80:81], v[82:83], 1.0
	s_delay_alu instid0(VALU_DEP_1) | instskip(NEXT) | instid1(VALU_DEP_1)
	v_fmac_f64_e32 v[82:83], v[82:83], v[84:85]
	v_mul_f64_e32 v[84:85], v[86:87], v[82:83]
	s_delay_alu instid0(VALU_DEP_1) | instskip(NEXT) | instid1(VALU_DEP_1)
	v_fma_f64 v[80:81], -v[80:81], v[84:85], v[86:87]
	v_div_fmas_f64 v[80:81], v[80:81], v[82:83], v[84:85]
	s_delay_alu instid0(VALU_DEP_1)
	v_div_fixup_f64 v[78:79], v[80:81], v[78:79], 1.0
	scratch_store_b64 v3, v[78:79], off
	scratch_load_b64 v[80:81], off, off offset:8
	s_wait_xcnt 0x1
	v_xor_b32_e32 v79, 0x80000000, v79
	s_wait_loadcnt 0x0
	ds_store_2addr_b64 v2, v[78:79], v[80:81] offset1:38
	s_wait_storecnt_dscnt 0x0
	s_barrier_signal -1
	s_barrier_wait -1
	s_wait_xcnt 0x0
	s_and_saveexec_b32 s1, s0
	s_cbranch_execz .LBB36_15
; %bb.14:
	scratch_load_b64 v[78:79], v3, off
	ds_load_b64 v[80:81], v1
	s_wait_loadcnt_dscnt 0x0
	v_fma_f64 v[78:79], v[78:79], v[80:81], 0
	v_mov_b32_e32 v9, 0
	ds_load_b64 v[82:83], v9 offset:8
	s_wait_dscnt 0x0
	v_mul_f64_e32 v[78:79], v[78:79], v[82:83]
	scratch_store_b64 off, v[78:79], off offset:8
.LBB36_15:
	s_wait_xcnt 0x0
	s_or_b32 exec_lo, exec_lo, s1
	s_wait_storecnt 0x0
	s_barrier_signal -1
	s_barrier_wait -1
	scratch_load_b64 v[78:79], off, off offset:16
	s_mov_b32 s1, exec_lo
	s_wait_loadcnt 0x0
	ds_store_b64 v1, v[78:79]
	s_wait_dscnt 0x0
	s_barrier_signal -1
	s_barrier_wait -1
	v_cmpx_gt_u32_e32 2, v0
	s_cbranch_execz .LBB36_19
; %bb.16:
	scratch_load_b64 v[78:79], v3, off
	ds_load_b64 v[80:81], v1
	s_wait_loadcnt_dscnt 0x0
	v_fma_f64 v[78:79], v[78:79], v[80:81], 0
	s_and_saveexec_b32 s8, s0
	s_cbranch_execz .LBB36_18
; %bb.17:
	scratch_load_b64 v[80:81], off, off offset:8
	v_mov_b32_e32 v3, 0
	ds_load_b64 v[82:83], v3 offset:312
	s_wait_loadcnt_dscnt 0x0
	v_fmac_f64_e32 v[78:79], v[80:81], v[82:83]
.LBB36_18:
	s_or_b32 exec_lo, exec_lo, s8
	v_mov_b32_e32 v3, 0
	ds_load_b64 v[80:81], v3 offset:16
	s_wait_dscnt 0x0
	v_mul_f64_e32 v[78:79], v[78:79], v[80:81]
	scratch_store_b64 off, v[78:79], off offset:16
.LBB36_19:
	s_wait_xcnt 0x0
	s_or_b32 exec_lo, exec_lo, s1
	s_wait_storecnt 0x0
	s_barrier_signal -1
	s_barrier_wait -1
	scratch_load_b64 v[78:79], off, off offset:24
	v_add_nc_u32_e32 v3, -1, v0
	s_mov_b32 s0, exec_lo
	s_wait_loadcnt 0x0
	ds_store_b64 v1, v[78:79]
	s_wait_dscnt 0x0
	s_barrier_signal -1
	s_barrier_wait -1
	v_cmpx_gt_u32_e32 3, v0
	s_cbranch_execz .LBB36_23
; %bb.20:
	v_mov_b64_e32 v[78:79], 0
	v_dual_add_nc_u32 v9, -1, v0 :: v_dual_mov_b32 v13, v2
	v_add_nc_u32_e32 v11, 0x130, v2
	s_mov_b32 s1, 0
.LBB36_21:                              ; =>This Inner Loop Header: Depth=1
	scratch_load_b64 v[80:81], v13, off
	ds_load_b64 v[82:83], v11
	v_dual_add_nc_u32 v9, 1, v9 :: v_dual_add_nc_u32 v11, 8, v11
	s_wait_xcnt 0x0
	v_add_nc_u32_e32 v13, 8, v13
	s_delay_alu instid0(VALU_DEP_2)
	v_cmp_lt_u32_e32 vcc_lo, 1, v9
	s_or_b32 s1, vcc_lo, s1
	s_wait_loadcnt_dscnt 0x0
	v_fmac_f64_e32 v[78:79], v[80:81], v[82:83]
	s_and_not1_b32 exec_lo, exec_lo, s1
	s_cbranch_execnz .LBB36_21
; %bb.22:
	s_or_b32 exec_lo, exec_lo, s1
	v_mov_b32_e32 v9, 0
	ds_load_b64 v[80:81], v9 offset:24
	s_wait_dscnt 0x0
	v_mul_f64_e32 v[78:79], v[78:79], v[80:81]
	scratch_store_b64 off, v[78:79], off offset:24
.LBB36_23:
	s_wait_xcnt 0x0
	s_or_b32 exec_lo, exec_lo, s0
	s_wait_storecnt 0x0
	s_barrier_signal -1
	s_barrier_wait -1
	scratch_load_b64 v[78:79], off, off offset:32
	s_mov_b32 s0, exec_lo
	s_wait_loadcnt 0x0
	ds_store_b64 v1, v[78:79]
	s_wait_dscnt 0x0
	s_barrier_signal -1
	s_barrier_wait -1
	v_cmpx_gt_u32_e32 4, v0
	s_cbranch_execz .LBB36_27
; %bb.24:
	v_mov_b64_e32 v[78:79], 0
	v_dual_add_nc_u32 v9, -1, v0 :: v_dual_mov_b32 v13, v2
	v_add_nc_u32_e32 v11, 0x130, v2
	s_mov_b32 s1, 0
.LBB36_25:                              ; =>This Inner Loop Header: Depth=1
	scratch_load_b64 v[80:81], v13, off
	ds_load_b64 v[82:83], v11
	v_dual_add_nc_u32 v9, 1, v9 :: v_dual_add_nc_u32 v11, 8, v11
	s_wait_xcnt 0x0
	v_add_nc_u32_e32 v13, 8, v13
	s_delay_alu instid0(VALU_DEP_2)
	v_cmp_lt_u32_e32 vcc_lo, 2, v9
	s_or_b32 s1, vcc_lo, s1
	s_wait_loadcnt_dscnt 0x0
	v_fmac_f64_e32 v[78:79], v[80:81], v[82:83]
	s_and_not1_b32 exec_lo, exec_lo, s1
	s_cbranch_execnz .LBB36_25
; %bb.26:
	s_or_b32 exec_lo, exec_lo, s1
	v_mov_b32_e32 v9, 0
	ds_load_b64 v[80:81], v9 offset:32
	s_wait_dscnt 0x0
	v_mul_f64_e32 v[78:79], v[78:79], v[80:81]
	scratch_store_b64 off, v[78:79], off offset:32
.LBB36_27:
	s_wait_xcnt 0x0
	s_or_b32 exec_lo, exec_lo, s0
	s_wait_storecnt 0x0
	s_barrier_signal -1
	s_barrier_wait -1
	scratch_load_b64 v[78:79], off, off offset:40
	;; [unrolled: 40-line block ×20, first 2 shown]
	s_mov_b32 s0, exec_lo
	s_wait_loadcnt 0x0
	ds_store_b64 v1, v[78:79]
	s_wait_dscnt 0x0
	s_barrier_signal -1
	s_barrier_wait -1
	v_cmpx_gt_u32_e32 23, v0
	s_cbranch_execz .LBB36_103
; %bb.100:
	v_mov_b64_e32 v[78:79], 0
	v_dual_add_nc_u32 v9, -1, v0 :: v_dual_mov_b32 v13, v2
	v_add_nc_u32_e32 v11, 0x130, v2
	s_mov_b32 s1, 0
.LBB36_101:                             ; =>This Inner Loop Header: Depth=1
	scratch_load_b64 v[80:81], v13, off
	ds_load_b64 v[82:83], v11
	v_dual_add_nc_u32 v9, 1, v9 :: v_dual_add_nc_u32 v11, 8, v11
	s_wait_xcnt 0x0
	v_add_nc_u32_e32 v13, 8, v13
	s_delay_alu instid0(VALU_DEP_2)
	v_cmp_lt_u32_e32 vcc_lo, 21, v9
	s_or_b32 s1, vcc_lo, s1
	s_wait_loadcnt_dscnt 0x0
	v_fmac_f64_e32 v[78:79], v[80:81], v[82:83]
	s_and_not1_b32 exec_lo, exec_lo, s1
	s_cbranch_execnz .LBB36_101
; %bb.102:
	s_or_b32 exec_lo, exec_lo, s1
	v_mov_b32_e32 v9, 0
	ds_load_b64 v[80:81], v9 offset:184
	s_wait_dscnt 0x0
	v_mul_f64_e32 v[78:79], v[78:79], v[80:81]
	scratch_store_b64 off, v[78:79], off offset:184
.LBB36_103:
	s_wait_xcnt 0x0
	s_or_b32 exec_lo, exec_lo, s0
	s_wait_storecnt 0x0
	s_barrier_signal -1
	s_barrier_wait -1
	scratch_load_b64 v[78:79], off, off offset:192
	s_mov_b32 s0, exec_lo
	s_wait_loadcnt 0x0
	ds_store_b64 v1, v[78:79]
	s_wait_dscnt 0x0
	s_barrier_signal -1
	s_barrier_wait -1
	v_cmpx_gt_u32_e32 24, v0
	s_cbranch_execz .LBB36_107
; %bb.104:
	v_mov_b64_e32 v[78:79], 0
	v_dual_add_nc_u32 v9, -1, v0 :: v_dual_mov_b32 v13, v2
	v_add_nc_u32_e32 v11, 0x130, v2
	s_mov_b32 s1, 0
.LBB36_105:                             ; =>This Inner Loop Header: Depth=1
	scratch_load_b64 v[80:81], v13, off
	ds_load_b64 v[82:83], v11
	v_dual_add_nc_u32 v9, 1, v9 :: v_dual_add_nc_u32 v11, 8, v11
	s_wait_xcnt 0x0
	v_add_nc_u32_e32 v13, 8, v13
	s_delay_alu instid0(VALU_DEP_2)
	v_cmp_lt_u32_e32 vcc_lo, 22, v9
	s_or_b32 s1, vcc_lo, s1
	s_wait_loadcnt_dscnt 0x0
	v_fmac_f64_e32 v[78:79], v[80:81], v[82:83]
	s_and_not1_b32 exec_lo, exec_lo, s1
	s_cbranch_execnz .LBB36_105
; %bb.106:
	s_or_b32 exec_lo, exec_lo, s1
	v_mov_b32_e32 v9, 0
	ds_load_b64 v[80:81], v9 offset:192
	s_wait_dscnt 0x0
	v_mul_f64_e32 v[78:79], v[78:79], v[80:81]
	scratch_store_b64 off, v[78:79], off offset:192
.LBB36_107:
	s_wait_xcnt 0x0
	s_or_b32 exec_lo, exec_lo, s0
	s_wait_storecnt 0x0
	s_barrier_signal -1
	s_barrier_wait -1
	scratch_load_b64 v[78:79], off, off offset:200
	;; [unrolled: 40-line block ×13, first 2 shown]
	s_mov_b32 s0, exec_lo
	s_wait_loadcnt 0x0
	ds_store_b64 v1, v[78:79]
	s_wait_dscnt 0x0
	s_barrier_signal -1
	s_barrier_wait -1
	v_cmpx_ne_u32_e32 36, v0
	s_cbranch_execz .LBB36_155
; %bb.152:
	v_mov_b64_e32 v[78:79], 0
	s_mov_b32 s1, 0
.LBB36_153:                             ; =>This Inner Loop Header: Depth=1
	scratch_load_b64 v[80:81], v2, off
	ds_load_b64 v[82:83], v1
	v_dual_add_nc_u32 v3, 1, v3 :: v_dual_add_nc_u32 v1, 8, v1
	s_wait_xcnt 0x0
	v_add_nc_u32_e32 v2, 8, v2
	s_delay_alu instid0(VALU_DEP_2)
	v_cmp_lt_u32_e32 vcc_lo, 34, v3
	s_or_b32 s1, vcc_lo, s1
	s_wait_loadcnt_dscnt 0x0
	v_fmac_f64_e32 v[78:79], v[80:81], v[82:83]
	s_and_not1_b32 exec_lo, exec_lo, s1
	s_cbranch_execnz .LBB36_153
; %bb.154:
	s_or_b32 exec_lo, exec_lo, s1
	v_mov_b32_e32 v1, 0
	ds_load_b64 v[2:3], v1 offset:288
	s_wait_dscnt 0x0
	v_mul_f64_e32 v[2:3], v[78:79], v[2:3]
	scratch_store_b64 off, v[2:3], off offset:288
.LBB36_155:
	s_wait_xcnt 0x0
	s_or_b32 exec_lo, exec_lo, s0
	s_mov_b32 s1, -1
	s_wait_storecnt 0x0
	s_barrier_signal -1
	s_barrier_wait -1
.LBB36_156:
	s_and_b32 vcc_lo, exec_lo, s1
	s_cbranch_vccz .LBB36_158
; %bb.157:
	v_mov_b32_e32 v1, 0
	s_lshl_b64 s[0:1], s[16:17], 2
	s_delay_alu instid0(SALU_CYCLE_1)
	s_add_nc_u64 s[0:1], s[6:7], s[0:1]
	global_load_b32 v1, v1, s[0:1]
	s_wait_loadcnt 0x0
	v_cmp_ne_u32_e32 vcc_lo, 0, v1
	s_cbranch_vccz .LBB36_159
.LBB36_158:
	s_sendmsg sendmsg(MSG_DEALLOC_VGPRS)
	s_endpgm
.LBB36_159:
	s_wait_xcnt 0x0
	v_lshl_add_u32 v1, v0, 3, 0x130
	s_mov_b32 s0, exec_lo
	v_cmpx_eq_u32_e32 36, v0
	s_cbranch_execz .LBB36_161
; %bb.160:
	scratch_load_b64 v[2:3], off, off offset:280
	v_mov_b64_e32 v[78:79], 0
	scratch_store_b64 off, v[78:79], off offset:280
	s_wait_loadcnt 0x0
	ds_store_b64 v1, v[2:3]
.LBB36_161:
	s_wait_xcnt 0x0
	s_or_b32 exec_lo, exec_lo, s0
	s_wait_storecnt_dscnt 0x0
	s_barrier_signal -1
	s_barrier_wait -1
	scratch_load_b128 v[78:81], off, off offset:280
	v_mov_b32_e32 v2, 0
	s_mov_b32 s0, exec_lo
	ds_load_b64 v[82:83], v2 offset:592
	s_wait_loadcnt_dscnt 0x0
	v_fma_f64 v[80:81], v[80:81], v[82:83], 0
	s_delay_alu instid0(VALU_DEP_1)
	v_add_f64_e64 v[78:79], v[78:79], -v[80:81]
	scratch_store_b64 off, v[78:79], off offset:280
	s_wait_xcnt 0x0
	v_cmpx_lt_u32_e32 34, v0
	s_cbranch_execz .LBB36_163
; %bb.162:
	scratch_load_b64 v[78:79], off, off offset:272
	v_mov_b64_e32 v[80:81], 0
	scratch_store_b64 off, v[80:81], off offset:272
	s_wait_loadcnt 0x0
	ds_store_b64 v1, v[78:79]
.LBB36_163:
	s_wait_xcnt 0x0
	s_or_b32 exec_lo, exec_lo, s0
	s_wait_storecnt_dscnt 0x0
	s_barrier_signal -1
	s_barrier_wait -1
	s_clause 0x1
	scratch_load_b128 v[78:81], off, off offset:272
	scratch_load_b64 v[86:87], off, off offset:288
	ds_load_2addr_b64 v[82:85], v2 offset0:73 offset1:74
	s_mov_b32 s0, exec_lo
	s_wait_loadcnt_dscnt 0x100
	v_fma_f64 v[2:3], v[80:81], v[82:83], 0
	s_wait_loadcnt 0x0
	s_delay_alu instid0(VALU_DEP_1) | instskip(NEXT) | instid1(VALU_DEP_1)
	v_fmac_f64_e32 v[2:3], v[86:87], v[84:85]
	v_add_f64_e64 v[2:3], v[78:79], -v[2:3]
	scratch_store_b64 off, v[2:3], off offset:272
	s_wait_xcnt 0x0
	v_cmpx_lt_u32_e32 33, v0
	s_cbranch_execz .LBB36_165
; %bb.164:
	scratch_load_b64 v[2:3], off, off offset:264
	v_mov_b64_e32 v[78:79], 0
	scratch_store_b64 off, v[78:79], off offset:264
	s_wait_loadcnt 0x0
	ds_store_b64 v1, v[2:3]
.LBB36_165:
	s_wait_xcnt 0x0
	s_or_b32 exec_lo, exec_lo, s0
	s_wait_storecnt_dscnt 0x0
	s_barrier_signal -1
	s_barrier_wait -1
	s_clause 0x1
	scratch_load_b128 v[78:81], off, off offset:264
	scratch_load_b128 v[82:85], off, off offset:280
	v_mov_b32_e32 v2, 0
	ds_load_b128 v[86:89], v2 offset:576
	ds_load_b64 v[90:91], v2 offset:592
	s_mov_b32 s0, exec_lo
	s_wait_loadcnt_dscnt 0x101
	v_fma_f64 v[80:81], v[80:81], v[86:87], 0
	s_wait_loadcnt 0x0
	s_delay_alu instid0(VALU_DEP_1) | instskip(SKIP_1) | instid1(VALU_DEP_1)
	v_fmac_f64_e32 v[80:81], v[82:83], v[88:89]
	s_wait_dscnt 0x0
	v_fmac_f64_e32 v[80:81], v[84:85], v[90:91]
	s_delay_alu instid0(VALU_DEP_1)
	v_add_f64_e64 v[78:79], v[78:79], -v[80:81]
	scratch_store_b64 off, v[78:79], off offset:264
	s_wait_xcnt 0x0
	v_cmpx_lt_u32_e32 32, v0
	s_cbranch_execz .LBB36_167
; %bb.166:
	scratch_load_b64 v[78:79], off, off offset:256
	v_mov_b64_e32 v[80:81], 0
	scratch_store_b64 off, v[80:81], off offset:256
	s_wait_loadcnt 0x0
	ds_store_b64 v1, v[78:79]
.LBB36_167:
	s_wait_xcnt 0x0
	s_or_b32 exec_lo, exec_lo, s0
	s_wait_storecnt_dscnt 0x0
	s_barrier_signal -1
	s_barrier_wait -1
	s_clause 0x2
	scratch_load_b128 v[78:81], off, off offset:256
	scratch_load_b128 v[82:85], off, off offset:272
	scratch_load_b64 v[94:95], off, off offset:288
	ds_load_2addr_b64 v[86:89], v2 offset0:71 offset1:72
	ds_load_2addr_b64 v[90:93], v2 offset0:73 offset1:74
	s_mov_b32 s0, exec_lo
	s_wait_loadcnt_dscnt 0x201
	v_fma_f64 v[2:3], v[80:81], v[86:87], 0
	s_wait_loadcnt 0x1
	s_delay_alu instid0(VALU_DEP_1) | instskip(SKIP_1) | instid1(VALU_DEP_1)
	v_fmac_f64_e32 v[2:3], v[82:83], v[88:89]
	s_wait_dscnt 0x0
	v_fmac_f64_e32 v[2:3], v[84:85], v[90:91]
	s_wait_loadcnt 0x0
	s_delay_alu instid0(VALU_DEP_1) | instskip(NEXT) | instid1(VALU_DEP_1)
	v_fmac_f64_e32 v[2:3], v[94:95], v[92:93]
	v_add_f64_e64 v[2:3], v[78:79], -v[2:3]
	scratch_store_b64 off, v[2:3], off offset:256
	s_wait_xcnt 0x0
	v_cmpx_lt_u32_e32 31, v0
	s_cbranch_execz .LBB36_169
; %bb.168:
	scratch_load_b64 v[2:3], off, off offset:248
	v_mov_b64_e32 v[78:79], 0
	scratch_store_b64 off, v[78:79], off offset:248
	s_wait_loadcnt 0x0
	ds_store_b64 v1, v[2:3]
.LBB36_169:
	s_wait_xcnt 0x0
	s_or_b32 exec_lo, exec_lo, s0
	s_wait_storecnt_dscnt 0x0
	s_barrier_signal -1
	s_barrier_wait -1
	s_clause 0x2
	scratch_load_b128 v[78:81], off, off offset:248
	scratch_load_b128 v[82:85], off, off offset:264
	;; [unrolled: 1-line block ×3, first 2 shown]
	v_mov_b32_e32 v2, 0
	ds_load_b128 v[90:93], v2 offset:560
	ds_load_b128 v[94:97], v2 offset:576
	s_mov_b32 s0, exec_lo
	s_wait_loadcnt_dscnt 0x201
	v_fma_f64 v[80:81], v[80:81], v[90:91], 0
	s_wait_loadcnt 0x1
	s_delay_alu instid0(VALU_DEP_1) | instskip(SKIP_4) | instid1(VALU_DEP_1)
	v_fmac_f64_e32 v[80:81], v[82:83], v[92:93]
	ds_load_b64 v[82:83], v2 offset:592
	s_wait_dscnt 0x1
	v_fmac_f64_e32 v[80:81], v[84:85], v[94:95]
	s_wait_loadcnt 0x0
	v_fmac_f64_e32 v[80:81], v[86:87], v[96:97]
	s_wait_dscnt 0x0
	s_delay_alu instid0(VALU_DEP_1) | instskip(NEXT) | instid1(VALU_DEP_1)
	v_fmac_f64_e32 v[80:81], v[88:89], v[82:83]
	v_add_f64_e64 v[78:79], v[78:79], -v[80:81]
	scratch_store_b64 off, v[78:79], off offset:248
	s_wait_xcnt 0x0
	v_cmpx_lt_u32_e32 30, v0
	s_cbranch_execz .LBB36_171
; %bb.170:
	scratch_load_b64 v[78:79], off, off offset:240
	v_mov_b64_e32 v[80:81], 0
	scratch_store_b64 off, v[80:81], off offset:240
	s_wait_loadcnt 0x0
	ds_store_b64 v1, v[78:79]
.LBB36_171:
	s_wait_xcnt 0x0
	s_or_b32 exec_lo, exec_lo, s0
	s_wait_storecnt_dscnt 0x0
	s_barrier_signal -1
	s_barrier_wait -1
	s_clause 0x3
	scratch_load_b128 v[78:81], off, off offset:240
	scratch_load_b128 v[82:85], off, off offset:256
	scratch_load_b128 v[86:89], off, off offset:272
	scratch_load_b64 v[98:99], off, off offset:288
	ds_load_2addr_b64 v[90:93], v2 offset0:69 offset1:70
	ds_load_2addr_b64 v[94:97], v2 offset0:71 offset1:72
	s_mov_b32 s0, exec_lo
	s_wait_loadcnt_dscnt 0x301
	v_fma_f64 v[90:91], v[80:81], v[90:91], 0
	s_wait_loadcnt 0x2
	s_delay_alu instid0(VALU_DEP_1) | instskip(SKIP_4) | instid1(VALU_DEP_1)
	v_fmac_f64_e32 v[90:91], v[82:83], v[92:93]
	ds_load_2addr_b64 v[80:83], v2 offset0:73 offset1:74
	s_wait_dscnt 0x1
	v_fmac_f64_e32 v[90:91], v[84:85], v[94:95]
	s_wait_loadcnt 0x1
	v_fmac_f64_e32 v[90:91], v[86:87], v[96:97]
	s_wait_dscnt 0x0
	s_delay_alu instid0(VALU_DEP_1) | instskip(SKIP_1) | instid1(VALU_DEP_1)
	v_fmac_f64_e32 v[90:91], v[88:89], v[80:81]
	s_wait_loadcnt 0x0
	v_fmac_f64_e32 v[90:91], v[98:99], v[82:83]
	s_delay_alu instid0(VALU_DEP_1)
	v_add_f64_e64 v[2:3], v[78:79], -v[90:91]
	scratch_store_b64 off, v[2:3], off offset:240
	s_wait_xcnt 0x0
	v_cmpx_lt_u32_e32 29, v0
	s_cbranch_execz .LBB36_173
; %bb.172:
	scratch_load_b64 v[2:3], off, off offset:232
	v_mov_b64_e32 v[78:79], 0
	scratch_store_b64 off, v[78:79], off offset:232
	s_wait_loadcnt 0x0
	ds_store_b64 v1, v[2:3]
.LBB36_173:
	s_wait_xcnt 0x0
	s_or_b32 exec_lo, exec_lo, s0
	s_wait_storecnt_dscnt 0x0
	s_barrier_signal -1
	s_barrier_wait -1
	s_clause 0x3
	scratch_load_b128 v[78:81], off, off offset:232
	scratch_load_b128 v[82:85], off, off offset:248
	;; [unrolled: 1-line block ×4, first 2 shown]
	v_mov_b32_e32 v2, 0
	ds_load_b128 v[94:97], v2 offset:544
	ds_load_b128 v[98:101], v2 offset:560
	s_mov_b32 s0, exec_lo
	s_wait_loadcnt_dscnt 0x301
	v_fma_f64 v[94:95], v[80:81], v[94:95], 0
	s_wait_loadcnt 0x2
	s_delay_alu instid0(VALU_DEP_1) | instskip(SKIP_1) | instid1(VALU_DEP_1)
	v_fmac_f64_e32 v[94:95], v[82:83], v[96:97]
	s_wait_dscnt 0x0
	v_fmac_f64_e32 v[94:95], v[84:85], v[98:99]
	ds_load_b128 v[80:83], v2 offset:576
	ds_load_b64 v[84:85], v2 offset:592
	s_wait_loadcnt 0x1
	v_fmac_f64_e32 v[94:95], v[86:87], v[100:101]
	s_wait_dscnt 0x1
	s_delay_alu instid0(VALU_DEP_1) | instskip(SKIP_1) | instid1(VALU_DEP_1)
	v_fmac_f64_e32 v[94:95], v[88:89], v[80:81]
	s_wait_loadcnt 0x0
	v_fmac_f64_e32 v[94:95], v[90:91], v[82:83]
	s_wait_dscnt 0x0
	s_delay_alu instid0(VALU_DEP_1) | instskip(NEXT) | instid1(VALU_DEP_1)
	v_fmac_f64_e32 v[94:95], v[92:93], v[84:85]
	v_add_f64_e64 v[78:79], v[78:79], -v[94:95]
	scratch_store_b64 off, v[78:79], off offset:232
	s_wait_xcnt 0x0
	v_cmpx_lt_u32_e32 28, v0
	s_cbranch_execz .LBB36_175
; %bb.174:
	scratch_load_b64 v[78:79], off, off offset:224
	v_mov_b64_e32 v[80:81], 0
	scratch_store_b64 off, v[80:81], off offset:224
	s_wait_loadcnt 0x0
	ds_store_b64 v1, v[78:79]
.LBB36_175:
	s_wait_xcnt 0x0
	s_or_b32 exec_lo, exec_lo, s0
	s_wait_storecnt_dscnt 0x0
	s_barrier_signal -1
	s_barrier_wait -1
	s_clause 0x4
	scratch_load_b128 v[78:81], off, off offset:224
	scratch_load_b128 v[82:85], off, off offset:240
	;; [unrolled: 1-line block ×4, first 2 shown]
	scratch_load_b64 v[102:103], off, off offset:288
	ds_load_2addr_b64 v[94:97], v2 offset0:67 offset1:68
	ds_load_2addr_b64 v[98:101], v2 offset0:69 offset1:70
	s_mov_b32 s0, exec_lo
	s_wait_loadcnt_dscnt 0x401
	v_fma_f64 v[94:95], v[80:81], v[94:95], 0
	s_wait_loadcnt 0x3
	s_delay_alu instid0(VALU_DEP_1) | instskip(SKIP_1) | instid1(VALU_DEP_1)
	v_fmac_f64_e32 v[94:95], v[82:83], v[96:97]
	s_wait_dscnt 0x0
	v_fmac_f64_e32 v[94:95], v[84:85], v[98:99]
	s_wait_loadcnt 0x2
	s_delay_alu instid0(VALU_DEP_1)
	v_fmac_f64_e32 v[94:95], v[86:87], v[100:101]
	ds_load_2addr_b64 v[80:83], v2 offset0:71 offset1:72
	ds_load_2addr_b64 v[84:87], v2 offset0:73 offset1:74
	s_wait_dscnt 0x1
	v_fmac_f64_e32 v[94:95], v[88:89], v[80:81]
	s_wait_loadcnt 0x1
	s_delay_alu instid0(VALU_DEP_1) | instskip(SKIP_1) | instid1(VALU_DEP_1)
	v_fmac_f64_e32 v[94:95], v[90:91], v[82:83]
	s_wait_dscnt 0x0
	v_fmac_f64_e32 v[94:95], v[92:93], v[84:85]
	s_wait_loadcnt 0x0
	s_delay_alu instid0(VALU_DEP_1) | instskip(NEXT) | instid1(VALU_DEP_1)
	v_fmac_f64_e32 v[94:95], v[102:103], v[86:87]
	v_add_f64_e64 v[2:3], v[78:79], -v[94:95]
	scratch_store_b64 off, v[2:3], off offset:224
	s_wait_xcnt 0x0
	v_cmpx_lt_u32_e32 27, v0
	s_cbranch_execz .LBB36_177
; %bb.176:
	scratch_load_b64 v[2:3], off, off offset:216
	v_mov_b64_e32 v[78:79], 0
	scratch_store_b64 off, v[78:79], off offset:216
	s_wait_loadcnt 0x0
	ds_store_b64 v1, v[2:3]
.LBB36_177:
	s_wait_xcnt 0x0
	s_or_b32 exec_lo, exec_lo, s0
	s_wait_storecnt_dscnt 0x0
	s_barrier_signal -1
	s_barrier_wait -1
	s_clause 0x4
	scratch_load_b128 v[78:81], off, off offset:216
	scratch_load_b128 v[82:85], off, off offset:232
	;; [unrolled: 1-line block ×5, first 2 shown]
	v_mov_b32_e32 v2, 0
	ds_load_b128 v[98:101], v2 offset:528
	ds_load_b128 v[102:105], v2 offset:544
	s_mov_b32 s0, exec_lo
	s_wait_loadcnt_dscnt 0x401
	v_fma_f64 v[98:99], v[80:81], v[98:99], 0
	s_wait_loadcnt 0x3
	s_delay_alu instid0(VALU_DEP_1) | instskip(SKIP_1) | instid1(VALU_DEP_1)
	v_fmac_f64_e32 v[98:99], v[82:83], v[100:101]
	s_wait_dscnt 0x0
	v_fmac_f64_e32 v[98:99], v[84:85], v[102:103]
	s_wait_loadcnt 0x2
	s_delay_alu instid0(VALU_DEP_1)
	v_fmac_f64_e32 v[98:99], v[86:87], v[104:105]
	ds_load_b128 v[80:83], v2 offset:560
	ds_load_b128 v[84:87], v2 offset:576
	s_wait_dscnt 0x1
	v_fmac_f64_e32 v[98:99], v[88:89], v[80:81]
	ds_load_b64 v[80:81], v2 offset:592
	s_wait_loadcnt 0x1
	v_fmac_f64_e32 v[98:99], v[90:91], v[82:83]
	s_wait_dscnt 0x1
	s_delay_alu instid0(VALU_DEP_1) | instskip(SKIP_1) | instid1(VALU_DEP_1)
	v_fmac_f64_e32 v[98:99], v[92:93], v[84:85]
	s_wait_loadcnt 0x0
	v_fmac_f64_e32 v[98:99], v[94:95], v[86:87]
	s_wait_dscnt 0x0
	s_delay_alu instid0(VALU_DEP_1) | instskip(NEXT) | instid1(VALU_DEP_1)
	v_fmac_f64_e32 v[98:99], v[96:97], v[80:81]
	v_add_f64_e64 v[78:79], v[78:79], -v[98:99]
	scratch_store_b64 off, v[78:79], off offset:216
	s_wait_xcnt 0x0
	v_cmpx_lt_u32_e32 26, v0
	s_cbranch_execz .LBB36_179
; %bb.178:
	scratch_load_b64 v[78:79], off, off offset:208
	v_mov_b64_e32 v[80:81], 0
	scratch_store_b64 off, v[80:81], off offset:208
	s_wait_loadcnt 0x0
	ds_store_b64 v1, v[78:79]
.LBB36_179:
	s_wait_xcnt 0x0
	s_or_b32 exec_lo, exec_lo, s0
	s_wait_storecnt_dscnt 0x0
	s_barrier_signal -1
	s_barrier_wait -1
	s_clause 0x5
	scratch_load_b128 v[78:81], off, off offset:208
	scratch_load_b128 v[82:85], off, off offset:224
	;; [unrolled: 1-line block ×5, first 2 shown]
	scratch_load_b64 v[106:107], off, off offset:288
	ds_load_2addr_b64 v[98:101], v2 offset0:65 offset1:66
	ds_load_2addr_b64 v[102:105], v2 offset0:67 offset1:68
	s_mov_b32 s0, exec_lo
	s_wait_loadcnt_dscnt 0x501
	v_fma_f64 v[98:99], v[80:81], v[98:99], 0
	s_wait_loadcnt 0x4
	s_delay_alu instid0(VALU_DEP_1) | instskip(SKIP_1) | instid1(VALU_DEP_1)
	v_fmac_f64_e32 v[98:99], v[82:83], v[100:101]
	s_wait_dscnt 0x0
	v_fmac_f64_e32 v[98:99], v[84:85], v[102:103]
	s_wait_loadcnt 0x3
	s_delay_alu instid0(VALU_DEP_1)
	v_fmac_f64_e32 v[98:99], v[86:87], v[104:105]
	ds_load_2addr_b64 v[80:83], v2 offset0:69 offset1:70
	ds_load_2addr_b64 v[84:87], v2 offset0:71 offset1:72
	s_wait_dscnt 0x1
	v_fmac_f64_e32 v[98:99], v[88:89], v[80:81]
	s_wait_loadcnt 0x2
	s_delay_alu instid0(VALU_DEP_1) | instskip(SKIP_4) | instid1(VALU_DEP_1)
	v_fmac_f64_e32 v[98:99], v[90:91], v[82:83]
	ds_load_2addr_b64 v[80:83], v2 offset0:73 offset1:74
	s_wait_dscnt 0x1
	v_fmac_f64_e32 v[98:99], v[92:93], v[84:85]
	s_wait_loadcnt 0x1
	v_fmac_f64_e32 v[98:99], v[94:95], v[86:87]
	s_wait_dscnt 0x0
	s_delay_alu instid0(VALU_DEP_1) | instskip(SKIP_1) | instid1(VALU_DEP_1)
	v_fmac_f64_e32 v[98:99], v[96:97], v[80:81]
	s_wait_loadcnt 0x0
	v_fmac_f64_e32 v[98:99], v[106:107], v[82:83]
	s_delay_alu instid0(VALU_DEP_1)
	v_add_f64_e64 v[2:3], v[78:79], -v[98:99]
	scratch_store_b64 off, v[2:3], off offset:208
	s_wait_xcnt 0x0
	v_cmpx_lt_u32_e32 25, v0
	s_cbranch_execz .LBB36_181
; %bb.180:
	scratch_load_b64 v[2:3], off, off offset:200
	v_mov_b64_e32 v[78:79], 0
	scratch_store_b64 off, v[78:79], off offset:200
	s_wait_loadcnt 0x0
	ds_store_b64 v1, v[2:3]
.LBB36_181:
	s_wait_xcnt 0x0
	s_or_b32 exec_lo, exec_lo, s0
	s_wait_storecnt_dscnt 0x0
	s_barrier_signal -1
	s_barrier_wait -1
	s_clause 0x5
	scratch_load_b128 v[78:81], off, off offset:200
	scratch_load_b128 v[82:85], off, off offset:216
	;; [unrolled: 1-line block ×6, first 2 shown]
	v_mov_b32_e32 v2, 0
	ds_load_b128 v[102:105], v2 offset:512
	ds_load_b128 v[106:109], v2 offset:528
	s_mov_b32 s0, exec_lo
	s_wait_loadcnt_dscnt 0x501
	v_fma_f64 v[102:103], v[80:81], v[102:103], 0
	s_wait_loadcnt 0x4
	s_delay_alu instid0(VALU_DEP_1) | instskip(SKIP_1) | instid1(VALU_DEP_1)
	v_fmac_f64_e32 v[102:103], v[82:83], v[104:105]
	s_wait_dscnt 0x0
	v_fmac_f64_e32 v[102:103], v[84:85], v[106:107]
	s_wait_loadcnt 0x3
	s_delay_alu instid0(VALU_DEP_1)
	v_fmac_f64_e32 v[102:103], v[86:87], v[108:109]
	ds_load_b128 v[80:83], v2 offset:544
	ds_load_b128 v[84:87], v2 offset:560
	s_wait_dscnt 0x1
	v_fmac_f64_e32 v[102:103], v[88:89], v[80:81]
	s_wait_loadcnt 0x2
	s_delay_alu instid0(VALU_DEP_1) | instskip(SKIP_1) | instid1(VALU_DEP_1)
	v_fmac_f64_e32 v[102:103], v[90:91], v[82:83]
	s_wait_dscnt 0x0
	v_fmac_f64_e32 v[102:103], v[92:93], v[84:85]
	ds_load_b128 v[80:83], v2 offset:576
	ds_load_b64 v[84:85], v2 offset:592
	s_wait_loadcnt 0x1
	v_fmac_f64_e32 v[102:103], v[94:95], v[86:87]
	s_wait_dscnt 0x1
	s_delay_alu instid0(VALU_DEP_1) | instskip(SKIP_1) | instid1(VALU_DEP_1)
	v_fmac_f64_e32 v[102:103], v[96:97], v[80:81]
	s_wait_loadcnt 0x0
	v_fmac_f64_e32 v[102:103], v[98:99], v[82:83]
	s_wait_dscnt 0x0
	s_delay_alu instid0(VALU_DEP_1) | instskip(NEXT) | instid1(VALU_DEP_1)
	v_fmac_f64_e32 v[102:103], v[100:101], v[84:85]
	v_add_f64_e64 v[78:79], v[78:79], -v[102:103]
	scratch_store_b64 off, v[78:79], off offset:200
	s_wait_xcnt 0x0
	v_cmpx_lt_u32_e32 24, v0
	s_cbranch_execz .LBB36_183
; %bb.182:
	scratch_load_b64 v[78:79], off, off offset:192
	v_mov_b64_e32 v[80:81], 0
	scratch_store_b64 off, v[80:81], off offset:192
	s_wait_loadcnt 0x0
	ds_store_b64 v1, v[78:79]
.LBB36_183:
	s_wait_xcnt 0x0
	s_or_b32 exec_lo, exec_lo, s0
	s_wait_storecnt_dscnt 0x0
	s_barrier_signal -1
	s_barrier_wait -1
	s_clause 0x5
	scratch_load_b128 v[78:81], off, off offset:192
	scratch_load_b128 v[82:85], off, off offset:208
	;; [unrolled: 1-line block ×6, first 2 shown]
	ds_load_2addr_b64 v[102:105], v2 offset0:63 offset1:64
	ds_load_2addr_b64 v[106:109], v2 offset0:65 offset1:66
	s_mov_b32 s0, exec_lo
	s_wait_loadcnt_dscnt 0x501
	v_fma_f64 v[102:103], v[80:81], v[102:103], 0
	s_wait_loadcnt 0x4
	s_delay_alu instid0(VALU_DEP_1) | instskip(SKIP_4) | instid1(VALU_DEP_1)
	v_fmac_f64_e32 v[102:103], v[82:83], v[104:105]
	scratch_load_b64 v[104:105], off, off offset:288
	s_wait_dscnt 0x0
	v_fmac_f64_e32 v[102:103], v[84:85], v[106:107]
	s_wait_loadcnt 0x4
	v_fmac_f64_e32 v[102:103], v[86:87], v[108:109]
	ds_load_2addr_b64 v[80:83], v2 offset0:67 offset1:68
	ds_load_2addr_b64 v[84:87], v2 offset0:69 offset1:70
	s_wait_dscnt 0x1
	v_fmac_f64_e32 v[102:103], v[88:89], v[80:81]
	s_wait_loadcnt 0x3
	s_delay_alu instid0(VALU_DEP_1) | instskip(SKIP_1) | instid1(VALU_DEP_1)
	v_fmac_f64_e32 v[102:103], v[90:91], v[82:83]
	s_wait_dscnt 0x0
	v_fmac_f64_e32 v[102:103], v[92:93], v[84:85]
	s_wait_loadcnt 0x2
	s_delay_alu instid0(VALU_DEP_1)
	v_fmac_f64_e32 v[102:103], v[94:95], v[86:87]
	ds_load_2addr_b64 v[80:83], v2 offset0:71 offset1:72
	ds_load_2addr_b64 v[84:87], v2 offset0:73 offset1:74
	s_wait_dscnt 0x1
	v_fmac_f64_e32 v[102:103], v[96:97], v[80:81]
	s_wait_loadcnt 0x1
	s_delay_alu instid0(VALU_DEP_1) | instskip(SKIP_1) | instid1(VALU_DEP_1)
	v_fmac_f64_e32 v[102:103], v[98:99], v[82:83]
	s_wait_dscnt 0x0
	v_fmac_f64_e32 v[102:103], v[100:101], v[84:85]
	s_wait_loadcnt 0x0
	s_delay_alu instid0(VALU_DEP_1) | instskip(NEXT) | instid1(VALU_DEP_1)
	v_fmac_f64_e32 v[102:103], v[104:105], v[86:87]
	v_add_f64_e64 v[2:3], v[78:79], -v[102:103]
	scratch_store_b64 off, v[2:3], off offset:192
	s_wait_xcnt 0x0
	v_cmpx_lt_u32_e32 23, v0
	s_cbranch_execz .LBB36_185
; %bb.184:
	scratch_load_b64 v[2:3], off, off offset:184
	v_mov_b64_e32 v[78:79], 0
	scratch_store_b64 off, v[78:79], off offset:184
	s_wait_loadcnt 0x0
	ds_store_b64 v1, v[2:3]
.LBB36_185:
	s_wait_xcnt 0x0
	s_or_b32 exec_lo, exec_lo, s0
	s_wait_storecnt_dscnt 0x0
	s_barrier_signal -1
	s_barrier_wait -1
	s_clause 0x5
	scratch_load_b128 v[78:81], off, off offset:184
	scratch_load_b128 v[82:85], off, off offset:200
	;; [unrolled: 1-line block ×6, first 2 shown]
	v_mov_b32_e32 v2, 0
	ds_load_b128 v[102:105], v2 offset:496
	ds_load_b128 v[106:109], v2 offset:512
	s_mov_b32 s0, exec_lo
	s_wait_loadcnt_dscnt 0x501
	v_fma_f64 v[110:111], v[80:81], v[102:103], 0
	s_wait_loadcnt 0x4
	s_delay_alu instid0(VALU_DEP_1) | instskip(SKIP_4) | instid1(VALU_DEP_1)
	v_fmac_f64_e32 v[110:111], v[82:83], v[104:105]
	scratch_load_b128 v[80:83], off, off offset:280
	s_wait_dscnt 0x0
	v_fmac_f64_e32 v[110:111], v[84:85], v[106:107]
	s_wait_loadcnt 0x4
	v_fmac_f64_e32 v[110:111], v[86:87], v[108:109]
	ds_load_b128 v[84:87], v2 offset:528
	ds_load_b128 v[102:105], v2 offset:544
	s_wait_dscnt 0x1
	v_fmac_f64_e32 v[110:111], v[88:89], v[84:85]
	s_wait_loadcnt 0x3
	s_delay_alu instid0(VALU_DEP_1)
	v_fmac_f64_e32 v[110:111], v[90:91], v[86:87]
	ds_load_b128 v[84:87], v2 offset:560
	ds_load_b128 v[88:91], v2 offset:576
	s_wait_dscnt 0x2
	v_fmac_f64_e32 v[110:111], v[92:93], v[102:103]
	s_wait_loadcnt 0x2
	s_delay_alu instid0(VALU_DEP_1) | instskip(SKIP_1) | instid1(VALU_DEP_1)
	v_fmac_f64_e32 v[110:111], v[94:95], v[104:105]
	s_wait_dscnt 0x1
	v_fmac_f64_e32 v[110:111], v[96:97], v[84:85]
	s_wait_loadcnt 0x1
	s_delay_alu instid0(VALU_DEP_1) | instskip(SKIP_1) | instid1(VALU_DEP_1)
	v_fmac_f64_e32 v[110:111], v[98:99], v[86:87]
	s_wait_dscnt 0x0
	v_fmac_f64_e32 v[110:111], v[100:101], v[88:89]
	s_wait_loadcnt 0x0
	s_delay_alu instid0(VALU_DEP_1) | instskip(SKIP_3) | instid1(VALU_DEP_1)
	v_fmac_f64_e32 v[110:111], v[80:81], v[90:91]
	ds_load_b64 v[80:81], v2 offset:592
	s_wait_dscnt 0x0
	v_fmac_f64_e32 v[110:111], v[82:83], v[80:81]
	v_add_f64_e64 v[78:79], v[78:79], -v[110:111]
	scratch_store_b64 off, v[78:79], off offset:184
	s_wait_xcnt 0x0
	v_cmpx_lt_u32_e32 22, v0
	s_cbranch_execz .LBB36_187
; %bb.186:
	scratch_load_b64 v[78:79], off, off offset:176
	v_mov_b64_e32 v[80:81], 0
	scratch_store_b64 off, v[80:81], off offset:176
	s_wait_loadcnt 0x0
	ds_store_b64 v1, v[78:79]
.LBB36_187:
	s_wait_xcnt 0x0
	s_or_b32 exec_lo, exec_lo, s0
	s_wait_storecnt_dscnt 0x0
	s_barrier_signal -1
	s_barrier_wait -1
	s_clause 0x5
	scratch_load_b128 v[78:81], off, off offset:176
	scratch_load_b128 v[82:85], off, off offset:192
	;; [unrolled: 1-line block ×6, first 2 shown]
	ds_load_2addr_b64 v[102:105], v2 offset0:61 offset1:62
	ds_load_2addr_b64 v[106:109], v2 offset0:63 offset1:64
	s_mov_b32 s0, exec_lo
	s_wait_loadcnt_dscnt 0x501
	v_fma_f64 v[110:111], v[80:81], v[102:103], 0
	s_wait_loadcnt 0x4
	s_delay_alu instid0(VALU_DEP_1)
	v_fmac_f64_e32 v[110:111], v[82:83], v[104:105]
	scratch_load_b128 v[80:83], off, off offset:272
	s_wait_dscnt 0x0
	v_fmac_f64_e32 v[110:111], v[84:85], v[106:107]
	scratch_load_b64 v[106:107], off, off offset:288
	s_wait_loadcnt 0x5
	v_fmac_f64_e32 v[110:111], v[86:87], v[108:109]
	ds_load_2addr_b64 v[84:87], v2 offset0:65 offset1:66
	ds_load_2addr_b64 v[102:105], v2 offset0:67 offset1:68
	s_wait_dscnt 0x1
	v_fmac_f64_e32 v[110:111], v[88:89], v[84:85]
	s_wait_loadcnt 0x4
	s_delay_alu instid0(VALU_DEP_1)
	v_fmac_f64_e32 v[110:111], v[90:91], v[86:87]
	ds_load_2addr_b64 v[84:87], v2 offset0:69 offset1:70
	ds_load_2addr_b64 v[88:91], v2 offset0:71 offset1:72
	s_wait_dscnt 0x2
	v_fmac_f64_e32 v[110:111], v[92:93], v[102:103]
	s_wait_loadcnt 0x3
	s_delay_alu instid0(VALU_DEP_1) | instskip(SKIP_1) | instid1(VALU_DEP_1)
	v_fmac_f64_e32 v[110:111], v[94:95], v[104:105]
	s_wait_dscnt 0x1
	v_fmac_f64_e32 v[110:111], v[96:97], v[84:85]
	s_wait_loadcnt 0x2
	s_delay_alu instid0(VALU_DEP_1) | instskip(SKIP_4) | instid1(VALU_DEP_1)
	v_fmac_f64_e32 v[110:111], v[98:99], v[86:87]
	ds_load_2addr_b64 v[84:87], v2 offset0:73 offset1:74
	s_wait_dscnt 0x1
	v_fmac_f64_e32 v[110:111], v[100:101], v[88:89]
	s_wait_loadcnt 0x1
	v_fmac_f64_e32 v[110:111], v[80:81], v[90:91]
	s_wait_dscnt 0x0
	s_delay_alu instid0(VALU_DEP_1) | instskip(SKIP_1) | instid1(VALU_DEP_1)
	v_fmac_f64_e32 v[110:111], v[82:83], v[84:85]
	s_wait_loadcnt 0x0
	v_fmac_f64_e32 v[110:111], v[106:107], v[86:87]
	s_delay_alu instid0(VALU_DEP_1)
	v_add_f64_e64 v[2:3], v[78:79], -v[110:111]
	scratch_store_b64 off, v[2:3], off offset:176
	s_wait_xcnt 0x0
	v_cmpx_lt_u32_e32 21, v0
	s_cbranch_execz .LBB36_189
; %bb.188:
	scratch_load_b64 v[2:3], off, off offset:168
	v_mov_b64_e32 v[78:79], 0
	scratch_store_b64 off, v[78:79], off offset:168
	s_wait_loadcnt 0x0
	ds_store_b64 v1, v[2:3]
.LBB36_189:
	s_wait_xcnt 0x0
	s_or_b32 exec_lo, exec_lo, s0
	s_wait_storecnt_dscnt 0x0
	s_barrier_signal -1
	s_barrier_wait -1
	s_clause 0x5
	scratch_load_b128 v[78:81], off, off offset:168
	scratch_load_b128 v[82:85], off, off offset:184
	;; [unrolled: 1-line block ×6, first 2 shown]
	v_mov_b32_e32 v2, 0
	ds_load_b128 v[102:105], v2 offset:480
	ds_load_b128 v[106:109], v2 offset:496
	s_mov_b32 s0, exec_lo
	s_wait_loadcnt_dscnt 0x501
	v_fma_f64 v[110:111], v[80:81], v[102:103], 0
	s_wait_loadcnt 0x4
	s_delay_alu instid0(VALU_DEP_1) | instskip(SKIP_4) | instid1(VALU_DEP_1)
	v_fmac_f64_e32 v[110:111], v[82:83], v[104:105]
	scratch_load_b128 v[80:83], off, off offset:264
	s_wait_dscnt 0x0
	v_fmac_f64_e32 v[110:111], v[84:85], v[106:107]
	s_wait_loadcnt 0x4
	v_fmac_f64_e32 v[110:111], v[86:87], v[108:109]
	scratch_load_b128 v[84:87], off, off offset:280
	ds_load_b128 v[102:105], v2 offset:512
	ds_load_b128 v[106:109], v2 offset:528
	s_wait_dscnt 0x1
	v_fmac_f64_e32 v[110:111], v[88:89], v[102:103]
	s_wait_loadcnt 0x4
	s_delay_alu instid0(VALU_DEP_1) | instskip(SKIP_1) | instid1(VALU_DEP_1)
	v_fmac_f64_e32 v[110:111], v[90:91], v[104:105]
	s_wait_dscnt 0x0
	v_fmac_f64_e32 v[110:111], v[92:93], v[106:107]
	s_wait_loadcnt 0x3
	s_delay_alu instid0(VALU_DEP_1)
	v_fmac_f64_e32 v[110:111], v[94:95], v[108:109]
	ds_load_b128 v[88:91], v2 offset:544
	ds_load_b128 v[92:95], v2 offset:560
	s_wait_dscnt 0x1
	v_fmac_f64_e32 v[110:111], v[96:97], v[88:89]
	s_wait_loadcnt 0x2
	s_delay_alu instid0(VALU_DEP_1) | instskip(SKIP_1) | instid1(VALU_DEP_1)
	v_fmac_f64_e32 v[110:111], v[98:99], v[90:91]
	s_wait_dscnt 0x0
	v_fmac_f64_e32 v[110:111], v[100:101], v[92:93]
	s_wait_loadcnt 0x1
	s_delay_alu instid0(VALU_DEP_1)
	v_fmac_f64_e32 v[110:111], v[80:81], v[94:95]
	ds_load_b128 v[88:91], v2 offset:576
	ds_load_b64 v[80:81], v2 offset:592
	s_wait_dscnt 0x1
	v_fmac_f64_e32 v[110:111], v[82:83], v[88:89]
	s_wait_loadcnt 0x0
	s_delay_alu instid0(VALU_DEP_1) | instskip(SKIP_1) | instid1(VALU_DEP_1)
	v_fmac_f64_e32 v[110:111], v[84:85], v[90:91]
	s_wait_dscnt 0x0
	v_fmac_f64_e32 v[110:111], v[86:87], v[80:81]
	s_delay_alu instid0(VALU_DEP_1)
	v_add_f64_e64 v[78:79], v[78:79], -v[110:111]
	scratch_store_b64 off, v[78:79], off offset:168
	s_wait_xcnt 0x0
	v_cmpx_lt_u32_e32 20, v0
	s_cbranch_execz .LBB36_191
; %bb.190:
	scratch_load_b64 v[78:79], off, off offset:160
	v_mov_b64_e32 v[80:81], 0
	scratch_store_b64 off, v[80:81], off offset:160
	s_wait_loadcnt 0x0
	ds_store_b64 v1, v[78:79]
.LBB36_191:
	s_wait_xcnt 0x0
	s_or_b32 exec_lo, exec_lo, s0
	s_wait_storecnt_dscnt 0x0
	s_barrier_signal -1
	s_barrier_wait -1
	s_clause 0x5
	scratch_load_b128 v[78:81], off, off offset:160
	scratch_load_b128 v[82:85], off, off offset:176
	;; [unrolled: 1-line block ×6, first 2 shown]
	ds_load_2addr_b64 v[102:105], v2 offset0:59 offset1:60
	ds_load_2addr_b64 v[106:109], v2 offset0:61 offset1:62
	s_mov_b32 s0, exec_lo
	s_wait_loadcnt_dscnt 0x501
	v_fma_f64 v[110:111], v[80:81], v[102:103], 0
	s_wait_loadcnt 0x4
	s_delay_alu instid0(VALU_DEP_1) | instskip(SKIP_4) | instid1(VALU_DEP_1)
	v_fmac_f64_e32 v[110:111], v[82:83], v[104:105]
	scratch_load_b128 v[80:83], off, off offset:256
	s_wait_dscnt 0x0
	v_fmac_f64_e32 v[110:111], v[84:85], v[106:107]
	s_wait_loadcnt 0x4
	v_fmac_f64_e32 v[110:111], v[86:87], v[108:109]
	scratch_load_b128 v[84:87], off, off offset:272
	ds_load_2addr_b64 v[102:105], v2 offset0:63 offset1:64
	ds_load_2addr_b64 v[106:109], v2 offset0:65 offset1:66
	s_wait_dscnt 0x1
	v_fmac_f64_e32 v[110:111], v[88:89], v[102:103]
	scratch_load_b64 v[102:103], off, off offset:288
	s_wait_loadcnt 0x5
	v_fmac_f64_e32 v[110:111], v[90:91], v[104:105]
	s_wait_dscnt 0x0
	s_delay_alu instid0(VALU_DEP_1) | instskip(SKIP_1) | instid1(VALU_DEP_1)
	v_fmac_f64_e32 v[110:111], v[92:93], v[106:107]
	s_wait_loadcnt 0x4
	v_fmac_f64_e32 v[110:111], v[94:95], v[108:109]
	ds_load_2addr_b64 v[88:91], v2 offset0:67 offset1:68
	ds_load_2addr_b64 v[92:95], v2 offset0:69 offset1:70
	s_wait_dscnt 0x1
	v_fmac_f64_e32 v[110:111], v[96:97], v[88:89]
	s_wait_loadcnt 0x3
	s_delay_alu instid0(VALU_DEP_1) | instskip(SKIP_1) | instid1(VALU_DEP_1)
	v_fmac_f64_e32 v[110:111], v[98:99], v[90:91]
	s_wait_dscnt 0x0
	v_fmac_f64_e32 v[110:111], v[100:101], v[92:93]
	s_wait_loadcnt 0x2
	s_delay_alu instid0(VALU_DEP_1)
	v_fmac_f64_e32 v[110:111], v[80:81], v[94:95]
	ds_load_2addr_b64 v[88:91], v2 offset0:71 offset1:72
	ds_load_2addr_b64 v[92:95], v2 offset0:73 offset1:74
	s_wait_dscnt 0x1
	v_fmac_f64_e32 v[110:111], v[82:83], v[88:89]
	s_wait_loadcnt 0x1
	s_delay_alu instid0(VALU_DEP_1) | instskip(SKIP_1) | instid1(VALU_DEP_1)
	v_fmac_f64_e32 v[110:111], v[84:85], v[90:91]
	s_wait_dscnt 0x0
	v_fmac_f64_e32 v[110:111], v[86:87], v[92:93]
	s_wait_loadcnt 0x0
	s_delay_alu instid0(VALU_DEP_1) | instskip(NEXT) | instid1(VALU_DEP_1)
	v_fmac_f64_e32 v[110:111], v[102:103], v[94:95]
	v_add_f64_e64 v[2:3], v[78:79], -v[110:111]
	scratch_store_b64 off, v[2:3], off offset:160
	s_wait_xcnt 0x0
	v_cmpx_lt_u32_e32 19, v0
	s_cbranch_execz .LBB36_193
; %bb.192:
	scratch_load_b64 v[2:3], off, off offset:152
	v_mov_b64_e32 v[78:79], 0
	scratch_store_b64 off, v[78:79], off offset:152
	s_wait_loadcnt 0x0
	ds_store_b64 v1, v[2:3]
.LBB36_193:
	s_wait_xcnt 0x0
	s_or_b32 exec_lo, exec_lo, s0
	s_wait_storecnt_dscnt 0x0
	s_barrier_signal -1
	s_barrier_wait -1
	s_clause 0x5
	scratch_load_b128 v[78:81], off, off offset:152
	scratch_load_b128 v[82:85], off, off offset:168
	;; [unrolled: 1-line block ×6, first 2 shown]
	v_mov_b32_e32 v2, 0
	ds_load_b128 v[102:105], v2 offset:464
	ds_load_b128 v[106:109], v2 offset:480
	s_mov_b32 s0, exec_lo
	s_wait_loadcnt_dscnt 0x501
	v_fma_f64 v[110:111], v[80:81], v[102:103], 0
	s_wait_loadcnt 0x4
	s_delay_alu instid0(VALU_DEP_1) | instskip(SKIP_4) | instid1(VALU_DEP_1)
	v_fmac_f64_e32 v[110:111], v[82:83], v[104:105]
	scratch_load_b128 v[80:83], off, off offset:248
	s_wait_dscnt 0x0
	v_fmac_f64_e32 v[110:111], v[84:85], v[106:107]
	s_wait_loadcnt 0x4
	v_fmac_f64_e32 v[110:111], v[86:87], v[108:109]
	scratch_load_b128 v[84:87], off, off offset:264
	ds_load_b128 v[102:105], v2 offset:496
	ds_load_b128 v[106:109], v2 offset:512
	s_wait_dscnt 0x1
	v_fmac_f64_e32 v[110:111], v[88:89], v[102:103]
	s_wait_loadcnt 0x4
	s_delay_alu instid0(VALU_DEP_1) | instskip(SKIP_4) | instid1(VALU_DEP_1)
	v_fmac_f64_e32 v[110:111], v[90:91], v[104:105]
	scratch_load_b128 v[88:91], off, off offset:280
	s_wait_dscnt 0x0
	v_fmac_f64_e32 v[110:111], v[92:93], v[106:107]
	s_wait_loadcnt 0x4
	v_fmac_f64_e32 v[110:111], v[94:95], v[108:109]
	ds_load_b128 v[92:95], v2 offset:528
	ds_load_b128 v[102:105], v2 offset:544
	s_wait_dscnt 0x1
	v_fmac_f64_e32 v[110:111], v[96:97], v[92:93]
	s_wait_loadcnt 0x3
	s_delay_alu instid0(VALU_DEP_1)
	v_fmac_f64_e32 v[110:111], v[98:99], v[94:95]
	ds_load_b128 v[92:95], v2 offset:560
	ds_load_b128 v[96:99], v2 offset:576
	s_wait_dscnt 0x2
	v_fmac_f64_e32 v[110:111], v[100:101], v[102:103]
	s_wait_loadcnt 0x2
	s_delay_alu instid0(VALU_DEP_1) | instskip(SKIP_4) | instid1(VALU_DEP_1)
	v_fmac_f64_e32 v[110:111], v[80:81], v[104:105]
	ds_load_b64 v[80:81], v2 offset:592
	s_wait_dscnt 0x2
	v_fmac_f64_e32 v[110:111], v[82:83], v[92:93]
	s_wait_loadcnt 0x1
	v_fmac_f64_e32 v[110:111], v[84:85], v[94:95]
	s_wait_dscnt 0x1
	s_delay_alu instid0(VALU_DEP_1) | instskip(SKIP_1) | instid1(VALU_DEP_1)
	v_fmac_f64_e32 v[110:111], v[86:87], v[96:97]
	s_wait_loadcnt 0x0
	v_fmac_f64_e32 v[110:111], v[88:89], v[98:99]
	s_wait_dscnt 0x0
	s_delay_alu instid0(VALU_DEP_1) | instskip(NEXT) | instid1(VALU_DEP_1)
	v_fmac_f64_e32 v[110:111], v[90:91], v[80:81]
	v_add_f64_e64 v[78:79], v[78:79], -v[110:111]
	scratch_store_b64 off, v[78:79], off offset:152
	s_wait_xcnt 0x0
	v_cmpx_lt_u32_e32 18, v0
	s_cbranch_execz .LBB36_195
; %bb.194:
	scratch_load_b64 v[78:79], off, off offset:144
	v_mov_b64_e32 v[80:81], 0
	scratch_store_b64 off, v[80:81], off offset:144
	s_wait_loadcnt 0x0
	ds_store_b64 v1, v[78:79]
.LBB36_195:
	s_wait_xcnt 0x0
	s_or_b32 exec_lo, exec_lo, s0
	s_wait_storecnt_dscnt 0x0
	s_barrier_signal -1
	s_barrier_wait -1
	s_clause 0x5
	scratch_load_b128 v[78:81], off, off offset:144
	scratch_load_b128 v[82:85], off, off offset:160
	scratch_load_b128 v[86:89], off, off offset:176
	scratch_load_b128 v[90:93], off, off offset:192
	scratch_load_b128 v[94:97], off, off offset:208
	scratch_load_b128 v[98:101], off, off offset:224
	ds_load_2addr_b64 v[102:105], v2 offset0:57 offset1:58
	ds_load_2addr_b64 v[106:109], v2 offset0:59 offset1:60
	s_mov_b32 s0, exec_lo
	s_wait_loadcnt_dscnt 0x501
	v_fma_f64 v[110:111], v[80:81], v[102:103], 0
	s_wait_loadcnt 0x4
	s_delay_alu instid0(VALU_DEP_1) | instskip(SKIP_4) | instid1(VALU_DEP_1)
	v_fmac_f64_e32 v[110:111], v[82:83], v[104:105]
	scratch_load_b128 v[80:83], off, off offset:240
	s_wait_dscnt 0x0
	v_fmac_f64_e32 v[110:111], v[84:85], v[106:107]
	s_wait_loadcnt 0x4
	v_fmac_f64_e32 v[110:111], v[86:87], v[108:109]
	scratch_load_b128 v[84:87], off, off offset:256
	ds_load_2addr_b64 v[102:105], v2 offset0:61 offset1:62
	ds_load_2addr_b64 v[106:109], v2 offset0:63 offset1:64
	s_wait_dscnt 0x1
	v_fmac_f64_e32 v[110:111], v[88:89], v[102:103]
	s_wait_loadcnt 0x4
	s_delay_alu instid0(VALU_DEP_1)
	v_fmac_f64_e32 v[110:111], v[90:91], v[104:105]
	scratch_load_b128 v[88:91], off, off offset:272
	s_wait_dscnt 0x0
	v_fmac_f64_e32 v[110:111], v[92:93], v[106:107]
	scratch_load_b64 v[106:107], off, off offset:288
	s_wait_loadcnt 0x5
	v_fmac_f64_e32 v[110:111], v[94:95], v[108:109]
	ds_load_2addr_b64 v[92:95], v2 offset0:65 offset1:66
	ds_load_2addr_b64 v[102:105], v2 offset0:67 offset1:68
	s_wait_dscnt 0x1
	v_fmac_f64_e32 v[110:111], v[96:97], v[92:93]
	s_wait_loadcnt 0x4
	s_delay_alu instid0(VALU_DEP_1)
	v_fmac_f64_e32 v[110:111], v[98:99], v[94:95]
	ds_load_2addr_b64 v[92:95], v2 offset0:69 offset1:70
	ds_load_2addr_b64 v[96:99], v2 offset0:71 offset1:72
	s_wait_dscnt 0x2
	v_fmac_f64_e32 v[110:111], v[100:101], v[102:103]
	s_wait_loadcnt 0x3
	s_delay_alu instid0(VALU_DEP_1) | instskip(SKIP_1) | instid1(VALU_DEP_1)
	v_fmac_f64_e32 v[110:111], v[80:81], v[104:105]
	s_wait_dscnt 0x1
	v_fmac_f64_e32 v[110:111], v[82:83], v[92:93]
	ds_load_2addr_b64 v[80:83], v2 offset0:73 offset1:74
	s_wait_loadcnt 0x2
	v_fmac_f64_e32 v[110:111], v[84:85], v[94:95]
	s_wait_dscnt 0x1
	s_delay_alu instid0(VALU_DEP_1) | instskip(SKIP_1) | instid1(VALU_DEP_1)
	v_fmac_f64_e32 v[110:111], v[86:87], v[96:97]
	s_wait_loadcnt 0x1
	v_fmac_f64_e32 v[110:111], v[88:89], v[98:99]
	s_wait_dscnt 0x0
	s_delay_alu instid0(VALU_DEP_1) | instskip(SKIP_1) | instid1(VALU_DEP_1)
	v_fmac_f64_e32 v[110:111], v[90:91], v[80:81]
	s_wait_loadcnt 0x0
	v_fmac_f64_e32 v[110:111], v[106:107], v[82:83]
	s_delay_alu instid0(VALU_DEP_1)
	v_add_f64_e64 v[2:3], v[78:79], -v[110:111]
	scratch_store_b64 off, v[2:3], off offset:144
	s_wait_xcnt 0x0
	v_cmpx_lt_u32_e32 17, v0
	s_cbranch_execz .LBB36_197
; %bb.196:
	scratch_load_b64 v[2:3], off, off offset:136
	v_mov_b64_e32 v[78:79], 0
	scratch_store_b64 off, v[78:79], off offset:136
	s_wait_loadcnt 0x0
	ds_store_b64 v1, v[2:3]
.LBB36_197:
	s_wait_xcnt 0x0
	s_or_b32 exec_lo, exec_lo, s0
	s_wait_storecnt_dscnt 0x0
	s_barrier_signal -1
	s_barrier_wait -1
	s_clause 0x5
	scratch_load_b128 v[78:81], off, off offset:136
	scratch_load_b128 v[82:85], off, off offset:152
	scratch_load_b128 v[86:89], off, off offset:168
	scratch_load_b128 v[90:93], off, off offset:184
	scratch_load_b128 v[94:97], off, off offset:200
	scratch_load_b128 v[98:101], off, off offset:216
	v_mov_b32_e32 v2, 0
	ds_load_b128 v[102:105], v2 offset:448
	ds_load_b128 v[106:109], v2 offset:464
	s_mov_b32 s0, exec_lo
	s_wait_loadcnt_dscnt 0x501
	v_fma_f64 v[110:111], v[80:81], v[102:103], 0
	s_wait_loadcnt 0x4
	s_delay_alu instid0(VALU_DEP_1) | instskip(SKIP_4) | instid1(VALU_DEP_1)
	v_fmac_f64_e32 v[110:111], v[82:83], v[104:105]
	scratch_load_b128 v[80:83], off, off offset:232
	s_wait_dscnt 0x0
	v_fmac_f64_e32 v[110:111], v[84:85], v[106:107]
	s_wait_loadcnt 0x4
	v_fmac_f64_e32 v[110:111], v[86:87], v[108:109]
	scratch_load_b128 v[84:87], off, off offset:248
	ds_load_b128 v[102:105], v2 offset:480
	ds_load_b128 v[106:109], v2 offset:496
	s_wait_dscnt 0x1
	v_fmac_f64_e32 v[110:111], v[88:89], v[102:103]
	s_wait_loadcnt 0x4
	s_delay_alu instid0(VALU_DEP_1) | instskip(SKIP_4) | instid1(VALU_DEP_1)
	v_fmac_f64_e32 v[110:111], v[90:91], v[104:105]
	scratch_load_b128 v[88:91], off, off offset:264
	s_wait_dscnt 0x0
	v_fmac_f64_e32 v[110:111], v[92:93], v[106:107]
	s_wait_loadcnt 0x4
	v_fmac_f64_e32 v[110:111], v[94:95], v[108:109]
	scratch_load_b128 v[92:95], off, off offset:280
	ds_load_b128 v[102:105], v2 offset:512
	ds_load_b128 v[106:109], v2 offset:528
	s_wait_dscnt 0x1
	v_fmac_f64_e32 v[110:111], v[96:97], v[102:103]
	s_wait_loadcnt 0x4
	s_delay_alu instid0(VALU_DEP_1) | instskip(SKIP_1) | instid1(VALU_DEP_1)
	v_fmac_f64_e32 v[110:111], v[98:99], v[104:105]
	s_wait_dscnt 0x0
	v_fmac_f64_e32 v[110:111], v[100:101], v[106:107]
	ds_load_b128 v[96:99], v2 offset:544
	ds_load_b128 v[100:103], v2 offset:560
	s_wait_loadcnt 0x3
	v_fmac_f64_e32 v[110:111], v[80:81], v[108:109]
	s_wait_dscnt 0x1
	s_delay_alu instid0(VALU_DEP_1) | instskip(SKIP_1) | instid1(VALU_DEP_1)
	v_fmac_f64_e32 v[110:111], v[82:83], v[96:97]
	s_wait_loadcnt 0x2
	v_fmac_f64_e32 v[110:111], v[84:85], v[98:99]
	ds_load_b128 v[80:83], v2 offset:576
	ds_load_b64 v[84:85], v2 offset:592
	s_wait_dscnt 0x2
	v_fmac_f64_e32 v[110:111], v[86:87], v[100:101]
	s_wait_loadcnt 0x1
	s_delay_alu instid0(VALU_DEP_1) | instskip(SKIP_1) | instid1(VALU_DEP_1)
	v_fmac_f64_e32 v[110:111], v[88:89], v[102:103]
	s_wait_dscnt 0x1
	v_fmac_f64_e32 v[110:111], v[90:91], v[80:81]
	s_wait_loadcnt 0x0
	s_delay_alu instid0(VALU_DEP_1) | instskip(SKIP_1) | instid1(VALU_DEP_1)
	v_fmac_f64_e32 v[110:111], v[92:93], v[82:83]
	s_wait_dscnt 0x0
	v_fmac_f64_e32 v[110:111], v[94:95], v[84:85]
	s_delay_alu instid0(VALU_DEP_1)
	v_add_f64_e64 v[78:79], v[78:79], -v[110:111]
	scratch_store_b64 off, v[78:79], off offset:136
	s_wait_xcnt 0x0
	v_cmpx_lt_u32_e32 16, v0
	s_cbranch_execz .LBB36_199
; %bb.198:
	scratch_load_b64 v[78:79], off, off offset:128
	v_mov_b64_e32 v[80:81], 0
	scratch_store_b64 off, v[80:81], off offset:128
	s_wait_loadcnt 0x0
	ds_store_b64 v1, v[78:79]
.LBB36_199:
	s_wait_xcnt 0x0
	s_or_b32 exec_lo, exec_lo, s0
	s_wait_storecnt_dscnt 0x0
	s_barrier_signal -1
	s_barrier_wait -1
	s_clause 0x5
	scratch_load_b128 v[78:81], off, off offset:128
	scratch_load_b128 v[82:85], off, off offset:144
	;; [unrolled: 1-line block ×6, first 2 shown]
	ds_load_2addr_b64 v[102:105], v2 offset0:55 offset1:56
	ds_load_2addr_b64 v[106:109], v2 offset0:57 offset1:58
	s_mov_b32 s0, exec_lo
	s_wait_loadcnt_dscnt 0x501
	v_fma_f64 v[110:111], v[80:81], v[102:103], 0
	s_wait_loadcnt 0x4
	s_delay_alu instid0(VALU_DEP_1) | instskip(SKIP_4) | instid1(VALU_DEP_1)
	v_fmac_f64_e32 v[110:111], v[82:83], v[104:105]
	scratch_load_b128 v[80:83], off, off offset:224
	s_wait_dscnt 0x0
	v_fmac_f64_e32 v[110:111], v[84:85], v[106:107]
	s_wait_loadcnt 0x4
	v_fmac_f64_e32 v[110:111], v[86:87], v[108:109]
	scratch_load_b128 v[84:87], off, off offset:240
	ds_load_2addr_b64 v[102:105], v2 offset0:59 offset1:60
	ds_load_2addr_b64 v[106:109], v2 offset0:61 offset1:62
	s_wait_dscnt 0x1
	v_fmac_f64_e32 v[110:111], v[88:89], v[102:103]
	s_wait_loadcnt 0x4
	s_delay_alu instid0(VALU_DEP_1) | instskip(SKIP_4) | instid1(VALU_DEP_1)
	v_fmac_f64_e32 v[110:111], v[90:91], v[104:105]
	scratch_load_b128 v[88:91], off, off offset:256
	s_wait_dscnt 0x0
	v_fmac_f64_e32 v[110:111], v[92:93], v[106:107]
	s_wait_loadcnt 0x4
	v_fmac_f64_e32 v[110:111], v[94:95], v[108:109]
	scratch_load_b128 v[92:95], off, off offset:272
	ds_load_2addr_b64 v[102:105], v2 offset0:63 offset1:64
	ds_load_2addr_b64 v[106:109], v2 offset0:65 offset1:66
	s_wait_dscnt 0x1
	v_fmac_f64_e32 v[110:111], v[96:97], v[102:103]
	s_wait_loadcnt 0x4
	s_delay_alu instid0(VALU_DEP_1)
	v_fmac_f64_e32 v[110:111], v[98:99], v[104:105]
	scratch_load_b64 v[104:105], off, off offset:288
	s_wait_dscnt 0x0
	v_fmac_f64_e32 v[110:111], v[100:101], v[106:107]
	ds_load_2addr_b64 v[96:99], v2 offset0:67 offset1:68
	ds_load_2addr_b64 v[100:103], v2 offset0:69 offset1:70
	s_wait_loadcnt 0x4
	v_fmac_f64_e32 v[110:111], v[80:81], v[108:109]
	s_wait_dscnt 0x1
	s_delay_alu instid0(VALU_DEP_1) | instskip(SKIP_1) | instid1(VALU_DEP_1)
	v_fmac_f64_e32 v[110:111], v[82:83], v[96:97]
	s_wait_loadcnt 0x3
	v_fmac_f64_e32 v[110:111], v[84:85], v[98:99]
	s_wait_dscnt 0x0
	s_delay_alu instid0(VALU_DEP_1)
	v_fmac_f64_e32 v[110:111], v[86:87], v[100:101]
	ds_load_2addr_b64 v[80:83], v2 offset0:71 offset1:72
	ds_load_2addr_b64 v[84:87], v2 offset0:73 offset1:74
	s_wait_loadcnt 0x2
	v_fmac_f64_e32 v[110:111], v[88:89], v[102:103]
	s_wait_dscnt 0x1
	s_delay_alu instid0(VALU_DEP_1) | instskip(SKIP_1) | instid1(VALU_DEP_1)
	v_fmac_f64_e32 v[110:111], v[90:91], v[80:81]
	s_wait_loadcnt 0x1
	v_fmac_f64_e32 v[110:111], v[92:93], v[82:83]
	s_wait_dscnt 0x0
	s_delay_alu instid0(VALU_DEP_1) | instskip(SKIP_1) | instid1(VALU_DEP_1)
	v_fmac_f64_e32 v[110:111], v[94:95], v[84:85]
	s_wait_loadcnt 0x0
	v_fmac_f64_e32 v[110:111], v[104:105], v[86:87]
	s_delay_alu instid0(VALU_DEP_1)
	v_add_f64_e64 v[2:3], v[78:79], -v[110:111]
	scratch_store_b64 off, v[2:3], off offset:128
	s_wait_xcnt 0x0
	v_cmpx_lt_u32_e32 15, v0
	s_cbranch_execz .LBB36_201
; %bb.200:
	scratch_load_b64 v[2:3], off, off offset:120
	v_mov_b64_e32 v[78:79], 0
	scratch_store_b64 off, v[78:79], off offset:120
	s_wait_loadcnt 0x0
	ds_store_b64 v1, v[2:3]
.LBB36_201:
	s_wait_xcnt 0x0
	s_or_b32 exec_lo, exec_lo, s0
	s_wait_storecnt_dscnt 0x0
	s_barrier_signal -1
	s_barrier_wait -1
	s_clause 0x5
	scratch_load_b128 v[78:81], off, off offset:120
	scratch_load_b128 v[82:85], off, off offset:136
	;; [unrolled: 1-line block ×6, first 2 shown]
	v_mov_b32_e32 v2, 0
	ds_load_b128 v[102:105], v2 offset:432
	ds_load_b128 v[106:109], v2 offset:448
	s_mov_b32 s0, exec_lo
	s_wait_loadcnt_dscnt 0x501
	v_fma_f64 v[110:111], v[80:81], v[102:103], 0
	s_wait_loadcnt 0x4
	s_delay_alu instid0(VALU_DEP_1) | instskip(SKIP_4) | instid1(VALU_DEP_1)
	v_fmac_f64_e32 v[110:111], v[82:83], v[104:105]
	scratch_load_b128 v[80:83], off, off offset:216
	s_wait_dscnt 0x0
	v_fmac_f64_e32 v[110:111], v[84:85], v[106:107]
	s_wait_loadcnt 0x4
	v_fmac_f64_e32 v[110:111], v[86:87], v[108:109]
	scratch_load_b128 v[84:87], off, off offset:232
	ds_load_b128 v[102:105], v2 offset:464
	ds_load_b128 v[106:109], v2 offset:480
	s_wait_dscnt 0x1
	v_fmac_f64_e32 v[110:111], v[88:89], v[102:103]
	s_wait_loadcnt 0x4
	s_delay_alu instid0(VALU_DEP_1) | instskip(SKIP_4) | instid1(VALU_DEP_1)
	v_fmac_f64_e32 v[110:111], v[90:91], v[104:105]
	scratch_load_b128 v[88:91], off, off offset:248
	s_wait_dscnt 0x0
	v_fmac_f64_e32 v[110:111], v[92:93], v[106:107]
	s_wait_loadcnt 0x4
	v_fmac_f64_e32 v[110:111], v[94:95], v[108:109]
	scratch_load_b128 v[92:95], off, off offset:264
	ds_load_b128 v[102:105], v2 offset:496
	ds_load_b128 v[106:109], v2 offset:512
	s_wait_dscnt 0x1
	v_fmac_f64_e32 v[110:111], v[96:97], v[102:103]
	s_wait_loadcnt 0x4
	s_delay_alu instid0(VALU_DEP_1)
	v_fmac_f64_e32 v[110:111], v[98:99], v[104:105]
	scratch_load_b128 v[96:99], off, off offset:280
	s_wait_dscnt 0x0
	v_fmac_f64_e32 v[110:111], v[100:101], v[106:107]
	ds_load_b128 v[100:103], v2 offset:528
	ds_load_b128 v[104:107], v2 offset:544
	s_wait_loadcnt 0x4
	v_fmac_f64_e32 v[110:111], v[80:81], v[108:109]
	s_wait_dscnt 0x1
	s_delay_alu instid0(VALU_DEP_1) | instskip(SKIP_1) | instid1(VALU_DEP_1)
	v_fmac_f64_e32 v[110:111], v[82:83], v[100:101]
	s_wait_loadcnt 0x3
	v_fmac_f64_e32 v[110:111], v[84:85], v[102:103]
	s_wait_dscnt 0x0
	s_delay_alu instid0(VALU_DEP_1)
	v_fmac_f64_e32 v[110:111], v[86:87], v[104:105]
	ds_load_b128 v[80:83], v2 offset:560
	ds_load_b128 v[84:87], v2 offset:576
	s_wait_loadcnt 0x2
	v_fmac_f64_e32 v[110:111], v[88:89], v[106:107]
	s_wait_dscnt 0x1
	s_delay_alu instid0(VALU_DEP_1) | instskip(SKIP_4) | instid1(VALU_DEP_1)
	v_fmac_f64_e32 v[110:111], v[90:91], v[80:81]
	ds_load_b64 v[80:81], v2 offset:592
	s_wait_loadcnt 0x1
	v_fmac_f64_e32 v[110:111], v[92:93], v[82:83]
	s_wait_dscnt 0x1
	v_fmac_f64_e32 v[110:111], v[94:95], v[84:85]
	s_wait_loadcnt 0x0
	s_delay_alu instid0(VALU_DEP_1) | instskip(SKIP_1) | instid1(VALU_DEP_1)
	v_fmac_f64_e32 v[110:111], v[96:97], v[86:87]
	s_wait_dscnt 0x0
	v_fmac_f64_e32 v[110:111], v[98:99], v[80:81]
	s_delay_alu instid0(VALU_DEP_1)
	v_add_f64_e64 v[78:79], v[78:79], -v[110:111]
	scratch_store_b64 off, v[78:79], off offset:120
	s_wait_xcnt 0x0
	v_cmpx_lt_u32_e32 14, v0
	s_cbranch_execz .LBB36_203
; %bb.202:
	scratch_load_b64 v[78:79], off, off offset:112
	v_mov_b64_e32 v[80:81], 0
	scratch_store_b64 off, v[80:81], off offset:112
	s_wait_loadcnt 0x0
	ds_store_b64 v1, v[78:79]
.LBB36_203:
	s_wait_xcnt 0x0
	s_or_b32 exec_lo, exec_lo, s0
	s_wait_storecnt_dscnt 0x0
	s_barrier_signal -1
	s_barrier_wait -1
	s_clause 0x5
	scratch_load_b128 v[78:81], off, off offset:112
	scratch_load_b128 v[82:85], off, off offset:128
	;; [unrolled: 1-line block ×6, first 2 shown]
	ds_load_2addr_b64 v[102:105], v2 offset0:53 offset1:54
	ds_load_2addr_b64 v[106:109], v2 offset0:55 offset1:56
	scratch_load_b128 v[110:113], off, off offset:208
	s_mov_b32 s0, exec_lo
	s_wait_loadcnt_dscnt 0x601
	v_fma_f64 v[114:115], v[80:81], v[102:103], 0
	s_wait_loadcnt 0x5
	s_delay_alu instid0(VALU_DEP_1) | instskip(SKIP_4) | instid1(VALU_DEP_1)
	v_fmac_f64_e32 v[114:115], v[82:83], v[104:105]
	scratch_load_b128 v[80:83], off, off offset:224
	s_wait_dscnt 0x0
	v_fmac_f64_e32 v[114:115], v[84:85], v[106:107]
	s_wait_loadcnt 0x5
	v_fmac_f64_e32 v[114:115], v[86:87], v[108:109]
	ds_load_2addr_b64 v[84:87], v2 offset0:57 offset1:58
	ds_load_2addr_b64 v[102:105], v2 offset0:59 offset1:60
	s_wait_dscnt 0x1
	v_fmac_f64_e32 v[114:115], v[88:89], v[84:85]
	s_wait_loadcnt 0x4
	s_delay_alu instid0(VALU_DEP_1)
	v_fmac_f64_e32 v[114:115], v[90:91], v[86:87]
	s_clause 0x1
	scratch_load_b128 v[84:87], off, off offset:240
	scratch_load_b128 v[88:91], off, off offset:256
	s_wait_dscnt 0x0
	v_fmac_f64_e32 v[114:115], v[92:93], v[102:103]
	s_wait_loadcnt 0x5
	s_delay_alu instid0(VALU_DEP_1)
	v_fmac_f64_e32 v[114:115], v[94:95], v[104:105]
	ds_load_2addr_b64 v[92:95], v2 offset0:61 offset1:62
	ds_load_2addr_b64 v[102:105], v2 offset0:63 offset1:64
	s_wait_dscnt 0x1
	v_fmac_f64_e32 v[114:115], v[96:97], v[92:93]
	s_wait_loadcnt 0x4
	s_delay_alu instid0(VALU_DEP_1) | instskip(SKIP_4) | instid1(VALU_DEP_1)
	v_fmac_f64_e32 v[114:115], v[98:99], v[94:95]
	scratch_load_b128 v[92:95], off, off offset:272
	s_wait_dscnt 0x0
	v_fmac_f64_e32 v[114:115], v[100:101], v[102:103]
	s_wait_loadcnt 0x4
	v_fmac_f64_e32 v[114:115], v[110:111], v[104:105]
	scratch_load_b64 v[104:105], off, off offset:288
	ds_load_2addr_b64 v[96:99], v2 offset0:65 offset1:66
	ds_load_2addr_b64 v[100:103], v2 offset0:67 offset1:68
	s_wait_dscnt 0x1
	v_fmac_f64_e32 v[114:115], v[112:113], v[96:97]
	s_wait_loadcnt 0x4
	s_delay_alu instid0(VALU_DEP_1) | instskip(SKIP_1) | instid1(VALU_DEP_1)
	v_fmac_f64_e32 v[114:115], v[80:81], v[98:99]
	s_wait_dscnt 0x0
	v_fmac_f64_e32 v[114:115], v[82:83], v[100:101]
	ds_load_2addr_b64 v[80:83], v2 offset0:69 offset1:70
	ds_load_2addr_b64 v[96:99], v2 offset0:71 offset1:72
	s_wait_loadcnt 0x3
	v_fmac_f64_e32 v[114:115], v[84:85], v[102:103]
	s_wait_dscnt 0x1
	s_delay_alu instid0(VALU_DEP_1) | instskip(SKIP_1) | instid1(VALU_DEP_1)
	v_fmac_f64_e32 v[114:115], v[86:87], v[80:81]
	s_wait_loadcnt 0x2
	v_fmac_f64_e32 v[114:115], v[88:89], v[82:83]
	ds_load_2addr_b64 v[80:83], v2 offset0:73 offset1:74
	s_wait_dscnt 0x1
	v_fmac_f64_e32 v[114:115], v[90:91], v[96:97]
	s_wait_loadcnt 0x1
	s_delay_alu instid0(VALU_DEP_1) | instskip(SKIP_1) | instid1(VALU_DEP_1)
	v_fmac_f64_e32 v[114:115], v[92:93], v[98:99]
	s_wait_dscnt 0x0
	v_fmac_f64_e32 v[114:115], v[94:95], v[80:81]
	s_wait_loadcnt 0x0
	s_delay_alu instid0(VALU_DEP_1) | instskip(NEXT) | instid1(VALU_DEP_1)
	v_fmac_f64_e32 v[114:115], v[104:105], v[82:83]
	v_add_f64_e64 v[2:3], v[78:79], -v[114:115]
	scratch_store_b64 off, v[2:3], off offset:112
	s_wait_xcnt 0x0
	v_cmpx_lt_u32_e32 13, v0
	s_cbranch_execz .LBB36_205
; %bb.204:
	scratch_load_b64 v[2:3], off, off offset:104
	v_mov_b64_e32 v[78:79], 0
	scratch_store_b64 off, v[78:79], off offset:104
	s_wait_loadcnt 0x0
	ds_store_b64 v1, v[2:3]
.LBB36_205:
	s_wait_xcnt 0x0
	s_or_b32 exec_lo, exec_lo, s0
	s_wait_storecnt_dscnt 0x0
	s_barrier_signal -1
	s_barrier_wait -1
	s_clause 0x5
	scratch_load_b128 v[78:81], off, off offset:104
	scratch_load_b128 v[82:85], off, off offset:120
	;; [unrolled: 1-line block ×6, first 2 shown]
	v_mov_b32_e32 v2, 0
	ds_load_b128 v[102:105], v2 offset:416
	ds_load_b128 v[106:109], v2 offset:432
	scratch_load_b128 v[110:113], off, off offset:200
	s_mov_b32 s0, exec_lo
	s_wait_loadcnt_dscnt 0x601
	v_fma_f64 v[114:115], v[80:81], v[102:103], 0
	s_wait_loadcnt 0x5
	s_delay_alu instid0(VALU_DEP_1) | instskip(SKIP_4) | instid1(VALU_DEP_1)
	v_fmac_f64_e32 v[114:115], v[82:83], v[104:105]
	scratch_load_b128 v[80:83], off, off offset:216
	s_wait_dscnt 0x0
	v_fmac_f64_e32 v[114:115], v[84:85], v[106:107]
	s_wait_loadcnt 0x5
	v_fmac_f64_e32 v[114:115], v[86:87], v[108:109]
	ds_load_b128 v[84:87], v2 offset:448
	ds_load_b128 v[102:105], v2 offset:464
	s_wait_dscnt 0x1
	v_fmac_f64_e32 v[114:115], v[88:89], v[84:85]
	s_wait_loadcnt 0x4
	s_delay_alu instid0(VALU_DEP_1)
	v_fmac_f64_e32 v[114:115], v[90:91], v[86:87]
	s_clause 0x1
	scratch_load_b128 v[84:87], off, off offset:232
	scratch_load_b128 v[88:91], off, off offset:248
	s_wait_dscnt 0x0
	v_fmac_f64_e32 v[114:115], v[92:93], v[102:103]
	s_wait_loadcnt 0x5
	s_delay_alu instid0(VALU_DEP_1)
	v_fmac_f64_e32 v[114:115], v[94:95], v[104:105]
	ds_load_b128 v[92:95], v2 offset:480
	ds_load_b128 v[102:105], v2 offset:496
	s_wait_dscnt 0x1
	v_fmac_f64_e32 v[114:115], v[96:97], v[92:93]
	s_wait_loadcnt 0x4
	s_delay_alu instid0(VALU_DEP_1)
	v_fmac_f64_e32 v[114:115], v[98:99], v[94:95]
	s_clause 0x1
	scratch_load_b128 v[92:95], off, off offset:264
	scratch_load_b128 v[96:99], off, off offset:280
	s_wait_dscnt 0x0
	v_fmac_f64_e32 v[114:115], v[100:101], v[102:103]
	s_wait_loadcnt 0x5
	s_delay_alu instid0(VALU_DEP_1)
	v_fmac_f64_e32 v[114:115], v[110:111], v[104:105]
	ds_load_b128 v[100:103], v2 offset:512
	ds_load_b128 v[104:107], v2 offset:528
	s_wait_dscnt 0x1
	v_fmac_f64_e32 v[114:115], v[112:113], v[100:101]
	s_wait_loadcnt 0x4
	s_delay_alu instid0(VALU_DEP_1) | instskip(SKIP_1) | instid1(VALU_DEP_1)
	v_fmac_f64_e32 v[114:115], v[80:81], v[102:103]
	s_wait_dscnt 0x0
	v_fmac_f64_e32 v[114:115], v[82:83], v[104:105]
	ds_load_b128 v[80:83], v2 offset:544
	ds_load_b128 v[100:103], v2 offset:560
	s_wait_loadcnt 0x3
	v_fmac_f64_e32 v[114:115], v[84:85], v[106:107]
	s_wait_dscnt 0x1
	s_delay_alu instid0(VALU_DEP_1) | instskip(SKIP_1) | instid1(VALU_DEP_1)
	v_fmac_f64_e32 v[114:115], v[86:87], v[80:81]
	s_wait_loadcnt 0x2
	v_fmac_f64_e32 v[114:115], v[88:89], v[82:83]
	ds_load_b128 v[80:83], v2 offset:576
	ds_load_b64 v[84:85], v2 offset:592
	s_wait_dscnt 0x2
	v_fmac_f64_e32 v[114:115], v[90:91], v[100:101]
	s_wait_loadcnt 0x1
	s_delay_alu instid0(VALU_DEP_1) | instskip(SKIP_1) | instid1(VALU_DEP_1)
	v_fmac_f64_e32 v[114:115], v[92:93], v[102:103]
	s_wait_dscnt 0x1
	v_fmac_f64_e32 v[114:115], v[94:95], v[80:81]
	s_wait_loadcnt 0x0
	s_delay_alu instid0(VALU_DEP_1) | instskip(SKIP_1) | instid1(VALU_DEP_1)
	v_fmac_f64_e32 v[114:115], v[96:97], v[82:83]
	s_wait_dscnt 0x0
	v_fmac_f64_e32 v[114:115], v[98:99], v[84:85]
	s_delay_alu instid0(VALU_DEP_1)
	v_add_f64_e64 v[78:79], v[78:79], -v[114:115]
	scratch_store_b64 off, v[78:79], off offset:104
	s_wait_xcnt 0x0
	v_cmpx_lt_u32_e32 12, v0
	s_cbranch_execz .LBB36_207
; %bb.206:
	scratch_load_b64 v[78:79], off, off offset:96
	v_mov_b64_e32 v[80:81], 0
	scratch_store_b64 off, v[80:81], off offset:96
	s_wait_loadcnt 0x0
	ds_store_b64 v1, v[78:79]
.LBB36_207:
	s_wait_xcnt 0x0
	s_or_b32 exec_lo, exec_lo, s0
	s_wait_storecnt_dscnt 0x0
	s_barrier_signal -1
	s_barrier_wait -1
	s_clause 0x5
	scratch_load_b128 v[78:81], off, off offset:96
	scratch_load_b128 v[82:85], off, off offset:112
	;; [unrolled: 1-line block ×6, first 2 shown]
	ds_load_2addr_b64 v[102:105], v2 offset0:51 offset1:52
	ds_load_2addr_b64 v[106:109], v2 offset0:53 offset1:54
	scratch_load_b128 v[110:113], off, off offset:192
	s_mov_b32 s0, exec_lo
	s_wait_loadcnt_dscnt 0x601
	v_fma_f64 v[114:115], v[80:81], v[102:103], 0
	s_wait_loadcnt 0x5
	s_delay_alu instid0(VALU_DEP_1) | instskip(SKIP_4) | instid1(VALU_DEP_1)
	v_fmac_f64_e32 v[114:115], v[82:83], v[104:105]
	scratch_load_b128 v[80:83], off, off offset:208
	s_wait_dscnt 0x0
	v_fmac_f64_e32 v[114:115], v[84:85], v[106:107]
	s_wait_loadcnt 0x5
	v_fmac_f64_e32 v[114:115], v[86:87], v[108:109]
	ds_load_2addr_b64 v[84:87], v2 offset0:55 offset1:56
	ds_load_2addr_b64 v[102:105], v2 offset0:57 offset1:58
	s_wait_dscnt 0x1
	v_fmac_f64_e32 v[114:115], v[88:89], v[84:85]
	s_wait_loadcnt 0x4
	s_delay_alu instid0(VALU_DEP_1)
	v_fmac_f64_e32 v[114:115], v[90:91], v[86:87]
	s_clause 0x1
	scratch_load_b128 v[84:87], off, off offset:224
	scratch_load_b128 v[88:91], off, off offset:240
	s_wait_dscnt 0x0
	v_fmac_f64_e32 v[114:115], v[92:93], v[102:103]
	s_wait_loadcnt 0x5
	s_delay_alu instid0(VALU_DEP_1)
	v_fmac_f64_e32 v[114:115], v[94:95], v[104:105]
	ds_load_2addr_b64 v[92:95], v2 offset0:59 offset1:60
	ds_load_2addr_b64 v[102:105], v2 offset0:61 offset1:62
	s_wait_dscnt 0x1
	v_fmac_f64_e32 v[114:115], v[96:97], v[92:93]
	s_wait_loadcnt 0x4
	s_delay_alu instid0(VALU_DEP_1)
	v_fmac_f64_e32 v[114:115], v[98:99], v[94:95]
	s_clause 0x1
	scratch_load_b128 v[92:95], off, off offset:256
	scratch_load_b128 v[96:99], off, off offset:272
	s_wait_dscnt 0x0
	v_fmac_f64_e32 v[114:115], v[100:101], v[102:103]
	s_wait_loadcnt 0x5
	s_delay_alu instid0(VALU_DEP_1)
	v_fmac_f64_e32 v[114:115], v[110:111], v[104:105]
	ds_load_2addr_b64 v[100:103], v2 offset0:63 offset1:64
	ds_load_2addr_b64 v[104:107], v2 offset0:65 offset1:66
	scratch_load_b64 v[108:109], off, off offset:288
	s_wait_dscnt 0x1
	v_fmac_f64_e32 v[114:115], v[112:113], v[100:101]
	s_wait_loadcnt 0x5
	s_delay_alu instid0(VALU_DEP_1) | instskip(SKIP_1) | instid1(VALU_DEP_1)
	v_fmac_f64_e32 v[114:115], v[80:81], v[102:103]
	s_wait_dscnt 0x0
	v_fmac_f64_e32 v[114:115], v[82:83], v[104:105]
	ds_load_2addr_b64 v[80:83], v2 offset0:67 offset1:68
	ds_load_2addr_b64 v[100:103], v2 offset0:69 offset1:70
	s_wait_loadcnt 0x4
	v_fmac_f64_e32 v[114:115], v[84:85], v[106:107]
	s_wait_dscnt 0x1
	s_delay_alu instid0(VALU_DEP_1) | instskip(SKIP_1) | instid1(VALU_DEP_1)
	v_fmac_f64_e32 v[114:115], v[86:87], v[80:81]
	s_wait_loadcnt 0x3
	v_fmac_f64_e32 v[114:115], v[88:89], v[82:83]
	ds_load_2addr_b64 v[80:83], v2 offset0:71 offset1:72
	ds_load_2addr_b64 v[84:87], v2 offset0:73 offset1:74
	s_wait_dscnt 0x2
	v_fmac_f64_e32 v[114:115], v[90:91], v[100:101]
	s_wait_loadcnt 0x2
	s_delay_alu instid0(VALU_DEP_1) | instskip(SKIP_1) | instid1(VALU_DEP_1)
	v_fmac_f64_e32 v[114:115], v[92:93], v[102:103]
	s_wait_dscnt 0x1
	v_fmac_f64_e32 v[114:115], v[94:95], v[80:81]
	s_wait_loadcnt 0x1
	s_delay_alu instid0(VALU_DEP_1) | instskip(SKIP_1) | instid1(VALU_DEP_1)
	v_fmac_f64_e32 v[114:115], v[96:97], v[82:83]
	s_wait_dscnt 0x0
	v_fmac_f64_e32 v[114:115], v[98:99], v[84:85]
	s_wait_loadcnt 0x0
	s_delay_alu instid0(VALU_DEP_1) | instskip(NEXT) | instid1(VALU_DEP_1)
	v_fmac_f64_e32 v[114:115], v[108:109], v[86:87]
	v_add_f64_e64 v[2:3], v[78:79], -v[114:115]
	scratch_store_b64 off, v[2:3], off offset:96
	s_wait_xcnt 0x0
	v_cmpx_lt_u32_e32 11, v0
	s_cbranch_execz .LBB36_209
; %bb.208:
	scratch_load_b64 v[2:3], off, off offset:88
	v_mov_b64_e32 v[78:79], 0
	scratch_store_b64 off, v[78:79], off offset:88
	s_wait_loadcnt 0x0
	ds_store_b64 v1, v[2:3]
.LBB36_209:
	s_wait_xcnt 0x0
	s_or_b32 exec_lo, exec_lo, s0
	s_wait_storecnt_dscnt 0x0
	s_barrier_signal -1
	s_barrier_wait -1
	s_clause 0x5
	scratch_load_b128 v[78:81], off, off offset:88
	scratch_load_b128 v[82:85], off, off offset:104
	;; [unrolled: 1-line block ×6, first 2 shown]
	v_mov_b32_e32 v2, 0
	ds_load_b128 v[102:105], v2 offset:400
	ds_load_b128 v[106:109], v2 offset:416
	scratch_load_b128 v[110:113], off, off offset:184
	s_mov_b32 s0, exec_lo
	s_wait_loadcnt_dscnt 0x601
	v_fma_f64 v[114:115], v[80:81], v[102:103], 0
	s_wait_loadcnt 0x5
	s_delay_alu instid0(VALU_DEP_1) | instskip(SKIP_4) | instid1(VALU_DEP_1)
	v_fmac_f64_e32 v[114:115], v[82:83], v[104:105]
	scratch_load_b128 v[80:83], off, off offset:200
	s_wait_dscnt 0x0
	v_fmac_f64_e32 v[114:115], v[84:85], v[106:107]
	s_wait_loadcnt 0x5
	v_fmac_f64_e32 v[114:115], v[86:87], v[108:109]
	ds_load_b128 v[84:87], v2 offset:432
	ds_load_b128 v[102:105], v2 offset:448
	s_wait_dscnt 0x1
	v_fmac_f64_e32 v[114:115], v[88:89], v[84:85]
	s_wait_loadcnt 0x4
	s_delay_alu instid0(VALU_DEP_1)
	v_fmac_f64_e32 v[114:115], v[90:91], v[86:87]
	s_clause 0x1
	scratch_load_b128 v[84:87], off, off offset:216
	scratch_load_b128 v[88:91], off, off offset:232
	s_wait_dscnt 0x0
	v_fmac_f64_e32 v[114:115], v[92:93], v[102:103]
	s_wait_loadcnt 0x5
	s_delay_alu instid0(VALU_DEP_1)
	v_fmac_f64_e32 v[114:115], v[94:95], v[104:105]
	ds_load_b128 v[92:95], v2 offset:464
	ds_load_b128 v[102:105], v2 offset:480
	s_wait_dscnt 0x1
	v_fmac_f64_e32 v[114:115], v[96:97], v[92:93]
	s_wait_loadcnt 0x4
	s_delay_alu instid0(VALU_DEP_1)
	v_fmac_f64_e32 v[114:115], v[98:99], v[94:95]
	s_clause 0x1
	scratch_load_b128 v[92:95], off, off offset:248
	scratch_load_b128 v[96:99], off, off offset:264
	s_wait_dscnt 0x0
	v_fmac_f64_e32 v[114:115], v[100:101], v[102:103]
	s_wait_loadcnt 0x5
	s_delay_alu instid0(VALU_DEP_1)
	v_fmac_f64_e32 v[114:115], v[110:111], v[104:105]
	ds_load_b128 v[100:103], v2 offset:496
	ds_load_b128 v[104:107], v2 offset:512
	s_wait_dscnt 0x1
	v_fmac_f64_e32 v[114:115], v[112:113], v[100:101]
	s_wait_loadcnt 0x4
	s_delay_alu instid0(VALU_DEP_1) | instskip(SKIP_4) | instid1(VALU_DEP_1)
	v_fmac_f64_e32 v[114:115], v[80:81], v[102:103]
	scratch_load_b128 v[100:103], off, off offset:280
	s_wait_dscnt 0x0
	v_fmac_f64_e32 v[114:115], v[82:83], v[104:105]
	s_wait_loadcnt 0x4
	v_fmac_f64_e32 v[114:115], v[84:85], v[106:107]
	ds_load_b128 v[80:83], v2 offset:528
	ds_load_b128 v[104:107], v2 offset:544
	s_wait_dscnt 0x1
	v_fmac_f64_e32 v[114:115], v[86:87], v[80:81]
	s_wait_loadcnt 0x3
	s_delay_alu instid0(VALU_DEP_1)
	v_fmac_f64_e32 v[114:115], v[88:89], v[82:83]
	ds_load_b128 v[80:83], v2 offset:560
	ds_load_b128 v[84:87], v2 offset:576
	s_wait_dscnt 0x2
	v_fmac_f64_e32 v[114:115], v[90:91], v[104:105]
	s_wait_loadcnt 0x2
	s_delay_alu instid0(VALU_DEP_1) | instskip(SKIP_1) | instid1(VALU_DEP_1)
	v_fmac_f64_e32 v[114:115], v[92:93], v[106:107]
	s_wait_dscnt 0x1
	v_fmac_f64_e32 v[114:115], v[94:95], v[80:81]
	ds_load_b64 v[80:81], v2 offset:592
	s_wait_loadcnt 0x1
	v_fmac_f64_e32 v[114:115], v[96:97], v[82:83]
	s_wait_dscnt 0x1
	s_delay_alu instid0(VALU_DEP_1) | instskip(SKIP_1) | instid1(VALU_DEP_1)
	v_fmac_f64_e32 v[114:115], v[98:99], v[84:85]
	s_wait_loadcnt 0x0
	v_fmac_f64_e32 v[114:115], v[100:101], v[86:87]
	s_wait_dscnt 0x0
	s_delay_alu instid0(VALU_DEP_1) | instskip(NEXT) | instid1(VALU_DEP_1)
	v_fmac_f64_e32 v[114:115], v[102:103], v[80:81]
	v_add_f64_e64 v[78:79], v[78:79], -v[114:115]
	scratch_store_b64 off, v[78:79], off offset:88
	s_wait_xcnt 0x0
	v_cmpx_lt_u32_e32 10, v0
	s_cbranch_execz .LBB36_211
; %bb.210:
	scratch_load_b64 v[78:79], off, off offset:80
	v_mov_b64_e32 v[80:81], 0
	scratch_store_b64 off, v[80:81], off offset:80
	s_wait_loadcnt 0x0
	ds_store_b64 v1, v[78:79]
.LBB36_211:
	s_wait_xcnt 0x0
	s_or_b32 exec_lo, exec_lo, s0
	s_wait_storecnt_dscnt 0x0
	s_barrier_signal -1
	s_barrier_wait -1
	s_clause 0x5
	scratch_load_b128 v[78:81], off, off offset:80
	scratch_load_b128 v[82:85], off, off offset:96
	;; [unrolled: 1-line block ×6, first 2 shown]
	ds_load_2addr_b64 v[102:105], v2 offset0:49 offset1:50
	ds_load_2addr_b64 v[106:109], v2 offset0:51 offset1:52
	scratch_load_b128 v[110:113], off, off offset:176
	s_mov_b32 s0, exec_lo
	s_wait_loadcnt_dscnt 0x601
	v_fma_f64 v[114:115], v[80:81], v[102:103], 0
	s_wait_loadcnt 0x5
	s_delay_alu instid0(VALU_DEP_1) | instskip(SKIP_4) | instid1(VALU_DEP_1)
	v_fmac_f64_e32 v[114:115], v[82:83], v[104:105]
	scratch_load_b128 v[80:83], off, off offset:192
	s_wait_dscnt 0x0
	v_fmac_f64_e32 v[114:115], v[84:85], v[106:107]
	s_wait_loadcnt 0x5
	v_fmac_f64_e32 v[114:115], v[86:87], v[108:109]
	ds_load_2addr_b64 v[84:87], v2 offset0:53 offset1:54
	ds_load_2addr_b64 v[102:105], v2 offset0:55 offset1:56
	scratch_load_b128 v[106:109], off, off offset:208
	s_wait_dscnt 0x1
	v_fmac_f64_e32 v[114:115], v[88:89], v[84:85]
	s_wait_loadcnt 0x5
	s_delay_alu instid0(VALU_DEP_1) | instskip(SKIP_4) | instid1(VALU_DEP_1)
	v_fmac_f64_e32 v[114:115], v[90:91], v[86:87]
	scratch_load_b128 v[84:87], off, off offset:224
	s_wait_dscnt 0x0
	v_fmac_f64_e32 v[114:115], v[92:93], v[102:103]
	s_wait_loadcnt 0x5
	v_fmac_f64_e32 v[114:115], v[94:95], v[104:105]
	ds_load_2addr_b64 v[88:91], v2 offset0:57 offset1:58
	ds_load_2addr_b64 v[92:95], v2 offset0:59 offset1:60
	s_wait_dscnt 0x1
	v_fmac_f64_e32 v[114:115], v[96:97], v[88:89]
	s_wait_loadcnt 0x4
	s_delay_alu instid0(VALU_DEP_1) | instskip(SKIP_4) | instid1(VALU_DEP_1)
	v_fmac_f64_e32 v[114:115], v[98:99], v[90:91]
	scratch_load_b128 v[88:91], off, off offset:240
	s_wait_dscnt 0x0
	v_fmac_f64_e32 v[114:115], v[100:101], v[92:93]
	s_wait_loadcnt 0x4
	v_fmac_f64_e32 v[114:115], v[110:111], v[94:95]
	scratch_load_b128 v[92:95], off, off offset:256
	ds_load_2addr_b64 v[96:99], v2 offset0:61 offset1:62
	ds_load_2addr_b64 v[100:103], v2 offset0:63 offset1:64
	scratch_load_b64 v[104:105], off, off offset:288
	s_wait_dscnt 0x1
	v_fmac_f64_e32 v[114:115], v[112:113], v[96:97]
	s_wait_loadcnt 0x5
	s_delay_alu instid0(VALU_DEP_1) | instskip(SKIP_4) | instid1(VALU_DEP_1)
	v_fmac_f64_e32 v[114:115], v[80:81], v[98:99]
	scratch_load_b128 v[96:99], off, off offset:272
	s_wait_dscnt 0x0
	v_fmac_f64_e32 v[114:115], v[82:83], v[100:101]
	s_wait_loadcnt 0x5
	v_fmac_f64_e32 v[114:115], v[106:107], v[102:103]
	ds_load_2addr_b64 v[80:83], v2 offset0:65 offset1:66
	ds_load_2addr_b64 v[100:103], v2 offset0:67 offset1:68
	s_wait_dscnt 0x1
	v_fmac_f64_e32 v[114:115], v[108:109], v[80:81]
	s_wait_loadcnt 0x4
	s_delay_alu instid0(VALU_DEP_1) | instskip(SKIP_1) | instid1(VALU_DEP_1)
	v_fmac_f64_e32 v[114:115], v[84:85], v[82:83]
	s_wait_dscnt 0x0
	v_fmac_f64_e32 v[114:115], v[86:87], v[100:101]
	ds_load_2addr_b64 v[80:83], v2 offset0:69 offset1:70
	ds_load_2addr_b64 v[84:87], v2 offset0:71 offset1:72
	s_wait_loadcnt 0x3
	v_fmac_f64_e32 v[114:115], v[88:89], v[102:103]
	s_wait_dscnt 0x1
	s_delay_alu instid0(VALU_DEP_1) | instskip(SKIP_1) | instid1(VALU_DEP_1)
	v_fmac_f64_e32 v[114:115], v[90:91], v[80:81]
	s_wait_loadcnt 0x2
	v_fmac_f64_e32 v[114:115], v[92:93], v[82:83]
	ds_load_2addr_b64 v[80:83], v2 offset0:73 offset1:74
	s_wait_dscnt 0x1
	v_fmac_f64_e32 v[114:115], v[94:95], v[84:85]
	s_wait_loadcnt 0x0
	s_delay_alu instid0(VALU_DEP_1) | instskip(SKIP_1) | instid1(VALU_DEP_1)
	v_fmac_f64_e32 v[114:115], v[96:97], v[86:87]
	s_wait_dscnt 0x0
	v_fmac_f64_e32 v[114:115], v[98:99], v[80:81]
	s_delay_alu instid0(VALU_DEP_1) | instskip(NEXT) | instid1(VALU_DEP_1)
	v_fmac_f64_e32 v[114:115], v[104:105], v[82:83]
	v_add_f64_e64 v[2:3], v[78:79], -v[114:115]
	scratch_store_b64 off, v[2:3], off offset:80
	s_wait_xcnt 0x0
	v_cmpx_lt_u32_e32 9, v0
	s_cbranch_execz .LBB36_213
; %bb.212:
	scratch_load_b64 v[2:3], off, off offset:72
	v_mov_b64_e32 v[78:79], 0
	scratch_store_b64 off, v[78:79], off offset:72
	s_wait_loadcnt 0x0
	ds_store_b64 v1, v[2:3]
.LBB36_213:
	s_wait_xcnt 0x0
	s_or_b32 exec_lo, exec_lo, s0
	s_wait_storecnt_dscnt 0x0
	s_barrier_signal -1
	s_barrier_wait -1
	s_clause 0x5
	scratch_load_b128 v[78:81], off, off offset:72
	scratch_load_b128 v[82:85], off, off offset:88
	;; [unrolled: 1-line block ×6, first 2 shown]
	v_mov_b32_e32 v2, 0
	ds_load_b128 v[102:105], v2 offset:384
	ds_load_b128 v[106:109], v2 offset:400
	scratch_load_b128 v[110:113], off, off offset:168
	s_mov_b32 s0, exec_lo
	s_wait_loadcnt_dscnt 0x601
	v_fma_f64 v[114:115], v[80:81], v[102:103], 0
	s_wait_loadcnt 0x5
	s_delay_alu instid0(VALU_DEP_1) | instskip(SKIP_4) | instid1(VALU_DEP_1)
	v_fmac_f64_e32 v[114:115], v[82:83], v[104:105]
	scratch_load_b128 v[80:83], off, off offset:184
	s_wait_dscnt 0x0
	v_fmac_f64_e32 v[114:115], v[84:85], v[106:107]
	s_wait_loadcnt 0x5
	v_fmac_f64_e32 v[114:115], v[86:87], v[108:109]
	ds_load_b128 v[84:87], v2 offset:416
	ds_load_b128 v[102:105], v2 offset:432
	scratch_load_b128 v[106:109], off, off offset:200
	s_wait_dscnt 0x1
	v_fmac_f64_e32 v[114:115], v[88:89], v[84:85]
	s_wait_loadcnt 0x5
	s_delay_alu instid0(VALU_DEP_1) | instskip(SKIP_4) | instid1(VALU_DEP_1)
	v_fmac_f64_e32 v[114:115], v[90:91], v[86:87]
	scratch_load_b128 v[84:87], off, off offset:216
	s_wait_dscnt 0x0
	v_fmac_f64_e32 v[114:115], v[92:93], v[102:103]
	s_wait_loadcnt 0x5
	v_fmac_f64_e32 v[114:115], v[94:95], v[104:105]
	ds_load_b128 v[88:91], v2 offset:448
	ds_load_b128 v[92:95], v2 offset:464
	s_wait_dscnt 0x1
	v_fmac_f64_e32 v[114:115], v[96:97], v[88:89]
	s_wait_loadcnt 0x4
	s_delay_alu instid0(VALU_DEP_1) | instskip(SKIP_4) | instid1(VALU_DEP_1)
	v_fmac_f64_e32 v[114:115], v[98:99], v[90:91]
	scratch_load_b128 v[88:91], off, off offset:232
	s_wait_dscnt 0x0
	v_fmac_f64_e32 v[114:115], v[100:101], v[92:93]
	s_wait_loadcnt 0x4
	v_fmac_f64_e32 v[114:115], v[110:111], v[94:95]
	scratch_load_b128 v[92:95], off, off offset:248
	ds_load_b128 v[96:99], v2 offset:480
	ds_load_b128 v[100:103], v2 offset:496
	s_wait_dscnt 0x1
	v_fmac_f64_e32 v[114:115], v[112:113], v[96:97]
	s_wait_loadcnt 0x4
	s_delay_alu instid0(VALU_DEP_1)
	v_fmac_f64_e32 v[114:115], v[80:81], v[98:99]
	scratch_load_b128 v[96:99], off, off offset:264
	s_wait_dscnt 0x0
	v_fmac_f64_e32 v[114:115], v[82:83], v[100:101]
	scratch_load_b128 v[80:83], off, off offset:280
	s_wait_loadcnt 0x5
	v_fmac_f64_e32 v[114:115], v[106:107], v[102:103]
	ds_load_b128 v[100:103], v2 offset:512
	ds_load_b128 v[104:107], v2 offset:528
	s_wait_dscnt 0x1
	v_fmac_f64_e32 v[114:115], v[108:109], v[100:101]
	s_wait_loadcnt 0x4
	s_delay_alu instid0(VALU_DEP_1) | instskip(SKIP_1) | instid1(VALU_DEP_1)
	v_fmac_f64_e32 v[114:115], v[84:85], v[102:103]
	s_wait_dscnt 0x0
	v_fmac_f64_e32 v[114:115], v[86:87], v[104:105]
	ds_load_b128 v[84:87], v2 offset:544
	ds_load_b128 v[100:103], v2 offset:560
	s_wait_loadcnt 0x3
	v_fmac_f64_e32 v[114:115], v[88:89], v[106:107]
	s_wait_dscnt 0x1
	s_delay_alu instid0(VALU_DEP_1) | instskip(SKIP_1) | instid1(VALU_DEP_1)
	v_fmac_f64_e32 v[114:115], v[90:91], v[84:85]
	s_wait_loadcnt 0x2
	v_fmac_f64_e32 v[114:115], v[92:93], v[86:87]
	ds_load_b128 v[84:87], v2 offset:576
	ds_load_b64 v[88:89], v2 offset:592
	s_wait_dscnt 0x2
	v_fmac_f64_e32 v[114:115], v[94:95], v[100:101]
	s_wait_loadcnt 0x1
	s_delay_alu instid0(VALU_DEP_1) | instskip(SKIP_1) | instid1(VALU_DEP_1)
	v_fmac_f64_e32 v[114:115], v[96:97], v[102:103]
	s_wait_dscnt 0x1
	v_fmac_f64_e32 v[114:115], v[98:99], v[84:85]
	s_wait_loadcnt 0x0
	s_delay_alu instid0(VALU_DEP_1) | instskip(SKIP_1) | instid1(VALU_DEP_1)
	v_fmac_f64_e32 v[114:115], v[80:81], v[86:87]
	s_wait_dscnt 0x0
	v_fmac_f64_e32 v[114:115], v[82:83], v[88:89]
	s_delay_alu instid0(VALU_DEP_1)
	v_add_f64_e64 v[78:79], v[78:79], -v[114:115]
	scratch_store_b64 off, v[78:79], off offset:72
	s_wait_xcnt 0x0
	v_cmpx_lt_u32_e32 8, v0
	s_cbranch_execz .LBB36_215
; %bb.214:
	scratch_load_b64 v[78:79], off, off offset:64
	v_mov_b64_e32 v[80:81], 0
	scratch_store_b64 off, v[80:81], off offset:64
	s_wait_loadcnt 0x0
	ds_store_b64 v1, v[78:79]
.LBB36_215:
	s_wait_xcnt 0x0
	s_or_b32 exec_lo, exec_lo, s0
	s_wait_storecnt_dscnt 0x0
	s_barrier_signal -1
	s_barrier_wait -1
	s_clause 0x5
	scratch_load_b128 v[78:81], off, off offset:64
	scratch_load_b128 v[82:85], off, off offset:80
	;; [unrolled: 1-line block ×6, first 2 shown]
	ds_load_2addr_b64 v[102:105], v2 offset0:47 offset1:48
	ds_load_2addr_b64 v[106:109], v2 offset0:49 offset1:50
	scratch_load_b128 v[110:113], off, off offset:160
	s_mov_b32 s0, exec_lo
	s_wait_loadcnt_dscnt 0x601
	v_fma_f64 v[114:115], v[80:81], v[102:103], 0
	s_wait_loadcnt 0x5
	s_delay_alu instid0(VALU_DEP_1) | instskip(SKIP_4) | instid1(VALU_DEP_1)
	v_fmac_f64_e32 v[114:115], v[82:83], v[104:105]
	scratch_load_b128 v[80:83], off, off offset:176
	s_wait_dscnt 0x0
	v_fmac_f64_e32 v[114:115], v[84:85], v[106:107]
	s_wait_loadcnt 0x5
	v_fmac_f64_e32 v[114:115], v[86:87], v[108:109]
	ds_load_2addr_b64 v[84:87], v2 offset0:51 offset1:52
	ds_load_2addr_b64 v[102:105], v2 offset0:53 offset1:54
	scratch_load_b128 v[106:109], off, off offset:192
	s_wait_dscnt 0x1
	v_fmac_f64_e32 v[114:115], v[88:89], v[84:85]
	s_wait_loadcnt 0x5
	s_delay_alu instid0(VALU_DEP_1) | instskip(SKIP_4) | instid1(VALU_DEP_1)
	v_fmac_f64_e32 v[114:115], v[90:91], v[86:87]
	scratch_load_b128 v[84:87], off, off offset:208
	s_wait_dscnt 0x0
	v_fmac_f64_e32 v[114:115], v[92:93], v[102:103]
	s_wait_loadcnt 0x5
	v_fmac_f64_e32 v[114:115], v[94:95], v[104:105]
	ds_load_2addr_b64 v[88:91], v2 offset0:55 offset1:56
	ds_load_2addr_b64 v[92:95], v2 offset0:57 offset1:58
	s_wait_dscnt 0x1
	v_fmac_f64_e32 v[114:115], v[96:97], v[88:89]
	s_wait_loadcnt 0x4
	s_delay_alu instid0(VALU_DEP_1) | instskip(SKIP_4) | instid1(VALU_DEP_1)
	v_fmac_f64_e32 v[114:115], v[98:99], v[90:91]
	scratch_load_b128 v[88:91], off, off offset:224
	s_wait_dscnt 0x0
	v_fmac_f64_e32 v[114:115], v[100:101], v[92:93]
	s_wait_loadcnt 0x4
	v_fmac_f64_e32 v[114:115], v[110:111], v[94:95]
	scratch_load_b128 v[92:95], off, off offset:240
	ds_load_2addr_b64 v[96:99], v2 offset0:59 offset1:60
	ds_load_2addr_b64 v[100:103], v2 offset0:61 offset1:62
	s_wait_dscnt 0x1
	v_fmac_f64_e32 v[114:115], v[112:113], v[96:97]
	s_wait_loadcnt 0x4
	s_delay_alu instid0(VALU_DEP_1)
	v_fmac_f64_e32 v[114:115], v[80:81], v[98:99]
	scratch_load_b128 v[96:99], off, off offset:256
	s_wait_dscnt 0x0
	v_fmac_f64_e32 v[114:115], v[82:83], v[100:101]
	scratch_load_b128 v[80:83], off, off offset:272
	s_wait_loadcnt 0x5
	v_fmac_f64_e32 v[114:115], v[106:107], v[102:103]
	ds_load_2addr_b64 v[100:103], v2 offset0:63 offset1:64
	ds_load_2addr_b64 v[104:107], v2 offset0:65 offset1:66
	s_wait_dscnt 0x1
	v_fmac_f64_e32 v[114:115], v[108:109], v[100:101]
	scratch_load_b64 v[108:109], off, off offset:288
	s_wait_loadcnt 0x5
	v_fmac_f64_e32 v[114:115], v[84:85], v[102:103]
	s_wait_dscnt 0x0
	s_delay_alu instid0(VALU_DEP_1)
	v_fmac_f64_e32 v[114:115], v[86:87], v[104:105]
	ds_load_2addr_b64 v[84:87], v2 offset0:67 offset1:68
	ds_load_2addr_b64 v[100:103], v2 offset0:69 offset1:70
	s_wait_loadcnt 0x4
	v_fmac_f64_e32 v[114:115], v[88:89], v[106:107]
	s_wait_dscnt 0x1
	s_delay_alu instid0(VALU_DEP_1) | instskip(SKIP_1) | instid1(VALU_DEP_1)
	v_fmac_f64_e32 v[114:115], v[90:91], v[84:85]
	s_wait_loadcnt 0x3
	v_fmac_f64_e32 v[114:115], v[92:93], v[86:87]
	ds_load_2addr_b64 v[84:87], v2 offset0:71 offset1:72
	ds_load_2addr_b64 v[88:91], v2 offset0:73 offset1:74
	s_wait_dscnt 0x2
	v_fmac_f64_e32 v[114:115], v[94:95], v[100:101]
	s_wait_loadcnt 0x2
	s_delay_alu instid0(VALU_DEP_1) | instskip(SKIP_1) | instid1(VALU_DEP_1)
	v_fmac_f64_e32 v[114:115], v[96:97], v[102:103]
	s_wait_dscnt 0x1
	v_fmac_f64_e32 v[114:115], v[98:99], v[84:85]
	s_wait_loadcnt 0x1
	s_delay_alu instid0(VALU_DEP_1) | instskip(SKIP_1) | instid1(VALU_DEP_1)
	v_fmac_f64_e32 v[114:115], v[80:81], v[86:87]
	s_wait_dscnt 0x0
	v_fmac_f64_e32 v[114:115], v[82:83], v[88:89]
	s_wait_loadcnt 0x0
	s_delay_alu instid0(VALU_DEP_1) | instskip(NEXT) | instid1(VALU_DEP_1)
	v_fmac_f64_e32 v[114:115], v[108:109], v[90:91]
	v_add_f64_e64 v[2:3], v[78:79], -v[114:115]
	scratch_store_b64 off, v[2:3], off offset:64
	s_wait_xcnt 0x0
	v_cmpx_lt_u32_e32 7, v0
	s_cbranch_execz .LBB36_217
; %bb.216:
	scratch_load_b64 v[2:3], off, off offset:56
	v_mov_b64_e32 v[78:79], 0
	scratch_store_b64 off, v[78:79], off offset:56
	s_wait_loadcnt 0x0
	ds_store_b64 v1, v[2:3]
.LBB36_217:
	s_wait_xcnt 0x0
	s_or_b32 exec_lo, exec_lo, s0
	s_wait_storecnt_dscnt 0x0
	s_barrier_signal -1
	s_barrier_wait -1
	s_clause 0x5
	scratch_load_b128 v[78:81], off, off offset:56
	scratch_load_b128 v[82:85], off, off offset:72
	;; [unrolled: 1-line block ×6, first 2 shown]
	v_mov_b32_e32 v2, 0
	ds_load_b128 v[102:105], v2 offset:368
	ds_load_b128 v[106:109], v2 offset:384
	scratch_load_b128 v[110:113], off, off offset:152
	s_mov_b32 s0, exec_lo
	s_wait_loadcnt_dscnt 0x601
	v_fma_f64 v[114:115], v[80:81], v[102:103], 0
	s_wait_loadcnt 0x5
	s_delay_alu instid0(VALU_DEP_1) | instskip(SKIP_4) | instid1(VALU_DEP_1)
	v_fmac_f64_e32 v[114:115], v[82:83], v[104:105]
	scratch_load_b128 v[80:83], off, off offset:168
	s_wait_dscnt 0x0
	v_fmac_f64_e32 v[114:115], v[84:85], v[106:107]
	s_wait_loadcnt 0x5
	v_fmac_f64_e32 v[114:115], v[86:87], v[108:109]
	ds_load_b128 v[84:87], v2 offset:400
	ds_load_b128 v[102:105], v2 offset:416
	scratch_load_b128 v[106:109], off, off offset:184
	s_wait_dscnt 0x1
	v_fmac_f64_e32 v[114:115], v[88:89], v[84:85]
	s_wait_loadcnt 0x5
	s_delay_alu instid0(VALU_DEP_1) | instskip(SKIP_4) | instid1(VALU_DEP_1)
	v_fmac_f64_e32 v[114:115], v[90:91], v[86:87]
	scratch_load_b128 v[84:87], off, off offset:200
	s_wait_dscnt 0x0
	v_fmac_f64_e32 v[114:115], v[92:93], v[102:103]
	s_wait_loadcnt 0x5
	v_fmac_f64_e32 v[114:115], v[94:95], v[104:105]
	ds_load_b128 v[88:91], v2 offset:432
	ds_load_b128 v[92:95], v2 offset:448
	s_wait_dscnt 0x1
	v_fmac_f64_e32 v[114:115], v[96:97], v[88:89]
	s_wait_loadcnt 0x4
	s_delay_alu instid0(VALU_DEP_1) | instskip(SKIP_4) | instid1(VALU_DEP_1)
	v_fmac_f64_e32 v[114:115], v[98:99], v[90:91]
	scratch_load_b128 v[88:91], off, off offset:216
	s_wait_dscnt 0x0
	v_fmac_f64_e32 v[114:115], v[100:101], v[92:93]
	s_wait_loadcnt 0x4
	v_fmac_f64_e32 v[114:115], v[110:111], v[94:95]
	scratch_load_b128 v[92:95], off, off offset:232
	ds_load_b128 v[96:99], v2 offset:464
	ds_load_b128 v[100:103], v2 offset:480
	s_wait_dscnt 0x1
	v_fmac_f64_e32 v[114:115], v[112:113], v[96:97]
	s_wait_loadcnt 0x4
	s_delay_alu instid0(VALU_DEP_1)
	v_fmac_f64_e32 v[114:115], v[80:81], v[98:99]
	scratch_load_b128 v[96:99], off, off offset:248
	s_wait_dscnt 0x0
	v_fmac_f64_e32 v[114:115], v[82:83], v[100:101]
	scratch_load_b128 v[80:83], off, off offset:264
	s_wait_loadcnt 0x5
	v_fmac_f64_e32 v[114:115], v[106:107], v[102:103]
	ds_load_b128 v[100:103], v2 offset:496
	ds_load_b128 v[104:107], v2 offset:512
	s_wait_dscnt 0x1
	v_fmac_f64_e32 v[114:115], v[108:109], v[100:101]
	s_wait_loadcnt 0x4
	s_delay_alu instid0(VALU_DEP_1) | instskip(SKIP_4) | instid1(VALU_DEP_1)
	v_fmac_f64_e32 v[114:115], v[84:85], v[102:103]
	scratch_load_b128 v[100:103], off, off offset:280
	s_wait_dscnt 0x0
	v_fmac_f64_e32 v[114:115], v[86:87], v[104:105]
	s_wait_loadcnt 0x4
	v_fmac_f64_e32 v[114:115], v[88:89], v[106:107]
	ds_load_b128 v[84:87], v2 offset:528
	ds_load_b128 v[104:107], v2 offset:544
	s_wait_dscnt 0x1
	v_fmac_f64_e32 v[114:115], v[90:91], v[84:85]
	s_wait_loadcnt 0x3
	s_delay_alu instid0(VALU_DEP_1)
	v_fmac_f64_e32 v[114:115], v[92:93], v[86:87]
	ds_load_b128 v[84:87], v2 offset:560
	ds_load_b128 v[88:91], v2 offset:576
	s_wait_dscnt 0x2
	v_fmac_f64_e32 v[114:115], v[94:95], v[104:105]
	s_wait_loadcnt 0x2
	s_delay_alu instid0(VALU_DEP_1) | instskip(SKIP_1) | instid1(VALU_DEP_1)
	v_fmac_f64_e32 v[114:115], v[96:97], v[106:107]
	s_wait_dscnt 0x1
	v_fmac_f64_e32 v[114:115], v[98:99], v[84:85]
	s_wait_loadcnt 0x1
	s_delay_alu instid0(VALU_DEP_1) | instskip(SKIP_4) | instid1(VALU_DEP_1)
	v_fmac_f64_e32 v[114:115], v[80:81], v[86:87]
	ds_load_b64 v[80:81], v2 offset:592
	s_wait_dscnt 0x1
	v_fmac_f64_e32 v[114:115], v[82:83], v[88:89]
	s_wait_loadcnt 0x0
	v_fmac_f64_e32 v[114:115], v[100:101], v[90:91]
	s_wait_dscnt 0x0
	s_delay_alu instid0(VALU_DEP_1) | instskip(NEXT) | instid1(VALU_DEP_1)
	v_fmac_f64_e32 v[114:115], v[102:103], v[80:81]
	v_add_f64_e64 v[78:79], v[78:79], -v[114:115]
	scratch_store_b64 off, v[78:79], off offset:56
	s_wait_xcnt 0x0
	v_cmpx_lt_u32_e32 6, v0
	s_cbranch_execz .LBB36_219
; %bb.218:
	scratch_load_b64 v[78:79], off, off offset:48
	v_mov_b64_e32 v[80:81], 0
	scratch_store_b64 off, v[80:81], off offset:48
	s_wait_loadcnt 0x0
	ds_store_b64 v1, v[78:79]
.LBB36_219:
	s_wait_xcnt 0x0
	s_or_b32 exec_lo, exec_lo, s0
	s_wait_storecnt_dscnt 0x0
	s_barrier_signal -1
	s_barrier_wait -1
	s_clause 0x5
	scratch_load_b128 v[78:81], off, off offset:48
	scratch_load_b128 v[82:85], off, off offset:64
	;; [unrolled: 1-line block ×6, first 2 shown]
	ds_load_2addr_b64 v[102:105], v2 offset0:45 offset1:46
	ds_load_2addr_b64 v[106:109], v2 offset0:47 offset1:48
	scratch_load_b128 v[110:113], off, off offset:144
	s_mov_b32 s0, exec_lo
	s_wait_loadcnt_dscnt 0x601
	v_fma_f64 v[114:115], v[80:81], v[102:103], 0
	s_wait_loadcnt 0x5
	s_delay_alu instid0(VALU_DEP_1) | instskip(SKIP_4) | instid1(VALU_DEP_1)
	v_fmac_f64_e32 v[114:115], v[82:83], v[104:105]
	scratch_load_b128 v[80:83], off, off offset:160
	s_wait_dscnt 0x0
	v_fmac_f64_e32 v[114:115], v[84:85], v[106:107]
	s_wait_loadcnt 0x5
	v_fmac_f64_e32 v[114:115], v[86:87], v[108:109]
	ds_load_2addr_b64 v[84:87], v2 offset0:49 offset1:50
	ds_load_2addr_b64 v[102:105], v2 offset0:51 offset1:52
	scratch_load_b128 v[106:109], off, off offset:176
	s_wait_dscnt 0x1
	v_fmac_f64_e32 v[114:115], v[88:89], v[84:85]
	s_wait_loadcnt 0x5
	s_delay_alu instid0(VALU_DEP_1) | instskip(SKIP_4) | instid1(VALU_DEP_1)
	v_fmac_f64_e32 v[114:115], v[90:91], v[86:87]
	scratch_load_b128 v[84:87], off, off offset:192
	s_wait_dscnt 0x0
	v_fmac_f64_e32 v[114:115], v[92:93], v[102:103]
	s_wait_loadcnt 0x5
	v_fmac_f64_e32 v[114:115], v[94:95], v[104:105]
	ds_load_2addr_b64 v[88:91], v2 offset0:53 offset1:54
	ds_load_2addr_b64 v[92:95], v2 offset0:55 offset1:56
	scratch_load_b128 v[102:105], off, off offset:208
	s_wait_dscnt 0x1
	v_fmac_f64_e32 v[114:115], v[96:97], v[88:89]
	s_wait_loadcnt 0x5
	s_delay_alu instid0(VALU_DEP_1) | instskip(SKIP_4) | instid1(VALU_DEP_1)
	v_fmac_f64_e32 v[114:115], v[98:99], v[90:91]
	scratch_load_b128 v[88:91], off, off offset:224
	s_wait_dscnt 0x0
	v_fmac_f64_e32 v[114:115], v[100:101], v[92:93]
	s_wait_loadcnt 0x5
	v_fmac_f64_e32 v[114:115], v[110:111], v[94:95]
	ds_load_2addr_b64 v[92:95], v2 offset0:57 offset1:58
	ds_load_2addr_b64 v[96:99], v2 offset0:59 offset1:60
	s_wait_dscnt 0x1
	v_fmac_f64_e32 v[114:115], v[112:113], v[92:93]
	s_wait_loadcnt 0x4
	s_delay_alu instid0(VALU_DEP_1)
	v_fmac_f64_e32 v[114:115], v[80:81], v[94:95]
	scratch_load_b128 v[92:95], off, off offset:240
	s_wait_dscnt 0x0
	v_fmac_f64_e32 v[114:115], v[82:83], v[96:97]
	scratch_load_b128 v[80:83], off, off offset:256
	s_wait_loadcnt 0x5
	v_fmac_f64_e32 v[114:115], v[106:107], v[98:99]
	ds_load_2addr_b64 v[96:99], v2 offset0:61 offset1:62
	ds_load_2addr_b64 v[110:113], v2 offset0:63 offset1:64
	scratch_load_b64 v[106:107], off, off offset:288
	s_wait_dscnt 0x1
	v_fmac_f64_e32 v[114:115], v[108:109], v[96:97]
	s_wait_loadcnt 0x5
	s_delay_alu instid0(VALU_DEP_1) | instskip(SKIP_4) | instid1(VALU_DEP_1)
	v_fmac_f64_e32 v[114:115], v[84:85], v[98:99]
	scratch_load_b128 v[96:99], off, off offset:272
	s_wait_dscnt 0x0
	v_fmac_f64_e32 v[114:115], v[86:87], v[110:111]
	s_wait_loadcnt 0x5
	v_fmac_f64_e32 v[114:115], v[102:103], v[112:113]
	ds_load_2addr_b64 v[84:87], v2 offset0:65 offset1:66
	ds_load_2addr_b64 v[100:103], v2 offset0:67 offset1:68
	s_wait_dscnt 0x1
	v_fmac_f64_e32 v[114:115], v[104:105], v[84:85]
	s_wait_loadcnt 0x4
	s_delay_alu instid0(VALU_DEP_1) | instskip(SKIP_1) | instid1(VALU_DEP_1)
	v_fmac_f64_e32 v[114:115], v[88:89], v[86:87]
	s_wait_dscnt 0x0
	v_fmac_f64_e32 v[114:115], v[90:91], v[100:101]
	ds_load_2addr_b64 v[84:87], v2 offset0:69 offset1:70
	ds_load_2addr_b64 v[88:91], v2 offset0:71 offset1:72
	s_wait_loadcnt 0x3
	v_fmac_f64_e32 v[114:115], v[92:93], v[102:103]
	s_wait_dscnt 0x1
	s_delay_alu instid0(VALU_DEP_1) | instskip(SKIP_1) | instid1(VALU_DEP_1)
	v_fmac_f64_e32 v[114:115], v[94:95], v[84:85]
	s_wait_loadcnt 0x2
	v_fmac_f64_e32 v[114:115], v[80:81], v[86:87]
	s_wait_dscnt 0x0
	s_delay_alu instid0(VALU_DEP_1) | instskip(SKIP_4) | instid1(VALU_DEP_1)
	v_fmac_f64_e32 v[114:115], v[82:83], v[88:89]
	ds_load_2addr_b64 v[80:83], v2 offset0:73 offset1:74
	s_wait_loadcnt 0x0
	v_fmac_f64_e32 v[114:115], v[96:97], v[90:91]
	s_wait_dscnt 0x0
	v_fmac_f64_e32 v[114:115], v[98:99], v[80:81]
	s_delay_alu instid0(VALU_DEP_1) | instskip(NEXT) | instid1(VALU_DEP_1)
	v_fmac_f64_e32 v[114:115], v[106:107], v[82:83]
	v_add_f64_e64 v[2:3], v[78:79], -v[114:115]
	scratch_store_b64 off, v[2:3], off offset:48
	s_wait_xcnt 0x0
	v_cmpx_lt_u32_e32 5, v0
	s_cbranch_execz .LBB36_221
; %bb.220:
	scratch_load_b64 v[2:3], off, off offset:40
	v_mov_b64_e32 v[78:79], 0
	scratch_store_b64 off, v[78:79], off offset:40
	s_wait_loadcnt 0x0
	ds_store_b64 v1, v[2:3]
.LBB36_221:
	s_wait_xcnt 0x0
	s_or_b32 exec_lo, exec_lo, s0
	s_wait_storecnt_dscnt 0x0
	s_barrier_signal -1
	s_barrier_wait -1
	s_clause 0x5
	scratch_load_b128 v[78:81], off, off offset:40
	scratch_load_b128 v[82:85], off, off offset:56
	;; [unrolled: 1-line block ×6, first 2 shown]
	v_mov_b32_e32 v2, 0
	ds_load_b128 v[102:105], v2 offset:352
	ds_load_b128 v[106:109], v2 offset:368
	scratch_load_b128 v[110:113], off, off offset:136
	s_mov_b32 s0, exec_lo
	s_wait_loadcnt_dscnt 0x601
	v_fma_f64 v[114:115], v[80:81], v[102:103], 0
	s_wait_loadcnt 0x5
	s_delay_alu instid0(VALU_DEP_1) | instskip(SKIP_4) | instid1(VALU_DEP_1)
	v_fmac_f64_e32 v[114:115], v[82:83], v[104:105]
	scratch_load_b128 v[80:83], off, off offset:152
	s_wait_dscnt 0x0
	v_fmac_f64_e32 v[114:115], v[84:85], v[106:107]
	s_wait_loadcnt 0x5
	v_fmac_f64_e32 v[114:115], v[86:87], v[108:109]
	ds_load_b128 v[84:87], v2 offset:384
	ds_load_b128 v[102:105], v2 offset:400
	scratch_load_b128 v[106:109], off, off offset:168
	s_wait_dscnt 0x1
	v_fmac_f64_e32 v[114:115], v[88:89], v[84:85]
	s_wait_loadcnt 0x5
	s_delay_alu instid0(VALU_DEP_1) | instskip(SKIP_4) | instid1(VALU_DEP_1)
	v_fmac_f64_e32 v[114:115], v[90:91], v[86:87]
	scratch_load_b128 v[84:87], off, off offset:184
	s_wait_dscnt 0x0
	v_fmac_f64_e32 v[114:115], v[92:93], v[102:103]
	s_wait_loadcnt 0x5
	v_fmac_f64_e32 v[114:115], v[94:95], v[104:105]
	ds_load_b128 v[88:91], v2 offset:416
	ds_load_b128 v[92:95], v2 offset:432
	scratch_load_b128 v[102:105], off, off offset:200
	s_wait_dscnt 0x1
	v_fmac_f64_e32 v[114:115], v[96:97], v[88:89]
	s_wait_loadcnt 0x5
	s_delay_alu instid0(VALU_DEP_1) | instskip(SKIP_4) | instid1(VALU_DEP_1)
	v_fmac_f64_e32 v[114:115], v[98:99], v[90:91]
	scratch_load_b128 v[88:91], off, off offset:216
	s_wait_dscnt 0x0
	v_fmac_f64_e32 v[114:115], v[100:101], v[92:93]
	s_wait_loadcnt 0x5
	v_fmac_f64_e32 v[114:115], v[110:111], v[94:95]
	ds_load_b128 v[92:95], v2 offset:448
	ds_load_b128 v[96:99], v2 offset:464
	s_wait_dscnt 0x1
	v_fmac_f64_e32 v[114:115], v[112:113], v[92:93]
	s_wait_loadcnt 0x4
	s_delay_alu instid0(VALU_DEP_1)
	v_fmac_f64_e32 v[114:115], v[80:81], v[94:95]
	scratch_load_b128 v[92:95], off, off offset:232
	s_wait_dscnt 0x0
	v_fmac_f64_e32 v[114:115], v[82:83], v[96:97]
	scratch_load_b128 v[80:83], off, off offset:248
	s_wait_loadcnt 0x5
	v_fmac_f64_e32 v[114:115], v[106:107], v[98:99]
	ds_load_b128 v[96:99], v2 offset:480
	ds_load_b128 v[110:113], v2 offset:496
	s_wait_dscnt 0x1
	v_fmac_f64_e32 v[114:115], v[108:109], v[96:97]
	s_wait_loadcnt 0x4
	s_delay_alu instid0(VALU_DEP_1)
	v_fmac_f64_e32 v[114:115], v[84:85], v[98:99]
	scratch_load_b128 v[96:99], off, off offset:264
	s_wait_dscnt 0x0
	v_fmac_f64_e32 v[114:115], v[86:87], v[110:111]
	scratch_load_b128 v[84:87], off, off offset:280
	s_wait_loadcnt 0x5
	v_fmac_f64_e32 v[114:115], v[102:103], v[112:113]
	ds_load_b128 v[100:103], v2 offset:512
	ds_load_b128 v[106:109], v2 offset:528
	s_wait_dscnt 0x1
	v_fmac_f64_e32 v[114:115], v[104:105], v[100:101]
	s_wait_loadcnt 0x4
	s_delay_alu instid0(VALU_DEP_1) | instskip(SKIP_1) | instid1(VALU_DEP_1)
	v_fmac_f64_e32 v[114:115], v[88:89], v[102:103]
	s_wait_dscnt 0x0
	v_fmac_f64_e32 v[114:115], v[90:91], v[106:107]
	ds_load_b128 v[88:91], v2 offset:544
	ds_load_b128 v[100:103], v2 offset:560
	s_wait_loadcnt 0x3
	v_fmac_f64_e32 v[114:115], v[92:93], v[108:109]
	s_wait_dscnt 0x1
	s_delay_alu instid0(VALU_DEP_1) | instskip(SKIP_1) | instid1(VALU_DEP_1)
	v_fmac_f64_e32 v[114:115], v[94:95], v[88:89]
	s_wait_loadcnt 0x2
	v_fmac_f64_e32 v[114:115], v[80:81], v[90:91]
	s_wait_dscnt 0x0
	s_delay_alu instid0(VALU_DEP_1)
	v_fmac_f64_e32 v[114:115], v[82:83], v[100:101]
	ds_load_b128 v[80:83], v2 offset:576
	ds_load_b64 v[88:89], v2 offset:592
	s_wait_loadcnt 0x1
	v_fmac_f64_e32 v[114:115], v[96:97], v[102:103]
	s_wait_dscnt 0x1
	s_delay_alu instid0(VALU_DEP_1) | instskip(SKIP_1) | instid1(VALU_DEP_1)
	v_fmac_f64_e32 v[114:115], v[98:99], v[80:81]
	s_wait_loadcnt 0x0
	v_fmac_f64_e32 v[114:115], v[84:85], v[82:83]
	s_wait_dscnt 0x0
	s_delay_alu instid0(VALU_DEP_1) | instskip(NEXT) | instid1(VALU_DEP_1)
	v_fmac_f64_e32 v[114:115], v[86:87], v[88:89]
	v_add_f64_e64 v[78:79], v[78:79], -v[114:115]
	scratch_store_b64 off, v[78:79], off offset:40
	s_wait_xcnt 0x0
	v_cmpx_lt_u32_e32 4, v0
	s_cbranch_execz .LBB36_223
; %bb.222:
	scratch_load_b64 v[78:79], off, off offset:32
	v_mov_b64_e32 v[80:81], 0
	scratch_store_b64 off, v[80:81], off offset:32
	s_wait_loadcnt 0x0
	ds_store_b64 v1, v[78:79]
.LBB36_223:
	s_wait_xcnt 0x0
	s_or_b32 exec_lo, exec_lo, s0
	s_wait_storecnt_dscnt 0x0
	s_barrier_signal -1
	s_barrier_wait -1
	s_clause 0x5
	scratch_load_b128 v[78:81], off, off offset:32
	scratch_load_b128 v[82:85], off, off offset:48
	;; [unrolled: 1-line block ×6, first 2 shown]
	ds_load_2addr_b64 v[102:105], v2 offset0:43 offset1:44
	ds_load_2addr_b64 v[106:109], v2 offset0:45 offset1:46
	scratch_load_b128 v[110:113], off, off offset:128
	s_mov_b32 s0, exec_lo
	s_wait_loadcnt_dscnt 0x601
	v_fma_f64 v[114:115], v[80:81], v[102:103], 0
	s_wait_loadcnt 0x5
	s_delay_alu instid0(VALU_DEP_1) | instskip(SKIP_4) | instid1(VALU_DEP_1)
	v_fmac_f64_e32 v[114:115], v[82:83], v[104:105]
	scratch_load_b128 v[80:83], off, off offset:144
	s_wait_dscnt 0x0
	v_fmac_f64_e32 v[114:115], v[84:85], v[106:107]
	s_wait_loadcnt 0x5
	v_fmac_f64_e32 v[114:115], v[86:87], v[108:109]
	ds_load_2addr_b64 v[84:87], v2 offset0:47 offset1:48
	ds_load_2addr_b64 v[102:105], v2 offset0:49 offset1:50
	scratch_load_b128 v[106:109], off, off offset:160
	s_wait_dscnt 0x1
	v_fmac_f64_e32 v[114:115], v[88:89], v[84:85]
	s_wait_loadcnt 0x5
	s_delay_alu instid0(VALU_DEP_1) | instskip(SKIP_4) | instid1(VALU_DEP_1)
	v_fmac_f64_e32 v[114:115], v[90:91], v[86:87]
	scratch_load_b128 v[84:87], off, off offset:176
	s_wait_dscnt 0x0
	v_fmac_f64_e32 v[114:115], v[92:93], v[102:103]
	s_wait_loadcnt 0x5
	v_fmac_f64_e32 v[114:115], v[94:95], v[104:105]
	ds_load_2addr_b64 v[88:91], v2 offset0:51 offset1:52
	ds_load_2addr_b64 v[92:95], v2 offset0:53 offset1:54
	scratch_load_b128 v[102:105], off, off offset:192
	s_wait_dscnt 0x1
	v_fmac_f64_e32 v[114:115], v[96:97], v[88:89]
	s_wait_loadcnt 0x5
	s_delay_alu instid0(VALU_DEP_1) | instskip(SKIP_4) | instid1(VALU_DEP_1)
	v_fmac_f64_e32 v[114:115], v[98:99], v[90:91]
	scratch_load_b128 v[88:91], off, off offset:208
	s_wait_dscnt 0x0
	v_fmac_f64_e32 v[114:115], v[100:101], v[92:93]
	s_wait_loadcnt 0x5
	v_fmac_f64_e32 v[114:115], v[110:111], v[94:95]
	ds_load_2addr_b64 v[92:95], v2 offset0:55 offset1:56
	ds_load_2addr_b64 v[96:99], v2 offset0:57 offset1:58
	s_wait_dscnt 0x1
	v_fmac_f64_e32 v[114:115], v[112:113], v[92:93]
	s_wait_loadcnt 0x4
	s_delay_alu instid0(VALU_DEP_1)
	v_fmac_f64_e32 v[114:115], v[80:81], v[94:95]
	scratch_load_b128 v[92:95], off, off offset:224
	s_wait_dscnt 0x0
	v_fmac_f64_e32 v[114:115], v[82:83], v[96:97]
	scratch_load_b128 v[80:83], off, off offset:240
	s_wait_loadcnt 0x5
	v_fmac_f64_e32 v[114:115], v[106:107], v[98:99]
	ds_load_2addr_b64 v[96:99], v2 offset0:59 offset1:60
	ds_load_2addr_b64 v[110:113], v2 offset0:61 offset1:62
	s_wait_dscnt 0x1
	v_fmac_f64_e32 v[114:115], v[108:109], v[96:97]
	s_wait_loadcnt 0x4
	s_delay_alu instid0(VALU_DEP_1)
	v_fmac_f64_e32 v[114:115], v[84:85], v[98:99]
	scratch_load_b128 v[96:99], off, off offset:256
	s_wait_dscnt 0x0
	v_fmac_f64_e32 v[114:115], v[86:87], v[110:111]
	scratch_load_b128 v[84:87], off, off offset:272
	s_wait_loadcnt 0x5
	v_fmac_f64_e32 v[114:115], v[102:103], v[112:113]
	ds_load_2addr_b64 v[100:103], v2 offset0:63 offset1:64
	ds_load_2addr_b64 v[106:109], v2 offset0:65 offset1:66
	s_wait_dscnt 0x1
	v_fmac_f64_e32 v[114:115], v[104:105], v[100:101]
	scratch_load_b64 v[104:105], off, off offset:288
	s_wait_loadcnt 0x5
	v_fmac_f64_e32 v[114:115], v[88:89], v[102:103]
	s_wait_dscnt 0x0
	s_delay_alu instid0(VALU_DEP_1)
	v_fmac_f64_e32 v[114:115], v[90:91], v[106:107]
	ds_load_2addr_b64 v[88:91], v2 offset0:67 offset1:68
	ds_load_2addr_b64 v[100:103], v2 offset0:69 offset1:70
	s_wait_loadcnt 0x4
	v_fmac_f64_e32 v[114:115], v[92:93], v[108:109]
	s_wait_dscnt 0x1
	s_delay_alu instid0(VALU_DEP_1) | instskip(SKIP_1) | instid1(VALU_DEP_1)
	v_fmac_f64_e32 v[114:115], v[94:95], v[88:89]
	s_wait_loadcnt 0x3
	v_fmac_f64_e32 v[114:115], v[80:81], v[90:91]
	s_wait_dscnt 0x0
	s_delay_alu instid0(VALU_DEP_1)
	v_fmac_f64_e32 v[114:115], v[82:83], v[100:101]
	ds_load_2addr_b64 v[80:83], v2 offset0:71 offset1:72
	ds_load_2addr_b64 v[88:91], v2 offset0:73 offset1:74
	s_wait_loadcnt 0x2
	v_fmac_f64_e32 v[114:115], v[96:97], v[102:103]
	s_wait_dscnt 0x1
	s_delay_alu instid0(VALU_DEP_1) | instskip(SKIP_1) | instid1(VALU_DEP_1)
	v_fmac_f64_e32 v[114:115], v[98:99], v[80:81]
	s_wait_loadcnt 0x1
	v_fmac_f64_e32 v[114:115], v[84:85], v[82:83]
	s_wait_dscnt 0x0
	s_delay_alu instid0(VALU_DEP_1) | instskip(SKIP_1) | instid1(VALU_DEP_1)
	v_fmac_f64_e32 v[114:115], v[86:87], v[88:89]
	s_wait_loadcnt 0x0
	v_fmac_f64_e32 v[114:115], v[104:105], v[90:91]
	s_delay_alu instid0(VALU_DEP_1)
	v_add_f64_e64 v[2:3], v[78:79], -v[114:115]
	scratch_store_b64 off, v[2:3], off offset:32
	s_wait_xcnt 0x0
	v_cmpx_lt_u32_e32 3, v0
	s_cbranch_execz .LBB36_225
; %bb.224:
	scratch_load_b64 v[2:3], off, off offset:24
	v_mov_b64_e32 v[78:79], 0
	scratch_store_b64 off, v[78:79], off offset:24
	s_wait_loadcnt 0x0
	ds_store_b64 v1, v[2:3]
.LBB36_225:
	s_wait_xcnt 0x0
	s_or_b32 exec_lo, exec_lo, s0
	s_wait_storecnt_dscnt 0x0
	s_barrier_signal -1
	s_barrier_wait -1
	s_clause 0x5
	scratch_load_b128 v[78:81], off, off offset:24
	scratch_load_b128 v[82:85], off, off offset:40
	;; [unrolled: 1-line block ×6, first 2 shown]
	v_mov_b32_e32 v2, 0
	ds_load_b128 v[102:105], v2 offset:336
	ds_load_b128 v[106:109], v2 offset:352
	scratch_load_b128 v[110:113], off, off offset:120
	s_mov_b32 s0, exec_lo
	s_wait_loadcnt_dscnt 0x601
	v_fma_f64 v[114:115], v[80:81], v[102:103], 0
	s_wait_loadcnt 0x5
	s_delay_alu instid0(VALU_DEP_1) | instskip(SKIP_4) | instid1(VALU_DEP_1)
	v_fmac_f64_e32 v[114:115], v[82:83], v[104:105]
	scratch_load_b128 v[80:83], off, off offset:136
	s_wait_dscnt 0x0
	v_fmac_f64_e32 v[114:115], v[84:85], v[106:107]
	s_wait_loadcnt 0x5
	v_fmac_f64_e32 v[114:115], v[86:87], v[108:109]
	ds_load_b128 v[84:87], v2 offset:368
	ds_load_b128 v[102:105], v2 offset:384
	scratch_load_b128 v[106:109], off, off offset:152
	s_wait_dscnt 0x1
	v_fmac_f64_e32 v[114:115], v[88:89], v[84:85]
	s_wait_loadcnt 0x5
	s_delay_alu instid0(VALU_DEP_1) | instskip(SKIP_4) | instid1(VALU_DEP_1)
	v_fmac_f64_e32 v[114:115], v[90:91], v[86:87]
	scratch_load_b128 v[84:87], off, off offset:168
	s_wait_dscnt 0x0
	v_fmac_f64_e32 v[114:115], v[92:93], v[102:103]
	s_wait_loadcnt 0x5
	v_fmac_f64_e32 v[114:115], v[94:95], v[104:105]
	ds_load_b128 v[88:91], v2 offset:400
	ds_load_b128 v[92:95], v2 offset:416
	scratch_load_b128 v[102:105], off, off offset:184
	s_wait_dscnt 0x1
	v_fmac_f64_e32 v[114:115], v[96:97], v[88:89]
	s_wait_loadcnt 0x5
	s_delay_alu instid0(VALU_DEP_1) | instskip(SKIP_4) | instid1(VALU_DEP_1)
	v_fmac_f64_e32 v[114:115], v[98:99], v[90:91]
	scratch_load_b128 v[88:91], off, off offset:200
	s_wait_dscnt 0x0
	v_fmac_f64_e32 v[114:115], v[100:101], v[92:93]
	s_wait_loadcnt 0x5
	v_fmac_f64_e32 v[114:115], v[110:111], v[94:95]
	ds_load_b128 v[92:95], v2 offset:432
	ds_load_b128 v[96:99], v2 offset:448
	s_wait_dscnt 0x1
	v_fmac_f64_e32 v[114:115], v[112:113], v[92:93]
	s_wait_loadcnt 0x4
	s_delay_alu instid0(VALU_DEP_1)
	v_fmac_f64_e32 v[114:115], v[80:81], v[94:95]
	scratch_load_b128 v[92:95], off, off offset:216
	s_wait_dscnt 0x0
	v_fmac_f64_e32 v[114:115], v[82:83], v[96:97]
	scratch_load_b128 v[80:83], off, off offset:232
	s_wait_loadcnt 0x5
	v_fmac_f64_e32 v[114:115], v[106:107], v[98:99]
	ds_load_b128 v[96:99], v2 offset:464
	ds_load_b128 v[110:113], v2 offset:480
	s_wait_dscnt 0x1
	v_fmac_f64_e32 v[114:115], v[108:109], v[96:97]
	s_wait_loadcnt 0x4
	s_delay_alu instid0(VALU_DEP_1)
	v_fmac_f64_e32 v[114:115], v[84:85], v[98:99]
	scratch_load_b128 v[96:99], off, off offset:248
	s_wait_dscnt 0x0
	v_fmac_f64_e32 v[114:115], v[86:87], v[110:111]
	scratch_load_b128 v[84:87], off, off offset:264
	s_wait_loadcnt 0x5
	v_fmac_f64_e32 v[114:115], v[102:103], v[112:113]
	ds_load_b128 v[100:103], v2 offset:496
	ds_load_b128 v[106:109], v2 offset:512
	s_wait_dscnt 0x1
	v_fmac_f64_e32 v[114:115], v[104:105], v[100:101]
	s_wait_loadcnt 0x4
	s_delay_alu instid0(VALU_DEP_1)
	v_fmac_f64_e32 v[114:115], v[88:89], v[102:103]
	scratch_load_b128 v[100:103], off, off offset:280
	s_wait_dscnt 0x0
	v_fmac_f64_e32 v[114:115], v[90:91], v[106:107]
	ds_load_b128 v[88:91], v2 offset:528
	ds_load_b128 v[104:107], v2 offset:544
	s_wait_loadcnt 0x4
	v_fmac_f64_e32 v[114:115], v[92:93], v[108:109]
	s_wait_dscnt 0x1
	s_delay_alu instid0(VALU_DEP_1) | instskip(SKIP_1) | instid1(VALU_DEP_1)
	v_fmac_f64_e32 v[114:115], v[94:95], v[88:89]
	s_wait_loadcnt 0x3
	v_fmac_f64_e32 v[114:115], v[80:81], v[90:91]
	s_wait_dscnt 0x0
	s_delay_alu instid0(VALU_DEP_1)
	v_fmac_f64_e32 v[114:115], v[82:83], v[104:105]
	ds_load_b128 v[80:83], v2 offset:560
	ds_load_b128 v[88:91], v2 offset:576
	s_wait_loadcnt 0x2
	v_fmac_f64_e32 v[114:115], v[96:97], v[106:107]
	s_wait_dscnt 0x1
	s_delay_alu instid0(VALU_DEP_1) | instskip(SKIP_4) | instid1(VALU_DEP_1)
	v_fmac_f64_e32 v[114:115], v[98:99], v[80:81]
	ds_load_b64 v[80:81], v2 offset:592
	s_wait_loadcnt 0x1
	v_fmac_f64_e32 v[114:115], v[84:85], v[82:83]
	s_wait_dscnt 0x1
	v_fmac_f64_e32 v[114:115], v[86:87], v[88:89]
	s_wait_loadcnt 0x0
	s_delay_alu instid0(VALU_DEP_1) | instskip(SKIP_1) | instid1(VALU_DEP_1)
	v_fmac_f64_e32 v[114:115], v[100:101], v[90:91]
	s_wait_dscnt 0x0
	v_fmac_f64_e32 v[114:115], v[102:103], v[80:81]
	s_delay_alu instid0(VALU_DEP_1)
	v_add_f64_e64 v[78:79], v[78:79], -v[114:115]
	scratch_store_b64 off, v[78:79], off offset:24
	s_wait_xcnt 0x0
	v_cmpx_lt_u32_e32 2, v0
	s_cbranch_execz .LBB36_227
; %bb.226:
	scratch_load_b64 v[78:79], off, off offset:16
	v_mov_b64_e32 v[80:81], 0
	scratch_store_b64 off, v[80:81], off offset:16
	s_wait_loadcnt 0x0
	ds_store_b64 v1, v[78:79]
.LBB36_227:
	s_wait_xcnt 0x0
	s_or_b32 exec_lo, exec_lo, s0
	s_wait_storecnt_dscnt 0x0
	s_barrier_signal -1
	s_barrier_wait -1
	s_clause 0x5
	scratch_load_b128 v[78:81], off, off offset:16
	scratch_load_b128 v[82:85], off, off offset:32
	;; [unrolled: 1-line block ×6, first 2 shown]
	ds_load_2addr_b64 v[102:105], v2 offset0:41 offset1:42
	ds_load_2addr_b64 v[106:109], v2 offset0:43 offset1:44
	scratch_load_b128 v[110:113], off, off offset:112
	s_mov_b32 s0, exec_lo
	s_wait_loadcnt_dscnt 0x601
	v_fma_f64 v[114:115], v[80:81], v[102:103], 0
	s_wait_loadcnt 0x5
	s_delay_alu instid0(VALU_DEP_1) | instskip(SKIP_4) | instid1(VALU_DEP_1)
	v_fmac_f64_e32 v[114:115], v[82:83], v[104:105]
	scratch_load_b128 v[80:83], off, off offset:128
	s_wait_dscnt 0x0
	v_fmac_f64_e32 v[114:115], v[84:85], v[106:107]
	s_wait_loadcnt 0x5
	v_fmac_f64_e32 v[114:115], v[86:87], v[108:109]
	ds_load_2addr_b64 v[84:87], v2 offset0:45 offset1:46
	ds_load_2addr_b64 v[102:105], v2 offset0:47 offset1:48
	scratch_load_b128 v[106:109], off, off offset:144
	s_wait_dscnt 0x1
	v_fmac_f64_e32 v[114:115], v[88:89], v[84:85]
	s_wait_loadcnt 0x5
	s_delay_alu instid0(VALU_DEP_1) | instskip(SKIP_4) | instid1(VALU_DEP_1)
	v_fmac_f64_e32 v[114:115], v[90:91], v[86:87]
	scratch_load_b128 v[84:87], off, off offset:160
	s_wait_dscnt 0x0
	v_fmac_f64_e32 v[114:115], v[92:93], v[102:103]
	s_wait_loadcnt 0x5
	v_fmac_f64_e32 v[114:115], v[94:95], v[104:105]
	ds_load_2addr_b64 v[88:91], v2 offset0:49 offset1:50
	ds_load_2addr_b64 v[92:95], v2 offset0:51 offset1:52
	scratch_load_b128 v[102:105], off, off offset:176
	s_wait_dscnt 0x1
	v_fmac_f64_e32 v[114:115], v[96:97], v[88:89]
	s_wait_loadcnt 0x5
	s_delay_alu instid0(VALU_DEP_1) | instskip(SKIP_4) | instid1(VALU_DEP_1)
	v_fmac_f64_e32 v[114:115], v[98:99], v[90:91]
	scratch_load_b128 v[88:91], off, off offset:192
	s_wait_dscnt 0x0
	v_fmac_f64_e32 v[114:115], v[100:101], v[92:93]
	s_wait_loadcnt 0x5
	v_fmac_f64_e32 v[114:115], v[110:111], v[94:95]
	ds_load_2addr_b64 v[92:95], v2 offset0:53 offset1:54
	ds_load_2addr_b64 v[96:99], v2 offset0:55 offset1:56
	s_wait_dscnt 0x1
	v_fmac_f64_e32 v[114:115], v[112:113], v[92:93]
	scratch_load_b128 v[110:113], off, off offset:208
	s_wait_loadcnt 0x5
	v_fmac_f64_e32 v[114:115], v[80:81], v[94:95]
	s_wait_dscnt 0x0
	s_delay_alu instid0(VALU_DEP_1)
	v_fmac_f64_e32 v[114:115], v[82:83], v[96:97]
	scratch_load_b128 v[80:83], off, off offset:224
	s_wait_loadcnt 0x5
	v_fmac_f64_e32 v[114:115], v[106:107], v[98:99]
	ds_load_2addr_b64 v[92:95], v2 offset0:57 offset1:58
	ds_load_2addr_b64 v[96:99], v2 offset0:59 offset1:60
	s_wait_dscnt 0x1
	v_fmac_f64_e32 v[114:115], v[108:109], v[92:93]
	s_wait_loadcnt 0x4
	s_delay_alu instid0(VALU_DEP_1)
	v_fmac_f64_e32 v[114:115], v[84:85], v[94:95]
	scratch_load_b128 v[92:95], off, off offset:240
	s_wait_dscnt 0x0
	v_fmac_f64_e32 v[114:115], v[86:87], v[96:97]
	scratch_load_b128 v[84:87], off, off offset:256
	s_wait_loadcnt 0x5
	v_fmac_f64_e32 v[114:115], v[102:103], v[98:99]
	ds_load_2addr_b64 v[96:99], v2 offset0:61 offset1:62
	ds_load_2addr_b64 v[100:103], v2 offset0:63 offset1:64
	s_wait_dscnt 0x1
	v_fmac_f64_e32 v[114:115], v[104:105], v[96:97]
	scratch_load_b64 v[104:105], off, off offset:288
	s_wait_loadcnt 0x5
	v_fmac_f64_e32 v[114:115], v[88:89], v[98:99]
	scratch_load_b128 v[96:99], off, off offset:272
	s_wait_dscnt 0x0
	v_fmac_f64_e32 v[114:115], v[90:91], v[100:101]
	s_wait_loadcnt 0x5
	s_delay_alu instid0(VALU_DEP_1)
	v_fmac_f64_e32 v[114:115], v[110:111], v[102:103]
	ds_load_2addr_b64 v[88:91], v2 offset0:65 offset1:66
	ds_load_2addr_b64 v[100:103], v2 offset0:67 offset1:68
	s_wait_dscnt 0x1
	v_fmac_f64_e32 v[114:115], v[112:113], v[88:89]
	s_wait_loadcnt 0x4
	s_delay_alu instid0(VALU_DEP_1) | instskip(SKIP_1) | instid1(VALU_DEP_1)
	v_fmac_f64_e32 v[114:115], v[80:81], v[90:91]
	s_wait_dscnt 0x0
	v_fmac_f64_e32 v[114:115], v[82:83], v[100:101]
	ds_load_2addr_b64 v[80:83], v2 offset0:69 offset1:70
	ds_load_2addr_b64 v[88:91], v2 offset0:71 offset1:72
	s_wait_loadcnt 0x3
	v_fmac_f64_e32 v[114:115], v[92:93], v[102:103]
	s_wait_dscnt 0x1
	s_delay_alu instid0(VALU_DEP_1) | instskip(SKIP_1) | instid1(VALU_DEP_1)
	v_fmac_f64_e32 v[114:115], v[94:95], v[80:81]
	s_wait_loadcnt 0x2
	v_fmac_f64_e32 v[114:115], v[84:85], v[82:83]
	ds_load_2addr_b64 v[80:83], v2 offset0:73 offset1:74
	s_wait_dscnt 0x1
	v_fmac_f64_e32 v[114:115], v[86:87], v[88:89]
	s_wait_loadcnt 0x0
	s_delay_alu instid0(VALU_DEP_1) | instskip(SKIP_1) | instid1(VALU_DEP_1)
	v_fmac_f64_e32 v[114:115], v[96:97], v[90:91]
	s_wait_dscnt 0x0
	v_fmac_f64_e32 v[114:115], v[98:99], v[80:81]
	s_delay_alu instid0(VALU_DEP_1) | instskip(NEXT) | instid1(VALU_DEP_1)
	v_fmac_f64_e32 v[114:115], v[104:105], v[82:83]
	v_add_f64_e64 v[2:3], v[78:79], -v[114:115]
	scratch_store_b64 off, v[2:3], off offset:16
	s_wait_xcnt 0x0
	v_cmpx_lt_u32_e32 1, v0
	s_cbranch_execz .LBB36_229
; %bb.228:
	scratch_load_b64 v[2:3], off, off offset:8
	v_mov_b64_e32 v[78:79], 0
	scratch_store_b64 off, v[78:79], off offset:8
	s_wait_loadcnt 0x0
	ds_store_b64 v1, v[2:3]
.LBB36_229:
	s_wait_xcnt 0x0
	s_or_b32 exec_lo, exec_lo, s0
	s_wait_storecnt_dscnt 0x0
	s_barrier_signal -1
	s_barrier_wait -1
	s_clause 0x5
	scratch_load_b128 v[80:83], off, off offset:8
	scratch_load_b128 v[84:87], off, off offset:24
	;; [unrolled: 1-line block ×6, first 2 shown]
	v_dual_mov_b32 v78, 0 :: v_dual_ashrrev_i32 v9, 31, v8
	ds_load_b128 v[104:107], v78 offset:320
	ds_load_b128 v[108:111], v78 offset:336
	v_dual_ashrrev_i32 v11, 31, v10 :: v_dual_ashrrev_i32 v13, 31, v12
	v_dual_ashrrev_i32 v15, 31, v14 :: v_dual_ashrrev_i32 v17, 31, v16
	;; [unrolled: 1-line block ×16, first 2 shown]
	v_ashrrev_i32_e32 v75, 31, v74
	s_mov_b32 s0, exec_lo
	v_ashrrev_i32_e32 v25, 31, v24
	s_wait_loadcnt_dscnt 0x501
	v_fma_f64 v[2:3], v[82:83], v[104:105], 0
	s_wait_loadcnt 0x4
	s_delay_alu instid0(VALU_DEP_1) | instskip(SKIP_4) | instid1(VALU_DEP_1)
	v_fmac_f64_e32 v[2:3], v[84:85], v[106:107]
	scratch_load_b128 v[82:85], off, off offset:104
	s_wait_dscnt 0x0
	v_fmac_f64_e32 v[2:3], v[86:87], v[108:109]
	s_wait_loadcnt 0x4
	v_fmac_f64_e32 v[2:3], v[88:89], v[110:111]
	ds_load_b128 v[86:89], v78 offset:352
	ds_load_b128 v[104:107], v78 offset:368
	scratch_load_b128 v[108:111], off, off offset:120
	s_wait_dscnt 0x1
	v_fmac_f64_e32 v[2:3], v[90:91], v[86:87]
	s_wait_loadcnt 0x4
	s_delay_alu instid0(VALU_DEP_1) | instskip(SKIP_4) | instid1(VALU_DEP_1)
	v_fmac_f64_e32 v[2:3], v[92:93], v[88:89]
	scratch_load_b128 v[86:89], off, off offset:136
	s_wait_dscnt 0x0
	v_fmac_f64_e32 v[2:3], v[94:95], v[104:105]
	s_wait_loadcnt 0x4
	v_fmac_f64_e32 v[2:3], v[96:97], v[106:107]
	ds_load_b128 v[90:93], v78 offset:384
	ds_load_b128 v[94:97], v78 offset:400
	scratch_load_b128 v[104:107], off, off offset:152
	s_wait_dscnt 0x1
	v_fmac_f64_e32 v[2:3], v[98:99], v[90:91]
	s_wait_loadcnt 0x4
	s_delay_alu instid0(VALU_DEP_1) | instskip(SKIP_4) | instid1(VALU_DEP_1)
	v_fmac_f64_e32 v[2:3], v[100:101], v[92:93]
	scratch_load_b128 v[90:93], off, off offset:168
	s_wait_dscnt 0x0
	v_fmac_f64_e32 v[2:3], v[102:103], v[94:95]
	s_wait_loadcnt 0x4
	v_fmac_f64_e32 v[2:3], v[82:83], v[96:97]
	ds_load_b128 v[94:97], v78 offset:416
	ds_load_b128 v[98:101], v78 offset:432
	s_wait_dscnt 0x1
	v_fmac_f64_e32 v[2:3], v[84:85], v[94:95]
	scratch_load_b128 v[82:85], off, off offset:184
	s_wait_loadcnt 0x4
	v_fmac_f64_e32 v[2:3], v[108:109], v[96:97]
	scratch_load_b128 v[94:97], off, off offset:200
	s_wait_dscnt 0x0
	v_fmac_f64_e32 v[2:3], v[110:111], v[98:99]
	s_wait_loadcnt 0x4
	s_delay_alu instid0(VALU_DEP_1)
	v_fmac_f64_e32 v[2:3], v[86:87], v[100:101]
	ds_load_b128 v[98:101], v78 offset:448
	ds_load_b128 v[108:111], v78 offset:464
	s_wait_dscnt 0x1
	v_fmac_f64_e32 v[2:3], v[88:89], v[98:99]
	scratch_load_b128 v[86:89], off, off offset:216
	s_wait_loadcnt 0x4
	v_fmac_f64_e32 v[2:3], v[104:105], v[100:101]
	scratch_load_b128 v[98:101], off, off offset:232
	s_wait_dscnt 0x0
	v_fmac_f64_e32 v[2:3], v[106:107], v[108:109]
	ds_load_b128 v[102:105], v78 offset:480
	ds_load_b128 v[106:109], v78 offset:496
	s_wait_loadcnt 0x4
	v_fmac_f64_e32 v[2:3], v[90:91], v[110:111]
	s_wait_dscnt 0x1
	s_delay_alu instid0(VALU_DEP_1) | instskip(SKIP_4) | instid1(VALU_DEP_1)
	v_fmac_f64_e32 v[2:3], v[92:93], v[102:103]
	scratch_load_b128 v[90:93], off, off offset:248
	s_wait_loadcnt 0x4
	v_fmac_f64_e32 v[2:3], v[82:83], v[104:105]
	s_wait_dscnt 0x0
	v_fmac_f64_e32 v[2:3], v[84:85], v[106:107]
	scratch_load_b128 v[82:85], off, off offset:264
	s_wait_loadcnt 0x4
	v_fmac_f64_e32 v[2:3], v[94:95], v[108:109]
	ds_load_b128 v[102:105], v78 offset:512
	ds_load_b128 v[106:109], v78 offset:528
	s_wait_dscnt 0x1
	v_fmac_f64_e32 v[2:3], v[96:97], v[102:103]
	scratch_load_b128 v[94:97], off, off offset:280
	s_wait_loadcnt 0x4
	v_fmac_f64_e32 v[2:3], v[86:87], v[104:105]
	s_wait_dscnt 0x0
	s_delay_alu instid0(VALU_DEP_1)
	v_fmac_f64_e32 v[2:3], v[88:89], v[106:107]
	ds_load_b128 v[86:89], v78 offset:544
	ds_load_b128 v[102:105], v78 offset:560
	s_wait_loadcnt 0x3
	v_fmac_f64_e32 v[2:3], v[98:99], v[108:109]
	s_wait_dscnt 0x1
	s_delay_alu instid0(VALU_DEP_1) | instskip(SKIP_1) | instid1(VALU_DEP_1)
	v_fmac_f64_e32 v[2:3], v[100:101], v[86:87]
	s_wait_loadcnt 0x2
	v_fmac_f64_e32 v[2:3], v[90:91], v[88:89]
	ds_load_b128 v[86:89], v78 offset:576
	s_wait_dscnt 0x1
	v_fmac_f64_e32 v[2:3], v[92:93], v[102:103]
	s_wait_loadcnt 0x1
	s_delay_alu instid0(VALU_DEP_1) | instskip(SKIP_4) | instid1(VALU_DEP_1)
	v_fmac_f64_e32 v[2:3], v[82:83], v[104:105]
	ds_load_b64 v[82:83], v78 offset:592
	s_wait_dscnt 0x1
	v_fmac_f64_e32 v[2:3], v[84:85], v[86:87]
	s_wait_loadcnt 0x0
	v_fmac_f64_e32 v[2:3], v[94:95], v[88:89]
	s_wait_dscnt 0x0
	s_delay_alu instid0(VALU_DEP_1) | instskip(NEXT) | instid1(VALU_DEP_1)
	v_fmac_f64_e32 v[2:3], v[96:97], v[82:83]
	v_add_f64_e64 v[2:3], v[80:81], -v[2:3]
	scratch_store_b64 off, v[2:3], off offset:8
	s_wait_xcnt 0x0
	v_cmpx_ne_u32_e32 0, v0
	s_cbranch_execz .LBB36_231
; %bb.230:
	scratch_load_b64 v[2:3], off, off
	v_mov_b64_e32 v[80:81], 0
	scratch_store_b64 off, v[80:81], off
	s_wait_loadcnt 0x0
	ds_store_b64 v1, v[2:3]
.LBB36_231:
	s_wait_xcnt 0x0
	s_or_b32 exec_lo, exec_lo, s0
	s_wait_storecnt_dscnt 0x0
	s_barrier_signal -1
	s_barrier_wait -1
	s_clause 0x5
	scratch_load_b128 v[80:83], off, off
	scratch_load_b128 v[0:3], off, off offset:16
	scratch_load_b128 v[84:87], off, off offset:32
	;; [unrolled: 1-line block ×5, first 2 shown]
	ds_load_2addr_b64 v[100:103], v78 offset0:39 offset1:40
	scratch_load_b128 v[104:107], off, off offset:96
	s_and_b32 vcc_lo, exec_lo, s18
	scratch_load_b128 v[108:111], off, off offset:208
	s_wait_loadcnt_dscnt 0x700
	v_fma_f64 v[112:113], v[82:83], v[100:101], 0
	s_wait_loadcnt 0x6
	s_delay_alu instid0(VALU_DEP_1)
	v_fmac_f64_e32 v[112:113], v[0:1], v[102:103]
	ds_load_2addr_b64 v[100:103], v78 offset0:41 offset1:42
	s_wait_dscnt 0x0
	v_fmac_f64_e32 v[112:113], v[2:3], v[100:101]
	scratch_load_b128 v[0:3], off, off offset:112
	s_wait_loadcnt 0x6
	v_fmac_f64_e32 v[112:113], v[84:85], v[102:103]
	ds_load_2addr_b64 v[82:85], v78 offset0:43 offset1:44
	scratch_load_b128 v[100:103], off, off offset:128
	s_wait_dscnt 0x0
	v_fmac_f64_e32 v[112:113], v[86:87], v[82:83]
	s_wait_loadcnt 0x6
	s_delay_alu instid0(VALU_DEP_1)
	v_fmac_f64_e32 v[112:113], v[88:89], v[84:85]
	ds_load_2addr_b64 v[82:85], v78 offset0:45 offset1:46
	scratch_load_b128 v[86:89], off, off offset:144
	s_wait_dscnt 0x0
	v_fmac_f64_e32 v[112:113], v[90:91], v[82:83]
	s_wait_loadcnt 0x6
	s_delay_alu instid0(VALU_DEP_1)
	;; [unrolled: 7-line block ×4, first 2 shown]
	v_fmac_f64_e32 v[112:113], v[104:105], v[84:85]
	ds_load_2addr_b64 v[82:85], v78 offset0:51 offset1:52
	s_wait_dscnt 0x0
	v_fmac_f64_e32 v[112:113], v[106:107], v[82:83]
	scratch_load_b128 v[104:107], off, off offset:192
	s_wait_loadcnt 0x5
	v_fmac_f64_e32 v[112:113], v[0:1], v[84:85]
	ds_load_2addr_b64 v[82:85], v78 offset0:53 offset1:54
	s_wait_dscnt 0x0
	v_fmac_f64_e32 v[112:113], v[2:3], v[82:83]
	ds_load_2addr_b64 v[0:3], v78 offset0:55 offset1:56
	s_wait_loadcnt 0x4
	v_fmac_f64_e32 v[112:113], v[100:101], v[84:85]
	ds_load_2addr_b64 v[98:101], v78 offset0:61 offset1:62
	scratch_load_b128 v[82:85], off, off offset:224
	s_wait_dscnt 0x1
	v_fmac_f64_e32 v[112:113], v[102:103], v[0:1]
	s_wait_loadcnt 0x4
	s_delay_alu instid0(VALU_DEP_1)
	v_fmac_f64_e32 v[112:113], v[86:87], v[2:3]
	ds_load_2addr_b64 v[0:3], v78 offset0:57 offset1:58
	s_wait_dscnt 0x0
	v_fmac_f64_e32 v[112:113], v[88:89], v[0:1]
	scratch_load_b128 v[86:89], off, off offset:240
	s_wait_loadcnt 0x4
	v_fmac_f64_e32 v[112:113], v[90:91], v[2:3]
	ds_load_2addr_b64 v[0:3], v78 offset0:59 offset1:60
	s_wait_dscnt 0x0
	v_fmac_f64_e32 v[112:113], v[92:93], v[0:1]
	scratch_load_b128 v[90:93], off, off offset:256
	s_wait_loadcnt 0x4
	v_fmac_f64_e32 v[112:113], v[94:95], v[2:3]
	scratch_load_b128 v[0:3], off, off offset:272
	v_fmac_f64_e32 v[112:113], v[96:97], v[98:99]
	ds_load_2addr_b64 v[94:97], v78 offset0:63 offset1:64
	scratch_load_b64 v[98:99], off, off offset:288
	s_wait_loadcnt 0x5
	v_fmac_f64_e32 v[112:113], v[104:105], v[100:101]
	s_wait_dscnt 0x0
	s_delay_alu instid0(VALU_DEP_1) | instskip(NEXT) | instid1(VALU_DEP_1)
	v_fmac_f64_e32 v[112:113], v[106:107], v[94:95]
	v_fmac_f64_e32 v[112:113], v[108:109], v[96:97]
	ds_load_2addr_b64 v[94:97], v78 offset0:65 offset1:66
	s_wait_dscnt 0x0
	v_fmac_f64_e32 v[112:113], v[110:111], v[94:95]
	s_wait_loadcnt 0x4
	s_delay_alu instid0(VALU_DEP_1)
	v_fmac_f64_e32 v[112:113], v[82:83], v[96:97]
	ds_load_2addr_b64 v[94:97], v78 offset0:67 offset1:68
	s_wait_dscnt 0x0
	v_fmac_f64_e32 v[112:113], v[84:85], v[94:95]
	ds_load_2addr_b64 v[82:85], v78 offset0:69 offset1:70
	s_wait_loadcnt 0x3
	v_fmac_f64_e32 v[112:113], v[86:87], v[96:97]
	s_wait_dscnt 0x0
	s_delay_alu instid0(VALU_DEP_1) | instskip(SKIP_1) | instid1(VALU_DEP_1)
	v_fmac_f64_e32 v[112:113], v[88:89], v[82:83]
	s_wait_loadcnt 0x2
	v_fmac_f64_e32 v[112:113], v[90:91], v[84:85]
	ds_load_2addr_b64 v[82:85], v78 offset0:71 offset1:72
	s_wait_dscnt 0x0
	v_fmac_f64_e32 v[112:113], v[92:93], v[82:83]
	s_wait_loadcnt 0x1
	s_delay_alu instid0(VALU_DEP_1) | instskip(SKIP_4) | instid1(VALU_DEP_1)
	v_fmac_f64_e32 v[112:113], v[0:1], v[84:85]
	ds_load_2addr_b64 v[82:85], v78 offset0:73 offset1:74
	s_wait_dscnt 0x0
	v_fmac_f64_e32 v[112:113], v[2:3], v[82:83]
	s_wait_loadcnt 0x0
	v_fmac_f64_e32 v[112:113], v[98:99], v[84:85]
	s_delay_alu instid0(VALU_DEP_1)
	v_add_f64_e64 v[94:95], v[80:81], -v[112:113]
	scratch_store_b64 off, v[94:95], off
	s_cbranch_vccz .LBB36_304
; %bb.232:
	v_mov_b32_e32 v0, 0
	global_load_b32 v1, v0, s[2:3] offset:140
	s_wait_loadcnt 0x0
	v_cmp_ne_u32_e32 vcc_lo, 36, v1
	s_cbranch_vccz .LBB36_234
; %bb.233:
	v_lshlrev_b32_e32 v1, 3, v1
	scratch_load_b64 v[78:79], v1, off offset:-8
	s_wait_loadcnt 0x0
	scratch_store_b64 off, v[78:79], off offset:280
	scratch_store_b64 v1, v[2:3], off offset:-8
.LBB36_234:
	global_load_b32 v0, v0, s[2:3] offset:136
	s_wait_loadcnt 0x0
	v_cmp_eq_u32_e32 vcc_lo, 35, v0
	s_cbranch_vccnz .LBB36_236
; %bb.235:
	s_wait_xcnt 0x0
	v_lshlrev_b32_e32 v0, 3, v0
	s_delay_alu instid0(VALU_DEP_1)
	v_mov_b32_e32 v78, v0
	scratch_load_b64 v[0:1], v78, off offset:-8
	scratch_load_b64 v[2:3], off, off offset:272
	s_wait_loadcnt 0x1
	scratch_store_b64 off, v[0:1], off offset:272
	s_wait_loadcnt 0x0
	scratch_store_b64 v78, v[2:3], off offset:-8
.LBB36_236:
	s_wait_xcnt 0x0
	v_mov_b32_e32 v0, 0
	global_load_b32 v1, v0, s[2:3] offset:132
	s_wait_loadcnt 0x0
	v_cmp_eq_u32_e32 vcc_lo, 34, v1
	s_cbranch_vccnz .LBB36_238
; %bb.237:
	v_lshlrev_b32_e32 v1, 3, v1
	scratch_load_b64 v[2:3], v1, off offset:-8
	scratch_load_b64 v[78:79], off, off offset:264
	s_wait_loadcnt 0x1
	scratch_store_b64 off, v[2:3], off offset:264
	s_wait_loadcnt 0x0
	scratch_store_b64 v1, v[78:79], off offset:-8
.LBB36_238:
	global_load_b32 v0, v0, s[2:3] offset:128
	s_wait_loadcnt 0x0
	v_cmp_eq_u32_e32 vcc_lo, 33, v0
	s_cbranch_vccnz .LBB36_240
; %bb.239:
	s_wait_xcnt 0x0
	v_lshlrev_b32_e32 v0, 3, v0
	s_delay_alu instid0(VALU_DEP_1)
	v_mov_b32_e32 v78, v0
	scratch_load_b64 v[0:1], v78, off offset:-8
	scratch_load_b64 v[2:3], off, off offset:256
	s_wait_loadcnt 0x1
	scratch_store_b64 off, v[0:1], off offset:256
	s_wait_loadcnt 0x0
	scratch_store_b64 v78, v[2:3], off offset:-8
.LBB36_240:
	s_wait_xcnt 0x0
	v_mov_b32_e32 v0, 0
	global_load_b32 v1, v0, s[2:3] offset:124
	s_wait_loadcnt 0x0
	v_cmp_eq_u32_e32 vcc_lo, 32, v1
	s_cbranch_vccnz .LBB36_242
; %bb.241:
	v_lshlrev_b32_e32 v1, 3, v1
	scratch_load_b64 v[2:3], v1, off offset:-8
	scratch_load_b64 v[78:79], off, off offset:248
	s_wait_loadcnt 0x1
	scratch_store_b64 off, v[2:3], off offset:248
	s_wait_loadcnt 0x0
	scratch_store_b64 v1, v[78:79], off offset:-8
.LBB36_242:
	;; [unrolled: 31-line block ×17, first 2 shown]
	global_load_b32 v0, v0, s[2:3]
	scratch_load_b64 v[94:95], off, off
	s_wait_loadcnt 0x1
	v_cmp_eq_u32_e32 vcc_lo, 1, v0
	s_cbranch_vccnz .LBB36_304
; %bb.303:
	s_wait_xcnt 0x1
	v_lshlrev_b32_e32 v0, 3, v0
	s_delay_alu instid0(VALU_DEP_1)
	v_mov_b32_e32 v2, v0
	scratch_load_b64 v[0:1], v2, off offset:-8
	s_wait_loadcnt 0x0
	scratch_store_b64 off, v[0:1], off
	scratch_store_b64 v2, v[94:95], off offset:-8
	scratch_load_b64 v[94:95], off, off
.LBB36_304:
	v_lshl_add_u64 v[96:97], v[8:9], 3, s[4:5]
	v_lshl_add_u64 v[90:91], v[10:11], 3, s[4:5]
	;; [unrolled: 1-line block ×33, first 2 shown]
	s_wait_xcnt 0x1
	v_lshl_add_u64 v[0:1], v[74:75], 3, s[4:5]
	s_clause 0x6
	scratch_load_b128 v[56:59], off, off offset:8
	scratch_load_b128 v[60:63], off, off offset:24
	;; [unrolled: 1-line block ×7, first 2 shown]
	s_wait_loadcnt 0x7
	global_store_b64 v[6:7], v[94:95], off
	s_clause 0x1
	scratch_load_b128 v[106:109], off, off offset:120
	scratch_load_b128 v[110:113], off, off offset:136
	v_lshl_add_u64 v[2:3], v[76:77], 3, s[4:5]
	s_wait_loadcnt 0x8
	s_clause 0x1
	global_store_b64 v[4:5], v[56:57], off
	global_store_b64 v[96:97], v[58:59], off
	s_clause 0x1
	scratch_load_b128 v[4:7], off, off offset:152
	scratch_load_b128 v[56:59], off, off offset:168
	s_wait_loadcnt 0x9
	s_clause 0x1
	global_store_b64 v[90:91], v[60:61], off
	global_store_b64 v[92:93], v[62:63], off
	s_clause 0x1
	scratch_load_b128 v[60:63], off, off offset:184
	scratch_load_b128 v[90:93], off, off offset:200
	;; [unrolled: 7-line block ×4, first 2 shown]
	s_wait_loadcnt 0xc
	s_clause 0x1
	global_store_b64 v[78:79], v[72:73], off
	global_store_b64 v[80:81], v[74:75], off
	scratch_load_b128 v[72:75], off, off offset:280
	s_wait_loadcnt 0xc
	s_clause 0x1
	global_store_b64 v[8:9], v[98:99], off
	global_store_b64 v[10:11], v[100:101], off
	s_wait_loadcnt 0xb
	s_clause 0x1
	global_store_b64 v[12:13], v[102:103], off
	global_store_b64 v[14:15], v[104:105], off
	;; [unrolled: 4-line block ×13, first 2 shown]
	s_sendmsg sendmsg(MSG_DEALLOC_VGPRS)
	s_endpgm
	.section	.rodata,"a",@progbits
	.p2align	6, 0x0
	.amdhsa_kernel _ZN9rocsolver6v33100L18getri_kernel_smallILi37EdPdEEvT1_iilPiilS4_bb
		.amdhsa_group_segment_fixed_size 600
		.amdhsa_private_segment_fixed_size 304
		.amdhsa_kernarg_size 60
		.amdhsa_user_sgpr_count 2
		.amdhsa_user_sgpr_dispatch_ptr 0
		.amdhsa_user_sgpr_queue_ptr 0
		.amdhsa_user_sgpr_kernarg_segment_ptr 1
		.amdhsa_user_sgpr_dispatch_id 0
		.amdhsa_user_sgpr_kernarg_preload_length 0
		.amdhsa_user_sgpr_kernarg_preload_offset 0
		.amdhsa_user_sgpr_private_segment_size 0
		.amdhsa_wavefront_size32 1
		.amdhsa_uses_dynamic_stack 0
		.amdhsa_enable_private_segment 1
		.amdhsa_system_sgpr_workgroup_id_x 1
		.amdhsa_system_sgpr_workgroup_id_y 0
		.amdhsa_system_sgpr_workgroup_id_z 0
		.amdhsa_system_sgpr_workgroup_info 0
		.amdhsa_system_vgpr_workitem_id 0
		.amdhsa_next_free_vgpr 116
		.amdhsa_next_free_sgpr 19
		.amdhsa_named_barrier_count 0
		.amdhsa_reserve_vcc 1
		.amdhsa_float_round_mode_32 0
		.amdhsa_float_round_mode_16_64 0
		.amdhsa_float_denorm_mode_32 3
		.amdhsa_float_denorm_mode_16_64 3
		.amdhsa_fp16_overflow 0
		.amdhsa_memory_ordered 1
		.amdhsa_forward_progress 1
		.amdhsa_inst_pref_size 240
		.amdhsa_round_robin_scheduling 0
		.amdhsa_exception_fp_ieee_invalid_op 0
		.amdhsa_exception_fp_denorm_src 0
		.amdhsa_exception_fp_ieee_div_zero 0
		.amdhsa_exception_fp_ieee_overflow 0
		.amdhsa_exception_fp_ieee_underflow 0
		.amdhsa_exception_fp_ieee_inexact 0
		.amdhsa_exception_int_div_zero 0
	.end_amdhsa_kernel
	.section	.text._ZN9rocsolver6v33100L18getri_kernel_smallILi37EdPdEEvT1_iilPiilS4_bb,"axG",@progbits,_ZN9rocsolver6v33100L18getri_kernel_smallILi37EdPdEEvT1_iilPiilS4_bb,comdat
.Lfunc_end36:
	.size	_ZN9rocsolver6v33100L18getri_kernel_smallILi37EdPdEEvT1_iilPiilS4_bb, .Lfunc_end36-_ZN9rocsolver6v33100L18getri_kernel_smallILi37EdPdEEvT1_iilPiilS4_bb
                                        ; -- End function
	.set _ZN9rocsolver6v33100L18getri_kernel_smallILi37EdPdEEvT1_iilPiilS4_bb.num_vgpr, 116
	.set _ZN9rocsolver6v33100L18getri_kernel_smallILi37EdPdEEvT1_iilPiilS4_bb.num_agpr, 0
	.set _ZN9rocsolver6v33100L18getri_kernel_smallILi37EdPdEEvT1_iilPiilS4_bb.numbered_sgpr, 19
	.set _ZN9rocsolver6v33100L18getri_kernel_smallILi37EdPdEEvT1_iilPiilS4_bb.num_named_barrier, 0
	.set _ZN9rocsolver6v33100L18getri_kernel_smallILi37EdPdEEvT1_iilPiilS4_bb.private_seg_size, 304
	.set _ZN9rocsolver6v33100L18getri_kernel_smallILi37EdPdEEvT1_iilPiilS4_bb.uses_vcc, 1
	.set _ZN9rocsolver6v33100L18getri_kernel_smallILi37EdPdEEvT1_iilPiilS4_bb.uses_flat_scratch, 1
	.set _ZN9rocsolver6v33100L18getri_kernel_smallILi37EdPdEEvT1_iilPiilS4_bb.has_dyn_sized_stack, 0
	.set _ZN9rocsolver6v33100L18getri_kernel_smallILi37EdPdEEvT1_iilPiilS4_bb.has_recursion, 0
	.set _ZN9rocsolver6v33100L18getri_kernel_smallILi37EdPdEEvT1_iilPiilS4_bb.has_indirect_call, 0
	.section	.AMDGPU.csdata,"",@progbits
; Kernel info:
; codeLenInByte = 30716
; TotalNumSgprs: 21
; NumVgprs: 116
; ScratchSize: 304
; MemoryBound: 0
; FloatMode: 240
; IeeeMode: 1
; LDSByteSize: 600 bytes/workgroup (compile time only)
; SGPRBlocks: 0
; VGPRBlocks: 7
; NumSGPRsForWavesPerEU: 21
; NumVGPRsForWavesPerEU: 116
; NamedBarCnt: 0
; Occupancy: 8
; WaveLimiterHint : 1
; COMPUTE_PGM_RSRC2:SCRATCH_EN: 1
; COMPUTE_PGM_RSRC2:USER_SGPR: 2
; COMPUTE_PGM_RSRC2:TRAP_HANDLER: 0
; COMPUTE_PGM_RSRC2:TGID_X_EN: 1
; COMPUTE_PGM_RSRC2:TGID_Y_EN: 0
; COMPUTE_PGM_RSRC2:TGID_Z_EN: 0
; COMPUTE_PGM_RSRC2:TIDIG_COMP_CNT: 0
	.section	.text._ZN9rocsolver6v33100L18getri_kernel_smallILi38EdPdEEvT1_iilPiilS4_bb,"axG",@progbits,_ZN9rocsolver6v33100L18getri_kernel_smallILi38EdPdEEvT1_iilPiilS4_bb,comdat
	.globl	_ZN9rocsolver6v33100L18getri_kernel_smallILi38EdPdEEvT1_iilPiilS4_bb ; -- Begin function _ZN9rocsolver6v33100L18getri_kernel_smallILi38EdPdEEvT1_iilPiilS4_bb
	.p2align	8
	.type	_ZN9rocsolver6v33100L18getri_kernel_smallILi38EdPdEEvT1_iilPiilS4_bb,@function
_ZN9rocsolver6v33100L18getri_kernel_smallILi38EdPdEEvT1_iilPiilS4_bb: ; @_ZN9rocsolver6v33100L18getri_kernel_smallILi38EdPdEEvT1_iilPiilS4_bb
; %bb.0:
	s_mov_b32 s2, exec_lo
	v_cmpx_gt_u32_e32 38, v0
	s_cbranch_execz .LBB37_162
; %bb.1:
	s_clause 0x2
	s_load_b32 s2, s[0:1], 0x38
	s_load_b128 s[12:15], s[0:1], 0x10
	s_load_b128 s[4:7], s[0:1], 0x28
	s_getreg_b32 s9, hwreg(HW_REG_IB_STS2, 6, 4)
	s_wait_kmcnt 0x0
	s_bitcmp1_b32 s2, 8
	s_cselect_b32 s18, -1, 0
	s_bfe_u32 s3, ttmp6, 0x4000c
	s_and_b32 s8, ttmp6, 15
	s_add_co_i32 s3, s3, 1
	s_delay_alu instid0(SALU_CYCLE_1) | instskip(NEXT) | instid1(SALU_CYCLE_1)
	s_mul_i32 s3, ttmp9, s3
	s_add_co_i32 s8, s8, s3
	s_cmp_eq_u32 s9, 0
	s_cselect_b32 s16, ttmp9, s8
	s_bfe_u32 s2, s2, 0x10008
	s_ashr_i32 s17, s16, 31
	s_cmp_eq_u32 s2, 0
                                        ; implicit-def: $sgpr2_sgpr3
	s_cbranch_scc1 .LBB37_3
; %bb.2:
	s_load_b32 s2, s[0:1], 0x20
	s_mul_u64 s[4:5], s[4:5], s[16:17]
	s_delay_alu instid0(SALU_CYCLE_1) | instskip(NEXT) | instid1(SALU_CYCLE_1)
	s_lshl_b64 s[4:5], s[4:5], 2
	s_add_nc_u64 s[4:5], s[14:15], s[4:5]
	s_wait_kmcnt 0x0
	s_ashr_i32 s3, s2, 31
	s_delay_alu instid0(SALU_CYCLE_1) | instskip(NEXT) | instid1(SALU_CYCLE_1)
	s_lshl_b64 s[2:3], s[2:3], 2
	s_add_nc_u64 s[2:3], s[4:5], s[2:3]
.LBB37_3:
	s_clause 0x1
	s_load_b128 s[8:11], s[0:1], 0x0
	s_load_b32 s14, s[0:1], 0x38
	s_wait_xcnt 0x0
	s_mul_u64 s[0:1], s[12:13], s[16:17]
	v_dual_mov_b32 v3, 0 :: v_dual_lshlrev_b32 v2, 3, v0
	s_lshl_b64 s[0:1], s[0:1], 3
	s_wait_kmcnt 0x0
	v_add3_u32 v8, s11, s11, v0
	s_ashr_i32 s5, s10, 31
	s_mov_b32 s4, s10
	s_add_nc_u64 s[0:1], s[8:9], s[0:1]
	s_lshl_b64 s[4:5], s[4:5], 3
	v_add_nc_u32_e32 v10, s11, v8
	s_add_nc_u64 s[4:5], s[0:1], s[4:5]
	s_ashr_i32 s1, s11, 31
	v_add_nc_u64_e32 v[4:5], s[4:5], v[2:3]
	s_mov_b32 s0, s11
	v_add_nc_u32_e32 v12, s11, v10
	s_bitcmp0_b32 s14, 0
	s_delay_alu instid0(VALU_DEP_2) | instskip(NEXT) | instid1(VALU_DEP_2)
	v_lshl_add_u64 v[6:7], s[0:1], 3, v[4:5]
	v_add_nc_u32_e32 v14, s11, v12
	s_clause 0x1
	global_load_b64 v[60:61], v0, s[4:5] scale_offset
	global_load_b64 v[62:63], v[6:7], off
	s_mov_b32 s1, -1
	v_add_nc_u32_e32 v16, s11, v14
	s_clause 0x1
	global_load_b64 v[64:65], v8, s[4:5] scale_offset
	global_load_b64 v[66:67], v10, s[4:5] scale_offset
	v_add_nc_u32_e32 v18, s11, v16
	s_delay_alu instid0(VALU_DEP_1) | instskip(SKIP_4) | instid1(VALU_DEP_1)
	v_add_nc_u32_e32 v20, s11, v18
	s_clause 0x1
	global_load_b64 v[68:69], v12, s[4:5] scale_offset
	global_load_b64 v[70:71], v14, s[4:5] scale_offset
	v_add_nc_u32_e32 v22, s11, v20
	v_add_nc_u32_e32 v24, s11, v22
	s_delay_alu instid0(VALU_DEP_1) | instskip(NEXT) | instid1(VALU_DEP_1)
	v_add_nc_u32_e32 v26, s11, v24
	v_add_nc_u32_e32 v28, s11, v26
	s_clause 0x3
	global_load_b64 v[72:73], v16, s[4:5] scale_offset
	global_load_b64 v[74:75], v18, s[4:5] scale_offset
	;; [unrolled: 1-line block ×4, first 2 shown]
	v_add_nc_u32_e32 v30, s11, v28
	s_delay_alu instid0(VALU_DEP_1)
	v_add_nc_u32_e32 v32, s11, v30
	s_clause 0x3
	global_load_b64 v[80:81], v24, s[4:5] scale_offset
	global_load_b64 v[82:83], v26, s[4:5] scale_offset
	;; [unrolled: 1-line block ×4, first 2 shown]
	v_add_nc_u32_e32 v34, s11, v32
	s_delay_alu instid0(VALU_DEP_1) | instskip(NEXT) | instid1(VALU_DEP_1)
	v_add_nc_u32_e32 v36, s11, v34
	v_add_nc_u32_e32 v38, s11, v36
	s_delay_alu instid0(VALU_DEP_1) | instskip(NEXT) | instid1(VALU_DEP_1)
	v_add_nc_u32_e32 v40, s11, v38
	v_add_nc_u32_e32 v42, s11, v40
	s_delay_alu instid0(VALU_DEP_1)
	v_add_nc_u32_e32 v44, s11, v42
	s_clause 0x5
	global_load_b64 v[88:89], v32, s[4:5] scale_offset
	global_load_b64 v[90:91], v34, s[4:5] scale_offset
	global_load_b64 v[92:93], v36, s[4:5] scale_offset
	global_load_b64 v[94:95], v38, s[4:5] scale_offset
	global_load_b64 v[96:97], v40, s[4:5] scale_offset
	global_load_b64 v[98:99], v42, s[4:5] scale_offset
	v_add_nc_u32_e32 v46, s11, v44
	s_delay_alu instid0(VALU_DEP_1) | instskip(NEXT) | instid1(VALU_DEP_1)
	v_add_nc_u32_e32 v48, s11, v46
	v_add_nc_u32_e32 v50, s11, v48
	s_delay_alu instid0(VALU_DEP_1) | instskip(NEXT) | instid1(VALU_DEP_1)
	v_add_nc_u32_e32 v52, s11, v50
	v_add_nc_u32_e32 v54, s11, v52
	s_delay_alu instid0(VALU_DEP_1)
	v_add_nc_u32_e32 v56, s11, v54
	s_clause 0x3
	global_load_b64 v[100:101], v44, s[4:5] scale_offset
	global_load_b64 v[102:103], v46, s[4:5] scale_offset
	;; [unrolled: 1-line block ×4, first 2 shown]
	v_add_nc_u32_e32 v58, s11, v56
	s_wait_loadcnt 0x16
	scratch_store_b128 off, v[60:63], off
	s_wait_xcnt 0x0
	v_add_nc_u32_e32 v60, s11, v58
	s_wait_loadcnt 0x14
	scratch_store_b128 off, v[64:67], off offset:16
	v_add_nc_u32_e32 v62, s11, v60
	s_wait_xcnt 0x0
	s_delay_alu instid0(VALU_DEP_1) | instskip(SKIP_4) | instid1(VALU_DEP_1)
	v_add_nc_u32_e32 v64, s11, v62
	s_wait_loadcnt 0x12
	scratch_store_b128 off, v[68:71], off offset:32
	v_add_nc_u32_e32 v66, s11, v64
	s_wait_xcnt 0x0
	v_add_nc_u32_e32 v68, s11, v66
	s_delay_alu instid0(VALU_DEP_1)
	v_add_nc_u32_e32 v70, s11, v68
	s_wait_loadcnt 0x10
	scratch_store_b128 off, v[72:75], off offset:48
	s_wait_xcnt 0x0
	v_add_nc_u32_e32 v72, s11, v70
	s_wait_loadcnt 0xe
	scratch_store_b128 off, v[76:79], off offset:64
	s_clause 0x1
	global_load_b64 v[108:109], v52, s[4:5] scale_offset
	global_load_b64 v[110:111], v54, s[4:5] scale_offset
	s_wait_loadcnt 0xe
	scratch_store_b128 off, v[80:83], off offset:80
	s_wait_loadcnt 0xc
	scratch_store_b128 off, v[84:87], off offset:96
	v_add_nc_u32_e32 v74, s11, v72
	s_clause 0x3
	global_load_b64 v[80:81], v56, s[4:5] scale_offset
	global_load_b64 v[82:83], v58, s[4:5] scale_offset
	;; [unrolled: 1-line block ×4, first 2 shown]
	v_add_nc_u32_e32 v76, s11, v74
	s_delay_alu instid0(VALU_DEP_1)
	v_add_nc_u32_e32 v78, s11, v76
	s_wait_loadcnt 0xe
	scratch_store_b128 off, v[88:91], off offset:112
	s_wait_loadcnt 0xc
	scratch_store_b128 off, v[92:95], off offset:128
	s_wait_loadcnt 0xa
	scratch_store_b128 off, v[96:99], off offset:144
	s_clause 0x3
	global_load_b64 v[88:89], v64, s[4:5] scale_offset
	global_load_b64 v[90:91], v66, s[4:5] scale_offset
	;; [unrolled: 1-line block ×4, first 2 shown]
	s_wait_loadcnt 0xc
	scratch_store_b128 off, v[100:103], off offset:160
	s_clause 0x1
	global_load_b64 v[96:97], v72, s[4:5] scale_offset
	global_load_b64 v[98:99], v74, s[4:5] scale_offset
	s_wait_loadcnt 0xc
	scratch_store_b128 off, v[104:107], off offset:176
	s_clause 0x1
	global_load_b64 v[100:101], v76, s[4:5] scale_offset
	global_load_b64 v[102:103], v78, s[4:5] scale_offset
	s_wait_loadcnt 0xc
	scratch_store_b128 off, v[108:111], off offset:192
	s_wait_loadcnt 0xa
	scratch_store_b128 off, v[80:83], off offset:208
	;; [unrolled: 2-line block ×7, first 2 shown]
	s_cbranch_scc1 .LBB37_160
; %bb.4:
	v_cmp_eq_u32_e64 s0, 0, v0
	s_wait_xcnt 0x0
	s_and_saveexec_b32 s1, s0
; %bb.5:
	v_mov_b32_e32 v1, 0
	ds_store_b32 v1, v1 offset:608
; %bb.6:
	s_or_b32 exec_lo, exec_lo, s1
	s_wait_storecnt_dscnt 0x0
	s_barrier_signal -1
	s_barrier_wait -1
	scratch_load_b64 v[80:81], v0, off scale_offset
	s_mov_b32 s8, exec_lo
	s_wait_loadcnt 0x0
	v_cmpx_eq_f64_e32 0, v[80:81]
	s_cbranch_execz .LBB37_10
; %bb.7:
	v_mov_b32_e32 v1, 0
	s_mov_b32 s9, 0
	ds_load_b32 v3, v1 offset:608
	s_wait_dscnt 0x0
	v_readfirstlane_b32 s1, v3
	v_add_nc_u32_e32 v3, 1, v0
	s_cmp_eq_u32 s1, 0
	s_delay_alu instid0(VALU_DEP_1) | instskip(SKIP_1) | instid1(SALU_CYCLE_1)
	v_cmp_gt_i32_e32 vcc_lo, s1, v3
	s_cselect_b32 s10, -1, 0
	s_or_b32 s10, s10, vcc_lo
	s_delay_alu instid0(SALU_CYCLE_1)
	s_and_b32 exec_lo, exec_lo, s10
	s_cbranch_execz .LBB37_10
; %bb.8:
	v_mov_b32_e32 v9, s1
.LBB37_9:                               ; =>This Inner Loop Header: Depth=1
	ds_cmpstore_rtn_b32 v9, v1, v3, v9 offset:608
	s_wait_dscnt 0x0
	v_cmp_ne_u32_e32 vcc_lo, 0, v9
	v_cmp_le_i32_e64 s1, v9, v3
	s_and_b32 s1, vcc_lo, s1
	s_delay_alu instid0(SALU_CYCLE_1) | instskip(NEXT) | instid1(SALU_CYCLE_1)
	s_and_b32 s1, exec_lo, s1
	s_or_b32 s9, s1, s9
	s_delay_alu instid0(SALU_CYCLE_1)
	s_and_not1_b32 exec_lo, exec_lo, s9
	s_cbranch_execnz .LBB37_9
.LBB37_10:
	s_or_b32 exec_lo, exec_lo, s8
	v_mov_b32_e32 v1, 0
	s_barrier_signal -1
	s_barrier_wait -1
	ds_load_b32 v3, v1 offset:608
	s_and_saveexec_b32 s1, s0
	s_cbranch_execz .LBB37_12
; %bb.11:
	s_lshl_b64 s[8:9], s[16:17], 2
	s_delay_alu instid0(SALU_CYCLE_1)
	s_add_nc_u64 s[8:9], s[6:7], s[8:9]
	s_wait_dscnt 0x0
	global_store_b32 v1, v3, s[8:9]
.LBB37_12:
	s_wait_xcnt 0x0
	s_or_b32 exec_lo, exec_lo, s1
	s_wait_dscnt 0x0
	v_cmp_ne_u32_e32 vcc_lo, 0, v3
	s_mov_b32 s1, 0
	s_cbranch_vccnz .LBB37_160
; %bb.13:
	v_lshl_add_u32 v3, v0, 3, 0
	v_add_nc_u32_e32 v1, 0x130, v2
	scratch_load_b64 v[80:81], v3, off
	s_wait_loadcnt 0x0
	v_div_scale_f64 v[82:83], null, v[80:81], v[80:81], 1.0
	v_div_scale_f64 v[88:89], vcc_lo, 1.0, v[80:81], 1.0
	s_delay_alu instid0(VALU_DEP_2) | instskip(SKIP_1) | instid1(TRANS32_DEP_1)
	v_rcp_f64_e32 v[84:85], v[82:83]
	v_nop
	v_fma_f64 v[86:87], -v[82:83], v[84:85], 1.0
	s_delay_alu instid0(VALU_DEP_1) | instskip(NEXT) | instid1(VALU_DEP_1)
	v_fmac_f64_e32 v[84:85], v[84:85], v[86:87]
	v_fma_f64 v[86:87], -v[82:83], v[84:85], 1.0
	s_delay_alu instid0(VALU_DEP_1) | instskip(NEXT) | instid1(VALU_DEP_1)
	v_fmac_f64_e32 v[84:85], v[84:85], v[86:87]
	v_mul_f64_e32 v[86:87], v[88:89], v[84:85]
	s_delay_alu instid0(VALU_DEP_1) | instskip(NEXT) | instid1(VALU_DEP_1)
	v_fma_f64 v[82:83], -v[82:83], v[86:87], v[88:89]
	v_div_fmas_f64 v[82:83], v[82:83], v[84:85], v[86:87]
	s_delay_alu instid0(VALU_DEP_1)
	v_div_fixup_f64 v[80:81], v[82:83], v[80:81], 1.0
	scratch_store_b64 v3, v[80:81], off
	scratch_load_b64 v[82:83], off, off offset:8
	s_wait_xcnt 0x1
	v_xor_b32_e32 v81, 0x80000000, v81
	s_wait_loadcnt 0x0
	ds_store_2addr_b64 v2, v[80:81], v[82:83] offset1:38
	s_wait_storecnt_dscnt 0x0
	s_barrier_signal -1
	s_barrier_wait -1
	s_wait_xcnt 0x0
	s_and_saveexec_b32 s1, s0
	s_cbranch_execz .LBB37_15
; %bb.14:
	scratch_load_b64 v[80:81], v3, off
	ds_load_b64 v[82:83], v1
	s_wait_loadcnt_dscnt 0x0
	v_fma_f64 v[80:81], v[80:81], v[82:83], 0
	v_mov_b32_e32 v9, 0
	ds_load_b64 v[84:85], v9 offset:8
	s_wait_dscnt 0x0
	v_mul_f64_e32 v[80:81], v[80:81], v[84:85]
	scratch_store_b64 off, v[80:81], off offset:8
.LBB37_15:
	s_wait_xcnt 0x0
	s_or_b32 exec_lo, exec_lo, s1
	s_wait_storecnt 0x0
	s_barrier_signal -1
	s_barrier_wait -1
	scratch_load_b64 v[80:81], off, off offset:16
	s_mov_b32 s1, exec_lo
	s_wait_loadcnt 0x0
	ds_store_b64 v1, v[80:81]
	s_wait_dscnt 0x0
	s_barrier_signal -1
	s_barrier_wait -1
	v_cmpx_gt_u32_e32 2, v0
	s_cbranch_execz .LBB37_19
; %bb.16:
	scratch_load_b64 v[80:81], v3, off
	ds_load_b64 v[82:83], v1
	s_wait_loadcnt_dscnt 0x0
	v_fma_f64 v[80:81], v[80:81], v[82:83], 0
	s_and_saveexec_b32 s8, s0
	s_cbranch_execz .LBB37_18
; %bb.17:
	scratch_load_b64 v[82:83], off, off offset:8
	v_mov_b32_e32 v3, 0
	ds_load_b64 v[84:85], v3 offset:312
	s_wait_loadcnt_dscnt 0x0
	v_fmac_f64_e32 v[80:81], v[82:83], v[84:85]
.LBB37_18:
	s_or_b32 exec_lo, exec_lo, s8
	v_mov_b32_e32 v3, 0
	ds_load_b64 v[82:83], v3 offset:16
	s_wait_dscnt 0x0
	v_mul_f64_e32 v[80:81], v[80:81], v[82:83]
	scratch_store_b64 off, v[80:81], off offset:16
.LBB37_19:
	s_wait_xcnt 0x0
	s_or_b32 exec_lo, exec_lo, s1
	s_wait_storecnt 0x0
	s_barrier_signal -1
	s_barrier_wait -1
	scratch_load_b64 v[80:81], off, off offset:24
	v_add_nc_u32_e32 v3, -1, v0
	s_mov_b32 s0, exec_lo
	s_wait_loadcnt 0x0
	ds_store_b64 v1, v[80:81]
	s_wait_dscnt 0x0
	s_barrier_signal -1
	s_barrier_wait -1
	v_cmpx_gt_u32_e32 3, v0
	s_cbranch_execz .LBB37_23
; %bb.20:
	v_mov_b64_e32 v[80:81], 0
	v_dual_add_nc_u32 v9, -1, v0 :: v_dual_mov_b32 v13, v2
	v_add_nc_u32_e32 v11, 0x130, v2
	s_mov_b32 s1, 0
.LBB37_21:                              ; =>This Inner Loop Header: Depth=1
	scratch_load_b64 v[82:83], v13, off
	ds_load_b64 v[84:85], v11
	v_dual_add_nc_u32 v9, 1, v9 :: v_dual_add_nc_u32 v11, 8, v11
	s_wait_xcnt 0x0
	v_add_nc_u32_e32 v13, 8, v13
	s_delay_alu instid0(VALU_DEP_2)
	v_cmp_lt_u32_e32 vcc_lo, 1, v9
	s_or_b32 s1, vcc_lo, s1
	s_wait_loadcnt_dscnt 0x0
	v_fmac_f64_e32 v[80:81], v[82:83], v[84:85]
	s_and_not1_b32 exec_lo, exec_lo, s1
	s_cbranch_execnz .LBB37_21
; %bb.22:
	s_or_b32 exec_lo, exec_lo, s1
	v_mov_b32_e32 v9, 0
	ds_load_b64 v[82:83], v9 offset:24
	s_wait_dscnt 0x0
	v_mul_f64_e32 v[80:81], v[80:81], v[82:83]
	scratch_store_b64 off, v[80:81], off offset:24
.LBB37_23:
	s_wait_xcnt 0x0
	s_or_b32 exec_lo, exec_lo, s0
	s_wait_storecnt 0x0
	s_barrier_signal -1
	s_barrier_wait -1
	scratch_load_b64 v[80:81], off, off offset:32
	s_mov_b32 s0, exec_lo
	s_wait_loadcnt 0x0
	ds_store_b64 v1, v[80:81]
	s_wait_dscnt 0x0
	s_barrier_signal -1
	s_barrier_wait -1
	v_cmpx_gt_u32_e32 4, v0
	s_cbranch_execz .LBB37_27
; %bb.24:
	v_mov_b64_e32 v[80:81], 0
	v_dual_add_nc_u32 v9, -1, v0 :: v_dual_mov_b32 v13, v2
	v_add_nc_u32_e32 v11, 0x130, v2
	s_mov_b32 s1, 0
.LBB37_25:                              ; =>This Inner Loop Header: Depth=1
	scratch_load_b64 v[82:83], v13, off
	ds_load_b64 v[84:85], v11
	v_dual_add_nc_u32 v9, 1, v9 :: v_dual_add_nc_u32 v11, 8, v11
	s_wait_xcnt 0x0
	v_add_nc_u32_e32 v13, 8, v13
	s_delay_alu instid0(VALU_DEP_2)
	v_cmp_lt_u32_e32 vcc_lo, 2, v9
	s_or_b32 s1, vcc_lo, s1
	s_wait_loadcnt_dscnt 0x0
	v_fmac_f64_e32 v[80:81], v[82:83], v[84:85]
	s_and_not1_b32 exec_lo, exec_lo, s1
	s_cbranch_execnz .LBB37_25
; %bb.26:
	s_or_b32 exec_lo, exec_lo, s1
	v_mov_b32_e32 v9, 0
	ds_load_b64 v[82:83], v9 offset:32
	s_wait_dscnt 0x0
	v_mul_f64_e32 v[80:81], v[80:81], v[82:83]
	scratch_store_b64 off, v[80:81], off offset:32
.LBB37_27:
	s_wait_xcnt 0x0
	s_or_b32 exec_lo, exec_lo, s0
	s_wait_storecnt 0x0
	s_barrier_signal -1
	s_barrier_wait -1
	scratch_load_b64 v[80:81], off, off offset:40
	;; [unrolled: 40-line block ×20, first 2 shown]
	s_mov_b32 s0, exec_lo
	s_wait_loadcnt 0x0
	ds_store_b64 v1, v[80:81]
	s_wait_dscnt 0x0
	s_barrier_signal -1
	s_barrier_wait -1
	v_cmpx_gt_u32_e32 23, v0
	s_cbranch_execz .LBB37_103
; %bb.100:
	v_mov_b64_e32 v[80:81], 0
	v_dual_add_nc_u32 v9, -1, v0 :: v_dual_mov_b32 v13, v2
	v_add_nc_u32_e32 v11, 0x130, v2
	s_mov_b32 s1, 0
.LBB37_101:                             ; =>This Inner Loop Header: Depth=1
	scratch_load_b64 v[82:83], v13, off
	ds_load_b64 v[84:85], v11
	v_dual_add_nc_u32 v9, 1, v9 :: v_dual_add_nc_u32 v11, 8, v11
	s_wait_xcnt 0x0
	v_add_nc_u32_e32 v13, 8, v13
	s_delay_alu instid0(VALU_DEP_2)
	v_cmp_lt_u32_e32 vcc_lo, 21, v9
	s_or_b32 s1, vcc_lo, s1
	s_wait_loadcnt_dscnt 0x0
	v_fmac_f64_e32 v[80:81], v[82:83], v[84:85]
	s_and_not1_b32 exec_lo, exec_lo, s1
	s_cbranch_execnz .LBB37_101
; %bb.102:
	s_or_b32 exec_lo, exec_lo, s1
	v_mov_b32_e32 v9, 0
	ds_load_b64 v[82:83], v9 offset:184
	s_wait_dscnt 0x0
	v_mul_f64_e32 v[80:81], v[80:81], v[82:83]
	scratch_store_b64 off, v[80:81], off offset:184
.LBB37_103:
	s_wait_xcnt 0x0
	s_or_b32 exec_lo, exec_lo, s0
	s_wait_storecnt 0x0
	s_barrier_signal -1
	s_barrier_wait -1
	scratch_load_b64 v[80:81], off, off offset:192
	s_mov_b32 s0, exec_lo
	s_wait_loadcnt 0x0
	ds_store_b64 v1, v[80:81]
	s_wait_dscnt 0x0
	s_barrier_signal -1
	s_barrier_wait -1
	v_cmpx_gt_u32_e32 24, v0
	s_cbranch_execz .LBB37_107
; %bb.104:
	v_mov_b64_e32 v[80:81], 0
	v_dual_add_nc_u32 v9, -1, v0 :: v_dual_mov_b32 v13, v2
	v_add_nc_u32_e32 v11, 0x130, v2
	s_mov_b32 s1, 0
.LBB37_105:                             ; =>This Inner Loop Header: Depth=1
	scratch_load_b64 v[82:83], v13, off
	ds_load_b64 v[84:85], v11
	v_dual_add_nc_u32 v9, 1, v9 :: v_dual_add_nc_u32 v11, 8, v11
	s_wait_xcnt 0x0
	v_add_nc_u32_e32 v13, 8, v13
	s_delay_alu instid0(VALU_DEP_2)
	v_cmp_lt_u32_e32 vcc_lo, 22, v9
	s_or_b32 s1, vcc_lo, s1
	s_wait_loadcnt_dscnt 0x0
	v_fmac_f64_e32 v[80:81], v[82:83], v[84:85]
	s_and_not1_b32 exec_lo, exec_lo, s1
	s_cbranch_execnz .LBB37_105
; %bb.106:
	s_or_b32 exec_lo, exec_lo, s1
	v_mov_b32_e32 v9, 0
	ds_load_b64 v[82:83], v9 offset:192
	s_wait_dscnt 0x0
	v_mul_f64_e32 v[80:81], v[80:81], v[82:83]
	scratch_store_b64 off, v[80:81], off offset:192
.LBB37_107:
	s_wait_xcnt 0x0
	s_or_b32 exec_lo, exec_lo, s0
	s_wait_storecnt 0x0
	s_barrier_signal -1
	s_barrier_wait -1
	scratch_load_b64 v[80:81], off, off offset:200
	;; [unrolled: 40-line block ×14, first 2 shown]
	s_mov_b32 s0, exec_lo
	s_wait_loadcnt 0x0
	ds_store_b64 v1, v[80:81]
	s_wait_dscnt 0x0
	s_barrier_signal -1
	s_barrier_wait -1
	v_cmpx_ne_u32_e32 37, v0
	s_cbranch_execz .LBB37_159
; %bb.156:
	v_mov_b64_e32 v[80:81], 0
	s_mov_b32 s1, 0
.LBB37_157:                             ; =>This Inner Loop Header: Depth=1
	scratch_load_b64 v[82:83], v2, off
	ds_load_b64 v[84:85], v1
	v_dual_add_nc_u32 v3, 1, v3 :: v_dual_add_nc_u32 v1, 8, v1
	s_wait_xcnt 0x0
	v_add_nc_u32_e32 v2, 8, v2
	s_delay_alu instid0(VALU_DEP_2)
	v_cmp_lt_u32_e32 vcc_lo, 35, v3
	s_or_b32 s1, vcc_lo, s1
	s_wait_loadcnt_dscnt 0x0
	v_fmac_f64_e32 v[80:81], v[82:83], v[84:85]
	s_and_not1_b32 exec_lo, exec_lo, s1
	s_cbranch_execnz .LBB37_157
; %bb.158:
	s_or_b32 exec_lo, exec_lo, s1
	v_mov_b32_e32 v1, 0
	ds_load_b64 v[2:3], v1 offset:296
	s_wait_dscnt 0x0
	v_mul_f64_e32 v[2:3], v[80:81], v[2:3]
	scratch_store_b64 off, v[2:3], off offset:296
.LBB37_159:
	s_wait_xcnt 0x0
	s_or_b32 exec_lo, exec_lo, s0
	s_mov_b32 s1, -1
	s_wait_storecnt 0x0
	s_barrier_signal -1
	s_barrier_wait -1
.LBB37_160:
	s_and_b32 vcc_lo, exec_lo, s1
	s_cbranch_vccz .LBB37_162
; %bb.161:
	v_mov_b32_e32 v1, 0
	s_lshl_b64 s[0:1], s[16:17], 2
	s_delay_alu instid0(SALU_CYCLE_1)
	s_add_nc_u64 s[0:1], s[6:7], s[0:1]
	global_load_b32 v1, v1, s[0:1]
	s_wait_loadcnt 0x0
	v_cmp_ne_u32_e32 vcc_lo, 0, v1
	s_cbranch_vccz .LBB37_163
.LBB37_162:
	s_sendmsg sendmsg(MSG_DEALLOC_VGPRS)
	s_endpgm
.LBB37_163:
	s_wait_xcnt 0x0
	v_lshl_add_u32 v1, v0, 3, 0x130
	s_mov_b32 s0, exec_lo
	v_cmpx_eq_u32_e32 37, v0
	s_cbranch_execz .LBB37_165
; %bb.164:
	scratch_load_b64 v[2:3], off, off offset:288
	v_mov_b64_e32 v[80:81], 0
	scratch_store_b64 off, v[80:81], off offset:288
	s_wait_loadcnt 0x0
	ds_store_b64 v1, v[2:3]
.LBB37_165:
	s_wait_xcnt 0x0
	s_or_b32 exec_lo, exec_lo, s0
	s_wait_storecnt_dscnt 0x0
	s_barrier_signal -1
	s_barrier_wait -1
	scratch_load_b128 v[80:83], off, off offset:288
	v_mov_b32_e32 v2, 0
	s_mov_b32 s0, exec_lo
	ds_load_b64 v[84:85], v2 offset:600
	s_wait_loadcnt_dscnt 0x0
	v_fma_f64 v[82:83], v[82:83], v[84:85], 0
	s_delay_alu instid0(VALU_DEP_1)
	v_add_f64_e64 v[80:81], v[80:81], -v[82:83]
	scratch_store_b64 off, v[80:81], off offset:288
	s_wait_xcnt 0x0
	v_cmpx_lt_u32_e32 35, v0
	s_cbranch_execz .LBB37_167
; %bb.166:
	scratch_load_b64 v[80:81], off, off offset:280
	v_mov_b64_e32 v[82:83], 0
	scratch_store_b64 off, v[82:83], off offset:280
	s_wait_loadcnt 0x0
	ds_store_b64 v1, v[80:81]
.LBB37_167:
	s_wait_xcnt 0x0
	s_or_b32 exec_lo, exec_lo, s0
	s_wait_storecnt_dscnt 0x0
	s_barrier_signal -1
	s_barrier_wait -1
	s_clause 0x1
	scratch_load_b128 v[80:83], off, off offset:280
	scratch_load_b64 v[88:89], off, off offset:296
	ds_load_b128 v[84:87], v2 offset:592
	s_mov_b32 s0, exec_lo
	s_wait_loadcnt_dscnt 0x100
	v_fma_f64 v[2:3], v[82:83], v[84:85], 0
	s_wait_loadcnt 0x0
	s_delay_alu instid0(VALU_DEP_1) | instskip(NEXT) | instid1(VALU_DEP_1)
	v_fmac_f64_e32 v[2:3], v[88:89], v[86:87]
	v_add_f64_e64 v[2:3], v[80:81], -v[2:3]
	scratch_store_b64 off, v[2:3], off offset:280
	s_wait_xcnt 0x0
	v_cmpx_lt_u32_e32 34, v0
	s_cbranch_execz .LBB37_169
; %bb.168:
	scratch_load_b64 v[2:3], off, off offset:272
	v_mov_b64_e32 v[80:81], 0
	scratch_store_b64 off, v[80:81], off offset:272
	s_wait_loadcnt 0x0
	ds_store_b64 v1, v[2:3]
.LBB37_169:
	s_wait_xcnt 0x0
	s_or_b32 exec_lo, exec_lo, s0
	s_wait_storecnt_dscnt 0x0
	s_barrier_signal -1
	s_barrier_wait -1
	s_clause 0x1
	scratch_load_b128 v[80:83], off, off offset:272
	scratch_load_b128 v[84:87], off, off offset:288
	v_mov_b32_e32 v2, 0
	ds_load_2addr_b64 v[88:91], v2 offset0:73 offset1:74
	ds_load_b64 v[92:93], v2 offset:600
	s_mov_b32 s0, exec_lo
	s_wait_loadcnt_dscnt 0x101
	v_fma_f64 v[82:83], v[82:83], v[88:89], 0
	s_wait_loadcnt 0x0
	s_delay_alu instid0(VALU_DEP_1) | instskip(SKIP_1) | instid1(VALU_DEP_1)
	v_fmac_f64_e32 v[82:83], v[84:85], v[90:91]
	s_wait_dscnt 0x0
	v_fmac_f64_e32 v[82:83], v[86:87], v[92:93]
	s_delay_alu instid0(VALU_DEP_1)
	v_add_f64_e64 v[80:81], v[80:81], -v[82:83]
	scratch_store_b64 off, v[80:81], off offset:272
	s_wait_xcnt 0x0
	v_cmpx_lt_u32_e32 33, v0
	s_cbranch_execz .LBB37_171
; %bb.170:
	scratch_load_b64 v[80:81], off, off offset:264
	v_mov_b64_e32 v[82:83], 0
	scratch_store_b64 off, v[82:83], off offset:264
	s_wait_loadcnt 0x0
	ds_store_b64 v1, v[80:81]
.LBB37_171:
	s_wait_xcnt 0x0
	s_or_b32 exec_lo, exec_lo, s0
	s_wait_storecnt_dscnt 0x0
	s_barrier_signal -1
	s_barrier_wait -1
	s_clause 0x2
	scratch_load_b128 v[80:83], off, off offset:264
	scratch_load_b128 v[84:87], off, off offset:280
	scratch_load_b64 v[96:97], off, off offset:296
	ds_load_b128 v[88:91], v2 offset:576
	ds_load_b128 v[92:95], v2 offset:592
	s_mov_b32 s0, exec_lo
	s_wait_loadcnt_dscnt 0x201
	v_fma_f64 v[2:3], v[82:83], v[88:89], 0
	s_wait_loadcnt 0x1
	s_delay_alu instid0(VALU_DEP_1) | instskip(SKIP_1) | instid1(VALU_DEP_1)
	v_fmac_f64_e32 v[2:3], v[84:85], v[90:91]
	s_wait_dscnt 0x0
	v_fmac_f64_e32 v[2:3], v[86:87], v[92:93]
	s_wait_loadcnt 0x0
	s_delay_alu instid0(VALU_DEP_1) | instskip(NEXT) | instid1(VALU_DEP_1)
	v_fmac_f64_e32 v[2:3], v[96:97], v[94:95]
	v_add_f64_e64 v[2:3], v[80:81], -v[2:3]
	scratch_store_b64 off, v[2:3], off offset:264
	s_wait_xcnt 0x0
	v_cmpx_lt_u32_e32 32, v0
	s_cbranch_execz .LBB37_173
; %bb.172:
	scratch_load_b64 v[2:3], off, off offset:256
	v_mov_b64_e32 v[80:81], 0
	scratch_store_b64 off, v[80:81], off offset:256
	s_wait_loadcnt 0x0
	ds_store_b64 v1, v[2:3]
.LBB37_173:
	s_wait_xcnt 0x0
	s_or_b32 exec_lo, exec_lo, s0
	s_wait_storecnt_dscnt 0x0
	s_barrier_signal -1
	s_barrier_wait -1
	s_clause 0x2
	scratch_load_b128 v[80:83], off, off offset:256
	scratch_load_b128 v[84:87], off, off offset:272
	;; [unrolled: 1-line block ×3, first 2 shown]
	v_mov_b32_e32 v2, 0
	ds_load_2addr_b64 v[92:95], v2 offset0:71 offset1:72
	ds_load_2addr_b64 v[96:99], v2 offset0:73 offset1:74
	s_mov_b32 s0, exec_lo
	s_wait_loadcnt_dscnt 0x201
	v_fma_f64 v[82:83], v[82:83], v[92:93], 0
	s_wait_loadcnt 0x1
	s_delay_alu instid0(VALU_DEP_1) | instskip(SKIP_4) | instid1(VALU_DEP_1)
	v_fmac_f64_e32 v[82:83], v[84:85], v[94:95]
	ds_load_b64 v[84:85], v2 offset:600
	s_wait_dscnt 0x1
	v_fmac_f64_e32 v[82:83], v[86:87], v[96:97]
	s_wait_loadcnt 0x0
	v_fmac_f64_e32 v[82:83], v[88:89], v[98:99]
	s_wait_dscnt 0x0
	s_delay_alu instid0(VALU_DEP_1) | instskip(NEXT) | instid1(VALU_DEP_1)
	v_fmac_f64_e32 v[82:83], v[90:91], v[84:85]
	v_add_f64_e64 v[80:81], v[80:81], -v[82:83]
	scratch_store_b64 off, v[80:81], off offset:256
	s_wait_xcnt 0x0
	v_cmpx_lt_u32_e32 31, v0
	s_cbranch_execz .LBB37_175
; %bb.174:
	scratch_load_b64 v[80:81], off, off offset:248
	v_mov_b64_e32 v[82:83], 0
	scratch_store_b64 off, v[82:83], off offset:248
	s_wait_loadcnt 0x0
	ds_store_b64 v1, v[80:81]
.LBB37_175:
	s_wait_xcnt 0x0
	s_or_b32 exec_lo, exec_lo, s0
	s_wait_storecnt_dscnt 0x0
	s_barrier_signal -1
	s_barrier_wait -1
	s_clause 0x3
	scratch_load_b128 v[80:83], off, off offset:248
	scratch_load_b128 v[84:87], off, off offset:264
	;; [unrolled: 1-line block ×3, first 2 shown]
	scratch_load_b64 v[100:101], off, off offset:296
	ds_load_b128 v[92:95], v2 offset:560
	ds_load_b128 v[96:99], v2 offset:576
	s_mov_b32 s0, exec_lo
	s_wait_loadcnt_dscnt 0x301
	v_fma_f64 v[92:93], v[82:83], v[92:93], 0
	s_wait_loadcnt 0x2
	s_delay_alu instid0(VALU_DEP_1) | instskip(SKIP_4) | instid1(VALU_DEP_1)
	v_fmac_f64_e32 v[92:93], v[84:85], v[94:95]
	ds_load_b128 v[82:85], v2 offset:592
	s_wait_dscnt 0x1
	v_fmac_f64_e32 v[92:93], v[86:87], v[96:97]
	s_wait_loadcnt 0x1
	v_fmac_f64_e32 v[92:93], v[88:89], v[98:99]
	s_wait_dscnt 0x0
	s_delay_alu instid0(VALU_DEP_1) | instskip(SKIP_1) | instid1(VALU_DEP_1)
	v_fmac_f64_e32 v[92:93], v[90:91], v[82:83]
	s_wait_loadcnt 0x0
	v_fmac_f64_e32 v[92:93], v[100:101], v[84:85]
	s_delay_alu instid0(VALU_DEP_1)
	v_add_f64_e64 v[2:3], v[80:81], -v[92:93]
	scratch_store_b64 off, v[2:3], off offset:248
	s_wait_xcnt 0x0
	v_cmpx_lt_u32_e32 30, v0
	s_cbranch_execz .LBB37_177
; %bb.176:
	scratch_load_b64 v[2:3], off, off offset:240
	v_mov_b64_e32 v[80:81], 0
	scratch_store_b64 off, v[80:81], off offset:240
	s_wait_loadcnt 0x0
	ds_store_b64 v1, v[2:3]
.LBB37_177:
	s_wait_xcnt 0x0
	s_or_b32 exec_lo, exec_lo, s0
	s_wait_storecnt_dscnt 0x0
	s_barrier_signal -1
	s_barrier_wait -1
	s_clause 0x3
	scratch_load_b128 v[80:83], off, off offset:240
	scratch_load_b128 v[84:87], off, off offset:256
	;; [unrolled: 1-line block ×4, first 2 shown]
	v_mov_b32_e32 v2, 0
	ds_load_2addr_b64 v[96:99], v2 offset0:69 offset1:70
	ds_load_2addr_b64 v[100:103], v2 offset0:71 offset1:72
	s_mov_b32 s0, exec_lo
	s_wait_loadcnt_dscnt 0x301
	v_fma_f64 v[96:97], v[82:83], v[96:97], 0
	s_wait_loadcnt 0x2
	s_delay_alu instid0(VALU_DEP_1) | instskip(SKIP_1) | instid1(VALU_DEP_1)
	v_fmac_f64_e32 v[96:97], v[84:85], v[98:99]
	s_wait_dscnt 0x0
	v_fmac_f64_e32 v[96:97], v[86:87], v[100:101]
	ds_load_2addr_b64 v[82:85], v2 offset0:73 offset1:74
	ds_load_b64 v[86:87], v2 offset:600
	s_wait_loadcnt 0x1
	v_fmac_f64_e32 v[96:97], v[88:89], v[102:103]
	s_wait_dscnt 0x1
	s_delay_alu instid0(VALU_DEP_1) | instskip(SKIP_1) | instid1(VALU_DEP_1)
	v_fmac_f64_e32 v[96:97], v[90:91], v[82:83]
	s_wait_loadcnt 0x0
	v_fmac_f64_e32 v[96:97], v[92:93], v[84:85]
	s_wait_dscnt 0x0
	s_delay_alu instid0(VALU_DEP_1) | instskip(NEXT) | instid1(VALU_DEP_1)
	v_fmac_f64_e32 v[96:97], v[94:95], v[86:87]
	v_add_f64_e64 v[80:81], v[80:81], -v[96:97]
	scratch_store_b64 off, v[80:81], off offset:240
	s_wait_xcnt 0x0
	v_cmpx_lt_u32_e32 29, v0
	s_cbranch_execz .LBB37_179
; %bb.178:
	scratch_load_b64 v[80:81], off, off offset:232
	v_mov_b64_e32 v[82:83], 0
	scratch_store_b64 off, v[82:83], off offset:232
	s_wait_loadcnt 0x0
	ds_store_b64 v1, v[80:81]
.LBB37_179:
	s_wait_xcnt 0x0
	s_or_b32 exec_lo, exec_lo, s0
	s_wait_storecnt_dscnt 0x0
	s_barrier_signal -1
	s_barrier_wait -1
	s_clause 0x4
	scratch_load_b128 v[80:83], off, off offset:232
	scratch_load_b128 v[84:87], off, off offset:248
	;; [unrolled: 1-line block ×4, first 2 shown]
	scratch_load_b64 v[104:105], off, off offset:296
	ds_load_b128 v[96:99], v2 offset:544
	ds_load_b128 v[100:103], v2 offset:560
	s_mov_b32 s0, exec_lo
	s_wait_loadcnt_dscnt 0x401
	v_fma_f64 v[96:97], v[82:83], v[96:97], 0
	s_wait_loadcnt 0x3
	s_delay_alu instid0(VALU_DEP_1) | instskip(SKIP_1) | instid1(VALU_DEP_1)
	v_fmac_f64_e32 v[96:97], v[84:85], v[98:99]
	s_wait_dscnt 0x0
	v_fmac_f64_e32 v[96:97], v[86:87], v[100:101]
	s_wait_loadcnt 0x2
	s_delay_alu instid0(VALU_DEP_1)
	v_fmac_f64_e32 v[96:97], v[88:89], v[102:103]
	ds_load_b128 v[82:85], v2 offset:576
	ds_load_b128 v[86:89], v2 offset:592
	s_wait_dscnt 0x1
	v_fmac_f64_e32 v[96:97], v[90:91], v[82:83]
	s_wait_loadcnt 0x1
	s_delay_alu instid0(VALU_DEP_1) | instskip(SKIP_1) | instid1(VALU_DEP_1)
	v_fmac_f64_e32 v[96:97], v[92:93], v[84:85]
	s_wait_dscnt 0x0
	v_fmac_f64_e32 v[96:97], v[94:95], v[86:87]
	s_wait_loadcnt 0x0
	s_delay_alu instid0(VALU_DEP_1) | instskip(NEXT) | instid1(VALU_DEP_1)
	v_fmac_f64_e32 v[96:97], v[104:105], v[88:89]
	v_add_f64_e64 v[2:3], v[80:81], -v[96:97]
	scratch_store_b64 off, v[2:3], off offset:232
	s_wait_xcnt 0x0
	v_cmpx_lt_u32_e32 28, v0
	s_cbranch_execz .LBB37_181
; %bb.180:
	scratch_load_b64 v[2:3], off, off offset:224
	v_mov_b64_e32 v[80:81], 0
	scratch_store_b64 off, v[80:81], off offset:224
	s_wait_loadcnt 0x0
	ds_store_b64 v1, v[2:3]
.LBB37_181:
	s_wait_xcnt 0x0
	s_or_b32 exec_lo, exec_lo, s0
	s_wait_storecnt_dscnt 0x0
	s_barrier_signal -1
	s_barrier_wait -1
	s_clause 0x4
	scratch_load_b128 v[80:83], off, off offset:224
	scratch_load_b128 v[84:87], off, off offset:240
	;; [unrolled: 1-line block ×5, first 2 shown]
	v_mov_b32_e32 v2, 0
	ds_load_2addr_b64 v[100:103], v2 offset0:67 offset1:68
	ds_load_2addr_b64 v[104:107], v2 offset0:69 offset1:70
	s_mov_b32 s0, exec_lo
	s_wait_loadcnt_dscnt 0x401
	v_fma_f64 v[100:101], v[82:83], v[100:101], 0
	s_wait_loadcnt 0x3
	s_delay_alu instid0(VALU_DEP_1) | instskip(SKIP_1) | instid1(VALU_DEP_1)
	v_fmac_f64_e32 v[100:101], v[84:85], v[102:103]
	s_wait_dscnt 0x0
	v_fmac_f64_e32 v[100:101], v[86:87], v[104:105]
	s_wait_loadcnt 0x2
	s_delay_alu instid0(VALU_DEP_1)
	v_fmac_f64_e32 v[100:101], v[88:89], v[106:107]
	ds_load_2addr_b64 v[82:85], v2 offset0:71 offset1:72
	ds_load_2addr_b64 v[86:89], v2 offset0:73 offset1:74
	s_wait_dscnt 0x1
	v_fmac_f64_e32 v[100:101], v[90:91], v[82:83]
	ds_load_b64 v[82:83], v2 offset:600
	s_wait_loadcnt 0x1
	v_fmac_f64_e32 v[100:101], v[92:93], v[84:85]
	s_wait_dscnt 0x1
	s_delay_alu instid0(VALU_DEP_1) | instskip(SKIP_1) | instid1(VALU_DEP_1)
	v_fmac_f64_e32 v[100:101], v[94:95], v[86:87]
	s_wait_loadcnt 0x0
	v_fmac_f64_e32 v[100:101], v[96:97], v[88:89]
	s_wait_dscnt 0x0
	s_delay_alu instid0(VALU_DEP_1) | instskip(NEXT) | instid1(VALU_DEP_1)
	v_fmac_f64_e32 v[100:101], v[98:99], v[82:83]
	v_add_f64_e64 v[80:81], v[80:81], -v[100:101]
	scratch_store_b64 off, v[80:81], off offset:224
	s_wait_xcnt 0x0
	v_cmpx_lt_u32_e32 27, v0
	s_cbranch_execz .LBB37_183
; %bb.182:
	scratch_load_b64 v[80:81], off, off offset:216
	v_mov_b64_e32 v[82:83], 0
	scratch_store_b64 off, v[82:83], off offset:216
	s_wait_loadcnt 0x0
	ds_store_b64 v1, v[80:81]
.LBB37_183:
	s_wait_xcnt 0x0
	s_or_b32 exec_lo, exec_lo, s0
	s_wait_storecnt_dscnt 0x0
	s_barrier_signal -1
	s_barrier_wait -1
	s_clause 0x5
	scratch_load_b128 v[80:83], off, off offset:216
	scratch_load_b128 v[84:87], off, off offset:232
	;; [unrolled: 1-line block ×5, first 2 shown]
	scratch_load_b64 v[108:109], off, off offset:296
	ds_load_b128 v[100:103], v2 offset:528
	ds_load_b128 v[104:107], v2 offset:544
	s_mov_b32 s0, exec_lo
	s_wait_loadcnt_dscnt 0x501
	v_fma_f64 v[100:101], v[82:83], v[100:101], 0
	s_wait_loadcnt 0x4
	s_delay_alu instid0(VALU_DEP_1) | instskip(SKIP_1) | instid1(VALU_DEP_1)
	v_fmac_f64_e32 v[100:101], v[84:85], v[102:103]
	s_wait_dscnt 0x0
	v_fmac_f64_e32 v[100:101], v[86:87], v[104:105]
	s_wait_loadcnt 0x3
	s_delay_alu instid0(VALU_DEP_1)
	v_fmac_f64_e32 v[100:101], v[88:89], v[106:107]
	ds_load_b128 v[82:85], v2 offset:560
	ds_load_b128 v[86:89], v2 offset:576
	s_wait_dscnt 0x1
	v_fmac_f64_e32 v[100:101], v[90:91], v[82:83]
	s_wait_loadcnt 0x2
	s_delay_alu instid0(VALU_DEP_1) | instskip(SKIP_4) | instid1(VALU_DEP_1)
	v_fmac_f64_e32 v[100:101], v[92:93], v[84:85]
	ds_load_b128 v[82:85], v2 offset:592
	s_wait_dscnt 0x1
	v_fmac_f64_e32 v[100:101], v[94:95], v[86:87]
	s_wait_loadcnt 0x1
	v_fmac_f64_e32 v[100:101], v[96:97], v[88:89]
	s_wait_dscnt 0x0
	s_delay_alu instid0(VALU_DEP_1) | instskip(SKIP_1) | instid1(VALU_DEP_1)
	v_fmac_f64_e32 v[100:101], v[98:99], v[82:83]
	s_wait_loadcnt 0x0
	v_fmac_f64_e32 v[100:101], v[108:109], v[84:85]
	s_delay_alu instid0(VALU_DEP_1)
	v_add_f64_e64 v[2:3], v[80:81], -v[100:101]
	scratch_store_b64 off, v[2:3], off offset:216
	s_wait_xcnt 0x0
	v_cmpx_lt_u32_e32 26, v0
	s_cbranch_execz .LBB37_185
; %bb.184:
	scratch_load_b64 v[2:3], off, off offset:208
	v_mov_b64_e32 v[80:81], 0
	scratch_store_b64 off, v[80:81], off offset:208
	s_wait_loadcnt 0x0
	ds_store_b64 v1, v[2:3]
.LBB37_185:
	s_wait_xcnt 0x0
	s_or_b32 exec_lo, exec_lo, s0
	s_wait_storecnt_dscnt 0x0
	s_barrier_signal -1
	s_barrier_wait -1
	s_clause 0x5
	scratch_load_b128 v[80:83], off, off offset:208
	scratch_load_b128 v[84:87], off, off offset:224
	;; [unrolled: 1-line block ×6, first 2 shown]
	v_mov_b32_e32 v2, 0
	ds_load_2addr_b64 v[104:107], v2 offset0:65 offset1:66
	ds_load_2addr_b64 v[108:111], v2 offset0:67 offset1:68
	s_mov_b32 s0, exec_lo
	s_wait_loadcnt_dscnt 0x501
	v_fma_f64 v[104:105], v[82:83], v[104:105], 0
	s_wait_loadcnt 0x4
	s_delay_alu instid0(VALU_DEP_1) | instskip(SKIP_1) | instid1(VALU_DEP_1)
	v_fmac_f64_e32 v[104:105], v[84:85], v[106:107]
	s_wait_dscnt 0x0
	v_fmac_f64_e32 v[104:105], v[86:87], v[108:109]
	s_wait_loadcnt 0x3
	s_delay_alu instid0(VALU_DEP_1)
	v_fmac_f64_e32 v[104:105], v[88:89], v[110:111]
	ds_load_2addr_b64 v[82:85], v2 offset0:69 offset1:70
	ds_load_2addr_b64 v[86:89], v2 offset0:71 offset1:72
	s_wait_dscnt 0x1
	v_fmac_f64_e32 v[104:105], v[90:91], v[82:83]
	s_wait_loadcnt 0x2
	s_delay_alu instid0(VALU_DEP_1) | instskip(SKIP_1) | instid1(VALU_DEP_1)
	v_fmac_f64_e32 v[104:105], v[92:93], v[84:85]
	s_wait_dscnt 0x0
	v_fmac_f64_e32 v[104:105], v[94:95], v[86:87]
	ds_load_2addr_b64 v[82:85], v2 offset0:73 offset1:74
	ds_load_b64 v[86:87], v2 offset:600
	s_wait_loadcnt 0x1
	v_fmac_f64_e32 v[104:105], v[96:97], v[88:89]
	s_wait_dscnt 0x1
	s_delay_alu instid0(VALU_DEP_1) | instskip(SKIP_1) | instid1(VALU_DEP_1)
	v_fmac_f64_e32 v[104:105], v[98:99], v[82:83]
	s_wait_loadcnt 0x0
	v_fmac_f64_e32 v[104:105], v[100:101], v[84:85]
	s_wait_dscnt 0x0
	s_delay_alu instid0(VALU_DEP_1) | instskip(NEXT) | instid1(VALU_DEP_1)
	v_fmac_f64_e32 v[104:105], v[102:103], v[86:87]
	v_add_f64_e64 v[80:81], v[80:81], -v[104:105]
	scratch_store_b64 off, v[80:81], off offset:208
	s_wait_xcnt 0x0
	v_cmpx_lt_u32_e32 25, v0
	s_cbranch_execz .LBB37_187
; %bb.186:
	scratch_load_b64 v[80:81], off, off offset:200
	v_mov_b64_e32 v[82:83], 0
	scratch_store_b64 off, v[82:83], off offset:200
	s_wait_loadcnt 0x0
	ds_store_b64 v1, v[80:81]
.LBB37_187:
	s_wait_xcnt 0x0
	s_or_b32 exec_lo, exec_lo, s0
	s_wait_storecnt_dscnt 0x0
	s_barrier_signal -1
	s_barrier_wait -1
	s_clause 0x5
	scratch_load_b128 v[80:83], off, off offset:200
	scratch_load_b128 v[84:87], off, off offset:216
	;; [unrolled: 1-line block ×6, first 2 shown]
	ds_load_b128 v[104:107], v2 offset:512
	ds_load_b128 v[108:111], v2 offset:528
	s_mov_b32 s0, exec_lo
	s_wait_loadcnt_dscnt 0x501
	v_fma_f64 v[104:105], v[82:83], v[104:105], 0
	s_wait_loadcnt 0x4
	s_delay_alu instid0(VALU_DEP_1) | instskip(SKIP_4) | instid1(VALU_DEP_1)
	v_fmac_f64_e32 v[104:105], v[84:85], v[106:107]
	scratch_load_b64 v[106:107], off, off offset:296
	s_wait_dscnt 0x0
	v_fmac_f64_e32 v[104:105], v[86:87], v[108:109]
	s_wait_loadcnt 0x4
	v_fmac_f64_e32 v[104:105], v[88:89], v[110:111]
	ds_load_b128 v[82:85], v2 offset:544
	ds_load_b128 v[86:89], v2 offset:560
	s_wait_dscnt 0x1
	v_fmac_f64_e32 v[104:105], v[90:91], v[82:83]
	s_wait_loadcnt 0x3
	s_delay_alu instid0(VALU_DEP_1) | instskip(SKIP_1) | instid1(VALU_DEP_1)
	v_fmac_f64_e32 v[104:105], v[92:93], v[84:85]
	s_wait_dscnt 0x0
	v_fmac_f64_e32 v[104:105], v[94:95], v[86:87]
	s_wait_loadcnt 0x2
	s_delay_alu instid0(VALU_DEP_1)
	v_fmac_f64_e32 v[104:105], v[96:97], v[88:89]
	ds_load_b128 v[82:85], v2 offset:576
	ds_load_b128 v[86:89], v2 offset:592
	s_wait_dscnt 0x1
	v_fmac_f64_e32 v[104:105], v[98:99], v[82:83]
	s_wait_loadcnt 0x1
	s_delay_alu instid0(VALU_DEP_1) | instskip(SKIP_1) | instid1(VALU_DEP_1)
	v_fmac_f64_e32 v[104:105], v[100:101], v[84:85]
	s_wait_dscnt 0x0
	v_fmac_f64_e32 v[104:105], v[102:103], v[86:87]
	s_wait_loadcnt 0x0
	s_delay_alu instid0(VALU_DEP_1) | instskip(NEXT) | instid1(VALU_DEP_1)
	v_fmac_f64_e32 v[104:105], v[106:107], v[88:89]
	v_add_f64_e64 v[2:3], v[80:81], -v[104:105]
	scratch_store_b64 off, v[2:3], off offset:200
	s_wait_xcnt 0x0
	v_cmpx_lt_u32_e32 24, v0
	s_cbranch_execz .LBB37_189
; %bb.188:
	scratch_load_b64 v[2:3], off, off offset:192
	v_mov_b64_e32 v[80:81], 0
	scratch_store_b64 off, v[80:81], off offset:192
	s_wait_loadcnt 0x0
	ds_store_b64 v1, v[2:3]
.LBB37_189:
	s_wait_xcnt 0x0
	s_or_b32 exec_lo, exec_lo, s0
	s_wait_storecnt_dscnt 0x0
	s_barrier_signal -1
	s_barrier_wait -1
	s_clause 0x5
	scratch_load_b128 v[80:83], off, off offset:192
	scratch_load_b128 v[84:87], off, off offset:208
	;; [unrolled: 1-line block ×6, first 2 shown]
	v_mov_b32_e32 v2, 0
	ds_load_2addr_b64 v[104:107], v2 offset0:63 offset1:64
	ds_load_2addr_b64 v[108:111], v2 offset0:65 offset1:66
	s_mov_b32 s0, exec_lo
	s_wait_loadcnt_dscnt 0x501
	v_fma_f64 v[112:113], v[82:83], v[104:105], 0
	s_wait_loadcnt 0x4
	s_delay_alu instid0(VALU_DEP_1) | instskip(SKIP_4) | instid1(VALU_DEP_1)
	v_fmac_f64_e32 v[112:113], v[84:85], v[106:107]
	scratch_load_b128 v[82:85], off, off offset:288
	s_wait_dscnt 0x0
	v_fmac_f64_e32 v[112:113], v[86:87], v[108:109]
	s_wait_loadcnt 0x4
	v_fmac_f64_e32 v[112:113], v[88:89], v[110:111]
	ds_load_2addr_b64 v[86:89], v2 offset0:67 offset1:68
	ds_load_2addr_b64 v[104:107], v2 offset0:69 offset1:70
	s_wait_dscnt 0x1
	v_fmac_f64_e32 v[112:113], v[90:91], v[86:87]
	s_wait_loadcnt 0x3
	s_delay_alu instid0(VALU_DEP_1)
	v_fmac_f64_e32 v[112:113], v[92:93], v[88:89]
	ds_load_2addr_b64 v[86:89], v2 offset0:71 offset1:72
	ds_load_2addr_b64 v[90:93], v2 offset0:73 offset1:74
	s_wait_dscnt 0x2
	v_fmac_f64_e32 v[112:113], v[94:95], v[104:105]
	s_wait_loadcnt 0x2
	s_delay_alu instid0(VALU_DEP_1) | instskip(SKIP_1) | instid1(VALU_DEP_1)
	v_fmac_f64_e32 v[112:113], v[96:97], v[106:107]
	s_wait_dscnt 0x1
	v_fmac_f64_e32 v[112:113], v[98:99], v[86:87]
	s_wait_loadcnt 0x1
	s_delay_alu instid0(VALU_DEP_1) | instskip(SKIP_1) | instid1(VALU_DEP_1)
	v_fmac_f64_e32 v[112:113], v[100:101], v[88:89]
	s_wait_dscnt 0x0
	v_fmac_f64_e32 v[112:113], v[102:103], v[90:91]
	s_wait_loadcnt 0x0
	s_delay_alu instid0(VALU_DEP_1) | instskip(SKIP_3) | instid1(VALU_DEP_1)
	v_fmac_f64_e32 v[112:113], v[82:83], v[92:93]
	ds_load_b64 v[82:83], v2 offset:600
	s_wait_dscnt 0x0
	v_fmac_f64_e32 v[112:113], v[84:85], v[82:83]
	v_add_f64_e64 v[80:81], v[80:81], -v[112:113]
	scratch_store_b64 off, v[80:81], off offset:192
	s_wait_xcnt 0x0
	v_cmpx_lt_u32_e32 23, v0
	s_cbranch_execz .LBB37_191
; %bb.190:
	scratch_load_b64 v[80:81], off, off offset:184
	v_mov_b64_e32 v[82:83], 0
	scratch_store_b64 off, v[82:83], off offset:184
	s_wait_loadcnt 0x0
	ds_store_b64 v1, v[80:81]
.LBB37_191:
	s_wait_xcnt 0x0
	s_or_b32 exec_lo, exec_lo, s0
	s_wait_storecnt_dscnt 0x0
	s_barrier_signal -1
	s_barrier_wait -1
	s_clause 0x5
	scratch_load_b128 v[80:83], off, off offset:184
	scratch_load_b128 v[84:87], off, off offset:200
	;; [unrolled: 1-line block ×6, first 2 shown]
	ds_load_b128 v[104:107], v2 offset:496
	ds_load_b128 v[108:111], v2 offset:512
	s_mov_b32 s0, exec_lo
	s_wait_loadcnt_dscnt 0x501
	v_fma_f64 v[112:113], v[82:83], v[104:105], 0
	s_wait_loadcnt 0x4
	s_delay_alu instid0(VALU_DEP_1)
	v_fmac_f64_e32 v[112:113], v[84:85], v[106:107]
	scratch_load_b128 v[82:85], off, off offset:280
	s_wait_dscnt 0x0
	v_fmac_f64_e32 v[112:113], v[86:87], v[108:109]
	scratch_load_b64 v[108:109], off, off offset:296
	s_wait_loadcnt 0x5
	v_fmac_f64_e32 v[112:113], v[88:89], v[110:111]
	ds_load_b128 v[86:89], v2 offset:528
	ds_load_b128 v[104:107], v2 offset:544
	s_wait_dscnt 0x1
	v_fmac_f64_e32 v[112:113], v[90:91], v[86:87]
	s_wait_loadcnt 0x4
	s_delay_alu instid0(VALU_DEP_1)
	v_fmac_f64_e32 v[112:113], v[92:93], v[88:89]
	ds_load_b128 v[86:89], v2 offset:560
	ds_load_b128 v[90:93], v2 offset:576
	s_wait_dscnt 0x2
	v_fmac_f64_e32 v[112:113], v[94:95], v[104:105]
	s_wait_loadcnt 0x3
	s_delay_alu instid0(VALU_DEP_1) | instskip(SKIP_1) | instid1(VALU_DEP_1)
	v_fmac_f64_e32 v[112:113], v[96:97], v[106:107]
	s_wait_dscnt 0x1
	v_fmac_f64_e32 v[112:113], v[98:99], v[86:87]
	s_wait_loadcnt 0x2
	s_delay_alu instid0(VALU_DEP_1) | instskip(SKIP_4) | instid1(VALU_DEP_1)
	v_fmac_f64_e32 v[112:113], v[100:101], v[88:89]
	ds_load_b128 v[86:89], v2 offset:592
	s_wait_dscnt 0x1
	v_fmac_f64_e32 v[112:113], v[102:103], v[90:91]
	s_wait_loadcnt 0x1
	v_fmac_f64_e32 v[112:113], v[82:83], v[92:93]
	s_wait_dscnt 0x0
	s_delay_alu instid0(VALU_DEP_1) | instskip(SKIP_1) | instid1(VALU_DEP_1)
	v_fmac_f64_e32 v[112:113], v[84:85], v[86:87]
	s_wait_loadcnt 0x0
	v_fmac_f64_e32 v[112:113], v[108:109], v[88:89]
	s_delay_alu instid0(VALU_DEP_1)
	v_add_f64_e64 v[2:3], v[80:81], -v[112:113]
	scratch_store_b64 off, v[2:3], off offset:184
	s_wait_xcnt 0x0
	v_cmpx_lt_u32_e32 22, v0
	s_cbranch_execz .LBB37_193
; %bb.192:
	scratch_load_b64 v[2:3], off, off offset:176
	v_mov_b64_e32 v[80:81], 0
	scratch_store_b64 off, v[80:81], off offset:176
	s_wait_loadcnt 0x0
	ds_store_b64 v1, v[2:3]
.LBB37_193:
	s_wait_xcnt 0x0
	s_or_b32 exec_lo, exec_lo, s0
	s_wait_storecnt_dscnt 0x0
	s_barrier_signal -1
	s_barrier_wait -1
	s_clause 0x5
	scratch_load_b128 v[80:83], off, off offset:176
	scratch_load_b128 v[84:87], off, off offset:192
	;; [unrolled: 1-line block ×6, first 2 shown]
	v_mov_b32_e32 v2, 0
	ds_load_2addr_b64 v[104:107], v2 offset0:61 offset1:62
	ds_load_2addr_b64 v[108:111], v2 offset0:63 offset1:64
	s_mov_b32 s0, exec_lo
	s_wait_loadcnt_dscnt 0x501
	v_fma_f64 v[112:113], v[82:83], v[104:105], 0
	s_wait_loadcnt 0x4
	s_delay_alu instid0(VALU_DEP_1) | instskip(SKIP_4) | instid1(VALU_DEP_1)
	v_fmac_f64_e32 v[112:113], v[84:85], v[106:107]
	scratch_load_b128 v[82:85], off, off offset:272
	s_wait_dscnt 0x0
	v_fmac_f64_e32 v[112:113], v[86:87], v[108:109]
	s_wait_loadcnt 0x4
	v_fmac_f64_e32 v[112:113], v[88:89], v[110:111]
	scratch_load_b128 v[86:89], off, off offset:288
	ds_load_2addr_b64 v[104:107], v2 offset0:65 offset1:66
	ds_load_2addr_b64 v[108:111], v2 offset0:67 offset1:68
	s_wait_dscnt 0x1
	v_fmac_f64_e32 v[112:113], v[90:91], v[104:105]
	s_wait_loadcnt 0x4
	s_delay_alu instid0(VALU_DEP_1) | instskip(SKIP_1) | instid1(VALU_DEP_1)
	v_fmac_f64_e32 v[112:113], v[92:93], v[106:107]
	s_wait_dscnt 0x0
	v_fmac_f64_e32 v[112:113], v[94:95], v[108:109]
	s_wait_loadcnt 0x3
	s_delay_alu instid0(VALU_DEP_1)
	v_fmac_f64_e32 v[112:113], v[96:97], v[110:111]
	ds_load_2addr_b64 v[90:93], v2 offset0:69 offset1:70
	ds_load_2addr_b64 v[94:97], v2 offset0:71 offset1:72
	s_wait_dscnt 0x1
	v_fmac_f64_e32 v[112:113], v[98:99], v[90:91]
	s_wait_loadcnt 0x2
	s_delay_alu instid0(VALU_DEP_1) | instskip(SKIP_1) | instid1(VALU_DEP_1)
	v_fmac_f64_e32 v[112:113], v[100:101], v[92:93]
	s_wait_dscnt 0x0
	v_fmac_f64_e32 v[112:113], v[102:103], v[94:95]
	s_wait_loadcnt 0x1
	s_delay_alu instid0(VALU_DEP_1)
	v_fmac_f64_e32 v[112:113], v[82:83], v[96:97]
	ds_load_2addr_b64 v[90:93], v2 offset0:73 offset1:74
	ds_load_b64 v[82:83], v2 offset:600
	s_wait_dscnt 0x1
	v_fmac_f64_e32 v[112:113], v[84:85], v[90:91]
	s_wait_loadcnt 0x0
	s_delay_alu instid0(VALU_DEP_1) | instskip(SKIP_1) | instid1(VALU_DEP_1)
	v_fmac_f64_e32 v[112:113], v[86:87], v[92:93]
	s_wait_dscnt 0x0
	v_fmac_f64_e32 v[112:113], v[88:89], v[82:83]
	s_delay_alu instid0(VALU_DEP_1)
	v_add_f64_e64 v[80:81], v[80:81], -v[112:113]
	scratch_store_b64 off, v[80:81], off offset:176
	s_wait_xcnt 0x0
	v_cmpx_lt_u32_e32 21, v0
	s_cbranch_execz .LBB37_195
; %bb.194:
	scratch_load_b64 v[80:81], off, off offset:168
	v_mov_b64_e32 v[82:83], 0
	scratch_store_b64 off, v[82:83], off offset:168
	s_wait_loadcnt 0x0
	ds_store_b64 v1, v[80:81]
.LBB37_195:
	s_wait_xcnt 0x0
	s_or_b32 exec_lo, exec_lo, s0
	s_wait_storecnt_dscnt 0x0
	s_barrier_signal -1
	s_barrier_wait -1
	s_clause 0x5
	scratch_load_b128 v[80:83], off, off offset:168
	scratch_load_b128 v[84:87], off, off offset:184
	;; [unrolled: 1-line block ×6, first 2 shown]
	ds_load_b128 v[104:107], v2 offset:480
	ds_load_b128 v[108:111], v2 offset:496
	s_mov_b32 s0, exec_lo
	s_wait_loadcnt_dscnt 0x501
	v_fma_f64 v[112:113], v[82:83], v[104:105], 0
	s_wait_loadcnt 0x4
	s_delay_alu instid0(VALU_DEP_1) | instskip(SKIP_4) | instid1(VALU_DEP_1)
	v_fmac_f64_e32 v[112:113], v[84:85], v[106:107]
	scratch_load_b128 v[82:85], off, off offset:264
	s_wait_dscnt 0x0
	v_fmac_f64_e32 v[112:113], v[86:87], v[108:109]
	s_wait_loadcnt 0x4
	v_fmac_f64_e32 v[112:113], v[88:89], v[110:111]
	scratch_load_b128 v[86:89], off, off offset:280
	ds_load_b128 v[104:107], v2 offset:512
	ds_load_b128 v[108:111], v2 offset:528
	s_wait_dscnt 0x1
	v_fmac_f64_e32 v[112:113], v[90:91], v[104:105]
	scratch_load_b64 v[104:105], off, off offset:296
	s_wait_loadcnt 0x5
	v_fmac_f64_e32 v[112:113], v[92:93], v[106:107]
	s_wait_dscnt 0x0
	s_delay_alu instid0(VALU_DEP_1) | instskip(SKIP_1) | instid1(VALU_DEP_1)
	v_fmac_f64_e32 v[112:113], v[94:95], v[108:109]
	s_wait_loadcnt 0x4
	v_fmac_f64_e32 v[112:113], v[96:97], v[110:111]
	ds_load_b128 v[90:93], v2 offset:544
	ds_load_b128 v[94:97], v2 offset:560
	s_wait_dscnt 0x1
	v_fmac_f64_e32 v[112:113], v[98:99], v[90:91]
	s_wait_loadcnt 0x3
	s_delay_alu instid0(VALU_DEP_1) | instskip(SKIP_1) | instid1(VALU_DEP_1)
	v_fmac_f64_e32 v[112:113], v[100:101], v[92:93]
	s_wait_dscnt 0x0
	v_fmac_f64_e32 v[112:113], v[102:103], v[94:95]
	s_wait_loadcnt 0x2
	s_delay_alu instid0(VALU_DEP_1)
	v_fmac_f64_e32 v[112:113], v[82:83], v[96:97]
	ds_load_b128 v[90:93], v2 offset:576
	ds_load_b128 v[94:97], v2 offset:592
	s_wait_dscnt 0x1
	v_fmac_f64_e32 v[112:113], v[84:85], v[90:91]
	s_wait_loadcnt 0x1
	s_delay_alu instid0(VALU_DEP_1) | instskip(SKIP_1) | instid1(VALU_DEP_1)
	v_fmac_f64_e32 v[112:113], v[86:87], v[92:93]
	s_wait_dscnt 0x0
	v_fmac_f64_e32 v[112:113], v[88:89], v[94:95]
	s_wait_loadcnt 0x0
	s_delay_alu instid0(VALU_DEP_1) | instskip(NEXT) | instid1(VALU_DEP_1)
	v_fmac_f64_e32 v[112:113], v[104:105], v[96:97]
	v_add_f64_e64 v[2:3], v[80:81], -v[112:113]
	scratch_store_b64 off, v[2:3], off offset:168
	s_wait_xcnt 0x0
	v_cmpx_lt_u32_e32 20, v0
	s_cbranch_execz .LBB37_197
; %bb.196:
	scratch_load_b64 v[2:3], off, off offset:160
	v_mov_b64_e32 v[80:81], 0
	scratch_store_b64 off, v[80:81], off offset:160
	s_wait_loadcnt 0x0
	ds_store_b64 v1, v[2:3]
.LBB37_197:
	s_wait_xcnt 0x0
	s_or_b32 exec_lo, exec_lo, s0
	s_wait_storecnt_dscnt 0x0
	s_barrier_signal -1
	s_barrier_wait -1
	s_clause 0x5
	scratch_load_b128 v[80:83], off, off offset:160
	scratch_load_b128 v[84:87], off, off offset:176
	scratch_load_b128 v[88:91], off, off offset:192
	scratch_load_b128 v[92:95], off, off offset:208
	scratch_load_b128 v[96:99], off, off offset:224
	scratch_load_b128 v[100:103], off, off offset:240
	v_mov_b32_e32 v2, 0
	ds_load_2addr_b64 v[104:107], v2 offset0:59 offset1:60
	ds_load_2addr_b64 v[108:111], v2 offset0:61 offset1:62
	s_mov_b32 s0, exec_lo
	s_wait_loadcnt_dscnt 0x501
	v_fma_f64 v[112:113], v[82:83], v[104:105], 0
	s_wait_loadcnt 0x4
	s_delay_alu instid0(VALU_DEP_1) | instskip(SKIP_4) | instid1(VALU_DEP_1)
	v_fmac_f64_e32 v[112:113], v[84:85], v[106:107]
	scratch_load_b128 v[82:85], off, off offset:256
	s_wait_dscnt 0x0
	v_fmac_f64_e32 v[112:113], v[86:87], v[108:109]
	s_wait_loadcnt 0x4
	v_fmac_f64_e32 v[112:113], v[88:89], v[110:111]
	scratch_load_b128 v[86:89], off, off offset:272
	ds_load_2addr_b64 v[104:107], v2 offset0:63 offset1:64
	ds_load_2addr_b64 v[108:111], v2 offset0:65 offset1:66
	s_wait_dscnt 0x1
	v_fmac_f64_e32 v[112:113], v[90:91], v[104:105]
	s_wait_loadcnt 0x4
	s_delay_alu instid0(VALU_DEP_1) | instskip(SKIP_4) | instid1(VALU_DEP_1)
	v_fmac_f64_e32 v[112:113], v[92:93], v[106:107]
	scratch_load_b128 v[90:93], off, off offset:288
	s_wait_dscnt 0x0
	v_fmac_f64_e32 v[112:113], v[94:95], v[108:109]
	s_wait_loadcnt 0x4
	v_fmac_f64_e32 v[112:113], v[96:97], v[110:111]
	ds_load_2addr_b64 v[94:97], v2 offset0:67 offset1:68
	ds_load_2addr_b64 v[104:107], v2 offset0:69 offset1:70
	s_wait_dscnt 0x1
	v_fmac_f64_e32 v[112:113], v[98:99], v[94:95]
	s_wait_loadcnt 0x3
	s_delay_alu instid0(VALU_DEP_1)
	v_fmac_f64_e32 v[112:113], v[100:101], v[96:97]
	ds_load_2addr_b64 v[94:97], v2 offset0:71 offset1:72
	ds_load_2addr_b64 v[98:101], v2 offset0:73 offset1:74
	s_wait_dscnt 0x2
	v_fmac_f64_e32 v[112:113], v[102:103], v[104:105]
	s_wait_loadcnt 0x2
	s_delay_alu instid0(VALU_DEP_1) | instskip(SKIP_4) | instid1(VALU_DEP_1)
	v_fmac_f64_e32 v[112:113], v[82:83], v[106:107]
	ds_load_b64 v[82:83], v2 offset:600
	s_wait_dscnt 0x2
	v_fmac_f64_e32 v[112:113], v[84:85], v[94:95]
	s_wait_loadcnt 0x1
	v_fmac_f64_e32 v[112:113], v[86:87], v[96:97]
	s_wait_dscnt 0x1
	s_delay_alu instid0(VALU_DEP_1) | instskip(SKIP_1) | instid1(VALU_DEP_1)
	v_fmac_f64_e32 v[112:113], v[88:89], v[98:99]
	s_wait_loadcnt 0x0
	v_fmac_f64_e32 v[112:113], v[90:91], v[100:101]
	s_wait_dscnt 0x0
	s_delay_alu instid0(VALU_DEP_1) | instskip(NEXT) | instid1(VALU_DEP_1)
	v_fmac_f64_e32 v[112:113], v[92:93], v[82:83]
	v_add_f64_e64 v[80:81], v[80:81], -v[112:113]
	scratch_store_b64 off, v[80:81], off offset:160
	s_wait_xcnt 0x0
	v_cmpx_lt_u32_e32 19, v0
	s_cbranch_execz .LBB37_199
; %bb.198:
	scratch_load_b64 v[80:81], off, off offset:152
	v_mov_b64_e32 v[82:83], 0
	scratch_store_b64 off, v[82:83], off offset:152
	s_wait_loadcnt 0x0
	ds_store_b64 v1, v[80:81]
.LBB37_199:
	s_wait_xcnt 0x0
	s_or_b32 exec_lo, exec_lo, s0
	s_wait_storecnt_dscnt 0x0
	s_barrier_signal -1
	s_barrier_wait -1
	s_clause 0x5
	scratch_load_b128 v[80:83], off, off offset:152
	scratch_load_b128 v[84:87], off, off offset:168
	;; [unrolled: 1-line block ×6, first 2 shown]
	ds_load_b128 v[104:107], v2 offset:464
	ds_load_b128 v[108:111], v2 offset:480
	s_mov_b32 s0, exec_lo
	s_wait_loadcnt_dscnt 0x501
	v_fma_f64 v[112:113], v[82:83], v[104:105], 0
	s_wait_loadcnt 0x4
	s_delay_alu instid0(VALU_DEP_1) | instskip(SKIP_4) | instid1(VALU_DEP_1)
	v_fmac_f64_e32 v[112:113], v[84:85], v[106:107]
	scratch_load_b128 v[82:85], off, off offset:248
	s_wait_dscnt 0x0
	v_fmac_f64_e32 v[112:113], v[86:87], v[108:109]
	s_wait_loadcnt 0x4
	v_fmac_f64_e32 v[112:113], v[88:89], v[110:111]
	scratch_load_b128 v[86:89], off, off offset:264
	ds_load_b128 v[104:107], v2 offset:496
	ds_load_b128 v[108:111], v2 offset:512
	s_wait_dscnt 0x1
	v_fmac_f64_e32 v[112:113], v[90:91], v[104:105]
	s_wait_loadcnt 0x4
	s_delay_alu instid0(VALU_DEP_1)
	v_fmac_f64_e32 v[112:113], v[92:93], v[106:107]
	scratch_load_b128 v[90:93], off, off offset:280
	s_wait_dscnt 0x0
	v_fmac_f64_e32 v[112:113], v[94:95], v[108:109]
	scratch_load_b64 v[108:109], off, off offset:296
	s_wait_loadcnt 0x5
	v_fmac_f64_e32 v[112:113], v[96:97], v[110:111]
	ds_load_b128 v[94:97], v2 offset:528
	ds_load_b128 v[104:107], v2 offset:544
	s_wait_dscnt 0x1
	v_fmac_f64_e32 v[112:113], v[98:99], v[94:95]
	s_wait_loadcnt 0x4
	s_delay_alu instid0(VALU_DEP_1)
	v_fmac_f64_e32 v[112:113], v[100:101], v[96:97]
	ds_load_b128 v[94:97], v2 offset:560
	ds_load_b128 v[98:101], v2 offset:576
	s_wait_dscnt 0x2
	v_fmac_f64_e32 v[112:113], v[102:103], v[104:105]
	s_wait_loadcnt 0x3
	s_delay_alu instid0(VALU_DEP_1) | instskip(SKIP_1) | instid1(VALU_DEP_1)
	v_fmac_f64_e32 v[112:113], v[82:83], v[106:107]
	s_wait_dscnt 0x1
	v_fmac_f64_e32 v[112:113], v[84:85], v[94:95]
	ds_load_b128 v[82:85], v2 offset:592
	s_wait_loadcnt 0x2
	v_fmac_f64_e32 v[112:113], v[86:87], v[96:97]
	s_wait_dscnt 0x1
	s_delay_alu instid0(VALU_DEP_1) | instskip(SKIP_1) | instid1(VALU_DEP_1)
	v_fmac_f64_e32 v[112:113], v[88:89], v[98:99]
	s_wait_loadcnt 0x1
	v_fmac_f64_e32 v[112:113], v[90:91], v[100:101]
	s_wait_dscnt 0x0
	s_delay_alu instid0(VALU_DEP_1) | instskip(SKIP_1) | instid1(VALU_DEP_1)
	v_fmac_f64_e32 v[112:113], v[92:93], v[82:83]
	s_wait_loadcnt 0x0
	v_fmac_f64_e32 v[112:113], v[108:109], v[84:85]
	s_delay_alu instid0(VALU_DEP_1)
	v_add_f64_e64 v[2:3], v[80:81], -v[112:113]
	scratch_store_b64 off, v[2:3], off offset:152
	s_wait_xcnt 0x0
	v_cmpx_lt_u32_e32 18, v0
	s_cbranch_execz .LBB37_201
; %bb.200:
	scratch_load_b64 v[2:3], off, off offset:144
	v_mov_b64_e32 v[80:81], 0
	scratch_store_b64 off, v[80:81], off offset:144
	s_wait_loadcnt 0x0
	ds_store_b64 v1, v[2:3]
.LBB37_201:
	s_wait_xcnt 0x0
	s_or_b32 exec_lo, exec_lo, s0
	s_wait_storecnt_dscnt 0x0
	s_barrier_signal -1
	s_barrier_wait -1
	s_clause 0x5
	scratch_load_b128 v[80:83], off, off offset:144
	scratch_load_b128 v[84:87], off, off offset:160
	;; [unrolled: 1-line block ×6, first 2 shown]
	v_mov_b32_e32 v2, 0
	ds_load_2addr_b64 v[104:107], v2 offset0:57 offset1:58
	ds_load_2addr_b64 v[108:111], v2 offset0:59 offset1:60
	s_mov_b32 s0, exec_lo
	s_wait_loadcnt_dscnt 0x501
	v_fma_f64 v[112:113], v[82:83], v[104:105], 0
	s_wait_loadcnt 0x4
	s_delay_alu instid0(VALU_DEP_1) | instskip(SKIP_4) | instid1(VALU_DEP_1)
	v_fmac_f64_e32 v[112:113], v[84:85], v[106:107]
	scratch_load_b128 v[82:85], off, off offset:240
	s_wait_dscnt 0x0
	v_fmac_f64_e32 v[112:113], v[86:87], v[108:109]
	s_wait_loadcnt 0x4
	v_fmac_f64_e32 v[112:113], v[88:89], v[110:111]
	scratch_load_b128 v[86:89], off, off offset:256
	ds_load_2addr_b64 v[104:107], v2 offset0:61 offset1:62
	ds_load_2addr_b64 v[108:111], v2 offset0:63 offset1:64
	s_wait_dscnt 0x1
	v_fmac_f64_e32 v[112:113], v[90:91], v[104:105]
	s_wait_loadcnt 0x4
	s_delay_alu instid0(VALU_DEP_1) | instskip(SKIP_4) | instid1(VALU_DEP_1)
	v_fmac_f64_e32 v[112:113], v[92:93], v[106:107]
	scratch_load_b128 v[90:93], off, off offset:272
	s_wait_dscnt 0x0
	v_fmac_f64_e32 v[112:113], v[94:95], v[108:109]
	s_wait_loadcnt 0x4
	v_fmac_f64_e32 v[112:113], v[96:97], v[110:111]
	scratch_load_b128 v[94:97], off, off offset:288
	ds_load_2addr_b64 v[104:107], v2 offset0:65 offset1:66
	ds_load_2addr_b64 v[108:111], v2 offset0:67 offset1:68
	s_wait_dscnt 0x1
	v_fmac_f64_e32 v[112:113], v[98:99], v[104:105]
	s_wait_loadcnt 0x4
	s_delay_alu instid0(VALU_DEP_1) | instskip(SKIP_1) | instid1(VALU_DEP_1)
	v_fmac_f64_e32 v[112:113], v[100:101], v[106:107]
	s_wait_dscnt 0x0
	v_fmac_f64_e32 v[112:113], v[102:103], v[108:109]
	ds_load_2addr_b64 v[98:101], v2 offset0:69 offset1:70
	ds_load_2addr_b64 v[102:105], v2 offset0:71 offset1:72
	s_wait_loadcnt 0x3
	v_fmac_f64_e32 v[112:113], v[82:83], v[110:111]
	s_wait_dscnt 0x1
	s_delay_alu instid0(VALU_DEP_1) | instskip(SKIP_1) | instid1(VALU_DEP_1)
	v_fmac_f64_e32 v[112:113], v[84:85], v[98:99]
	s_wait_loadcnt 0x2
	v_fmac_f64_e32 v[112:113], v[86:87], v[100:101]
	ds_load_2addr_b64 v[82:85], v2 offset0:73 offset1:74
	ds_load_b64 v[86:87], v2 offset:600
	s_wait_dscnt 0x2
	v_fmac_f64_e32 v[112:113], v[88:89], v[102:103]
	s_wait_loadcnt 0x1
	s_delay_alu instid0(VALU_DEP_1) | instskip(SKIP_1) | instid1(VALU_DEP_1)
	v_fmac_f64_e32 v[112:113], v[90:91], v[104:105]
	s_wait_dscnt 0x1
	v_fmac_f64_e32 v[112:113], v[92:93], v[82:83]
	s_wait_loadcnt 0x0
	s_delay_alu instid0(VALU_DEP_1) | instskip(SKIP_1) | instid1(VALU_DEP_1)
	v_fmac_f64_e32 v[112:113], v[94:95], v[84:85]
	s_wait_dscnt 0x0
	v_fmac_f64_e32 v[112:113], v[96:97], v[86:87]
	s_delay_alu instid0(VALU_DEP_1)
	v_add_f64_e64 v[80:81], v[80:81], -v[112:113]
	scratch_store_b64 off, v[80:81], off offset:144
	s_wait_xcnt 0x0
	v_cmpx_lt_u32_e32 17, v0
	s_cbranch_execz .LBB37_203
; %bb.202:
	scratch_load_b64 v[80:81], off, off offset:136
	v_mov_b64_e32 v[82:83], 0
	scratch_store_b64 off, v[82:83], off offset:136
	s_wait_loadcnt 0x0
	ds_store_b64 v1, v[80:81]
.LBB37_203:
	s_wait_xcnt 0x0
	s_or_b32 exec_lo, exec_lo, s0
	s_wait_storecnt_dscnt 0x0
	s_barrier_signal -1
	s_barrier_wait -1
	s_clause 0x5
	scratch_load_b128 v[80:83], off, off offset:136
	scratch_load_b128 v[84:87], off, off offset:152
	;; [unrolled: 1-line block ×6, first 2 shown]
	ds_load_b128 v[104:107], v2 offset:448
	ds_load_b128 v[108:111], v2 offset:464
	s_mov_b32 s0, exec_lo
	s_wait_loadcnt_dscnt 0x501
	v_fma_f64 v[112:113], v[82:83], v[104:105], 0
	s_wait_loadcnt 0x4
	s_delay_alu instid0(VALU_DEP_1) | instskip(SKIP_4) | instid1(VALU_DEP_1)
	v_fmac_f64_e32 v[112:113], v[84:85], v[106:107]
	scratch_load_b128 v[82:85], off, off offset:232
	s_wait_dscnt 0x0
	v_fmac_f64_e32 v[112:113], v[86:87], v[108:109]
	s_wait_loadcnt 0x4
	v_fmac_f64_e32 v[112:113], v[88:89], v[110:111]
	scratch_load_b128 v[86:89], off, off offset:248
	ds_load_b128 v[104:107], v2 offset:480
	ds_load_b128 v[108:111], v2 offset:496
	s_wait_dscnt 0x1
	v_fmac_f64_e32 v[112:113], v[90:91], v[104:105]
	s_wait_loadcnt 0x4
	s_delay_alu instid0(VALU_DEP_1) | instskip(SKIP_4) | instid1(VALU_DEP_1)
	v_fmac_f64_e32 v[112:113], v[92:93], v[106:107]
	scratch_load_b128 v[90:93], off, off offset:264
	s_wait_dscnt 0x0
	v_fmac_f64_e32 v[112:113], v[94:95], v[108:109]
	s_wait_loadcnt 0x4
	v_fmac_f64_e32 v[112:113], v[96:97], v[110:111]
	scratch_load_b128 v[94:97], off, off offset:280
	ds_load_b128 v[104:107], v2 offset:512
	ds_load_b128 v[108:111], v2 offset:528
	s_wait_dscnt 0x1
	v_fmac_f64_e32 v[112:113], v[98:99], v[104:105]
	s_wait_loadcnt 0x4
	s_delay_alu instid0(VALU_DEP_1)
	v_fmac_f64_e32 v[112:113], v[100:101], v[106:107]
	scratch_load_b64 v[106:107], off, off offset:296
	s_wait_dscnt 0x0
	v_fmac_f64_e32 v[112:113], v[102:103], v[108:109]
	ds_load_b128 v[98:101], v2 offset:544
	ds_load_b128 v[102:105], v2 offset:560
	s_wait_loadcnt 0x4
	v_fmac_f64_e32 v[112:113], v[82:83], v[110:111]
	s_wait_dscnt 0x1
	s_delay_alu instid0(VALU_DEP_1) | instskip(SKIP_1) | instid1(VALU_DEP_1)
	v_fmac_f64_e32 v[112:113], v[84:85], v[98:99]
	s_wait_loadcnt 0x3
	v_fmac_f64_e32 v[112:113], v[86:87], v[100:101]
	s_wait_dscnt 0x0
	s_delay_alu instid0(VALU_DEP_1)
	v_fmac_f64_e32 v[112:113], v[88:89], v[102:103]
	ds_load_b128 v[82:85], v2 offset:576
	ds_load_b128 v[86:89], v2 offset:592
	s_wait_loadcnt 0x2
	v_fmac_f64_e32 v[112:113], v[90:91], v[104:105]
	s_wait_dscnt 0x1
	s_delay_alu instid0(VALU_DEP_1) | instskip(SKIP_1) | instid1(VALU_DEP_1)
	v_fmac_f64_e32 v[112:113], v[92:93], v[82:83]
	s_wait_loadcnt 0x1
	v_fmac_f64_e32 v[112:113], v[94:95], v[84:85]
	s_wait_dscnt 0x0
	s_delay_alu instid0(VALU_DEP_1) | instskip(SKIP_1) | instid1(VALU_DEP_1)
	v_fmac_f64_e32 v[112:113], v[96:97], v[86:87]
	s_wait_loadcnt 0x0
	v_fmac_f64_e32 v[112:113], v[106:107], v[88:89]
	s_delay_alu instid0(VALU_DEP_1)
	v_add_f64_e64 v[2:3], v[80:81], -v[112:113]
	scratch_store_b64 off, v[2:3], off offset:136
	s_wait_xcnt 0x0
	v_cmpx_lt_u32_e32 16, v0
	s_cbranch_execz .LBB37_205
; %bb.204:
	scratch_load_b64 v[2:3], off, off offset:128
	v_mov_b64_e32 v[80:81], 0
	scratch_store_b64 off, v[80:81], off offset:128
	s_wait_loadcnt 0x0
	ds_store_b64 v1, v[2:3]
.LBB37_205:
	s_wait_xcnt 0x0
	s_or_b32 exec_lo, exec_lo, s0
	s_wait_storecnt_dscnt 0x0
	s_barrier_signal -1
	s_barrier_wait -1
	s_clause 0x5
	scratch_load_b128 v[80:83], off, off offset:128
	scratch_load_b128 v[84:87], off, off offset:144
	;; [unrolled: 1-line block ×6, first 2 shown]
	v_mov_b32_e32 v2, 0
	ds_load_2addr_b64 v[104:107], v2 offset0:55 offset1:56
	ds_load_2addr_b64 v[108:111], v2 offset0:57 offset1:58
	s_mov_b32 s0, exec_lo
	s_wait_loadcnt_dscnt 0x501
	v_fma_f64 v[112:113], v[82:83], v[104:105], 0
	s_wait_loadcnt 0x4
	s_delay_alu instid0(VALU_DEP_1) | instskip(SKIP_4) | instid1(VALU_DEP_1)
	v_fmac_f64_e32 v[112:113], v[84:85], v[106:107]
	scratch_load_b128 v[82:85], off, off offset:224
	s_wait_dscnt 0x0
	v_fmac_f64_e32 v[112:113], v[86:87], v[108:109]
	s_wait_loadcnt 0x4
	v_fmac_f64_e32 v[112:113], v[88:89], v[110:111]
	scratch_load_b128 v[86:89], off, off offset:240
	ds_load_2addr_b64 v[104:107], v2 offset0:59 offset1:60
	ds_load_2addr_b64 v[108:111], v2 offset0:61 offset1:62
	s_wait_dscnt 0x1
	v_fmac_f64_e32 v[112:113], v[90:91], v[104:105]
	s_wait_loadcnt 0x4
	s_delay_alu instid0(VALU_DEP_1) | instskip(SKIP_4) | instid1(VALU_DEP_1)
	v_fmac_f64_e32 v[112:113], v[92:93], v[106:107]
	scratch_load_b128 v[90:93], off, off offset:256
	s_wait_dscnt 0x0
	v_fmac_f64_e32 v[112:113], v[94:95], v[108:109]
	s_wait_loadcnt 0x4
	v_fmac_f64_e32 v[112:113], v[96:97], v[110:111]
	scratch_load_b128 v[94:97], off, off offset:272
	ds_load_2addr_b64 v[104:107], v2 offset0:63 offset1:64
	ds_load_2addr_b64 v[108:111], v2 offset0:65 offset1:66
	s_wait_dscnt 0x1
	v_fmac_f64_e32 v[112:113], v[98:99], v[104:105]
	s_wait_loadcnt 0x4
	s_delay_alu instid0(VALU_DEP_1)
	v_fmac_f64_e32 v[112:113], v[100:101], v[106:107]
	scratch_load_b128 v[98:101], off, off offset:288
	s_wait_dscnt 0x0
	v_fmac_f64_e32 v[112:113], v[102:103], v[108:109]
	ds_load_2addr_b64 v[102:105], v2 offset0:67 offset1:68
	ds_load_2addr_b64 v[106:109], v2 offset0:69 offset1:70
	s_wait_loadcnt 0x4
	v_fmac_f64_e32 v[112:113], v[82:83], v[110:111]
	s_wait_dscnt 0x1
	s_delay_alu instid0(VALU_DEP_1) | instskip(SKIP_1) | instid1(VALU_DEP_1)
	v_fmac_f64_e32 v[112:113], v[84:85], v[102:103]
	s_wait_loadcnt 0x3
	v_fmac_f64_e32 v[112:113], v[86:87], v[104:105]
	s_wait_dscnt 0x0
	s_delay_alu instid0(VALU_DEP_1)
	v_fmac_f64_e32 v[112:113], v[88:89], v[106:107]
	ds_load_2addr_b64 v[82:85], v2 offset0:71 offset1:72
	ds_load_2addr_b64 v[86:89], v2 offset0:73 offset1:74
	s_wait_loadcnt 0x2
	v_fmac_f64_e32 v[112:113], v[90:91], v[108:109]
	s_wait_dscnt 0x1
	s_delay_alu instid0(VALU_DEP_1) | instskip(SKIP_4) | instid1(VALU_DEP_1)
	v_fmac_f64_e32 v[112:113], v[92:93], v[82:83]
	ds_load_b64 v[82:83], v2 offset:600
	s_wait_loadcnt 0x1
	v_fmac_f64_e32 v[112:113], v[94:95], v[84:85]
	s_wait_dscnt 0x1
	v_fmac_f64_e32 v[112:113], v[96:97], v[86:87]
	s_wait_loadcnt 0x0
	s_delay_alu instid0(VALU_DEP_1) | instskip(SKIP_1) | instid1(VALU_DEP_1)
	v_fmac_f64_e32 v[112:113], v[98:99], v[88:89]
	s_wait_dscnt 0x0
	v_fmac_f64_e32 v[112:113], v[100:101], v[82:83]
	s_delay_alu instid0(VALU_DEP_1)
	v_add_f64_e64 v[80:81], v[80:81], -v[112:113]
	scratch_store_b64 off, v[80:81], off offset:128
	s_wait_xcnt 0x0
	v_cmpx_lt_u32_e32 15, v0
	s_cbranch_execz .LBB37_207
; %bb.206:
	scratch_load_b64 v[80:81], off, off offset:120
	v_mov_b64_e32 v[82:83], 0
	scratch_store_b64 off, v[82:83], off offset:120
	s_wait_loadcnt 0x0
	ds_store_b64 v1, v[80:81]
.LBB37_207:
	s_wait_xcnt 0x0
	s_or_b32 exec_lo, exec_lo, s0
	s_wait_storecnt_dscnt 0x0
	s_barrier_signal -1
	s_barrier_wait -1
	s_clause 0x5
	scratch_load_b128 v[80:83], off, off offset:120
	scratch_load_b128 v[84:87], off, off offset:136
	;; [unrolled: 1-line block ×6, first 2 shown]
	ds_load_b128 v[104:107], v2 offset:432
	ds_load_b128 v[108:111], v2 offset:448
	scratch_load_b128 v[112:115], off, off offset:216
	s_mov_b32 s0, exec_lo
	s_wait_loadcnt_dscnt 0x601
	v_fma_f64 v[116:117], v[82:83], v[104:105], 0
	s_wait_loadcnt 0x5
	s_delay_alu instid0(VALU_DEP_1) | instskip(SKIP_4) | instid1(VALU_DEP_1)
	v_fmac_f64_e32 v[116:117], v[84:85], v[106:107]
	scratch_load_b128 v[82:85], off, off offset:232
	s_wait_dscnt 0x0
	v_fmac_f64_e32 v[116:117], v[86:87], v[108:109]
	s_wait_loadcnt 0x5
	v_fmac_f64_e32 v[116:117], v[88:89], v[110:111]
	ds_load_b128 v[86:89], v2 offset:464
	ds_load_b128 v[104:107], v2 offset:480
	s_wait_dscnt 0x1
	v_fmac_f64_e32 v[116:117], v[90:91], v[86:87]
	s_wait_loadcnt 0x4
	s_delay_alu instid0(VALU_DEP_1)
	v_fmac_f64_e32 v[116:117], v[92:93], v[88:89]
	s_clause 0x1
	scratch_load_b128 v[86:89], off, off offset:248
	scratch_load_b128 v[90:93], off, off offset:264
	s_wait_dscnt 0x0
	v_fmac_f64_e32 v[116:117], v[94:95], v[104:105]
	s_wait_loadcnt 0x5
	s_delay_alu instid0(VALU_DEP_1)
	v_fmac_f64_e32 v[116:117], v[96:97], v[106:107]
	ds_load_b128 v[94:97], v2 offset:496
	ds_load_b128 v[104:107], v2 offset:512
	s_wait_dscnt 0x1
	v_fmac_f64_e32 v[116:117], v[98:99], v[94:95]
	s_wait_loadcnt 0x4
	s_delay_alu instid0(VALU_DEP_1) | instskip(SKIP_4) | instid1(VALU_DEP_1)
	v_fmac_f64_e32 v[116:117], v[100:101], v[96:97]
	scratch_load_b128 v[94:97], off, off offset:280
	s_wait_dscnt 0x0
	v_fmac_f64_e32 v[116:117], v[102:103], v[104:105]
	s_wait_loadcnt 0x4
	v_fmac_f64_e32 v[116:117], v[112:113], v[106:107]
	scratch_load_b64 v[106:107], off, off offset:296
	ds_load_b128 v[98:101], v2 offset:528
	ds_load_b128 v[102:105], v2 offset:544
	s_wait_dscnt 0x1
	v_fmac_f64_e32 v[116:117], v[114:115], v[98:99]
	s_wait_loadcnt 0x4
	s_delay_alu instid0(VALU_DEP_1) | instskip(SKIP_1) | instid1(VALU_DEP_1)
	v_fmac_f64_e32 v[116:117], v[82:83], v[100:101]
	s_wait_dscnt 0x0
	v_fmac_f64_e32 v[116:117], v[84:85], v[102:103]
	ds_load_b128 v[82:85], v2 offset:560
	ds_load_b128 v[98:101], v2 offset:576
	s_wait_loadcnt 0x3
	v_fmac_f64_e32 v[116:117], v[86:87], v[104:105]
	s_wait_dscnt 0x1
	s_delay_alu instid0(VALU_DEP_1) | instskip(SKIP_1) | instid1(VALU_DEP_1)
	v_fmac_f64_e32 v[116:117], v[88:89], v[82:83]
	s_wait_loadcnt 0x2
	v_fmac_f64_e32 v[116:117], v[90:91], v[84:85]
	ds_load_b128 v[82:85], v2 offset:592
	s_wait_dscnt 0x1
	v_fmac_f64_e32 v[116:117], v[92:93], v[98:99]
	s_wait_loadcnt 0x1
	s_delay_alu instid0(VALU_DEP_1) | instskip(SKIP_1) | instid1(VALU_DEP_1)
	v_fmac_f64_e32 v[116:117], v[94:95], v[100:101]
	s_wait_dscnt 0x0
	v_fmac_f64_e32 v[116:117], v[96:97], v[82:83]
	s_wait_loadcnt 0x0
	s_delay_alu instid0(VALU_DEP_1) | instskip(NEXT) | instid1(VALU_DEP_1)
	v_fmac_f64_e32 v[116:117], v[106:107], v[84:85]
	v_add_f64_e64 v[2:3], v[80:81], -v[116:117]
	scratch_store_b64 off, v[2:3], off offset:120
	s_wait_xcnt 0x0
	v_cmpx_lt_u32_e32 14, v0
	s_cbranch_execz .LBB37_209
; %bb.208:
	scratch_load_b64 v[2:3], off, off offset:112
	v_mov_b64_e32 v[80:81], 0
	scratch_store_b64 off, v[80:81], off offset:112
	s_wait_loadcnt 0x0
	ds_store_b64 v1, v[2:3]
.LBB37_209:
	s_wait_xcnt 0x0
	s_or_b32 exec_lo, exec_lo, s0
	s_wait_storecnt_dscnt 0x0
	s_barrier_signal -1
	s_barrier_wait -1
	s_clause 0x5
	scratch_load_b128 v[80:83], off, off offset:112
	scratch_load_b128 v[84:87], off, off offset:128
	;; [unrolled: 1-line block ×6, first 2 shown]
	v_mov_b32_e32 v2, 0
	ds_load_2addr_b64 v[104:107], v2 offset0:53 offset1:54
	ds_load_2addr_b64 v[108:111], v2 offset0:55 offset1:56
	scratch_load_b128 v[112:115], off, off offset:208
	s_mov_b32 s0, exec_lo
	s_wait_loadcnt_dscnt 0x601
	v_fma_f64 v[116:117], v[82:83], v[104:105], 0
	s_wait_loadcnt 0x5
	s_delay_alu instid0(VALU_DEP_1) | instskip(SKIP_4) | instid1(VALU_DEP_1)
	v_fmac_f64_e32 v[116:117], v[84:85], v[106:107]
	scratch_load_b128 v[82:85], off, off offset:224
	s_wait_dscnt 0x0
	v_fmac_f64_e32 v[116:117], v[86:87], v[108:109]
	s_wait_loadcnt 0x5
	v_fmac_f64_e32 v[116:117], v[88:89], v[110:111]
	ds_load_2addr_b64 v[86:89], v2 offset0:57 offset1:58
	ds_load_2addr_b64 v[104:107], v2 offset0:59 offset1:60
	s_wait_dscnt 0x1
	v_fmac_f64_e32 v[116:117], v[90:91], v[86:87]
	s_wait_loadcnt 0x4
	s_delay_alu instid0(VALU_DEP_1)
	v_fmac_f64_e32 v[116:117], v[92:93], v[88:89]
	s_clause 0x1
	scratch_load_b128 v[86:89], off, off offset:240
	scratch_load_b128 v[90:93], off, off offset:256
	s_wait_dscnt 0x0
	v_fmac_f64_e32 v[116:117], v[94:95], v[104:105]
	s_wait_loadcnt 0x5
	s_delay_alu instid0(VALU_DEP_1)
	v_fmac_f64_e32 v[116:117], v[96:97], v[106:107]
	ds_load_2addr_b64 v[94:97], v2 offset0:61 offset1:62
	ds_load_2addr_b64 v[104:107], v2 offset0:63 offset1:64
	s_wait_dscnt 0x1
	v_fmac_f64_e32 v[116:117], v[98:99], v[94:95]
	s_wait_loadcnt 0x4
	s_delay_alu instid0(VALU_DEP_1)
	v_fmac_f64_e32 v[116:117], v[100:101], v[96:97]
	s_clause 0x1
	scratch_load_b128 v[94:97], off, off offset:272
	scratch_load_b128 v[98:101], off, off offset:288
	s_wait_dscnt 0x0
	v_fmac_f64_e32 v[116:117], v[102:103], v[104:105]
	s_wait_loadcnt 0x5
	s_delay_alu instid0(VALU_DEP_1)
	v_fmac_f64_e32 v[116:117], v[112:113], v[106:107]
	ds_load_2addr_b64 v[102:105], v2 offset0:65 offset1:66
	ds_load_2addr_b64 v[106:109], v2 offset0:67 offset1:68
	s_wait_dscnt 0x1
	v_fmac_f64_e32 v[116:117], v[114:115], v[102:103]
	s_wait_loadcnt 0x4
	s_delay_alu instid0(VALU_DEP_1) | instskip(SKIP_1) | instid1(VALU_DEP_1)
	v_fmac_f64_e32 v[116:117], v[82:83], v[104:105]
	s_wait_dscnt 0x0
	v_fmac_f64_e32 v[116:117], v[84:85], v[106:107]
	ds_load_2addr_b64 v[82:85], v2 offset0:69 offset1:70
	ds_load_2addr_b64 v[102:105], v2 offset0:71 offset1:72
	s_wait_loadcnt 0x3
	v_fmac_f64_e32 v[116:117], v[86:87], v[108:109]
	s_wait_dscnt 0x1
	s_delay_alu instid0(VALU_DEP_1) | instskip(SKIP_1) | instid1(VALU_DEP_1)
	v_fmac_f64_e32 v[116:117], v[88:89], v[82:83]
	s_wait_loadcnt 0x2
	v_fmac_f64_e32 v[116:117], v[90:91], v[84:85]
	ds_load_2addr_b64 v[82:85], v2 offset0:73 offset1:74
	ds_load_b64 v[86:87], v2 offset:600
	s_wait_dscnt 0x2
	v_fmac_f64_e32 v[116:117], v[92:93], v[102:103]
	s_wait_loadcnt 0x1
	s_delay_alu instid0(VALU_DEP_1) | instskip(SKIP_1) | instid1(VALU_DEP_1)
	v_fmac_f64_e32 v[116:117], v[94:95], v[104:105]
	s_wait_dscnt 0x1
	v_fmac_f64_e32 v[116:117], v[96:97], v[82:83]
	s_wait_loadcnt 0x0
	s_delay_alu instid0(VALU_DEP_1) | instskip(SKIP_1) | instid1(VALU_DEP_1)
	v_fmac_f64_e32 v[116:117], v[98:99], v[84:85]
	s_wait_dscnt 0x0
	v_fmac_f64_e32 v[116:117], v[100:101], v[86:87]
	s_delay_alu instid0(VALU_DEP_1)
	v_add_f64_e64 v[80:81], v[80:81], -v[116:117]
	scratch_store_b64 off, v[80:81], off offset:112
	s_wait_xcnt 0x0
	v_cmpx_lt_u32_e32 13, v0
	s_cbranch_execz .LBB37_211
; %bb.210:
	scratch_load_b64 v[80:81], off, off offset:104
	v_mov_b64_e32 v[82:83], 0
	scratch_store_b64 off, v[82:83], off offset:104
	s_wait_loadcnt 0x0
	ds_store_b64 v1, v[80:81]
.LBB37_211:
	s_wait_xcnt 0x0
	s_or_b32 exec_lo, exec_lo, s0
	s_wait_storecnt_dscnt 0x0
	s_barrier_signal -1
	s_barrier_wait -1
	s_clause 0x5
	scratch_load_b128 v[80:83], off, off offset:104
	scratch_load_b128 v[84:87], off, off offset:120
	;; [unrolled: 1-line block ×6, first 2 shown]
	ds_load_b128 v[104:107], v2 offset:416
	ds_load_b128 v[108:111], v2 offset:432
	scratch_load_b128 v[112:115], off, off offset:200
	s_mov_b32 s0, exec_lo
	s_wait_loadcnt_dscnt 0x601
	v_fma_f64 v[116:117], v[82:83], v[104:105], 0
	s_wait_loadcnt 0x5
	s_delay_alu instid0(VALU_DEP_1) | instskip(SKIP_4) | instid1(VALU_DEP_1)
	v_fmac_f64_e32 v[116:117], v[84:85], v[106:107]
	scratch_load_b128 v[82:85], off, off offset:216
	s_wait_dscnt 0x0
	v_fmac_f64_e32 v[116:117], v[86:87], v[108:109]
	s_wait_loadcnt 0x5
	v_fmac_f64_e32 v[116:117], v[88:89], v[110:111]
	ds_load_b128 v[86:89], v2 offset:448
	ds_load_b128 v[104:107], v2 offset:464
	s_wait_dscnt 0x1
	v_fmac_f64_e32 v[116:117], v[90:91], v[86:87]
	s_wait_loadcnt 0x4
	s_delay_alu instid0(VALU_DEP_1)
	v_fmac_f64_e32 v[116:117], v[92:93], v[88:89]
	s_clause 0x1
	scratch_load_b128 v[86:89], off, off offset:232
	scratch_load_b128 v[90:93], off, off offset:248
	s_wait_dscnt 0x0
	v_fmac_f64_e32 v[116:117], v[94:95], v[104:105]
	s_wait_loadcnt 0x5
	s_delay_alu instid0(VALU_DEP_1)
	v_fmac_f64_e32 v[116:117], v[96:97], v[106:107]
	ds_load_b128 v[94:97], v2 offset:480
	ds_load_b128 v[104:107], v2 offset:496
	s_wait_dscnt 0x1
	v_fmac_f64_e32 v[116:117], v[98:99], v[94:95]
	s_wait_loadcnt 0x4
	s_delay_alu instid0(VALU_DEP_1)
	v_fmac_f64_e32 v[116:117], v[100:101], v[96:97]
	s_clause 0x1
	scratch_load_b128 v[94:97], off, off offset:264
	scratch_load_b128 v[98:101], off, off offset:280
	s_wait_dscnt 0x0
	v_fmac_f64_e32 v[116:117], v[102:103], v[104:105]
	s_wait_loadcnt 0x5
	s_delay_alu instid0(VALU_DEP_1)
	v_fmac_f64_e32 v[116:117], v[112:113], v[106:107]
	ds_load_b128 v[102:105], v2 offset:512
	ds_load_b128 v[106:109], v2 offset:528
	scratch_load_b64 v[110:111], off, off offset:296
	s_wait_dscnt 0x1
	v_fmac_f64_e32 v[116:117], v[114:115], v[102:103]
	s_wait_loadcnt 0x5
	s_delay_alu instid0(VALU_DEP_1) | instskip(SKIP_1) | instid1(VALU_DEP_1)
	v_fmac_f64_e32 v[116:117], v[82:83], v[104:105]
	s_wait_dscnt 0x0
	v_fmac_f64_e32 v[116:117], v[84:85], v[106:107]
	ds_load_b128 v[82:85], v2 offset:544
	ds_load_b128 v[102:105], v2 offset:560
	s_wait_loadcnt 0x4
	v_fmac_f64_e32 v[116:117], v[86:87], v[108:109]
	s_wait_dscnt 0x1
	s_delay_alu instid0(VALU_DEP_1) | instskip(SKIP_1) | instid1(VALU_DEP_1)
	v_fmac_f64_e32 v[116:117], v[88:89], v[82:83]
	s_wait_loadcnt 0x3
	v_fmac_f64_e32 v[116:117], v[90:91], v[84:85]
	ds_load_b128 v[82:85], v2 offset:576
	ds_load_b128 v[86:89], v2 offset:592
	s_wait_dscnt 0x2
	v_fmac_f64_e32 v[116:117], v[92:93], v[102:103]
	s_wait_loadcnt 0x2
	s_delay_alu instid0(VALU_DEP_1) | instskip(SKIP_1) | instid1(VALU_DEP_1)
	v_fmac_f64_e32 v[116:117], v[94:95], v[104:105]
	s_wait_dscnt 0x1
	v_fmac_f64_e32 v[116:117], v[96:97], v[82:83]
	s_wait_loadcnt 0x1
	s_delay_alu instid0(VALU_DEP_1) | instskip(SKIP_1) | instid1(VALU_DEP_1)
	v_fmac_f64_e32 v[116:117], v[98:99], v[84:85]
	s_wait_dscnt 0x0
	v_fmac_f64_e32 v[116:117], v[100:101], v[86:87]
	s_wait_loadcnt 0x0
	s_delay_alu instid0(VALU_DEP_1) | instskip(NEXT) | instid1(VALU_DEP_1)
	v_fmac_f64_e32 v[116:117], v[110:111], v[88:89]
	v_add_f64_e64 v[2:3], v[80:81], -v[116:117]
	scratch_store_b64 off, v[2:3], off offset:104
	s_wait_xcnt 0x0
	v_cmpx_lt_u32_e32 12, v0
	s_cbranch_execz .LBB37_213
; %bb.212:
	scratch_load_b64 v[2:3], off, off offset:96
	v_mov_b64_e32 v[80:81], 0
	scratch_store_b64 off, v[80:81], off offset:96
	s_wait_loadcnt 0x0
	ds_store_b64 v1, v[2:3]
.LBB37_213:
	s_wait_xcnt 0x0
	s_or_b32 exec_lo, exec_lo, s0
	s_wait_storecnt_dscnt 0x0
	s_barrier_signal -1
	s_barrier_wait -1
	s_clause 0x5
	scratch_load_b128 v[80:83], off, off offset:96
	scratch_load_b128 v[84:87], off, off offset:112
	;; [unrolled: 1-line block ×6, first 2 shown]
	v_mov_b32_e32 v2, 0
	ds_load_2addr_b64 v[104:107], v2 offset0:51 offset1:52
	ds_load_2addr_b64 v[108:111], v2 offset0:53 offset1:54
	scratch_load_b128 v[112:115], off, off offset:192
	s_mov_b32 s0, exec_lo
	s_wait_loadcnt_dscnt 0x601
	v_fma_f64 v[116:117], v[82:83], v[104:105], 0
	s_wait_loadcnt 0x5
	s_delay_alu instid0(VALU_DEP_1) | instskip(SKIP_4) | instid1(VALU_DEP_1)
	v_fmac_f64_e32 v[116:117], v[84:85], v[106:107]
	scratch_load_b128 v[82:85], off, off offset:208
	s_wait_dscnt 0x0
	v_fmac_f64_e32 v[116:117], v[86:87], v[108:109]
	s_wait_loadcnt 0x5
	v_fmac_f64_e32 v[116:117], v[88:89], v[110:111]
	ds_load_2addr_b64 v[86:89], v2 offset0:55 offset1:56
	ds_load_2addr_b64 v[104:107], v2 offset0:57 offset1:58
	s_wait_dscnt 0x1
	v_fmac_f64_e32 v[116:117], v[90:91], v[86:87]
	s_wait_loadcnt 0x4
	s_delay_alu instid0(VALU_DEP_1)
	v_fmac_f64_e32 v[116:117], v[92:93], v[88:89]
	s_clause 0x1
	scratch_load_b128 v[86:89], off, off offset:224
	scratch_load_b128 v[90:93], off, off offset:240
	s_wait_dscnt 0x0
	v_fmac_f64_e32 v[116:117], v[94:95], v[104:105]
	s_wait_loadcnt 0x5
	s_delay_alu instid0(VALU_DEP_1)
	v_fmac_f64_e32 v[116:117], v[96:97], v[106:107]
	ds_load_2addr_b64 v[94:97], v2 offset0:59 offset1:60
	ds_load_2addr_b64 v[104:107], v2 offset0:61 offset1:62
	s_wait_dscnt 0x1
	v_fmac_f64_e32 v[116:117], v[98:99], v[94:95]
	s_wait_loadcnt 0x4
	s_delay_alu instid0(VALU_DEP_1)
	v_fmac_f64_e32 v[116:117], v[100:101], v[96:97]
	s_clause 0x1
	scratch_load_b128 v[94:97], off, off offset:256
	scratch_load_b128 v[98:101], off, off offset:272
	s_wait_dscnt 0x0
	v_fmac_f64_e32 v[116:117], v[102:103], v[104:105]
	s_wait_loadcnt 0x5
	s_delay_alu instid0(VALU_DEP_1)
	v_fmac_f64_e32 v[116:117], v[112:113], v[106:107]
	ds_load_2addr_b64 v[102:105], v2 offset0:63 offset1:64
	ds_load_2addr_b64 v[106:109], v2 offset0:65 offset1:66
	s_wait_dscnt 0x1
	v_fmac_f64_e32 v[116:117], v[114:115], v[102:103]
	s_wait_loadcnt 0x4
	s_delay_alu instid0(VALU_DEP_1) | instskip(SKIP_4) | instid1(VALU_DEP_1)
	v_fmac_f64_e32 v[116:117], v[82:83], v[104:105]
	scratch_load_b128 v[102:105], off, off offset:288
	s_wait_dscnt 0x0
	v_fmac_f64_e32 v[116:117], v[84:85], v[106:107]
	s_wait_loadcnt 0x4
	v_fmac_f64_e32 v[116:117], v[86:87], v[108:109]
	ds_load_2addr_b64 v[82:85], v2 offset0:67 offset1:68
	ds_load_2addr_b64 v[106:109], v2 offset0:69 offset1:70
	s_wait_dscnt 0x1
	v_fmac_f64_e32 v[116:117], v[88:89], v[82:83]
	s_wait_loadcnt 0x3
	s_delay_alu instid0(VALU_DEP_1)
	v_fmac_f64_e32 v[116:117], v[90:91], v[84:85]
	ds_load_2addr_b64 v[82:85], v2 offset0:71 offset1:72
	ds_load_2addr_b64 v[86:89], v2 offset0:73 offset1:74
	s_wait_dscnt 0x2
	v_fmac_f64_e32 v[116:117], v[92:93], v[106:107]
	s_wait_loadcnt 0x2
	s_delay_alu instid0(VALU_DEP_1) | instskip(SKIP_1) | instid1(VALU_DEP_1)
	v_fmac_f64_e32 v[116:117], v[94:95], v[108:109]
	s_wait_dscnt 0x1
	v_fmac_f64_e32 v[116:117], v[96:97], v[82:83]
	ds_load_b64 v[82:83], v2 offset:600
	s_wait_loadcnt 0x1
	v_fmac_f64_e32 v[116:117], v[98:99], v[84:85]
	s_wait_dscnt 0x1
	s_delay_alu instid0(VALU_DEP_1) | instskip(SKIP_1) | instid1(VALU_DEP_1)
	v_fmac_f64_e32 v[116:117], v[100:101], v[86:87]
	s_wait_loadcnt 0x0
	v_fmac_f64_e32 v[116:117], v[102:103], v[88:89]
	s_wait_dscnt 0x0
	s_delay_alu instid0(VALU_DEP_1) | instskip(NEXT) | instid1(VALU_DEP_1)
	v_fmac_f64_e32 v[116:117], v[104:105], v[82:83]
	v_add_f64_e64 v[80:81], v[80:81], -v[116:117]
	scratch_store_b64 off, v[80:81], off offset:96
	s_wait_xcnt 0x0
	v_cmpx_lt_u32_e32 11, v0
	s_cbranch_execz .LBB37_215
; %bb.214:
	scratch_load_b64 v[80:81], off, off offset:88
	v_mov_b64_e32 v[82:83], 0
	scratch_store_b64 off, v[82:83], off offset:88
	s_wait_loadcnt 0x0
	ds_store_b64 v1, v[80:81]
.LBB37_215:
	s_wait_xcnt 0x0
	s_or_b32 exec_lo, exec_lo, s0
	s_wait_storecnt_dscnt 0x0
	s_barrier_signal -1
	s_barrier_wait -1
	s_clause 0x5
	scratch_load_b128 v[80:83], off, off offset:88
	scratch_load_b128 v[84:87], off, off offset:104
	;; [unrolled: 1-line block ×6, first 2 shown]
	ds_load_b128 v[104:107], v2 offset:400
	ds_load_b128 v[108:111], v2 offset:416
	scratch_load_b128 v[112:115], off, off offset:184
	s_mov_b32 s0, exec_lo
	s_wait_loadcnt_dscnt 0x601
	v_fma_f64 v[116:117], v[82:83], v[104:105], 0
	s_wait_loadcnt 0x5
	s_delay_alu instid0(VALU_DEP_1) | instskip(SKIP_4) | instid1(VALU_DEP_1)
	v_fmac_f64_e32 v[116:117], v[84:85], v[106:107]
	scratch_load_b128 v[82:85], off, off offset:200
	s_wait_dscnt 0x0
	v_fmac_f64_e32 v[116:117], v[86:87], v[108:109]
	s_wait_loadcnt 0x5
	v_fmac_f64_e32 v[116:117], v[88:89], v[110:111]
	ds_load_b128 v[86:89], v2 offset:432
	ds_load_b128 v[104:107], v2 offset:448
	scratch_load_b128 v[108:111], off, off offset:216
	s_wait_dscnt 0x1
	v_fmac_f64_e32 v[116:117], v[90:91], v[86:87]
	s_wait_loadcnt 0x5
	s_delay_alu instid0(VALU_DEP_1) | instskip(SKIP_4) | instid1(VALU_DEP_1)
	v_fmac_f64_e32 v[116:117], v[92:93], v[88:89]
	scratch_load_b128 v[86:89], off, off offset:232
	s_wait_dscnt 0x0
	v_fmac_f64_e32 v[116:117], v[94:95], v[104:105]
	s_wait_loadcnt 0x5
	v_fmac_f64_e32 v[116:117], v[96:97], v[106:107]
	ds_load_b128 v[90:93], v2 offset:464
	ds_load_b128 v[94:97], v2 offset:480
	s_wait_dscnt 0x1
	v_fmac_f64_e32 v[116:117], v[98:99], v[90:91]
	s_wait_loadcnt 0x4
	s_delay_alu instid0(VALU_DEP_1) | instskip(SKIP_4) | instid1(VALU_DEP_1)
	v_fmac_f64_e32 v[116:117], v[100:101], v[92:93]
	scratch_load_b128 v[90:93], off, off offset:248
	s_wait_dscnt 0x0
	v_fmac_f64_e32 v[116:117], v[102:103], v[94:95]
	s_wait_loadcnt 0x4
	v_fmac_f64_e32 v[116:117], v[112:113], v[96:97]
	scratch_load_b128 v[94:97], off, off offset:264
	ds_load_b128 v[98:101], v2 offset:496
	ds_load_b128 v[102:105], v2 offset:512
	scratch_load_b64 v[106:107], off, off offset:296
	s_wait_dscnt 0x1
	v_fmac_f64_e32 v[116:117], v[114:115], v[98:99]
	s_wait_loadcnt 0x5
	s_delay_alu instid0(VALU_DEP_1) | instskip(SKIP_4) | instid1(VALU_DEP_1)
	v_fmac_f64_e32 v[116:117], v[82:83], v[100:101]
	scratch_load_b128 v[98:101], off, off offset:280
	s_wait_dscnt 0x0
	v_fmac_f64_e32 v[116:117], v[84:85], v[102:103]
	s_wait_loadcnt 0x5
	v_fmac_f64_e32 v[116:117], v[108:109], v[104:105]
	ds_load_b128 v[82:85], v2 offset:528
	ds_load_b128 v[102:105], v2 offset:544
	s_wait_dscnt 0x1
	v_fmac_f64_e32 v[116:117], v[110:111], v[82:83]
	s_wait_loadcnt 0x4
	s_delay_alu instid0(VALU_DEP_1) | instskip(SKIP_1) | instid1(VALU_DEP_1)
	v_fmac_f64_e32 v[116:117], v[86:87], v[84:85]
	s_wait_dscnt 0x0
	v_fmac_f64_e32 v[116:117], v[88:89], v[102:103]
	ds_load_b128 v[82:85], v2 offset:560
	ds_load_b128 v[86:89], v2 offset:576
	s_wait_loadcnt 0x3
	v_fmac_f64_e32 v[116:117], v[90:91], v[104:105]
	s_wait_dscnt 0x1
	s_delay_alu instid0(VALU_DEP_1) | instskip(SKIP_1) | instid1(VALU_DEP_1)
	v_fmac_f64_e32 v[116:117], v[92:93], v[82:83]
	s_wait_loadcnt 0x2
	v_fmac_f64_e32 v[116:117], v[94:95], v[84:85]
	ds_load_b128 v[82:85], v2 offset:592
	s_wait_dscnt 0x1
	v_fmac_f64_e32 v[116:117], v[96:97], v[86:87]
	s_wait_loadcnt 0x0
	s_delay_alu instid0(VALU_DEP_1) | instskip(SKIP_1) | instid1(VALU_DEP_1)
	v_fmac_f64_e32 v[116:117], v[98:99], v[88:89]
	s_wait_dscnt 0x0
	v_fmac_f64_e32 v[116:117], v[100:101], v[82:83]
	s_delay_alu instid0(VALU_DEP_1) | instskip(NEXT) | instid1(VALU_DEP_1)
	v_fmac_f64_e32 v[116:117], v[106:107], v[84:85]
	v_add_f64_e64 v[2:3], v[80:81], -v[116:117]
	scratch_store_b64 off, v[2:3], off offset:88
	s_wait_xcnt 0x0
	v_cmpx_lt_u32_e32 10, v0
	s_cbranch_execz .LBB37_217
; %bb.216:
	scratch_load_b64 v[2:3], off, off offset:80
	v_mov_b64_e32 v[80:81], 0
	scratch_store_b64 off, v[80:81], off offset:80
	s_wait_loadcnt 0x0
	ds_store_b64 v1, v[2:3]
.LBB37_217:
	s_wait_xcnt 0x0
	s_or_b32 exec_lo, exec_lo, s0
	s_wait_storecnt_dscnt 0x0
	s_barrier_signal -1
	s_barrier_wait -1
	s_clause 0x5
	scratch_load_b128 v[80:83], off, off offset:80
	scratch_load_b128 v[84:87], off, off offset:96
	;; [unrolled: 1-line block ×6, first 2 shown]
	v_mov_b32_e32 v2, 0
	ds_load_2addr_b64 v[104:107], v2 offset0:49 offset1:50
	ds_load_2addr_b64 v[108:111], v2 offset0:51 offset1:52
	scratch_load_b128 v[112:115], off, off offset:176
	s_mov_b32 s0, exec_lo
	s_wait_loadcnt_dscnt 0x601
	v_fma_f64 v[116:117], v[82:83], v[104:105], 0
	s_wait_loadcnt 0x5
	s_delay_alu instid0(VALU_DEP_1) | instskip(SKIP_4) | instid1(VALU_DEP_1)
	v_fmac_f64_e32 v[116:117], v[84:85], v[106:107]
	scratch_load_b128 v[82:85], off, off offset:192
	s_wait_dscnt 0x0
	v_fmac_f64_e32 v[116:117], v[86:87], v[108:109]
	s_wait_loadcnt 0x5
	v_fmac_f64_e32 v[116:117], v[88:89], v[110:111]
	ds_load_2addr_b64 v[86:89], v2 offset0:53 offset1:54
	ds_load_2addr_b64 v[104:107], v2 offset0:55 offset1:56
	scratch_load_b128 v[108:111], off, off offset:208
	s_wait_dscnt 0x1
	v_fmac_f64_e32 v[116:117], v[90:91], v[86:87]
	s_wait_loadcnt 0x5
	s_delay_alu instid0(VALU_DEP_1) | instskip(SKIP_4) | instid1(VALU_DEP_1)
	v_fmac_f64_e32 v[116:117], v[92:93], v[88:89]
	scratch_load_b128 v[86:89], off, off offset:224
	s_wait_dscnt 0x0
	v_fmac_f64_e32 v[116:117], v[94:95], v[104:105]
	s_wait_loadcnt 0x5
	v_fmac_f64_e32 v[116:117], v[96:97], v[106:107]
	ds_load_2addr_b64 v[90:93], v2 offset0:57 offset1:58
	ds_load_2addr_b64 v[94:97], v2 offset0:59 offset1:60
	s_wait_dscnt 0x1
	v_fmac_f64_e32 v[116:117], v[98:99], v[90:91]
	s_wait_loadcnt 0x4
	s_delay_alu instid0(VALU_DEP_1) | instskip(SKIP_4) | instid1(VALU_DEP_1)
	v_fmac_f64_e32 v[116:117], v[100:101], v[92:93]
	scratch_load_b128 v[90:93], off, off offset:240
	s_wait_dscnt 0x0
	v_fmac_f64_e32 v[116:117], v[102:103], v[94:95]
	s_wait_loadcnt 0x4
	v_fmac_f64_e32 v[116:117], v[112:113], v[96:97]
	scratch_load_b128 v[94:97], off, off offset:256
	ds_load_2addr_b64 v[98:101], v2 offset0:61 offset1:62
	ds_load_2addr_b64 v[102:105], v2 offset0:63 offset1:64
	s_wait_dscnt 0x1
	v_fmac_f64_e32 v[116:117], v[114:115], v[98:99]
	s_wait_loadcnt 0x4
	s_delay_alu instid0(VALU_DEP_1)
	v_fmac_f64_e32 v[116:117], v[82:83], v[100:101]
	scratch_load_b128 v[98:101], off, off offset:272
	s_wait_dscnt 0x0
	v_fmac_f64_e32 v[116:117], v[84:85], v[102:103]
	scratch_load_b128 v[82:85], off, off offset:288
	s_wait_loadcnt 0x5
	v_fmac_f64_e32 v[116:117], v[108:109], v[104:105]
	ds_load_2addr_b64 v[102:105], v2 offset0:65 offset1:66
	ds_load_2addr_b64 v[106:109], v2 offset0:67 offset1:68
	s_wait_dscnt 0x1
	v_fmac_f64_e32 v[116:117], v[110:111], v[102:103]
	s_wait_loadcnt 0x4
	s_delay_alu instid0(VALU_DEP_1) | instskip(SKIP_1) | instid1(VALU_DEP_1)
	v_fmac_f64_e32 v[116:117], v[86:87], v[104:105]
	s_wait_dscnt 0x0
	v_fmac_f64_e32 v[116:117], v[88:89], v[106:107]
	ds_load_2addr_b64 v[86:89], v2 offset0:69 offset1:70
	ds_load_2addr_b64 v[102:105], v2 offset0:71 offset1:72
	s_wait_loadcnt 0x3
	v_fmac_f64_e32 v[116:117], v[90:91], v[108:109]
	s_wait_dscnt 0x1
	s_delay_alu instid0(VALU_DEP_1) | instskip(SKIP_1) | instid1(VALU_DEP_1)
	v_fmac_f64_e32 v[116:117], v[92:93], v[86:87]
	s_wait_loadcnt 0x2
	v_fmac_f64_e32 v[116:117], v[94:95], v[88:89]
	ds_load_2addr_b64 v[86:89], v2 offset0:73 offset1:74
	ds_load_b64 v[90:91], v2 offset:600
	s_wait_dscnt 0x2
	v_fmac_f64_e32 v[116:117], v[96:97], v[102:103]
	s_wait_loadcnt 0x1
	s_delay_alu instid0(VALU_DEP_1) | instskip(SKIP_1) | instid1(VALU_DEP_1)
	v_fmac_f64_e32 v[116:117], v[98:99], v[104:105]
	s_wait_dscnt 0x1
	v_fmac_f64_e32 v[116:117], v[100:101], v[86:87]
	s_wait_loadcnt 0x0
	s_delay_alu instid0(VALU_DEP_1) | instskip(SKIP_1) | instid1(VALU_DEP_1)
	v_fmac_f64_e32 v[116:117], v[82:83], v[88:89]
	s_wait_dscnt 0x0
	v_fmac_f64_e32 v[116:117], v[84:85], v[90:91]
	s_delay_alu instid0(VALU_DEP_1)
	v_add_f64_e64 v[80:81], v[80:81], -v[116:117]
	scratch_store_b64 off, v[80:81], off offset:80
	s_wait_xcnt 0x0
	v_cmpx_lt_u32_e32 9, v0
	s_cbranch_execz .LBB37_219
; %bb.218:
	scratch_load_b64 v[80:81], off, off offset:72
	v_mov_b64_e32 v[82:83], 0
	scratch_store_b64 off, v[82:83], off offset:72
	s_wait_loadcnt 0x0
	ds_store_b64 v1, v[80:81]
.LBB37_219:
	s_wait_xcnt 0x0
	s_or_b32 exec_lo, exec_lo, s0
	s_wait_storecnt_dscnt 0x0
	s_barrier_signal -1
	s_barrier_wait -1
	s_clause 0x5
	scratch_load_b128 v[80:83], off, off offset:72
	scratch_load_b128 v[84:87], off, off offset:88
	;; [unrolled: 1-line block ×6, first 2 shown]
	ds_load_b128 v[104:107], v2 offset:384
	ds_load_b128 v[108:111], v2 offset:400
	scratch_load_b128 v[112:115], off, off offset:168
	s_mov_b32 s0, exec_lo
	s_wait_loadcnt_dscnt 0x601
	v_fma_f64 v[116:117], v[82:83], v[104:105], 0
	s_wait_loadcnt 0x5
	s_delay_alu instid0(VALU_DEP_1) | instskip(SKIP_4) | instid1(VALU_DEP_1)
	v_fmac_f64_e32 v[116:117], v[84:85], v[106:107]
	scratch_load_b128 v[82:85], off, off offset:184
	s_wait_dscnt 0x0
	v_fmac_f64_e32 v[116:117], v[86:87], v[108:109]
	s_wait_loadcnt 0x5
	v_fmac_f64_e32 v[116:117], v[88:89], v[110:111]
	ds_load_b128 v[86:89], v2 offset:416
	ds_load_b128 v[104:107], v2 offset:432
	scratch_load_b128 v[108:111], off, off offset:200
	s_wait_dscnt 0x1
	v_fmac_f64_e32 v[116:117], v[90:91], v[86:87]
	s_wait_loadcnt 0x5
	s_delay_alu instid0(VALU_DEP_1) | instskip(SKIP_4) | instid1(VALU_DEP_1)
	v_fmac_f64_e32 v[116:117], v[92:93], v[88:89]
	scratch_load_b128 v[86:89], off, off offset:216
	s_wait_dscnt 0x0
	v_fmac_f64_e32 v[116:117], v[94:95], v[104:105]
	s_wait_loadcnt 0x5
	v_fmac_f64_e32 v[116:117], v[96:97], v[106:107]
	ds_load_b128 v[90:93], v2 offset:448
	ds_load_b128 v[94:97], v2 offset:464
	s_wait_dscnt 0x1
	v_fmac_f64_e32 v[116:117], v[98:99], v[90:91]
	s_wait_loadcnt 0x4
	s_delay_alu instid0(VALU_DEP_1) | instskip(SKIP_4) | instid1(VALU_DEP_1)
	v_fmac_f64_e32 v[116:117], v[100:101], v[92:93]
	scratch_load_b128 v[90:93], off, off offset:232
	s_wait_dscnt 0x0
	v_fmac_f64_e32 v[116:117], v[102:103], v[94:95]
	s_wait_loadcnt 0x4
	v_fmac_f64_e32 v[116:117], v[112:113], v[96:97]
	scratch_load_b128 v[94:97], off, off offset:248
	ds_load_b128 v[98:101], v2 offset:480
	ds_load_b128 v[102:105], v2 offset:496
	s_wait_dscnt 0x1
	v_fmac_f64_e32 v[116:117], v[114:115], v[98:99]
	s_wait_loadcnt 0x4
	s_delay_alu instid0(VALU_DEP_1)
	v_fmac_f64_e32 v[116:117], v[82:83], v[100:101]
	scratch_load_b128 v[98:101], off, off offset:264
	s_wait_dscnt 0x0
	v_fmac_f64_e32 v[116:117], v[84:85], v[102:103]
	scratch_load_b128 v[82:85], off, off offset:280
	s_wait_loadcnt 0x5
	v_fmac_f64_e32 v[116:117], v[108:109], v[104:105]
	ds_load_b128 v[102:105], v2 offset:512
	ds_load_b128 v[106:109], v2 offset:528
	s_wait_dscnt 0x1
	v_fmac_f64_e32 v[116:117], v[110:111], v[102:103]
	scratch_load_b64 v[110:111], off, off offset:296
	s_wait_loadcnt 0x5
	v_fmac_f64_e32 v[116:117], v[86:87], v[104:105]
	s_wait_dscnt 0x0
	s_delay_alu instid0(VALU_DEP_1)
	v_fmac_f64_e32 v[116:117], v[88:89], v[106:107]
	ds_load_b128 v[86:89], v2 offset:544
	ds_load_b128 v[102:105], v2 offset:560
	s_wait_loadcnt 0x4
	v_fmac_f64_e32 v[116:117], v[90:91], v[108:109]
	s_wait_dscnt 0x1
	s_delay_alu instid0(VALU_DEP_1) | instskip(SKIP_1) | instid1(VALU_DEP_1)
	v_fmac_f64_e32 v[116:117], v[92:93], v[86:87]
	s_wait_loadcnt 0x3
	v_fmac_f64_e32 v[116:117], v[94:95], v[88:89]
	ds_load_b128 v[86:89], v2 offset:576
	ds_load_b128 v[90:93], v2 offset:592
	s_wait_dscnt 0x2
	v_fmac_f64_e32 v[116:117], v[96:97], v[102:103]
	s_wait_loadcnt 0x2
	s_delay_alu instid0(VALU_DEP_1) | instskip(SKIP_1) | instid1(VALU_DEP_1)
	v_fmac_f64_e32 v[116:117], v[98:99], v[104:105]
	s_wait_dscnt 0x1
	v_fmac_f64_e32 v[116:117], v[100:101], v[86:87]
	s_wait_loadcnt 0x1
	s_delay_alu instid0(VALU_DEP_1) | instskip(SKIP_1) | instid1(VALU_DEP_1)
	v_fmac_f64_e32 v[116:117], v[82:83], v[88:89]
	s_wait_dscnt 0x0
	v_fmac_f64_e32 v[116:117], v[84:85], v[90:91]
	s_wait_loadcnt 0x0
	s_delay_alu instid0(VALU_DEP_1) | instskip(NEXT) | instid1(VALU_DEP_1)
	v_fmac_f64_e32 v[116:117], v[110:111], v[92:93]
	v_add_f64_e64 v[2:3], v[80:81], -v[116:117]
	scratch_store_b64 off, v[2:3], off offset:72
	s_wait_xcnt 0x0
	v_cmpx_lt_u32_e32 8, v0
	s_cbranch_execz .LBB37_221
; %bb.220:
	scratch_load_b64 v[2:3], off, off offset:64
	v_mov_b64_e32 v[80:81], 0
	scratch_store_b64 off, v[80:81], off offset:64
	s_wait_loadcnt 0x0
	ds_store_b64 v1, v[2:3]
.LBB37_221:
	s_wait_xcnt 0x0
	s_or_b32 exec_lo, exec_lo, s0
	s_wait_storecnt_dscnt 0x0
	s_barrier_signal -1
	s_barrier_wait -1
	s_clause 0x5
	scratch_load_b128 v[80:83], off, off offset:64
	scratch_load_b128 v[84:87], off, off offset:80
	;; [unrolled: 1-line block ×6, first 2 shown]
	v_mov_b32_e32 v2, 0
	ds_load_2addr_b64 v[104:107], v2 offset0:47 offset1:48
	ds_load_2addr_b64 v[108:111], v2 offset0:49 offset1:50
	scratch_load_b128 v[112:115], off, off offset:160
	s_mov_b32 s0, exec_lo
	s_wait_loadcnt_dscnt 0x601
	v_fma_f64 v[116:117], v[82:83], v[104:105], 0
	s_wait_loadcnt 0x5
	s_delay_alu instid0(VALU_DEP_1) | instskip(SKIP_4) | instid1(VALU_DEP_1)
	v_fmac_f64_e32 v[116:117], v[84:85], v[106:107]
	scratch_load_b128 v[82:85], off, off offset:176
	s_wait_dscnt 0x0
	v_fmac_f64_e32 v[116:117], v[86:87], v[108:109]
	s_wait_loadcnt 0x5
	v_fmac_f64_e32 v[116:117], v[88:89], v[110:111]
	ds_load_2addr_b64 v[86:89], v2 offset0:51 offset1:52
	ds_load_2addr_b64 v[104:107], v2 offset0:53 offset1:54
	scratch_load_b128 v[108:111], off, off offset:192
	s_wait_dscnt 0x1
	v_fmac_f64_e32 v[116:117], v[90:91], v[86:87]
	s_wait_loadcnt 0x5
	s_delay_alu instid0(VALU_DEP_1) | instskip(SKIP_4) | instid1(VALU_DEP_1)
	v_fmac_f64_e32 v[116:117], v[92:93], v[88:89]
	scratch_load_b128 v[86:89], off, off offset:208
	s_wait_dscnt 0x0
	v_fmac_f64_e32 v[116:117], v[94:95], v[104:105]
	s_wait_loadcnt 0x5
	v_fmac_f64_e32 v[116:117], v[96:97], v[106:107]
	ds_load_2addr_b64 v[90:93], v2 offset0:55 offset1:56
	ds_load_2addr_b64 v[94:97], v2 offset0:57 offset1:58
	s_wait_dscnt 0x1
	v_fmac_f64_e32 v[116:117], v[98:99], v[90:91]
	s_wait_loadcnt 0x4
	s_delay_alu instid0(VALU_DEP_1) | instskip(SKIP_4) | instid1(VALU_DEP_1)
	v_fmac_f64_e32 v[116:117], v[100:101], v[92:93]
	scratch_load_b128 v[90:93], off, off offset:224
	s_wait_dscnt 0x0
	v_fmac_f64_e32 v[116:117], v[102:103], v[94:95]
	s_wait_loadcnt 0x4
	v_fmac_f64_e32 v[116:117], v[112:113], v[96:97]
	scratch_load_b128 v[94:97], off, off offset:240
	ds_load_2addr_b64 v[98:101], v2 offset0:59 offset1:60
	ds_load_2addr_b64 v[102:105], v2 offset0:61 offset1:62
	s_wait_dscnt 0x1
	v_fmac_f64_e32 v[116:117], v[114:115], v[98:99]
	s_wait_loadcnt 0x4
	s_delay_alu instid0(VALU_DEP_1)
	v_fmac_f64_e32 v[116:117], v[82:83], v[100:101]
	scratch_load_b128 v[98:101], off, off offset:256
	s_wait_dscnt 0x0
	v_fmac_f64_e32 v[116:117], v[84:85], v[102:103]
	scratch_load_b128 v[82:85], off, off offset:272
	s_wait_loadcnt 0x5
	v_fmac_f64_e32 v[116:117], v[108:109], v[104:105]
	ds_load_2addr_b64 v[102:105], v2 offset0:63 offset1:64
	ds_load_2addr_b64 v[106:109], v2 offset0:65 offset1:66
	s_wait_dscnt 0x1
	v_fmac_f64_e32 v[116:117], v[110:111], v[102:103]
	s_wait_loadcnt 0x4
	s_delay_alu instid0(VALU_DEP_1) | instskip(SKIP_4) | instid1(VALU_DEP_1)
	v_fmac_f64_e32 v[116:117], v[86:87], v[104:105]
	scratch_load_b128 v[102:105], off, off offset:288
	s_wait_dscnt 0x0
	v_fmac_f64_e32 v[116:117], v[88:89], v[106:107]
	s_wait_loadcnt 0x4
	v_fmac_f64_e32 v[116:117], v[90:91], v[108:109]
	ds_load_2addr_b64 v[86:89], v2 offset0:67 offset1:68
	ds_load_2addr_b64 v[106:109], v2 offset0:69 offset1:70
	s_wait_dscnt 0x1
	v_fmac_f64_e32 v[116:117], v[92:93], v[86:87]
	s_wait_loadcnt 0x3
	s_delay_alu instid0(VALU_DEP_1)
	v_fmac_f64_e32 v[116:117], v[94:95], v[88:89]
	ds_load_2addr_b64 v[86:89], v2 offset0:71 offset1:72
	ds_load_2addr_b64 v[90:93], v2 offset0:73 offset1:74
	s_wait_dscnt 0x2
	v_fmac_f64_e32 v[116:117], v[96:97], v[106:107]
	s_wait_loadcnt 0x2
	s_delay_alu instid0(VALU_DEP_1) | instskip(SKIP_1) | instid1(VALU_DEP_1)
	v_fmac_f64_e32 v[116:117], v[98:99], v[108:109]
	s_wait_dscnt 0x1
	v_fmac_f64_e32 v[116:117], v[100:101], v[86:87]
	s_wait_loadcnt 0x1
	s_delay_alu instid0(VALU_DEP_1) | instskip(SKIP_4) | instid1(VALU_DEP_1)
	v_fmac_f64_e32 v[116:117], v[82:83], v[88:89]
	ds_load_b64 v[82:83], v2 offset:600
	s_wait_dscnt 0x1
	v_fmac_f64_e32 v[116:117], v[84:85], v[90:91]
	s_wait_loadcnt 0x0
	v_fmac_f64_e32 v[116:117], v[102:103], v[92:93]
	s_wait_dscnt 0x0
	s_delay_alu instid0(VALU_DEP_1) | instskip(NEXT) | instid1(VALU_DEP_1)
	v_fmac_f64_e32 v[116:117], v[104:105], v[82:83]
	v_add_f64_e64 v[80:81], v[80:81], -v[116:117]
	scratch_store_b64 off, v[80:81], off offset:64
	s_wait_xcnt 0x0
	v_cmpx_lt_u32_e32 7, v0
	s_cbranch_execz .LBB37_223
; %bb.222:
	scratch_load_b64 v[80:81], off, off offset:56
	v_mov_b64_e32 v[82:83], 0
	scratch_store_b64 off, v[82:83], off offset:56
	s_wait_loadcnt 0x0
	ds_store_b64 v1, v[80:81]
.LBB37_223:
	s_wait_xcnt 0x0
	s_or_b32 exec_lo, exec_lo, s0
	s_wait_storecnt_dscnt 0x0
	s_barrier_signal -1
	s_barrier_wait -1
	s_clause 0x5
	scratch_load_b128 v[80:83], off, off offset:56
	scratch_load_b128 v[84:87], off, off offset:72
	;; [unrolled: 1-line block ×6, first 2 shown]
	ds_load_b128 v[104:107], v2 offset:368
	ds_load_b128 v[108:111], v2 offset:384
	scratch_load_b128 v[112:115], off, off offset:152
	s_mov_b32 s0, exec_lo
	s_wait_loadcnt_dscnt 0x601
	v_fma_f64 v[116:117], v[82:83], v[104:105], 0
	s_wait_loadcnt 0x5
	s_delay_alu instid0(VALU_DEP_1) | instskip(SKIP_4) | instid1(VALU_DEP_1)
	v_fmac_f64_e32 v[116:117], v[84:85], v[106:107]
	scratch_load_b128 v[82:85], off, off offset:168
	s_wait_dscnt 0x0
	v_fmac_f64_e32 v[116:117], v[86:87], v[108:109]
	s_wait_loadcnt 0x5
	v_fmac_f64_e32 v[116:117], v[88:89], v[110:111]
	ds_load_b128 v[86:89], v2 offset:400
	ds_load_b128 v[104:107], v2 offset:416
	scratch_load_b128 v[108:111], off, off offset:184
	s_wait_dscnt 0x1
	v_fmac_f64_e32 v[116:117], v[90:91], v[86:87]
	s_wait_loadcnt 0x5
	s_delay_alu instid0(VALU_DEP_1) | instskip(SKIP_4) | instid1(VALU_DEP_1)
	v_fmac_f64_e32 v[116:117], v[92:93], v[88:89]
	scratch_load_b128 v[86:89], off, off offset:200
	s_wait_dscnt 0x0
	v_fmac_f64_e32 v[116:117], v[94:95], v[104:105]
	s_wait_loadcnt 0x5
	v_fmac_f64_e32 v[116:117], v[96:97], v[106:107]
	ds_load_b128 v[90:93], v2 offset:432
	ds_load_b128 v[94:97], v2 offset:448
	scratch_load_b128 v[104:107], off, off offset:216
	s_wait_dscnt 0x1
	v_fmac_f64_e32 v[116:117], v[98:99], v[90:91]
	s_wait_loadcnt 0x5
	s_delay_alu instid0(VALU_DEP_1) | instskip(SKIP_4) | instid1(VALU_DEP_1)
	v_fmac_f64_e32 v[116:117], v[100:101], v[92:93]
	scratch_load_b128 v[90:93], off, off offset:232
	s_wait_dscnt 0x0
	v_fmac_f64_e32 v[116:117], v[102:103], v[94:95]
	s_wait_loadcnt 0x5
	v_fmac_f64_e32 v[116:117], v[112:113], v[96:97]
	ds_load_b128 v[94:97], v2 offset:464
	ds_load_b128 v[98:101], v2 offset:480
	s_wait_dscnt 0x1
	v_fmac_f64_e32 v[116:117], v[114:115], v[94:95]
	s_wait_loadcnt 0x4
	s_delay_alu instid0(VALU_DEP_1)
	v_fmac_f64_e32 v[116:117], v[82:83], v[96:97]
	scratch_load_b128 v[94:97], off, off offset:248
	s_wait_dscnt 0x0
	v_fmac_f64_e32 v[116:117], v[84:85], v[98:99]
	scratch_load_b128 v[82:85], off, off offset:264
	s_wait_loadcnt 0x5
	v_fmac_f64_e32 v[116:117], v[108:109], v[100:101]
	ds_load_b128 v[98:101], v2 offset:496
	ds_load_b128 v[112:115], v2 offset:512
	scratch_load_b64 v[108:109], off, off offset:296
	s_wait_dscnt 0x1
	v_fmac_f64_e32 v[116:117], v[110:111], v[98:99]
	s_wait_loadcnt 0x5
	s_delay_alu instid0(VALU_DEP_1) | instskip(SKIP_4) | instid1(VALU_DEP_1)
	v_fmac_f64_e32 v[116:117], v[86:87], v[100:101]
	scratch_load_b128 v[98:101], off, off offset:280
	s_wait_dscnt 0x0
	v_fmac_f64_e32 v[116:117], v[88:89], v[112:113]
	s_wait_loadcnt 0x5
	v_fmac_f64_e32 v[116:117], v[104:105], v[114:115]
	ds_load_b128 v[86:89], v2 offset:528
	ds_load_b128 v[102:105], v2 offset:544
	s_wait_dscnt 0x1
	v_fmac_f64_e32 v[116:117], v[106:107], v[86:87]
	s_wait_loadcnt 0x4
	s_delay_alu instid0(VALU_DEP_1) | instskip(SKIP_1) | instid1(VALU_DEP_1)
	v_fmac_f64_e32 v[116:117], v[90:91], v[88:89]
	s_wait_dscnt 0x0
	v_fmac_f64_e32 v[116:117], v[92:93], v[102:103]
	ds_load_b128 v[86:89], v2 offset:560
	ds_load_b128 v[90:93], v2 offset:576
	s_wait_loadcnt 0x3
	v_fmac_f64_e32 v[116:117], v[94:95], v[104:105]
	s_wait_dscnt 0x1
	s_delay_alu instid0(VALU_DEP_1) | instskip(SKIP_1) | instid1(VALU_DEP_1)
	v_fmac_f64_e32 v[116:117], v[96:97], v[86:87]
	s_wait_loadcnt 0x2
	v_fmac_f64_e32 v[116:117], v[82:83], v[88:89]
	s_wait_dscnt 0x0
	s_delay_alu instid0(VALU_DEP_1) | instskip(SKIP_4) | instid1(VALU_DEP_1)
	v_fmac_f64_e32 v[116:117], v[84:85], v[90:91]
	ds_load_b128 v[82:85], v2 offset:592
	s_wait_loadcnt 0x0
	v_fmac_f64_e32 v[116:117], v[98:99], v[92:93]
	s_wait_dscnt 0x0
	v_fmac_f64_e32 v[116:117], v[100:101], v[82:83]
	s_delay_alu instid0(VALU_DEP_1) | instskip(NEXT) | instid1(VALU_DEP_1)
	v_fmac_f64_e32 v[116:117], v[108:109], v[84:85]
	v_add_f64_e64 v[2:3], v[80:81], -v[116:117]
	scratch_store_b64 off, v[2:3], off offset:56
	s_wait_xcnt 0x0
	v_cmpx_lt_u32_e32 6, v0
	s_cbranch_execz .LBB37_225
; %bb.224:
	scratch_load_b64 v[2:3], off, off offset:48
	v_mov_b64_e32 v[80:81], 0
	scratch_store_b64 off, v[80:81], off offset:48
	s_wait_loadcnt 0x0
	ds_store_b64 v1, v[2:3]
.LBB37_225:
	s_wait_xcnt 0x0
	s_or_b32 exec_lo, exec_lo, s0
	s_wait_storecnt_dscnt 0x0
	s_barrier_signal -1
	s_barrier_wait -1
	s_clause 0x5
	scratch_load_b128 v[80:83], off, off offset:48
	scratch_load_b128 v[84:87], off, off offset:64
	;; [unrolled: 1-line block ×6, first 2 shown]
	v_mov_b32_e32 v2, 0
	ds_load_2addr_b64 v[104:107], v2 offset0:45 offset1:46
	ds_load_2addr_b64 v[108:111], v2 offset0:47 offset1:48
	scratch_load_b128 v[112:115], off, off offset:144
	s_mov_b32 s0, exec_lo
	s_wait_loadcnt_dscnt 0x601
	v_fma_f64 v[116:117], v[82:83], v[104:105], 0
	s_wait_loadcnt 0x5
	s_delay_alu instid0(VALU_DEP_1) | instskip(SKIP_4) | instid1(VALU_DEP_1)
	v_fmac_f64_e32 v[116:117], v[84:85], v[106:107]
	scratch_load_b128 v[82:85], off, off offset:160
	s_wait_dscnt 0x0
	v_fmac_f64_e32 v[116:117], v[86:87], v[108:109]
	s_wait_loadcnt 0x5
	v_fmac_f64_e32 v[116:117], v[88:89], v[110:111]
	ds_load_2addr_b64 v[86:89], v2 offset0:49 offset1:50
	ds_load_2addr_b64 v[104:107], v2 offset0:51 offset1:52
	scratch_load_b128 v[108:111], off, off offset:176
	s_wait_dscnt 0x1
	v_fmac_f64_e32 v[116:117], v[90:91], v[86:87]
	s_wait_loadcnt 0x5
	s_delay_alu instid0(VALU_DEP_1) | instskip(SKIP_4) | instid1(VALU_DEP_1)
	v_fmac_f64_e32 v[116:117], v[92:93], v[88:89]
	scratch_load_b128 v[86:89], off, off offset:192
	s_wait_dscnt 0x0
	v_fmac_f64_e32 v[116:117], v[94:95], v[104:105]
	s_wait_loadcnt 0x5
	v_fmac_f64_e32 v[116:117], v[96:97], v[106:107]
	ds_load_2addr_b64 v[90:93], v2 offset0:53 offset1:54
	ds_load_2addr_b64 v[94:97], v2 offset0:55 offset1:56
	scratch_load_b128 v[104:107], off, off offset:208
	s_wait_dscnt 0x1
	v_fmac_f64_e32 v[116:117], v[98:99], v[90:91]
	s_wait_loadcnt 0x5
	s_delay_alu instid0(VALU_DEP_1) | instskip(SKIP_4) | instid1(VALU_DEP_1)
	v_fmac_f64_e32 v[116:117], v[100:101], v[92:93]
	scratch_load_b128 v[90:93], off, off offset:224
	s_wait_dscnt 0x0
	v_fmac_f64_e32 v[116:117], v[102:103], v[94:95]
	s_wait_loadcnt 0x5
	v_fmac_f64_e32 v[116:117], v[112:113], v[96:97]
	ds_load_2addr_b64 v[94:97], v2 offset0:57 offset1:58
	ds_load_2addr_b64 v[98:101], v2 offset0:59 offset1:60
	s_wait_dscnt 0x1
	v_fmac_f64_e32 v[116:117], v[114:115], v[94:95]
	s_wait_loadcnt 0x4
	s_delay_alu instid0(VALU_DEP_1)
	v_fmac_f64_e32 v[116:117], v[82:83], v[96:97]
	scratch_load_b128 v[94:97], off, off offset:240
	s_wait_dscnt 0x0
	v_fmac_f64_e32 v[116:117], v[84:85], v[98:99]
	scratch_load_b128 v[82:85], off, off offset:256
	s_wait_loadcnt 0x5
	v_fmac_f64_e32 v[116:117], v[108:109], v[100:101]
	ds_load_2addr_b64 v[98:101], v2 offset0:61 offset1:62
	ds_load_2addr_b64 v[112:115], v2 offset0:63 offset1:64
	s_wait_dscnt 0x1
	v_fmac_f64_e32 v[116:117], v[110:111], v[98:99]
	s_wait_loadcnt 0x4
	s_delay_alu instid0(VALU_DEP_1)
	v_fmac_f64_e32 v[116:117], v[86:87], v[100:101]
	scratch_load_b128 v[98:101], off, off offset:272
	s_wait_dscnt 0x0
	v_fmac_f64_e32 v[116:117], v[88:89], v[112:113]
	scratch_load_b128 v[86:89], off, off offset:288
	s_wait_loadcnt 0x5
	v_fmac_f64_e32 v[116:117], v[104:105], v[114:115]
	ds_load_2addr_b64 v[102:105], v2 offset0:65 offset1:66
	ds_load_2addr_b64 v[108:111], v2 offset0:67 offset1:68
	s_wait_dscnt 0x1
	v_fmac_f64_e32 v[116:117], v[106:107], v[102:103]
	s_wait_loadcnt 0x4
	s_delay_alu instid0(VALU_DEP_1) | instskip(SKIP_1) | instid1(VALU_DEP_1)
	v_fmac_f64_e32 v[116:117], v[90:91], v[104:105]
	s_wait_dscnt 0x0
	v_fmac_f64_e32 v[116:117], v[92:93], v[108:109]
	ds_load_2addr_b64 v[90:93], v2 offset0:69 offset1:70
	ds_load_2addr_b64 v[102:105], v2 offset0:71 offset1:72
	s_wait_loadcnt 0x3
	v_fmac_f64_e32 v[116:117], v[94:95], v[110:111]
	s_wait_dscnt 0x1
	s_delay_alu instid0(VALU_DEP_1) | instskip(SKIP_1) | instid1(VALU_DEP_1)
	v_fmac_f64_e32 v[116:117], v[96:97], v[90:91]
	s_wait_loadcnt 0x2
	v_fmac_f64_e32 v[116:117], v[82:83], v[92:93]
	s_wait_dscnt 0x0
	s_delay_alu instid0(VALU_DEP_1)
	v_fmac_f64_e32 v[116:117], v[84:85], v[102:103]
	ds_load_2addr_b64 v[82:85], v2 offset0:73 offset1:74
	ds_load_b64 v[90:91], v2 offset:600
	s_wait_loadcnt 0x1
	v_fmac_f64_e32 v[116:117], v[98:99], v[104:105]
	s_wait_dscnt 0x1
	s_delay_alu instid0(VALU_DEP_1) | instskip(SKIP_1) | instid1(VALU_DEP_1)
	v_fmac_f64_e32 v[116:117], v[100:101], v[82:83]
	s_wait_loadcnt 0x0
	v_fmac_f64_e32 v[116:117], v[86:87], v[84:85]
	s_wait_dscnt 0x0
	s_delay_alu instid0(VALU_DEP_1) | instskip(NEXT) | instid1(VALU_DEP_1)
	v_fmac_f64_e32 v[116:117], v[88:89], v[90:91]
	v_add_f64_e64 v[80:81], v[80:81], -v[116:117]
	scratch_store_b64 off, v[80:81], off offset:48
	s_wait_xcnt 0x0
	v_cmpx_lt_u32_e32 5, v0
	s_cbranch_execz .LBB37_227
; %bb.226:
	scratch_load_b64 v[80:81], off, off offset:40
	v_mov_b64_e32 v[82:83], 0
	scratch_store_b64 off, v[82:83], off offset:40
	s_wait_loadcnt 0x0
	ds_store_b64 v1, v[80:81]
.LBB37_227:
	s_wait_xcnt 0x0
	s_or_b32 exec_lo, exec_lo, s0
	s_wait_storecnt_dscnt 0x0
	s_barrier_signal -1
	s_barrier_wait -1
	s_clause 0x5
	scratch_load_b128 v[80:83], off, off offset:40
	scratch_load_b128 v[84:87], off, off offset:56
	;; [unrolled: 1-line block ×6, first 2 shown]
	ds_load_b128 v[104:107], v2 offset:352
	ds_load_b128 v[108:111], v2 offset:368
	scratch_load_b128 v[112:115], off, off offset:136
	s_mov_b32 s0, exec_lo
	s_wait_loadcnt_dscnt 0x601
	v_fma_f64 v[116:117], v[82:83], v[104:105], 0
	s_wait_loadcnt 0x5
	s_delay_alu instid0(VALU_DEP_1) | instskip(SKIP_4) | instid1(VALU_DEP_1)
	v_fmac_f64_e32 v[116:117], v[84:85], v[106:107]
	scratch_load_b128 v[82:85], off, off offset:152
	s_wait_dscnt 0x0
	v_fmac_f64_e32 v[116:117], v[86:87], v[108:109]
	s_wait_loadcnt 0x5
	v_fmac_f64_e32 v[116:117], v[88:89], v[110:111]
	ds_load_b128 v[86:89], v2 offset:384
	ds_load_b128 v[104:107], v2 offset:400
	scratch_load_b128 v[108:111], off, off offset:168
	s_wait_dscnt 0x1
	v_fmac_f64_e32 v[116:117], v[90:91], v[86:87]
	s_wait_loadcnt 0x5
	s_delay_alu instid0(VALU_DEP_1) | instskip(SKIP_4) | instid1(VALU_DEP_1)
	v_fmac_f64_e32 v[116:117], v[92:93], v[88:89]
	scratch_load_b128 v[86:89], off, off offset:184
	s_wait_dscnt 0x0
	v_fmac_f64_e32 v[116:117], v[94:95], v[104:105]
	s_wait_loadcnt 0x5
	v_fmac_f64_e32 v[116:117], v[96:97], v[106:107]
	ds_load_b128 v[90:93], v2 offset:416
	ds_load_b128 v[94:97], v2 offset:432
	scratch_load_b128 v[104:107], off, off offset:200
	s_wait_dscnt 0x1
	v_fmac_f64_e32 v[116:117], v[98:99], v[90:91]
	s_wait_loadcnt 0x5
	s_delay_alu instid0(VALU_DEP_1) | instskip(SKIP_4) | instid1(VALU_DEP_1)
	v_fmac_f64_e32 v[116:117], v[100:101], v[92:93]
	scratch_load_b128 v[90:93], off, off offset:216
	s_wait_dscnt 0x0
	v_fmac_f64_e32 v[116:117], v[102:103], v[94:95]
	s_wait_loadcnt 0x5
	v_fmac_f64_e32 v[116:117], v[112:113], v[96:97]
	ds_load_b128 v[94:97], v2 offset:448
	ds_load_b128 v[98:101], v2 offset:464
	s_wait_dscnt 0x1
	v_fmac_f64_e32 v[116:117], v[114:115], v[94:95]
	s_wait_loadcnt 0x4
	s_delay_alu instid0(VALU_DEP_1)
	v_fmac_f64_e32 v[116:117], v[82:83], v[96:97]
	scratch_load_b128 v[94:97], off, off offset:232
	s_wait_dscnt 0x0
	v_fmac_f64_e32 v[116:117], v[84:85], v[98:99]
	scratch_load_b128 v[82:85], off, off offset:248
	s_wait_loadcnt 0x5
	v_fmac_f64_e32 v[116:117], v[108:109], v[100:101]
	ds_load_b128 v[98:101], v2 offset:480
	ds_load_b128 v[112:115], v2 offset:496
	s_wait_dscnt 0x1
	v_fmac_f64_e32 v[116:117], v[110:111], v[98:99]
	s_wait_loadcnt 0x4
	s_delay_alu instid0(VALU_DEP_1)
	v_fmac_f64_e32 v[116:117], v[86:87], v[100:101]
	scratch_load_b128 v[98:101], off, off offset:264
	s_wait_dscnt 0x0
	v_fmac_f64_e32 v[116:117], v[88:89], v[112:113]
	scratch_load_b128 v[86:89], off, off offset:280
	s_wait_loadcnt 0x5
	v_fmac_f64_e32 v[116:117], v[104:105], v[114:115]
	ds_load_b128 v[102:105], v2 offset:512
	ds_load_b128 v[108:111], v2 offset:528
	s_wait_dscnt 0x1
	v_fmac_f64_e32 v[116:117], v[106:107], v[102:103]
	scratch_load_b64 v[106:107], off, off offset:296
	s_wait_loadcnt 0x5
	v_fmac_f64_e32 v[116:117], v[90:91], v[104:105]
	s_wait_dscnt 0x0
	s_delay_alu instid0(VALU_DEP_1)
	v_fmac_f64_e32 v[116:117], v[92:93], v[108:109]
	ds_load_b128 v[90:93], v2 offset:544
	ds_load_b128 v[102:105], v2 offset:560
	s_wait_loadcnt 0x4
	v_fmac_f64_e32 v[116:117], v[94:95], v[110:111]
	s_wait_dscnt 0x1
	s_delay_alu instid0(VALU_DEP_1) | instskip(SKIP_1) | instid1(VALU_DEP_1)
	v_fmac_f64_e32 v[116:117], v[96:97], v[90:91]
	s_wait_loadcnt 0x3
	v_fmac_f64_e32 v[116:117], v[82:83], v[92:93]
	s_wait_dscnt 0x0
	s_delay_alu instid0(VALU_DEP_1)
	v_fmac_f64_e32 v[116:117], v[84:85], v[102:103]
	ds_load_b128 v[82:85], v2 offset:576
	ds_load_b128 v[90:93], v2 offset:592
	s_wait_loadcnt 0x2
	v_fmac_f64_e32 v[116:117], v[98:99], v[104:105]
	s_wait_dscnt 0x1
	s_delay_alu instid0(VALU_DEP_1) | instskip(SKIP_1) | instid1(VALU_DEP_1)
	v_fmac_f64_e32 v[116:117], v[100:101], v[82:83]
	s_wait_loadcnt 0x1
	v_fmac_f64_e32 v[116:117], v[86:87], v[84:85]
	s_wait_dscnt 0x0
	s_delay_alu instid0(VALU_DEP_1) | instskip(SKIP_1) | instid1(VALU_DEP_1)
	v_fmac_f64_e32 v[116:117], v[88:89], v[90:91]
	s_wait_loadcnt 0x0
	v_fmac_f64_e32 v[116:117], v[106:107], v[92:93]
	s_delay_alu instid0(VALU_DEP_1)
	v_add_f64_e64 v[2:3], v[80:81], -v[116:117]
	scratch_store_b64 off, v[2:3], off offset:40
	s_wait_xcnt 0x0
	v_cmpx_lt_u32_e32 4, v0
	s_cbranch_execz .LBB37_229
; %bb.228:
	scratch_load_b64 v[2:3], off, off offset:32
	v_mov_b64_e32 v[80:81], 0
	scratch_store_b64 off, v[80:81], off offset:32
	s_wait_loadcnt 0x0
	ds_store_b64 v1, v[2:3]
.LBB37_229:
	s_wait_xcnt 0x0
	s_or_b32 exec_lo, exec_lo, s0
	s_wait_storecnt_dscnt 0x0
	s_barrier_signal -1
	s_barrier_wait -1
	s_clause 0x5
	scratch_load_b128 v[80:83], off, off offset:32
	scratch_load_b128 v[84:87], off, off offset:48
	;; [unrolled: 1-line block ×6, first 2 shown]
	v_mov_b32_e32 v2, 0
	ds_load_2addr_b64 v[104:107], v2 offset0:43 offset1:44
	ds_load_2addr_b64 v[108:111], v2 offset0:45 offset1:46
	scratch_load_b128 v[112:115], off, off offset:128
	s_mov_b32 s0, exec_lo
	s_wait_loadcnt_dscnt 0x601
	v_fma_f64 v[116:117], v[82:83], v[104:105], 0
	s_wait_loadcnt 0x5
	s_delay_alu instid0(VALU_DEP_1) | instskip(SKIP_4) | instid1(VALU_DEP_1)
	v_fmac_f64_e32 v[116:117], v[84:85], v[106:107]
	scratch_load_b128 v[82:85], off, off offset:144
	s_wait_dscnt 0x0
	v_fmac_f64_e32 v[116:117], v[86:87], v[108:109]
	s_wait_loadcnt 0x5
	v_fmac_f64_e32 v[116:117], v[88:89], v[110:111]
	ds_load_2addr_b64 v[86:89], v2 offset0:47 offset1:48
	ds_load_2addr_b64 v[104:107], v2 offset0:49 offset1:50
	scratch_load_b128 v[108:111], off, off offset:160
	s_wait_dscnt 0x1
	v_fmac_f64_e32 v[116:117], v[90:91], v[86:87]
	s_wait_loadcnt 0x5
	s_delay_alu instid0(VALU_DEP_1) | instskip(SKIP_4) | instid1(VALU_DEP_1)
	v_fmac_f64_e32 v[116:117], v[92:93], v[88:89]
	scratch_load_b128 v[86:89], off, off offset:176
	s_wait_dscnt 0x0
	v_fmac_f64_e32 v[116:117], v[94:95], v[104:105]
	s_wait_loadcnt 0x5
	v_fmac_f64_e32 v[116:117], v[96:97], v[106:107]
	ds_load_2addr_b64 v[90:93], v2 offset0:51 offset1:52
	ds_load_2addr_b64 v[94:97], v2 offset0:53 offset1:54
	scratch_load_b128 v[104:107], off, off offset:192
	s_wait_dscnt 0x1
	v_fmac_f64_e32 v[116:117], v[98:99], v[90:91]
	s_wait_loadcnt 0x5
	s_delay_alu instid0(VALU_DEP_1) | instskip(SKIP_4) | instid1(VALU_DEP_1)
	v_fmac_f64_e32 v[116:117], v[100:101], v[92:93]
	scratch_load_b128 v[90:93], off, off offset:208
	s_wait_dscnt 0x0
	v_fmac_f64_e32 v[116:117], v[102:103], v[94:95]
	s_wait_loadcnt 0x5
	v_fmac_f64_e32 v[116:117], v[112:113], v[96:97]
	ds_load_2addr_b64 v[94:97], v2 offset0:55 offset1:56
	ds_load_2addr_b64 v[98:101], v2 offset0:57 offset1:58
	s_wait_dscnt 0x1
	v_fmac_f64_e32 v[116:117], v[114:115], v[94:95]
	s_wait_loadcnt 0x4
	s_delay_alu instid0(VALU_DEP_1)
	v_fmac_f64_e32 v[116:117], v[82:83], v[96:97]
	scratch_load_b128 v[94:97], off, off offset:224
	s_wait_dscnt 0x0
	v_fmac_f64_e32 v[116:117], v[84:85], v[98:99]
	scratch_load_b128 v[82:85], off, off offset:240
	s_wait_loadcnt 0x5
	v_fmac_f64_e32 v[116:117], v[108:109], v[100:101]
	ds_load_2addr_b64 v[98:101], v2 offset0:59 offset1:60
	ds_load_2addr_b64 v[112:115], v2 offset0:61 offset1:62
	s_wait_dscnt 0x1
	v_fmac_f64_e32 v[116:117], v[110:111], v[98:99]
	s_wait_loadcnt 0x4
	s_delay_alu instid0(VALU_DEP_1)
	v_fmac_f64_e32 v[116:117], v[86:87], v[100:101]
	scratch_load_b128 v[98:101], off, off offset:256
	s_wait_dscnt 0x0
	v_fmac_f64_e32 v[116:117], v[88:89], v[112:113]
	scratch_load_b128 v[86:89], off, off offset:272
	s_wait_loadcnt 0x5
	v_fmac_f64_e32 v[116:117], v[104:105], v[114:115]
	ds_load_2addr_b64 v[102:105], v2 offset0:63 offset1:64
	ds_load_2addr_b64 v[108:111], v2 offset0:65 offset1:66
	s_wait_dscnt 0x1
	v_fmac_f64_e32 v[116:117], v[106:107], v[102:103]
	s_wait_loadcnt 0x4
	s_delay_alu instid0(VALU_DEP_1)
	v_fmac_f64_e32 v[116:117], v[90:91], v[104:105]
	scratch_load_b128 v[102:105], off, off offset:288
	s_wait_dscnt 0x0
	v_fmac_f64_e32 v[116:117], v[92:93], v[108:109]
	ds_load_2addr_b64 v[90:93], v2 offset0:67 offset1:68
	ds_load_2addr_b64 v[106:109], v2 offset0:69 offset1:70
	s_wait_loadcnt 0x4
	v_fmac_f64_e32 v[116:117], v[94:95], v[110:111]
	s_wait_dscnt 0x1
	s_delay_alu instid0(VALU_DEP_1) | instskip(SKIP_1) | instid1(VALU_DEP_1)
	v_fmac_f64_e32 v[116:117], v[96:97], v[90:91]
	s_wait_loadcnt 0x3
	v_fmac_f64_e32 v[116:117], v[82:83], v[92:93]
	s_wait_dscnt 0x0
	s_delay_alu instid0(VALU_DEP_1)
	v_fmac_f64_e32 v[116:117], v[84:85], v[106:107]
	ds_load_2addr_b64 v[82:85], v2 offset0:71 offset1:72
	ds_load_2addr_b64 v[90:93], v2 offset0:73 offset1:74
	s_wait_loadcnt 0x2
	v_fmac_f64_e32 v[116:117], v[98:99], v[108:109]
	s_wait_dscnt 0x1
	s_delay_alu instid0(VALU_DEP_1) | instskip(SKIP_4) | instid1(VALU_DEP_1)
	v_fmac_f64_e32 v[116:117], v[100:101], v[82:83]
	ds_load_b64 v[82:83], v2 offset:600
	s_wait_loadcnt 0x1
	v_fmac_f64_e32 v[116:117], v[86:87], v[84:85]
	s_wait_dscnt 0x1
	v_fmac_f64_e32 v[116:117], v[88:89], v[90:91]
	s_wait_loadcnt 0x0
	s_delay_alu instid0(VALU_DEP_1) | instskip(SKIP_1) | instid1(VALU_DEP_1)
	v_fmac_f64_e32 v[116:117], v[102:103], v[92:93]
	s_wait_dscnt 0x0
	v_fmac_f64_e32 v[116:117], v[104:105], v[82:83]
	s_delay_alu instid0(VALU_DEP_1)
	v_add_f64_e64 v[80:81], v[80:81], -v[116:117]
	scratch_store_b64 off, v[80:81], off offset:32
	s_wait_xcnt 0x0
	v_cmpx_lt_u32_e32 3, v0
	s_cbranch_execz .LBB37_231
; %bb.230:
	scratch_load_b64 v[80:81], off, off offset:24
	v_mov_b64_e32 v[82:83], 0
	scratch_store_b64 off, v[82:83], off offset:24
	s_wait_loadcnt 0x0
	ds_store_b64 v1, v[80:81]
.LBB37_231:
	s_wait_xcnt 0x0
	s_or_b32 exec_lo, exec_lo, s0
	s_wait_storecnt_dscnt 0x0
	s_barrier_signal -1
	s_barrier_wait -1
	s_clause 0x5
	scratch_load_b128 v[80:83], off, off offset:24
	scratch_load_b128 v[84:87], off, off offset:40
	;; [unrolled: 1-line block ×6, first 2 shown]
	ds_load_b128 v[104:107], v2 offset:336
	ds_load_b128 v[108:111], v2 offset:352
	scratch_load_b128 v[112:115], off, off offset:120
	s_mov_b32 s0, exec_lo
	s_wait_loadcnt_dscnt 0x601
	v_fma_f64 v[116:117], v[82:83], v[104:105], 0
	s_wait_loadcnt 0x5
	s_delay_alu instid0(VALU_DEP_1) | instskip(SKIP_4) | instid1(VALU_DEP_1)
	v_fmac_f64_e32 v[116:117], v[84:85], v[106:107]
	scratch_load_b128 v[82:85], off, off offset:136
	s_wait_dscnt 0x0
	v_fmac_f64_e32 v[116:117], v[86:87], v[108:109]
	s_wait_loadcnt 0x5
	v_fmac_f64_e32 v[116:117], v[88:89], v[110:111]
	ds_load_b128 v[86:89], v2 offset:368
	ds_load_b128 v[104:107], v2 offset:384
	scratch_load_b128 v[108:111], off, off offset:152
	s_wait_dscnt 0x1
	v_fmac_f64_e32 v[116:117], v[90:91], v[86:87]
	s_wait_loadcnt 0x5
	s_delay_alu instid0(VALU_DEP_1) | instskip(SKIP_4) | instid1(VALU_DEP_1)
	v_fmac_f64_e32 v[116:117], v[92:93], v[88:89]
	scratch_load_b128 v[86:89], off, off offset:168
	s_wait_dscnt 0x0
	v_fmac_f64_e32 v[116:117], v[94:95], v[104:105]
	s_wait_loadcnt 0x5
	v_fmac_f64_e32 v[116:117], v[96:97], v[106:107]
	ds_load_b128 v[90:93], v2 offset:400
	ds_load_b128 v[94:97], v2 offset:416
	scratch_load_b128 v[104:107], off, off offset:184
	s_wait_dscnt 0x1
	v_fmac_f64_e32 v[116:117], v[98:99], v[90:91]
	s_wait_loadcnt 0x5
	s_delay_alu instid0(VALU_DEP_1) | instskip(SKIP_4) | instid1(VALU_DEP_1)
	v_fmac_f64_e32 v[116:117], v[100:101], v[92:93]
	scratch_load_b128 v[90:93], off, off offset:200
	s_wait_dscnt 0x0
	v_fmac_f64_e32 v[116:117], v[102:103], v[94:95]
	s_wait_loadcnt 0x5
	v_fmac_f64_e32 v[116:117], v[112:113], v[96:97]
	ds_load_b128 v[94:97], v2 offset:432
	ds_load_b128 v[98:101], v2 offset:448
	s_wait_dscnt 0x1
	v_fmac_f64_e32 v[116:117], v[114:115], v[94:95]
	scratch_load_b128 v[112:115], off, off offset:216
	s_wait_loadcnt 0x5
	v_fmac_f64_e32 v[116:117], v[82:83], v[96:97]
	s_wait_dscnt 0x0
	s_delay_alu instid0(VALU_DEP_1)
	v_fmac_f64_e32 v[116:117], v[84:85], v[98:99]
	scratch_load_b128 v[82:85], off, off offset:232
	s_wait_loadcnt 0x5
	v_fmac_f64_e32 v[116:117], v[108:109], v[100:101]
	ds_load_b128 v[94:97], v2 offset:464
	ds_load_b128 v[98:101], v2 offset:480
	s_wait_dscnt 0x1
	v_fmac_f64_e32 v[116:117], v[110:111], v[94:95]
	s_wait_loadcnt 0x4
	s_delay_alu instid0(VALU_DEP_1)
	v_fmac_f64_e32 v[116:117], v[86:87], v[96:97]
	scratch_load_b128 v[94:97], off, off offset:248
	s_wait_dscnt 0x0
	v_fmac_f64_e32 v[116:117], v[88:89], v[98:99]
	scratch_load_b128 v[86:89], off, off offset:264
	s_wait_loadcnt 0x5
	v_fmac_f64_e32 v[116:117], v[104:105], v[100:101]
	ds_load_b128 v[98:101], v2 offset:496
	ds_load_b128 v[102:105], v2 offset:512
	s_wait_dscnt 0x1
	v_fmac_f64_e32 v[116:117], v[106:107], v[98:99]
	scratch_load_b64 v[106:107], off, off offset:296
	s_wait_loadcnt 0x5
	v_fmac_f64_e32 v[116:117], v[90:91], v[100:101]
	scratch_load_b128 v[98:101], off, off offset:280
	s_wait_dscnt 0x0
	v_fmac_f64_e32 v[116:117], v[92:93], v[102:103]
	s_wait_loadcnt 0x5
	s_delay_alu instid0(VALU_DEP_1)
	v_fmac_f64_e32 v[116:117], v[112:113], v[104:105]
	ds_load_b128 v[90:93], v2 offset:528
	ds_load_b128 v[102:105], v2 offset:544
	s_wait_dscnt 0x1
	v_fmac_f64_e32 v[116:117], v[114:115], v[90:91]
	s_wait_loadcnt 0x4
	s_delay_alu instid0(VALU_DEP_1) | instskip(SKIP_1) | instid1(VALU_DEP_1)
	v_fmac_f64_e32 v[116:117], v[82:83], v[92:93]
	s_wait_dscnt 0x0
	v_fmac_f64_e32 v[116:117], v[84:85], v[102:103]
	ds_load_b128 v[82:85], v2 offset:560
	ds_load_b128 v[90:93], v2 offset:576
	s_wait_loadcnt 0x3
	v_fmac_f64_e32 v[116:117], v[94:95], v[104:105]
	s_wait_dscnt 0x1
	s_delay_alu instid0(VALU_DEP_1) | instskip(SKIP_1) | instid1(VALU_DEP_1)
	v_fmac_f64_e32 v[116:117], v[96:97], v[82:83]
	s_wait_loadcnt 0x2
	v_fmac_f64_e32 v[116:117], v[86:87], v[84:85]
	ds_load_b128 v[82:85], v2 offset:592
	s_wait_dscnt 0x1
	v_fmac_f64_e32 v[116:117], v[88:89], v[90:91]
	s_wait_loadcnt 0x0
	s_delay_alu instid0(VALU_DEP_1) | instskip(SKIP_1) | instid1(VALU_DEP_1)
	v_fmac_f64_e32 v[116:117], v[98:99], v[92:93]
	s_wait_dscnt 0x0
	v_fmac_f64_e32 v[116:117], v[100:101], v[82:83]
	s_delay_alu instid0(VALU_DEP_1) | instskip(NEXT) | instid1(VALU_DEP_1)
	v_fmac_f64_e32 v[116:117], v[106:107], v[84:85]
	v_add_f64_e64 v[2:3], v[80:81], -v[116:117]
	scratch_store_b64 off, v[2:3], off offset:24
	s_wait_xcnt 0x0
	v_cmpx_lt_u32_e32 2, v0
	s_cbranch_execz .LBB37_233
; %bb.232:
	scratch_load_b64 v[2:3], off, off offset:16
	v_mov_b64_e32 v[80:81], 0
	scratch_store_b64 off, v[80:81], off offset:16
	s_wait_loadcnt 0x0
	ds_store_b64 v1, v[2:3]
.LBB37_233:
	s_wait_xcnt 0x0
	s_or_b32 exec_lo, exec_lo, s0
	s_wait_storecnt_dscnt 0x0
	s_barrier_signal -1
	s_barrier_wait -1
	s_clause 0x5
	scratch_load_b128 v[80:83], off, off offset:16
	scratch_load_b128 v[84:87], off, off offset:32
	;; [unrolled: 1-line block ×6, first 2 shown]
	v_mov_b32_e32 v2, 0
	ds_load_2addr_b64 v[104:107], v2 offset0:41 offset1:42
	ds_load_2addr_b64 v[108:111], v2 offset0:43 offset1:44
	scratch_load_b128 v[112:115], off, off offset:112
	s_mov_b32 s0, exec_lo
	s_wait_loadcnt_dscnt 0x601
	v_fma_f64 v[116:117], v[82:83], v[104:105], 0
	s_wait_loadcnt 0x5
	s_delay_alu instid0(VALU_DEP_1) | instskip(SKIP_4) | instid1(VALU_DEP_1)
	v_fmac_f64_e32 v[116:117], v[84:85], v[106:107]
	scratch_load_b128 v[82:85], off, off offset:128
	s_wait_dscnt 0x0
	v_fmac_f64_e32 v[116:117], v[86:87], v[108:109]
	s_wait_loadcnt 0x5
	v_fmac_f64_e32 v[116:117], v[88:89], v[110:111]
	ds_load_2addr_b64 v[86:89], v2 offset0:45 offset1:46
	ds_load_2addr_b64 v[104:107], v2 offset0:47 offset1:48
	scratch_load_b128 v[108:111], off, off offset:144
	s_wait_dscnt 0x1
	v_fmac_f64_e32 v[116:117], v[90:91], v[86:87]
	s_wait_loadcnt 0x5
	s_delay_alu instid0(VALU_DEP_1) | instskip(SKIP_4) | instid1(VALU_DEP_1)
	v_fmac_f64_e32 v[116:117], v[92:93], v[88:89]
	scratch_load_b128 v[86:89], off, off offset:160
	s_wait_dscnt 0x0
	v_fmac_f64_e32 v[116:117], v[94:95], v[104:105]
	s_wait_loadcnt 0x5
	v_fmac_f64_e32 v[116:117], v[96:97], v[106:107]
	ds_load_2addr_b64 v[90:93], v2 offset0:49 offset1:50
	ds_load_2addr_b64 v[94:97], v2 offset0:51 offset1:52
	scratch_load_b128 v[104:107], off, off offset:176
	s_wait_dscnt 0x1
	v_fmac_f64_e32 v[116:117], v[98:99], v[90:91]
	s_wait_loadcnt 0x5
	s_delay_alu instid0(VALU_DEP_1) | instskip(SKIP_4) | instid1(VALU_DEP_1)
	v_fmac_f64_e32 v[116:117], v[100:101], v[92:93]
	scratch_load_b128 v[90:93], off, off offset:192
	s_wait_dscnt 0x0
	v_fmac_f64_e32 v[116:117], v[102:103], v[94:95]
	s_wait_loadcnt 0x5
	v_fmac_f64_e32 v[116:117], v[112:113], v[96:97]
	ds_load_2addr_b64 v[94:97], v2 offset0:53 offset1:54
	ds_load_2addr_b64 v[98:101], v2 offset0:55 offset1:56
	s_wait_dscnt 0x1
	v_fmac_f64_e32 v[116:117], v[114:115], v[94:95]
	scratch_load_b128 v[112:115], off, off offset:208
	s_wait_loadcnt 0x5
	v_fmac_f64_e32 v[116:117], v[82:83], v[96:97]
	s_wait_dscnt 0x0
	s_delay_alu instid0(VALU_DEP_1)
	v_fmac_f64_e32 v[116:117], v[84:85], v[98:99]
	scratch_load_b128 v[82:85], off, off offset:224
	s_wait_loadcnt 0x5
	v_fmac_f64_e32 v[116:117], v[108:109], v[100:101]
	ds_load_2addr_b64 v[94:97], v2 offset0:57 offset1:58
	ds_load_2addr_b64 v[98:101], v2 offset0:59 offset1:60
	s_wait_dscnt 0x1
	v_fmac_f64_e32 v[116:117], v[110:111], v[94:95]
	s_wait_loadcnt 0x4
	s_delay_alu instid0(VALU_DEP_1)
	v_fmac_f64_e32 v[116:117], v[86:87], v[96:97]
	scratch_load_b128 v[94:97], off, off offset:240
	s_wait_dscnt 0x0
	v_fmac_f64_e32 v[116:117], v[88:89], v[98:99]
	scratch_load_b128 v[86:89], off, off offset:256
	s_wait_loadcnt 0x5
	v_fmac_f64_e32 v[116:117], v[104:105], v[100:101]
	ds_load_2addr_b64 v[98:101], v2 offset0:61 offset1:62
	ds_load_2addr_b64 v[102:105], v2 offset0:63 offset1:64
	s_wait_dscnt 0x1
	v_fmac_f64_e32 v[116:117], v[106:107], v[98:99]
	s_wait_loadcnt 0x4
	s_delay_alu instid0(VALU_DEP_1)
	v_fmac_f64_e32 v[116:117], v[90:91], v[100:101]
	scratch_load_b128 v[98:101], off, off offset:272
	s_wait_dscnt 0x0
	v_fmac_f64_e32 v[116:117], v[92:93], v[102:103]
	scratch_load_b128 v[90:93], off, off offset:288
	s_wait_loadcnt 0x5
	v_fmac_f64_e32 v[116:117], v[112:113], v[104:105]
	ds_load_2addr_b64 v[102:105], v2 offset0:65 offset1:66
	ds_load_2addr_b64 v[106:109], v2 offset0:67 offset1:68
	s_wait_dscnt 0x1
	v_fmac_f64_e32 v[116:117], v[114:115], v[102:103]
	s_wait_loadcnt 0x4
	s_delay_alu instid0(VALU_DEP_1) | instskip(SKIP_1) | instid1(VALU_DEP_1)
	v_fmac_f64_e32 v[116:117], v[82:83], v[104:105]
	s_wait_dscnt 0x0
	v_fmac_f64_e32 v[116:117], v[84:85], v[106:107]
	ds_load_2addr_b64 v[82:85], v2 offset0:69 offset1:70
	ds_load_2addr_b64 v[102:105], v2 offset0:71 offset1:72
	s_wait_loadcnt 0x3
	v_fmac_f64_e32 v[116:117], v[94:95], v[108:109]
	s_wait_dscnt 0x1
	s_delay_alu instid0(VALU_DEP_1) | instskip(SKIP_1) | instid1(VALU_DEP_1)
	v_fmac_f64_e32 v[116:117], v[96:97], v[82:83]
	s_wait_loadcnt 0x2
	v_fmac_f64_e32 v[116:117], v[86:87], v[84:85]
	ds_load_2addr_b64 v[82:85], v2 offset0:73 offset1:74
	ds_load_b64 v[86:87], v2 offset:600
	s_wait_dscnt 0x2
	v_fmac_f64_e32 v[116:117], v[88:89], v[102:103]
	s_wait_loadcnt 0x1
	s_delay_alu instid0(VALU_DEP_1) | instskip(SKIP_1) | instid1(VALU_DEP_1)
	v_fmac_f64_e32 v[116:117], v[98:99], v[104:105]
	s_wait_dscnt 0x1
	v_fmac_f64_e32 v[116:117], v[100:101], v[82:83]
	s_wait_loadcnt 0x0
	s_delay_alu instid0(VALU_DEP_1) | instskip(SKIP_1) | instid1(VALU_DEP_1)
	v_fmac_f64_e32 v[116:117], v[90:91], v[84:85]
	s_wait_dscnt 0x0
	v_fmac_f64_e32 v[116:117], v[92:93], v[86:87]
	s_delay_alu instid0(VALU_DEP_1)
	v_add_f64_e64 v[80:81], v[80:81], -v[116:117]
	scratch_store_b64 off, v[80:81], off offset:16
	s_wait_xcnt 0x0
	v_cmpx_lt_u32_e32 1, v0
	s_cbranch_execz .LBB37_235
; %bb.234:
	scratch_load_b64 v[80:81], off, off offset:8
	v_mov_b64_e32 v[82:83], 0
	scratch_store_b64 off, v[82:83], off offset:8
	s_wait_loadcnt 0x0
	ds_store_b64 v1, v[80:81]
.LBB37_235:
	s_wait_xcnt 0x0
	s_or_b32 exec_lo, exec_lo, s0
	s_wait_storecnt_dscnt 0x0
	s_barrier_signal -1
	s_barrier_wait -1
	s_clause 0x5
	scratch_load_b128 v[80:83], off, off offset:8
	scratch_load_b128 v[84:87], off, off offset:24
	;; [unrolled: 1-line block ×6, first 2 shown]
	ds_load_b128 v[104:107], v2 offset:320
	ds_load_b128 v[108:111], v2 offset:336
	v_dual_ashrrev_i32 v9, 31, v8 :: v_dual_ashrrev_i32 v11, 31, v10
	v_dual_ashrrev_i32 v13, 31, v12 :: v_dual_ashrrev_i32 v15, 31, v14
	;; [unrolled: 1-line block ×17, first 2 shown]
	v_ashrrev_i32_e32 v77, 31, v76
	s_mov_b32 s0, exec_lo
	v_ashrrev_i32_e32 v27, 31, v26
	s_wait_loadcnt_dscnt 0x501
	v_fma_f64 v[112:113], v[82:83], v[104:105], 0
	s_wait_loadcnt 0x4
	s_delay_alu instid0(VALU_DEP_1) | instskip(SKIP_4) | instid1(VALU_DEP_1)
	v_fmac_f64_e32 v[112:113], v[84:85], v[106:107]
	scratch_load_b128 v[82:85], off, off offset:104
	s_wait_dscnt 0x0
	v_fmac_f64_e32 v[112:113], v[86:87], v[108:109]
	s_wait_loadcnt 0x4
	v_fmac_f64_e32 v[112:113], v[88:89], v[110:111]
	ds_load_b128 v[86:89], v2 offset:352
	ds_load_b128 v[104:107], v2 offset:368
	scratch_load_b128 v[108:111], off, off offset:120
	s_wait_dscnt 0x1
	v_fmac_f64_e32 v[112:113], v[90:91], v[86:87]
	s_wait_loadcnt 0x4
	s_delay_alu instid0(VALU_DEP_1) | instskip(SKIP_4) | instid1(VALU_DEP_1)
	v_fmac_f64_e32 v[112:113], v[92:93], v[88:89]
	scratch_load_b128 v[86:89], off, off offset:136
	s_wait_dscnt 0x0
	v_fmac_f64_e32 v[112:113], v[94:95], v[104:105]
	s_wait_loadcnt 0x4
	v_fmac_f64_e32 v[112:113], v[96:97], v[106:107]
	ds_load_b128 v[90:93], v2 offset:384
	ds_load_b128 v[94:97], v2 offset:400
	scratch_load_b128 v[104:107], off, off offset:152
	s_wait_dscnt 0x1
	v_fmac_f64_e32 v[112:113], v[98:99], v[90:91]
	s_wait_loadcnt 0x4
	s_delay_alu instid0(VALU_DEP_1) | instskip(SKIP_4) | instid1(VALU_DEP_1)
	v_fmac_f64_e32 v[112:113], v[100:101], v[92:93]
	scratch_load_b128 v[90:93], off, off offset:168
	s_wait_dscnt 0x0
	v_fmac_f64_e32 v[112:113], v[102:103], v[94:95]
	s_wait_loadcnt 0x4
	v_fmac_f64_e32 v[112:113], v[82:83], v[96:97]
	ds_load_b128 v[94:97], v2 offset:416
	ds_load_b128 v[98:101], v2 offset:432
	s_wait_dscnt 0x1
	v_fmac_f64_e32 v[112:113], v[84:85], v[94:95]
	scratch_load_b128 v[82:85], off, off offset:184
	s_wait_loadcnt 0x4
	v_fmac_f64_e32 v[112:113], v[108:109], v[96:97]
	scratch_load_b128 v[94:97], off, off offset:200
	s_wait_dscnt 0x0
	v_fmac_f64_e32 v[112:113], v[110:111], v[98:99]
	s_wait_loadcnt 0x4
	s_delay_alu instid0(VALU_DEP_1)
	v_fmac_f64_e32 v[112:113], v[86:87], v[100:101]
	ds_load_b128 v[98:101], v2 offset:448
	ds_load_b128 v[108:111], v2 offset:464
	s_wait_dscnt 0x1
	v_fmac_f64_e32 v[112:113], v[88:89], v[98:99]
	scratch_load_b128 v[86:89], off, off offset:216
	s_wait_loadcnt 0x4
	v_fmac_f64_e32 v[112:113], v[104:105], v[100:101]
	scratch_load_b128 v[98:101], off, off offset:232
	s_wait_dscnt 0x0
	v_fmac_f64_e32 v[112:113], v[106:107], v[108:109]
	ds_load_b128 v[102:105], v2 offset:480
	ds_load_b128 v[106:109], v2 offset:496
	s_wait_loadcnt 0x4
	v_fmac_f64_e32 v[112:113], v[90:91], v[110:111]
	s_wait_dscnt 0x1
	s_delay_alu instid0(VALU_DEP_1) | instskip(SKIP_4) | instid1(VALU_DEP_1)
	v_fmac_f64_e32 v[112:113], v[92:93], v[102:103]
	scratch_load_b128 v[90:93], off, off offset:248
	s_wait_loadcnt 0x4
	v_fmac_f64_e32 v[112:113], v[82:83], v[104:105]
	s_wait_dscnt 0x0
	v_fmac_f64_e32 v[112:113], v[84:85], v[106:107]
	scratch_load_b128 v[82:85], off, off offset:264
	s_wait_loadcnt 0x4
	v_fmac_f64_e32 v[112:113], v[94:95], v[108:109]
	ds_load_b128 v[102:105], v2 offset:512
	ds_load_b128 v[106:109], v2 offset:528
	scratch_load_b64 v[110:111], off, off offset:296
	s_wait_dscnt 0x1
	v_fmac_f64_e32 v[112:113], v[96:97], v[102:103]
	scratch_load_b128 v[94:97], off, off offset:280
	s_wait_loadcnt 0x5
	v_fmac_f64_e32 v[112:113], v[86:87], v[104:105]
	s_wait_dscnt 0x0
	s_delay_alu instid0(VALU_DEP_1)
	v_fmac_f64_e32 v[112:113], v[88:89], v[106:107]
	ds_load_b128 v[86:89], v2 offset:544
	ds_load_b128 v[102:105], v2 offset:560
	s_wait_loadcnt 0x4
	v_fmac_f64_e32 v[112:113], v[98:99], v[108:109]
	s_wait_dscnt 0x1
	s_delay_alu instid0(VALU_DEP_1) | instskip(SKIP_1) | instid1(VALU_DEP_1)
	v_fmac_f64_e32 v[112:113], v[100:101], v[86:87]
	s_wait_loadcnt 0x3
	v_fmac_f64_e32 v[112:113], v[90:91], v[88:89]
	s_wait_dscnt 0x0
	s_delay_alu instid0(VALU_DEP_1)
	v_fmac_f64_e32 v[112:113], v[92:93], v[102:103]
	ds_load_b128 v[86:89], v2 offset:576
	ds_load_b128 v[90:93], v2 offset:592
	s_wait_loadcnt 0x2
	v_fmac_f64_e32 v[112:113], v[82:83], v[104:105]
	s_wait_dscnt 0x1
	s_delay_alu instid0(VALU_DEP_1) | instskip(SKIP_1) | instid1(VALU_DEP_1)
	v_fmac_f64_e32 v[112:113], v[84:85], v[86:87]
	s_wait_loadcnt 0x0
	v_fmac_f64_e32 v[112:113], v[94:95], v[88:89]
	s_wait_dscnt 0x0
	s_delay_alu instid0(VALU_DEP_1) | instskip(NEXT) | instid1(VALU_DEP_1)
	v_fmac_f64_e32 v[112:113], v[96:97], v[90:91]
	v_fmac_f64_e32 v[112:113], v[110:111], v[92:93]
	s_delay_alu instid0(VALU_DEP_1)
	v_add_f64_e64 v[2:3], v[80:81], -v[112:113]
	scratch_store_b64 off, v[2:3], off offset:8
	s_wait_xcnt 0x0
	v_cmpx_ne_u32_e32 0, v0
	s_cbranch_execz .LBB37_237
; %bb.236:
	scratch_load_b64 v[2:3], off, off
	v_mov_b64_e32 v[80:81], 0
	scratch_store_b64 off, v[80:81], off
	s_wait_loadcnt 0x0
	ds_store_b64 v1, v[2:3]
.LBB37_237:
	s_wait_xcnt 0x0
	s_or_b32 exec_lo, exec_lo, s0
	s_wait_storecnt_dscnt 0x0
	s_barrier_signal -1
	s_barrier_wait -1
	s_clause 0x5
	scratch_load_b128 v[82:85], off, off
	scratch_load_b128 v[0:3], off, off offset:16
	scratch_load_b128 v[86:89], off, off offset:32
	;; [unrolled: 1-line block ×5, first 2 shown]
	v_mov_b32_e32 v80, 0
	scratch_load_b128 v[106:109], off, off offset:96
	s_and_b32 vcc_lo, exec_lo, s18
	scratch_load_b128 v[110:113], off, off offset:208
	ds_load_2addr_b64 v[102:105], v80 offset0:39 offset1:40
	s_wait_loadcnt_dscnt 0x700
	v_fma_f64 v[114:115], v[84:85], v[102:103], 0
	s_wait_loadcnt 0x6
	s_delay_alu instid0(VALU_DEP_1)
	v_fmac_f64_e32 v[114:115], v[0:1], v[104:105]
	ds_load_2addr_b64 v[102:105], v80 offset0:41 offset1:42
	s_wait_dscnt 0x0
	v_fmac_f64_e32 v[114:115], v[2:3], v[102:103]
	scratch_load_b128 v[0:3], off, off offset:112
	s_wait_loadcnt 0x6
	v_fmac_f64_e32 v[114:115], v[86:87], v[104:105]
	ds_load_2addr_b64 v[84:87], v80 offset0:43 offset1:44
	scratch_load_b128 v[102:105], off, off offset:128
	s_wait_dscnt 0x0
	v_fmac_f64_e32 v[114:115], v[88:89], v[84:85]
	s_wait_loadcnt 0x6
	s_delay_alu instid0(VALU_DEP_1)
	v_fmac_f64_e32 v[114:115], v[90:91], v[86:87]
	ds_load_2addr_b64 v[84:87], v80 offset0:45 offset1:46
	scratch_load_b128 v[88:91], off, off offset:144
	s_wait_dscnt 0x0
	v_fmac_f64_e32 v[114:115], v[92:93], v[84:85]
	s_wait_loadcnt 0x6
	s_delay_alu instid0(VALU_DEP_1)
	;; [unrolled: 7-line block ×4, first 2 shown]
	v_fmac_f64_e32 v[114:115], v[106:107], v[86:87]
	ds_load_2addr_b64 v[84:87], v80 offset0:51 offset1:52
	s_wait_dscnt 0x0
	v_fmac_f64_e32 v[114:115], v[108:109], v[84:85]
	scratch_load_b128 v[106:109], off, off offset:192
	s_wait_loadcnt 0x5
	v_fmac_f64_e32 v[114:115], v[0:1], v[86:87]
	ds_load_2addr_b64 v[84:87], v80 offset0:53 offset1:54
	s_wait_dscnt 0x0
	v_fmac_f64_e32 v[114:115], v[2:3], v[84:85]
	ds_load_2addr_b64 v[0:3], v80 offset0:55 offset1:56
	s_wait_loadcnt 0x4
	v_fmac_f64_e32 v[114:115], v[102:103], v[86:87]
	ds_load_2addr_b64 v[100:103], v80 offset0:63 offset1:64
	scratch_load_b128 v[84:87], off, off offset:224
	s_wait_dscnt 0x1
	v_fmac_f64_e32 v[114:115], v[104:105], v[0:1]
	s_wait_loadcnt 0x4
	s_delay_alu instid0(VALU_DEP_1)
	v_fmac_f64_e32 v[114:115], v[88:89], v[2:3]
	ds_load_2addr_b64 v[0:3], v80 offset0:57 offset1:58
	s_wait_dscnt 0x0
	v_fmac_f64_e32 v[114:115], v[90:91], v[0:1]
	scratch_load_b128 v[88:91], off, off offset:240
	s_wait_loadcnt 0x4
	v_fmac_f64_e32 v[114:115], v[92:93], v[2:3]
	ds_load_2addr_b64 v[0:3], v80 offset0:59 offset1:60
	s_wait_dscnt 0x0
	v_fmac_f64_e32 v[114:115], v[94:95], v[0:1]
	scratch_load_b128 v[92:95], off, off offset:256
	s_wait_loadcnt 0x4
	;; [unrolled: 6-line block ×3, first 2 shown]
	v_fmac_f64_e32 v[114:115], v[106:107], v[2:3]
	scratch_load_b128 v[0:3], off, off offset:288
	v_fmac_f64_e32 v[114:115], v[108:109], v[100:101]
	s_delay_alu instid0(VALU_DEP_1) | instskip(SKIP_4) | instid1(VALU_DEP_1)
	v_fmac_f64_e32 v[114:115], v[110:111], v[102:103]
	ds_load_2addr_b64 v[100:103], v80 offset0:65 offset1:66
	s_wait_dscnt 0x0
	v_fmac_f64_e32 v[114:115], v[112:113], v[100:101]
	s_wait_loadcnt 0x4
	v_fmac_f64_e32 v[114:115], v[84:85], v[102:103]
	ds_load_2addr_b64 v[100:103], v80 offset0:67 offset1:68
	s_wait_dscnt 0x0
	v_fmac_f64_e32 v[114:115], v[86:87], v[100:101]
	ds_load_2addr_b64 v[84:87], v80 offset0:69 offset1:70
	s_wait_loadcnt 0x3
	v_fmac_f64_e32 v[114:115], v[88:89], v[102:103]
	s_wait_dscnt 0x0
	s_delay_alu instid0(VALU_DEP_1) | instskip(SKIP_1) | instid1(VALU_DEP_1)
	v_fmac_f64_e32 v[114:115], v[90:91], v[84:85]
	s_wait_loadcnt 0x2
	v_fmac_f64_e32 v[114:115], v[92:93], v[86:87]
	ds_load_2addr_b64 v[84:87], v80 offset0:71 offset1:72
	s_wait_dscnt 0x0
	v_fmac_f64_e32 v[114:115], v[94:95], v[84:85]
	s_wait_loadcnt 0x1
	s_delay_alu instid0(VALU_DEP_1)
	v_fmac_f64_e32 v[114:115], v[96:97], v[86:87]
	ds_load_2addr_b64 v[84:87], v80 offset0:73 offset1:74
	s_wait_dscnt 0x0
	v_fmac_f64_e32 v[114:115], v[98:99], v[84:85]
	ds_load_b64 v[84:85], v80 offset:600
	s_wait_loadcnt 0x0
	v_fmac_f64_e32 v[114:115], v[0:1], v[86:87]
	s_wait_dscnt 0x0
	s_delay_alu instid0(VALU_DEP_1) | instskip(NEXT) | instid1(VALU_DEP_1)
	v_fmac_f64_e32 v[114:115], v[2:3], v[84:85]
	v_add_f64_e64 v[94:95], v[82:83], -v[114:115]
	scratch_store_b64 off, v[94:95], off
	s_cbranch_vccz .LBB37_312
; %bb.238:
	global_load_b32 v2, v80, s[2:3] offset:144
	s_wait_loadcnt 0x0
	v_cmp_ne_u32_e32 vcc_lo, 37, v2
	s_cbranch_vccz .LBB37_240
; %bb.239:
	v_lshlrev_b32_e32 v2, 3, v2
	s_wait_xcnt 0x0
	s_delay_alu instid0(VALU_DEP_1)
	v_mov_b32_e32 v80, v2
	scratch_load_b64 v[2:3], v80, off offset:-8
	s_wait_loadcnt 0x0
	scratch_store_b64 off, v[2:3], off offset:288
	scratch_store_b64 v80, v[0:1], off offset:-8
.LBB37_240:
	s_wait_xcnt 0x0
	v_mov_b32_e32 v0, 0
	global_load_b32 v1, v0, s[2:3] offset:140
	s_wait_loadcnt 0x0
	v_cmp_eq_u32_e32 vcc_lo, 36, v1
	s_cbranch_vccnz .LBB37_242
; %bb.241:
	v_lshlrev_b32_e32 v1, 3, v1
	scratch_load_b64 v[2:3], v1, off offset:-8
	scratch_load_b64 v[80:81], off, off offset:280
	s_wait_loadcnt 0x1
	scratch_store_b64 off, v[2:3], off offset:280
	s_wait_loadcnt 0x0
	scratch_store_b64 v1, v[80:81], off offset:-8
.LBB37_242:
	global_load_b32 v0, v0, s[2:3] offset:136
	s_wait_loadcnt 0x0
	v_cmp_eq_u32_e32 vcc_lo, 35, v0
	s_cbranch_vccnz .LBB37_244
; %bb.243:
	s_wait_xcnt 0x0
	v_lshlrev_b32_e32 v0, 3, v0
	s_delay_alu instid0(VALU_DEP_1)
	v_mov_b32_e32 v80, v0
	scratch_load_b64 v[0:1], v80, off offset:-8
	scratch_load_b64 v[2:3], off, off offset:272
	s_wait_loadcnt 0x1
	scratch_store_b64 off, v[0:1], off offset:272
	s_wait_loadcnt 0x0
	scratch_store_b64 v80, v[2:3], off offset:-8
.LBB37_244:
	s_wait_xcnt 0x0
	v_mov_b32_e32 v0, 0
	global_load_b32 v1, v0, s[2:3] offset:132
	s_wait_loadcnt 0x0
	v_cmp_eq_u32_e32 vcc_lo, 34, v1
	s_cbranch_vccnz .LBB37_246
; %bb.245:
	v_lshlrev_b32_e32 v1, 3, v1
	scratch_load_b64 v[2:3], v1, off offset:-8
	scratch_load_b64 v[80:81], off, off offset:264
	s_wait_loadcnt 0x1
	scratch_store_b64 off, v[2:3], off offset:264
	s_wait_loadcnt 0x0
	scratch_store_b64 v1, v[80:81], off offset:-8
.LBB37_246:
	global_load_b32 v0, v0, s[2:3] offset:128
	s_wait_loadcnt 0x0
	v_cmp_eq_u32_e32 vcc_lo, 33, v0
	s_cbranch_vccnz .LBB37_248
; %bb.247:
	s_wait_xcnt 0x0
	v_lshlrev_b32_e32 v0, 3, v0
	s_delay_alu instid0(VALU_DEP_1)
	v_mov_b32_e32 v80, v0
	scratch_load_b64 v[0:1], v80, off offset:-8
	scratch_load_b64 v[2:3], off, off offset:256
	s_wait_loadcnt 0x1
	scratch_store_b64 off, v[0:1], off offset:256
	s_wait_loadcnt 0x0
	scratch_store_b64 v80, v[2:3], off offset:-8
.LBB37_248:
	;; [unrolled: 31-line block ×17, first 2 shown]
	s_wait_xcnt 0x0
	v_mov_b32_e32 v0, 0
	global_load_b32 v1, v0, s[2:3] offset:4
	s_wait_loadcnt 0x0
	v_cmp_eq_u32_e32 vcc_lo, 2, v1
	s_cbranch_vccnz .LBB37_310
; %bb.309:
	v_lshlrev_b32_e32 v1, 3, v1
	scratch_load_b64 v[2:3], v1, off offset:-8
	scratch_load_b64 v[80:81], off, off offset:8
	s_wait_loadcnt 0x1
	scratch_store_b64 off, v[2:3], off offset:8
	s_wait_loadcnt 0x0
	scratch_store_b64 v1, v[80:81], off offset:-8
.LBB37_310:
	global_load_b32 v0, v0, s[2:3]
	scratch_load_b64 v[94:95], off, off
	s_wait_loadcnt 0x1
	v_cmp_eq_u32_e32 vcc_lo, 1, v0
	s_cbranch_vccnz .LBB37_312
; %bb.311:
	s_wait_xcnt 0x1
	v_lshlrev_b32_e32 v0, 3, v0
	s_delay_alu instid0(VALU_DEP_1)
	v_mov_b32_e32 v2, v0
	scratch_load_b64 v[0:1], v2, off offset:-8
	s_wait_loadcnt 0x0
	scratch_store_b64 off, v[0:1], off
	scratch_store_b64 v2, v[94:95], off offset:-8
	scratch_load_b64 v[94:95], off, off
.LBB37_312:
	v_lshl_add_u64 v[98:99], v[8:9], 3, s[4:5]
	v_lshl_add_u64 v[96:97], v[10:11], 3, s[4:5]
	;; [unrolled: 1-line block ×8, first 2 shown]
	s_wait_xcnt 0x1
	v_lshl_add_u64 v[0:1], v[26:27], 3, s[4:5]
	v_lshl_add_u64 v[2:3], v[28:29], 3, s[4:5]
	;; [unrolled: 1-line block ×24, first 2 shown]
	s_clause 0x6
	scratch_load_b128 v[58:61], off, off offset:8
	scratch_load_b128 v[62:65], off, off offset:24
	scratch_load_b128 v[66:69], off, off offset:40
	scratch_load_b128 v[70:73], off, off offset:56
	scratch_load_b128 v[74:77], off, off offset:72
	scratch_load_b128 v[100:103], off, off offset:88
	scratch_load_b128 v[104:107], off, off offset:104
	v_lshl_add_u64 v[92:93], v[12:13], 3, s[4:5]
	s_wait_loadcnt 0x7
	global_store_b64 v[4:5], v[94:95], off
	v_lshl_add_u64 v[12:13], v[34:35], 3, s[4:5]
	v_lshl_add_u64 v[34:35], v[56:57], 3, s[4:5]
	;; [unrolled: 1-line block ×3, first 2 shown]
	scratch_load_b128 v[108:111], off, off offset:120
	s_wait_loadcnt 0x7
	s_clause 0x1
	global_store_b64 v[6:7], v[58:59], off
	global_store_b64 v[98:99], v[60:61], off
	s_wait_loadcnt 0x6
	s_clause 0x1
	global_store_b64 v[96:97], v[62:63], off
	global_store_b64 v[92:93], v[64:65], off
	;; [unrolled: 4-line block ×5, first 2 shown]
	s_clause 0xa
	scratch_load_b128 v[4:7], off, off offset:136
	scratch_load_b128 v[58:61], off, off offset:152
	;; [unrolled: 1-line block ×10, first 2 shown]
	scratch_load_b64 v[78:79], off, off offset:296
	s_wait_loadcnt 0xd
	s_clause 0x1
	global_store_b64 v[0:1], v[100:101], off
	global_store_b64 v[2:3], v[102:103], off
	s_wait_loadcnt 0xc
	s_clause 0x1
	global_store_b64 v[8:9], v[104:105], off
	global_store_b64 v[10:11], v[106:107], off
	s_wait_loadcnt 0xb
	s_clause 0x1
	global_store_b64 v[12:13], v[108:109], off
	global_store_b64 v[14:15], v[110:111], off
	s_wait_loadcnt 0xa
	s_clause 0x1
	global_store_b64 v[16:17], v[4:5], off
	global_store_b64 v[18:19], v[6:7], off
	s_wait_loadcnt 0x9
	s_clause 0x1
	global_store_b64 v[20:21], v[58:59], off
	global_store_b64 v[22:23], v[60:61], off
	s_wait_loadcnt 0x8
	s_clause 0x1
	global_store_b64 v[24:25], v[94:95], off
	global_store_b64 v[26:27], v[96:97], off
	s_wait_loadcnt 0x7
	s_clause 0x1
	global_store_b64 v[28:29], v[62:63], off
	global_store_b64 v[30:31], v[64:65], off
	s_wait_loadcnt 0x6
	s_clause 0x1
	global_store_b64 v[32:33], v[90:91], off
	global_store_b64 v[34:35], v[92:93], off
	s_wait_loadcnt 0x5
	s_clause 0x1
	global_store_b64 v[36:37], v[66:67], off
	global_store_b64 v[38:39], v[68:69], off
	s_wait_loadcnt 0x4
	s_clause 0x1
	global_store_b64 v[40:41], v[86:87], off
	global_store_b64 v[42:43], v[88:89], off
	s_wait_loadcnt 0x3
	s_clause 0x1
	global_store_b64 v[44:45], v[70:71], off
	global_store_b64 v[46:47], v[72:73], off
	s_wait_loadcnt 0x2
	s_clause 0x1
	global_store_b64 v[48:49], v[82:83], off
	global_store_b64 v[50:51], v[84:85], off
	s_wait_loadcnt 0x1
	s_clause 0x1
	global_store_b64 v[52:53], v[74:75], off
	global_store_b64 v[54:55], v[76:77], off
	s_wait_loadcnt 0x0
	global_store_b64 v[56:57], v[78:79], off
	s_sendmsg sendmsg(MSG_DEALLOC_VGPRS)
	s_endpgm
	.section	.rodata,"a",@progbits
	.p2align	6, 0x0
	.amdhsa_kernel _ZN9rocsolver6v33100L18getri_kernel_smallILi38EdPdEEvT1_iilPiilS4_bb
		.amdhsa_group_segment_fixed_size 616
		.amdhsa_private_segment_fixed_size 320
		.amdhsa_kernarg_size 60
		.amdhsa_user_sgpr_count 2
		.amdhsa_user_sgpr_dispatch_ptr 0
		.amdhsa_user_sgpr_queue_ptr 0
		.amdhsa_user_sgpr_kernarg_segment_ptr 1
		.amdhsa_user_sgpr_dispatch_id 0
		.amdhsa_user_sgpr_kernarg_preload_length 0
		.amdhsa_user_sgpr_kernarg_preload_offset 0
		.amdhsa_user_sgpr_private_segment_size 0
		.amdhsa_wavefront_size32 1
		.amdhsa_uses_dynamic_stack 0
		.amdhsa_enable_private_segment 1
		.amdhsa_system_sgpr_workgroup_id_x 1
		.amdhsa_system_sgpr_workgroup_id_y 0
		.amdhsa_system_sgpr_workgroup_id_z 0
		.amdhsa_system_sgpr_workgroup_info 0
		.amdhsa_system_vgpr_workitem_id 0
		.amdhsa_next_free_vgpr 118
		.amdhsa_next_free_sgpr 19
		.amdhsa_named_barrier_count 0
		.amdhsa_reserve_vcc 1
		.amdhsa_float_round_mode_32 0
		.amdhsa_float_round_mode_16_64 0
		.amdhsa_float_denorm_mode_32 3
		.amdhsa_float_denorm_mode_16_64 3
		.amdhsa_fp16_overflow 0
		.amdhsa_memory_ordered 1
		.amdhsa_forward_progress 1
		.amdhsa_inst_pref_size 250
		.amdhsa_round_robin_scheduling 0
		.amdhsa_exception_fp_ieee_invalid_op 0
		.amdhsa_exception_fp_denorm_src 0
		.amdhsa_exception_fp_ieee_div_zero 0
		.amdhsa_exception_fp_ieee_overflow 0
		.amdhsa_exception_fp_ieee_underflow 0
		.amdhsa_exception_fp_ieee_inexact 0
		.amdhsa_exception_int_div_zero 0
	.end_amdhsa_kernel
	.section	.text._ZN9rocsolver6v33100L18getri_kernel_smallILi38EdPdEEvT1_iilPiilS4_bb,"axG",@progbits,_ZN9rocsolver6v33100L18getri_kernel_smallILi38EdPdEEvT1_iilPiilS4_bb,comdat
.Lfunc_end37:
	.size	_ZN9rocsolver6v33100L18getri_kernel_smallILi38EdPdEEvT1_iilPiilS4_bb, .Lfunc_end37-_ZN9rocsolver6v33100L18getri_kernel_smallILi38EdPdEEvT1_iilPiilS4_bb
                                        ; -- End function
	.set _ZN9rocsolver6v33100L18getri_kernel_smallILi38EdPdEEvT1_iilPiilS4_bb.num_vgpr, 118
	.set _ZN9rocsolver6v33100L18getri_kernel_smallILi38EdPdEEvT1_iilPiilS4_bb.num_agpr, 0
	.set _ZN9rocsolver6v33100L18getri_kernel_smallILi38EdPdEEvT1_iilPiilS4_bb.numbered_sgpr, 19
	.set _ZN9rocsolver6v33100L18getri_kernel_smallILi38EdPdEEvT1_iilPiilS4_bb.num_named_barrier, 0
	.set _ZN9rocsolver6v33100L18getri_kernel_smallILi38EdPdEEvT1_iilPiilS4_bb.private_seg_size, 320
	.set _ZN9rocsolver6v33100L18getri_kernel_smallILi38EdPdEEvT1_iilPiilS4_bb.uses_vcc, 1
	.set _ZN9rocsolver6v33100L18getri_kernel_smallILi38EdPdEEvT1_iilPiilS4_bb.uses_flat_scratch, 1
	.set _ZN9rocsolver6v33100L18getri_kernel_smallILi38EdPdEEvT1_iilPiilS4_bb.has_dyn_sized_stack, 0
	.set _ZN9rocsolver6v33100L18getri_kernel_smallILi38EdPdEEvT1_iilPiilS4_bb.has_recursion, 0
	.set _ZN9rocsolver6v33100L18getri_kernel_smallILi38EdPdEEvT1_iilPiilS4_bb.has_indirect_call, 0
	.section	.AMDGPU.csdata,"",@progbits
; Kernel info:
; codeLenInByte = 31896
; TotalNumSgprs: 21
; NumVgprs: 118
; ScratchSize: 320
; MemoryBound: 0
; FloatMode: 240
; IeeeMode: 1
; LDSByteSize: 616 bytes/workgroup (compile time only)
; SGPRBlocks: 0
; VGPRBlocks: 7
; NumSGPRsForWavesPerEU: 21
; NumVGPRsForWavesPerEU: 118
; NamedBarCnt: 0
; Occupancy: 8
; WaveLimiterHint : 1
; COMPUTE_PGM_RSRC2:SCRATCH_EN: 1
; COMPUTE_PGM_RSRC2:USER_SGPR: 2
; COMPUTE_PGM_RSRC2:TRAP_HANDLER: 0
; COMPUTE_PGM_RSRC2:TGID_X_EN: 1
; COMPUTE_PGM_RSRC2:TGID_Y_EN: 0
; COMPUTE_PGM_RSRC2:TGID_Z_EN: 0
; COMPUTE_PGM_RSRC2:TIDIG_COMP_CNT: 0
	.section	.text._ZN9rocsolver6v33100L18getri_kernel_smallILi39EdPdEEvT1_iilPiilS4_bb,"axG",@progbits,_ZN9rocsolver6v33100L18getri_kernel_smallILi39EdPdEEvT1_iilPiilS4_bb,comdat
	.globl	_ZN9rocsolver6v33100L18getri_kernel_smallILi39EdPdEEvT1_iilPiilS4_bb ; -- Begin function _ZN9rocsolver6v33100L18getri_kernel_smallILi39EdPdEEvT1_iilPiilS4_bb
	.p2align	8
	.type	_ZN9rocsolver6v33100L18getri_kernel_smallILi39EdPdEEvT1_iilPiilS4_bb,@function
_ZN9rocsolver6v33100L18getri_kernel_smallILi39EdPdEEvT1_iilPiilS4_bb: ; @_ZN9rocsolver6v33100L18getri_kernel_smallILi39EdPdEEvT1_iilPiilS4_bb
; %bb.0:
	s_mov_b32 s2, exec_lo
	v_cmpx_gt_u32_e32 39, v0
	s_cbranch_execz .LBB38_166
; %bb.1:
	s_clause 0x2
	s_load_b32 s2, s[0:1], 0x38
	s_load_b128 s[12:15], s[0:1], 0x10
	s_load_b128 s[4:7], s[0:1], 0x28
	s_getreg_b32 s9, hwreg(HW_REG_IB_STS2, 6, 4)
	s_wait_kmcnt 0x0
	s_bitcmp1_b32 s2, 8
	s_cselect_b32 s18, -1, 0
	s_bfe_u32 s3, ttmp6, 0x4000c
	s_and_b32 s8, ttmp6, 15
	s_add_co_i32 s3, s3, 1
	s_delay_alu instid0(SALU_CYCLE_1) | instskip(NEXT) | instid1(SALU_CYCLE_1)
	s_mul_i32 s3, ttmp9, s3
	s_add_co_i32 s8, s8, s3
	s_cmp_eq_u32 s9, 0
	s_cselect_b32 s16, ttmp9, s8
	s_bfe_u32 s2, s2, 0x10008
	s_ashr_i32 s17, s16, 31
	s_cmp_eq_u32 s2, 0
                                        ; implicit-def: $sgpr2_sgpr3
	s_cbranch_scc1 .LBB38_3
; %bb.2:
	s_load_b32 s2, s[0:1], 0x20
	s_mul_u64 s[4:5], s[4:5], s[16:17]
	s_delay_alu instid0(SALU_CYCLE_1) | instskip(NEXT) | instid1(SALU_CYCLE_1)
	s_lshl_b64 s[4:5], s[4:5], 2
	s_add_nc_u64 s[4:5], s[14:15], s[4:5]
	s_wait_kmcnt 0x0
	s_ashr_i32 s3, s2, 31
	s_delay_alu instid0(SALU_CYCLE_1) | instskip(NEXT) | instid1(SALU_CYCLE_1)
	s_lshl_b64 s[2:3], s[2:3], 2
	s_add_nc_u64 s[2:3], s[4:5], s[2:3]
.LBB38_3:
	s_clause 0x1
	s_load_b128 s[8:11], s[0:1], 0x0
	s_load_b32 s14, s[0:1], 0x38
	s_wait_xcnt 0x0
	s_mul_u64 s[0:1], s[12:13], s[16:17]
	v_dual_mov_b32 v3, 0 :: v_dual_lshlrev_b32 v2, 3, v0
	s_lshl_b64 s[0:1], s[0:1], 3
	s_wait_kmcnt 0x0
	v_add3_u32 v8, s11, s11, v0
	s_ashr_i32 s5, s10, 31
	s_mov_b32 s4, s10
	s_add_nc_u64 s[0:1], s[8:9], s[0:1]
	s_lshl_b64 s[4:5], s[4:5], 3
	v_add_nc_u32_e32 v10, s11, v8
	s_add_nc_u64 s[4:5], s[0:1], s[4:5]
	s_ashr_i32 s1, s11, 31
	v_add_nc_u64_e32 v[6:7], s[4:5], v[2:3]
	s_mov_b32 s0, s11
	v_add_nc_u32_e32 v12, s11, v10
	s_bitcmp0_b32 s14, 0
	s_delay_alu instid0(VALU_DEP_2) | instskip(NEXT) | instid1(VALU_DEP_2)
	v_lshl_add_u64 v[4:5], s[0:1], 3, v[6:7]
	v_add_nc_u32_e32 v14, s11, v12
	s_clause 0x1
	global_load_b64 v[56:57], v0, s[4:5] scale_offset
	global_load_b64 v[58:59], v[4:5], off
	s_mov_b32 s1, -1
	v_add_nc_u32_e32 v16, s11, v14
	s_clause 0x1
	global_load_b64 v[60:61], v8, s[4:5] scale_offset
	global_load_b64 v[62:63], v10, s[4:5] scale_offset
	v_add_nc_u32_e32 v18, s11, v16
	s_delay_alu instid0(VALU_DEP_1)
	v_add_nc_u32_e32 v20, s11, v18
	s_clause 0x3
	global_load_b64 v[64:65], v12, s[4:5] scale_offset
	global_load_b64 v[66:67], v14, s[4:5] scale_offset
	;; [unrolled: 1-line block ×4, first 2 shown]
	v_add_nc_u32_e32 v22, s11, v20
	s_delay_alu instid0(VALU_DEP_1) | instskip(NEXT) | instid1(VALU_DEP_1)
	v_add_nc_u32_e32 v24, s11, v22
	v_add_nc_u32_e32 v26, s11, v24
	s_delay_alu instid0(VALU_DEP_1) | instskip(SKIP_4) | instid1(VALU_DEP_1)
	v_add_nc_u32_e32 v28, s11, v26
	s_clause 0x1
	global_load_b64 v[72:73], v20, s[4:5] scale_offset
	global_load_b64 v[74:75], v22, s[4:5] scale_offset
	v_add_nc_u32_e32 v30, s11, v28
	v_add_nc_u32_e32 v32, s11, v30
	s_clause 0x3
	global_load_b64 v[76:77], v24, s[4:5] scale_offset
	global_load_b64 v[78:79], v26, s[4:5] scale_offset
	;; [unrolled: 1-line block ×4, first 2 shown]
	v_add_nc_u32_e32 v34, s11, v32
	s_delay_alu instid0(VALU_DEP_1) | instskip(NEXT) | instid1(VALU_DEP_1)
	v_add_nc_u32_e32 v36, s11, v34
	v_add_nc_u32_e32 v38, s11, v36
	s_delay_alu instid0(VALU_DEP_1) | instskip(NEXT) | instid1(VALU_DEP_1)
	v_add_nc_u32_e32 v40, s11, v38
	v_add_nc_u32_e32 v42, s11, v40
	s_delay_alu instid0(VALU_DEP_1)
	v_add_nc_u32_e32 v44, s11, v42
	s_clause 0x3
	global_load_b64 v[84:85], v32, s[4:5] scale_offset
	global_load_b64 v[86:87], v34, s[4:5] scale_offset
	;; [unrolled: 1-line block ×4, first 2 shown]
	v_add_nc_u32_e32 v46, s11, v44
	s_delay_alu instid0(VALU_DEP_1) | instskip(NEXT) | instid1(VALU_DEP_1)
	v_add_nc_u32_e32 v48, s11, v46
	v_add_nc_u32_e32 v50, s11, v48
	s_delay_alu instid0(VALU_DEP_1)
	v_add_nc_u32_e32 v52, s11, v50
	s_clause 0x3
	global_load_b64 v[92:93], v40, s[4:5] scale_offset
	global_load_b64 v[94:95], v42, s[4:5] scale_offset
	global_load_b64 v[96:97], v44, s[4:5] scale_offset
	global_load_b64 v[98:99], v46, s[4:5] scale_offset
	v_add_nc_u32_e32 v54, s11, v52
	s_clause 0x3
	global_load_b64 v[100:101], v48, s[4:5] scale_offset
	global_load_b64 v[102:103], v50, s[4:5] scale_offset
	;; [unrolled: 1-line block ×4, first 2 shown]
	s_wait_loadcnt 0x18
	scratch_store_b128 off, v[56:59], off
	s_wait_xcnt 0x0
	v_add_nc_u32_e32 v56, s11, v54
	s_wait_loadcnt 0x16
	scratch_store_b128 off, v[60:63], off offset:16
	v_add_nc_u32_e32 v58, s11, v56
	s_wait_xcnt 0x0
	s_delay_alu instid0(VALU_DEP_1)
	v_add_nc_u32_e32 v60, s11, v58
	s_wait_loadcnt 0x14
	scratch_store_b128 off, v[64:67], off offset:32
	s_wait_loadcnt 0x12
	scratch_store_b128 off, v[68:71], off offset:48
	v_add_nc_u32_e32 v62, s11, v60
	s_wait_xcnt 0x1
	s_delay_alu instid0(VALU_DEP_1) | instskip(NEXT) | instid1(VALU_DEP_1)
	v_add_nc_u32_e32 v64, s11, v62
	v_add_nc_u32_e32 v66, s11, v64
	s_wait_xcnt 0x0
	s_delay_alu instid0(VALU_DEP_1) | instskip(SKIP_4) | instid1(VALU_DEP_1)
	v_add_nc_u32_e32 v68, s11, v66
	s_wait_loadcnt 0x10
	scratch_store_b128 off, v[72:75], off offset:64
	v_add_nc_u32_e32 v70, s11, v68
	s_wait_xcnt 0x0
	v_add_nc_u32_e32 v72, s11, v70
	s_wait_loadcnt 0xe
	scratch_store_b128 off, v[76:79], off offset:80
	s_wait_loadcnt 0xc
	scratch_store_b128 off, v[80:83], off offset:96
	;; [unrolled: 2-line block ×3, first 2 shown]
	v_add_nc_u32_e32 v74, s11, v72
	s_clause 0x3
	global_load_b64 v[82:83], v56, s[4:5] scale_offset
	global_load_b64 v[84:85], v58, s[4:5] scale_offset
	;; [unrolled: 1-line block ×4, first 2 shown]
	s_wait_loadcnt 0xc
	scratch_store_b128 off, v[88:91], off offset:128
	s_wait_loadcnt 0xa
	scratch_store_b128 off, v[92:95], off offset:144
	v_add_nc_u32_e32 v76, s11, v74
	s_clause 0x3
	global_load_b64 v[86:87], v64, s[4:5] scale_offset
	global_load_b64 v[88:89], v66, s[4:5] scale_offset
	global_load_b64 v[90:91], v68, s[4:5] scale_offset
	global_load_b64 v[92:93], v70, s[4:5] scale_offset
	s_wait_loadcnt 0xc
	scratch_store_b128 off, v[96:99], off offset:160
	s_wait_loadcnt 0xa
	scratch_store_b128 off, v[100:103], off offset:176
	v_add_nc_u32_e32 v78, s11, v76
	s_delay_alu instid0(VALU_DEP_1)
	v_add_nc_u32_e32 v80, s11, v78
	s_clause 0x1
	global_load_b64 v[94:95], v72, s[4:5] scale_offset
	global_load_b64 v[96:97], v74, s[4:5] scale_offset
	s_wait_loadcnt 0xa
	scratch_store_b128 off, v[104:107], off offset:192
	s_clause 0x2
	global_load_b64 v[98:99], v76, s[4:5] scale_offset
	global_load_b64 v[100:101], v78, s[4:5] scale_offset
	;; [unrolled: 1-line block ×3, first 2 shown]
	s_wait_loadcnt 0xb
	scratch_store_b128 off, v[82:85], off offset:208
	s_wait_loadcnt 0x9
	scratch_store_b128 off, v[108:111], off offset:224
	;; [unrolled: 2-line block ×6, first 2 shown]
	s_wait_loadcnt 0x0
	scratch_store_b64 off, v[102:103], off offset:304
	s_cbranch_scc1 .LBB38_164
; %bb.4:
	v_cmp_eq_u32_e64 s0, 0, v0
	s_wait_xcnt 0x0
	s_and_saveexec_b32 s1, s0
; %bb.5:
	v_mov_b32_e32 v1, 0
	ds_store_b32 v1, v1 offset:312
; %bb.6:
	s_or_b32 exec_lo, exec_lo, s1
	s_wait_storecnt_dscnt 0x0
	s_barrier_signal -1
	s_barrier_wait -1
	scratch_load_b64 v[82:83], v0, off scale_offset
	s_mov_b32 s8, exec_lo
	s_wait_loadcnt 0x0
	v_cmpx_eq_f64_e32 0, v[82:83]
	s_cbranch_execz .LBB38_10
; %bb.7:
	v_mov_b32_e32 v1, 0
	s_mov_b32 s9, 0
	ds_load_b32 v3, v1 offset:312
	s_wait_dscnt 0x0
	v_readfirstlane_b32 s1, v3
	v_add_nc_u32_e32 v3, 1, v0
	s_cmp_eq_u32 s1, 0
	s_delay_alu instid0(VALU_DEP_1) | instskip(SKIP_1) | instid1(SALU_CYCLE_1)
	v_cmp_gt_i32_e32 vcc_lo, s1, v3
	s_cselect_b32 s10, -1, 0
	s_or_b32 s10, s10, vcc_lo
	s_delay_alu instid0(SALU_CYCLE_1)
	s_and_b32 exec_lo, exec_lo, s10
	s_cbranch_execz .LBB38_10
; %bb.8:
	v_mov_b32_e32 v9, s1
.LBB38_9:                               ; =>This Inner Loop Header: Depth=1
	ds_cmpstore_rtn_b32 v9, v1, v3, v9 offset:312
	s_wait_dscnt 0x0
	v_cmp_ne_u32_e32 vcc_lo, 0, v9
	v_cmp_le_i32_e64 s1, v9, v3
	s_and_b32 s1, vcc_lo, s1
	s_delay_alu instid0(SALU_CYCLE_1) | instskip(NEXT) | instid1(SALU_CYCLE_1)
	s_and_b32 s1, exec_lo, s1
	s_or_b32 s9, s1, s9
	s_delay_alu instid0(SALU_CYCLE_1)
	s_and_not1_b32 exec_lo, exec_lo, s9
	s_cbranch_execnz .LBB38_9
.LBB38_10:
	s_or_b32 exec_lo, exec_lo, s8
	v_mov_b32_e32 v1, 0
	s_barrier_signal -1
	s_barrier_wait -1
	ds_load_b32 v3, v1 offset:312
	s_and_saveexec_b32 s1, s0
	s_cbranch_execz .LBB38_12
; %bb.11:
	s_lshl_b64 s[8:9], s[16:17], 2
	s_delay_alu instid0(SALU_CYCLE_1)
	s_add_nc_u64 s[8:9], s[6:7], s[8:9]
	s_wait_dscnt 0x0
	global_store_b32 v1, v3, s[8:9]
.LBB38_12:
	s_wait_xcnt 0x0
	s_or_b32 exec_lo, exec_lo, s1
	s_wait_dscnt 0x0
	v_cmp_ne_u32_e32 vcc_lo, 0, v3
	s_mov_b32 s1, 0
	s_cbranch_vccnz .LBB38_164
; %bb.13:
	v_lshl_add_u32 v3, v0, 3, 0
	v_add_nc_u32_e32 v1, 0x140, v2
	scratch_load_b64 v[82:83], v3, off
	s_wait_loadcnt 0x0
	v_div_scale_f64 v[84:85], null, v[82:83], v[82:83], 1.0
	v_div_scale_f64 v[90:91], vcc_lo, 1.0, v[82:83], 1.0
	s_delay_alu instid0(VALU_DEP_2) | instskip(SKIP_1) | instid1(TRANS32_DEP_1)
	v_rcp_f64_e32 v[86:87], v[84:85]
	v_nop
	v_fma_f64 v[88:89], -v[84:85], v[86:87], 1.0
	s_delay_alu instid0(VALU_DEP_1) | instskip(NEXT) | instid1(VALU_DEP_1)
	v_fmac_f64_e32 v[86:87], v[86:87], v[88:89]
	v_fma_f64 v[88:89], -v[84:85], v[86:87], 1.0
	s_delay_alu instid0(VALU_DEP_1) | instskip(NEXT) | instid1(VALU_DEP_1)
	v_fmac_f64_e32 v[86:87], v[86:87], v[88:89]
	v_mul_f64_e32 v[88:89], v[90:91], v[86:87]
	s_delay_alu instid0(VALU_DEP_1) | instskip(NEXT) | instid1(VALU_DEP_1)
	v_fma_f64 v[84:85], -v[84:85], v[88:89], v[90:91]
	v_div_fmas_f64 v[84:85], v[84:85], v[86:87], v[88:89]
	s_delay_alu instid0(VALU_DEP_1)
	v_div_fixup_f64 v[82:83], v[84:85], v[82:83], 1.0
	scratch_store_b64 v3, v[82:83], off
	scratch_load_b64 v[84:85], off, off offset:8
	s_wait_xcnt 0x1
	v_xor_b32_e32 v83, 0x80000000, v83
	s_wait_loadcnt 0x0
	ds_store_2addr_b64 v2, v[82:83], v[84:85] offset1:40
	s_wait_storecnt_dscnt 0x0
	s_barrier_signal -1
	s_barrier_wait -1
	s_wait_xcnt 0x0
	s_and_saveexec_b32 s1, s0
	s_cbranch_execz .LBB38_15
; %bb.14:
	scratch_load_b64 v[82:83], v3, off
	ds_load_b64 v[84:85], v1
	s_wait_loadcnt_dscnt 0x0
	v_fma_f64 v[82:83], v[82:83], v[84:85], 0
	v_mov_b32_e32 v9, 0
	ds_load_b64 v[86:87], v9 offset:8
	s_wait_dscnt 0x0
	v_mul_f64_e32 v[82:83], v[82:83], v[86:87]
	scratch_store_b64 off, v[82:83], off offset:8
.LBB38_15:
	s_wait_xcnt 0x0
	s_or_b32 exec_lo, exec_lo, s1
	s_wait_storecnt 0x0
	s_barrier_signal -1
	s_barrier_wait -1
	scratch_load_b64 v[82:83], off, off offset:16
	s_mov_b32 s1, exec_lo
	s_wait_loadcnt 0x0
	ds_store_b64 v1, v[82:83]
	s_wait_dscnt 0x0
	s_barrier_signal -1
	s_barrier_wait -1
	v_cmpx_gt_u32_e32 2, v0
	s_cbranch_execz .LBB38_19
; %bb.16:
	scratch_load_b64 v[82:83], v3, off
	ds_load_b64 v[84:85], v1
	s_wait_loadcnt_dscnt 0x0
	v_fma_f64 v[82:83], v[82:83], v[84:85], 0
	s_and_saveexec_b32 s8, s0
	s_cbranch_execz .LBB38_18
; %bb.17:
	scratch_load_b64 v[84:85], off, off offset:8
	v_mov_b32_e32 v3, 0
	ds_load_b64 v[86:87], v3 offset:328
	s_wait_loadcnt_dscnt 0x0
	v_fmac_f64_e32 v[82:83], v[84:85], v[86:87]
.LBB38_18:
	s_or_b32 exec_lo, exec_lo, s8
	v_mov_b32_e32 v3, 0
	ds_load_b64 v[84:85], v3 offset:16
	s_wait_dscnt 0x0
	v_mul_f64_e32 v[82:83], v[82:83], v[84:85]
	scratch_store_b64 off, v[82:83], off offset:16
.LBB38_19:
	s_wait_xcnt 0x0
	s_or_b32 exec_lo, exec_lo, s1
	s_wait_storecnt 0x0
	s_barrier_signal -1
	s_barrier_wait -1
	scratch_load_b64 v[82:83], off, off offset:24
	v_add_nc_u32_e32 v3, -1, v0
	s_mov_b32 s0, exec_lo
	s_wait_loadcnt 0x0
	ds_store_b64 v1, v[82:83]
	s_wait_dscnt 0x0
	s_barrier_signal -1
	s_barrier_wait -1
	v_cmpx_gt_u32_e32 3, v0
	s_cbranch_execz .LBB38_23
; %bb.20:
	v_mov_b64_e32 v[82:83], 0
	v_dual_add_nc_u32 v9, -1, v0 :: v_dual_mov_b32 v13, v2
	v_add_nc_u32_e32 v11, 0x140, v2
	s_mov_b32 s1, 0
.LBB38_21:                              ; =>This Inner Loop Header: Depth=1
	scratch_load_b64 v[84:85], v13, off
	ds_load_b64 v[86:87], v11
	v_dual_add_nc_u32 v9, 1, v9 :: v_dual_add_nc_u32 v11, 8, v11
	s_wait_xcnt 0x0
	v_add_nc_u32_e32 v13, 8, v13
	s_delay_alu instid0(VALU_DEP_2)
	v_cmp_lt_u32_e32 vcc_lo, 1, v9
	s_or_b32 s1, vcc_lo, s1
	s_wait_loadcnt_dscnt 0x0
	v_fmac_f64_e32 v[82:83], v[84:85], v[86:87]
	s_and_not1_b32 exec_lo, exec_lo, s1
	s_cbranch_execnz .LBB38_21
; %bb.22:
	s_or_b32 exec_lo, exec_lo, s1
	v_mov_b32_e32 v9, 0
	ds_load_b64 v[84:85], v9 offset:24
	s_wait_dscnt 0x0
	v_mul_f64_e32 v[82:83], v[82:83], v[84:85]
	scratch_store_b64 off, v[82:83], off offset:24
.LBB38_23:
	s_wait_xcnt 0x0
	s_or_b32 exec_lo, exec_lo, s0
	s_wait_storecnt 0x0
	s_barrier_signal -1
	s_barrier_wait -1
	scratch_load_b64 v[82:83], off, off offset:32
	s_mov_b32 s0, exec_lo
	s_wait_loadcnt 0x0
	ds_store_b64 v1, v[82:83]
	s_wait_dscnt 0x0
	s_barrier_signal -1
	s_barrier_wait -1
	v_cmpx_gt_u32_e32 4, v0
	s_cbranch_execz .LBB38_27
; %bb.24:
	v_mov_b64_e32 v[82:83], 0
	v_dual_add_nc_u32 v9, -1, v0 :: v_dual_mov_b32 v13, v2
	v_add_nc_u32_e32 v11, 0x140, v2
	s_mov_b32 s1, 0
.LBB38_25:                              ; =>This Inner Loop Header: Depth=1
	scratch_load_b64 v[84:85], v13, off
	ds_load_b64 v[86:87], v11
	v_dual_add_nc_u32 v9, 1, v9 :: v_dual_add_nc_u32 v11, 8, v11
	s_wait_xcnt 0x0
	v_add_nc_u32_e32 v13, 8, v13
	s_delay_alu instid0(VALU_DEP_2)
	v_cmp_lt_u32_e32 vcc_lo, 2, v9
	s_or_b32 s1, vcc_lo, s1
	s_wait_loadcnt_dscnt 0x0
	v_fmac_f64_e32 v[82:83], v[84:85], v[86:87]
	s_and_not1_b32 exec_lo, exec_lo, s1
	s_cbranch_execnz .LBB38_25
; %bb.26:
	s_or_b32 exec_lo, exec_lo, s1
	v_mov_b32_e32 v9, 0
	ds_load_b64 v[84:85], v9 offset:32
	s_wait_dscnt 0x0
	v_mul_f64_e32 v[82:83], v[82:83], v[84:85]
	scratch_store_b64 off, v[82:83], off offset:32
.LBB38_27:
	s_wait_xcnt 0x0
	s_or_b32 exec_lo, exec_lo, s0
	s_wait_storecnt 0x0
	s_barrier_signal -1
	s_barrier_wait -1
	scratch_load_b64 v[82:83], off, off offset:40
	;; [unrolled: 40-line block ×20, first 2 shown]
	s_mov_b32 s0, exec_lo
	s_wait_loadcnt 0x0
	ds_store_b64 v1, v[82:83]
	s_wait_dscnt 0x0
	s_barrier_signal -1
	s_barrier_wait -1
	v_cmpx_gt_u32_e32 23, v0
	s_cbranch_execz .LBB38_103
; %bb.100:
	v_mov_b64_e32 v[82:83], 0
	v_dual_add_nc_u32 v9, -1, v0 :: v_dual_mov_b32 v13, v2
	v_add_nc_u32_e32 v11, 0x140, v2
	s_mov_b32 s1, 0
.LBB38_101:                             ; =>This Inner Loop Header: Depth=1
	scratch_load_b64 v[84:85], v13, off
	ds_load_b64 v[86:87], v11
	v_dual_add_nc_u32 v9, 1, v9 :: v_dual_add_nc_u32 v11, 8, v11
	s_wait_xcnt 0x0
	v_add_nc_u32_e32 v13, 8, v13
	s_delay_alu instid0(VALU_DEP_2)
	v_cmp_lt_u32_e32 vcc_lo, 21, v9
	s_or_b32 s1, vcc_lo, s1
	s_wait_loadcnt_dscnt 0x0
	v_fmac_f64_e32 v[82:83], v[84:85], v[86:87]
	s_and_not1_b32 exec_lo, exec_lo, s1
	s_cbranch_execnz .LBB38_101
; %bb.102:
	s_or_b32 exec_lo, exec_lo, s1
	v_mov_b32_e32 v9, 0
	ds_load_b64 v[84:85], v9 offset:184
	s_wait_dscnt 0x0
	v_mul_f64_e32 v[82:83], v[82:83], v[84:85]
	scratch_store_b64 off, v[82:83], off offset:184
.LBB38_103:
	s_wait_xcnt 0x0
	s_or_b32 exec_lo, exec_lo, s0
	s_wait_storecnt 0x0
	s_barrier_signal -1
	s_barrier_wait -1
	scratch_load_b64 v[82:83], off, off offset:192
	s_mov_b32 s0, exec_lo
	s_wait_loadcnt 0x0
	ds_store_b64 v1, v[82:83]
	s_wait_dscnt 0x0
	s_barrier_signal -1
	s_barrier_wait -1
	v_cmpx_gt_u32_e32 24, v0
	s_cbranch_execz .LBB38_107
; %bb.104:
	v_mov_b64_e32 v[82:83], 0
	v_dual_add_nc_u32 v9, -1, v0 :: v_dual_mov_b32 v13, v2
	v_add_nc_u32_e32 v11, 0x140, v2
	s_mov_b32 s1, 0
.LBB38_105:                             ; =>This Inner Loop Header: Depth=1
	scratch_load_b64 v[84:85], v13, off
	ds_load_b64 v[86:87], v11
	v_dual_add_nc_u32 v9, 1, v9 :: v_dual_add_nc_u32 v11, 8, v11
	s_wait_xcnt 0x0
	v_add_nc_u32_e32 v13, 8, v13
	s_delay_alu instid0(VALU_DEP_2)
	v_cmp_lt_u32_e32 vcc_lo, 22, v9
	s_or_b32 s1, vcc_lo, s1
	s_wait_loadcnt_dscnt 0x0
	v_fmac_f64_e32 v[82:83], v[84:85], v[86:87]
	s_and_not1_b32 exec_lo, exec_lo, s1
	s_cbranch_execnz .LBB38_105
; %bb.106:
	s_or_b32 exec_lo, exec_lo, s1
	v_mov_b32_e32 v9, 0
	ds_load_b64 v[84:85], v9 offset:192
	s_wait_dscnt 0x0
	v_mul_f64_e32 v[82:83], v[82:83], v[84:85]
	scratch_store_b64 off, v[82:83], off offset:192
.LBB38_107:
	s_wait_xcnt 0x0
	s_or_b32 exec_lo, exec_lo, s0
	s_wait_storecnt 0x0
	s_barrier_signal -1
	s_barrier_wait -1
	scratch_load_b64 v[82:83], off, off offset:200
	;; [unrolled: 40-line block ×15, first 2 shown]
	s_mov_b32 s0, exec_lo
	s_wait_loadcnt 0x0
	ds_store_b64 v1, v[82:83]
	s_wait_dscnt 0x0
	s_barrier_signal -1
	s_barrier_wait -1
	v_cmpx_ne_u32_e32 38, v0
	s_cbranch_execz .LBB38_163
; %bb.160:
	v_mov_b64_e32 v[82:83], 0
	s_mov_b32 s1, 0
.LBB38_161:                             ; =>This Inner Loop Header: Depth=1
	scratch_load_b64 v[84:85], v2, off
	ds_load_b64 v[86:87], v1
	v_dual_add_nc_u32 v3, 1, v3 :: v_dual_add_nc_u32 v1, 8, v1
	s_wait_xcnt 0x0
	v_add_nc_u32_e32 v2, 8, v2
	s_delay_alu instid0(VALU_DEP_2)
	v_cmp_lt_u32_e32 vcc_lo, 36, v3
	s_or_b32 s1, vcc_lo, s1
	s_wait_loadcnt_dscnt 0x0
	v_fmac_f64_e32 v[82:83], v[84:85], v[86:87]
	s_and_not1_b32 exec_lo, exec_lo, s1
	s_cbranch_execnz .LBB38_161
; %bb.162:
	s_or_b32 exec_lo, exec_lo, s1
	v_mov_b32_e32 v1, 0
	ds_load_b64 v[2:3], v1 offset:304
	s_wait_dscnt 0x0
	v_mul_f64_e32 v[2:3], v[82:83], v[2:3]
	scratch_store_b64 off, v[2:3], off offset:304
.LBB38_163:
	s_wait_xcnt 0x0
	s_or_b32 exec_lo, exec_lo, s0
	s_mov_b32 s1, -1
	s_wait_storecnt 0x0
	s_barrier_signal -1
	s_barrier_wait -1
.LBB38_164:
	s_and_b32 vcc_lo, exec_lo, s1
	s_cbranch_vccz .LBB38_166
; %bb.165:
	v_mov_b32_e32 v1, 0
	s_lshl_b64 s[0:1], s[16:17], 2
	s_delay_alu instid0(SALU_CYCLE_1)
	s_add_nc_u64 s[0:1], s[6:7], s[0:1]
	global_load_b32 v1, v1, s[0:1]
	s_wait_loadcnt 0x0
	v_cmp_ne_u32_e32 vcc_lo, 0, v1
	s_cbranch_vccz .LBB38_167
.LBB38_166:
	s_sendmsg sendmsg(MSG_DEALLOC_VGPRS)
	s_endpgm
.LBB38_167:
	s_wait_xcnt 0x0
	v_lshl_add_u32 v1, v0, 3, 0x140
	s_mov_b32 s0, exec_lo
	v_cmpx_eq_u32_e32 38, v0
	s_cbranch_execz .LBB38_169
; %bb.168:
	scratch_load_b64 v[2:3], off, off offset:296
	v_mov_b64_e32 v[82:83], 0
	scratch_store_b64 off, v[82:83], off offset:296
	s_wait_loadcnt 0x0
	ds_store_b64 v1, v[2:3]
.LBB38_169:
	s_wait_xcnt 0x0
	s_or_b32 exec_lo, exec_lo, s0
	s_wait_storecnt_dscnt 0x0
	s_barrier_signal -1
	s_barrier_wait -1
	scratch_load_b128 v[82:85], off, off offset:296
	v_mov_b32_e32 v2, 0
	s_mov_b32 s0, exec_lo
	ds_load_b64 v[86:87], v2 offset:624
	s_wait_loadcnt_dscnt 0x0
	v_fma_f64 v[84:85], v[84:85], v[86:87], 0
	s_delay_alu instid0(VALU_DEP_1)
	v_add_f64_e64 v[82:83], v[82:83], -v[84:85]
	scratch_store_b64 off, v[82:83], off offset:296
	s_wait_xcnt 0x0
	v_cmpx_lt_u32_e32 36, v0
	s_cbranch_execz .LBB38_171
; %bb.170:
	scratch_load_b64 v[82:83], off, off offset:288
	v_mov_b64_e32 v[84:85], 0
	scratch_store_b64 off, v[84:85], off offset:288
	s_wait_loadcnt 0x0
	ds_store_b64 v1, v[82:83]
.LBB38_171:
	s_wait_xcnt 0x0
	s_or_b32 exec_lo, exec_lo, s0
	s_wait_storecnt_dscnt 0x0
	s_barrier_signal -1
	s_barrier_wait -1
	s_clause 0x1
	scratch_load_b128 v[82:85], off, off offset:288
	scratch_load_b64 v[90:91], off, off offset:304
	ds_load_2addr_b64 v[86:89], v2 offset0:77 offset1:78
	s_mov_b32 s0, exec_lo
	s_wait_loadcnt_dscnt 0x100
	v_fma_f64 v[2:3], v[84:85], v[86:87], 0
	s_wait_loadcnt 0x0
	s_delay_alu instid0(VALU_DEP_1) | instskip(NEXT) | instid1(VALU_DEP_1)
	v_fmac_f64_e32 v[2:3], v[90:91], v[88:89]
	v_add_f64_e64 v[2:3], v[82:83], -v[2:3]
	scratch_store_b64 off, v[2:3], off offset:288
	s_wait_xcnt 0x0
	v_cmpx_lt_u32_e32 35, v0
	s_cbranch_execz .LBB38_173
; %bb.172:
	scratch_load_b64 v[2:3], off, off offset:280
	v_mov_b64_e32 v[82:83], 0
	scratch_store_b64 off, v[82:83], off offset:280
	s_wait_loadcnt 0x0
	ds_store_b64 v1, v[2:3]
.LBB38_173:
	s_wait_xcnt 0x0
	s_or_b32 exec_lo, exec_lo, s0
	s_wait_storecnt_dscnt 0x0
	s_barrier_signal -1
	s_barrier_wait -1
	s_clause 0x1
	scratch_load_b128 v[82:85], off, off offset:280
	scratch_load_b128 v[86:89], off, off offset:296
	v_mov_b32_e32 v2, 0
	ds_load_b128 v[90:93], v2 offset:608
	ds_load_b64 v[94:95], v2 offset:624
	s_mov_b32 s0, exec_lo
	s_wait_loadcnt_dscnt 0x101
	v_fma_f64 v[84:85], v[84:85], v[90:91], 0
	s_wait_loadcnt 0x0
	s_delay_alu instid0(VALU_DEP_1) | instskip(SKIP_1) | instid1(VALU_DEP_1)
	v_fmac_f64_e32 v[84:85], v[86:87], v[92:93]
	s_wait_dscnt 0x0
	v_fmac_f64_e32 v[84:85], v[88:89], v[94:95]
	s_delay_alu instid0(VALU_DEP_1)
	v_add_f64_e64 v[82:83], v[82:83], -v[84:85]
	scratch_store_b64 off, v[82:83], off offset:280
	s_wait_xcnt 0x0
	v_cmpx_lt_u32_e32 34, v0
	s_cbranch_execz .LBB38_175
; %bb.174:
	scratch_load_b64 v[82:83], off, off offset:272
	v_mov_b64_e32 v[84:85], 0
	scratch_store_b64 off, v[84:85], off offset:272
	s_wait_loadcnt 0x0
	ds_store_b64 v1, v[82:83]
.LBB38_175:
	s_wait_xcnt 0x0
	s_or_b32 exec_lo, exec_lo, s0
	s_wait_storecnt_dscnt 0x0
	s_barrier_signal -1
	s_barrier_wait -1
	s_clause 0x2
	scratch_load_b128 v[82:85], off, off offset:272
	scratch_load_b128 v[86:89], off, off offset:288
	scratch_load_b64 v[98:99], off, off offset:304
	ds_load_2addr_b64 v[90:93], v2 offset0:75 offset1:76
	ds_load_2addr_b64 v[94:97], v2 offset0:77 offset1:78
	s_mov_b32 s0, exec_lo
	s_wait_loadcnt_dscnt 0x201
	v_fma_f64 v[2:3], v[84:85], v[90:91], 0
	s_wait_loadcnt 0x1
	s_delay_alu instid0(VALU_DEP_1) | instskip(SKIP_1) | instid1(VALU_DEP_1)
	v_fmac_f64_e32 v[2:3], v[86:87], v[92:93]
	s_wait_dscnt 0x0
	v_fmac_f64_e32 v[2:3], v[88:89], v[94:95]
	s_wait_loadcnt 0x0
	s_delay_alu instid0(VALU_DEP_1) | instskip(NEXT) | instid1(VALU_DEP_1)
	v_fmac_f64_e32 v[2:3], v[98:99], v[96:97]
	v_add_f64_e64 v[2:3], v[82:83], -v[2:3]
	scratch_store_b64 off, v[2:3], off offset:272
	s_wait_xcnt 0x0
	v_cmpx_lt_u32_e32 33, v0
	s_cbranch_execz .LBB38_177
; %bb.176:
	scratch_load_b64 v[2:3], off, off offset:264
	v_mov_b64_e32 v[82:83], 0
	scratch_store_b64 off, v[82:83], off offset:264
	s_wait_loadcnt 0x0
	ds_store_b64 v1, v[2:3]
.LBB38_177:
	s_wait_xcnt 0x0
	s_or_b32 exec_lo, exec_lo, s0
	s_wait_storecnt_dscnt 0x0
	s_barrier_signal -1
	s_barrier_wait -1
	s_clause 0x2
	scratch_load_b128 v[82:85], off, off offset:264
	scratch_load_b128 v[86:89], off, off offset:280
	;; [unrolled: 1-line block ×3, first 2 shown]
	v_mov_b32_e32 v2, 0
	ds_load_b128 v[94:97], v2 offset:592
	ds_load_b128 v[98:101], v2 offset:608
	s_mov_b32 s0, exec_lo
	s_wait_loadcnt_dscnt 0x201
	v_fma_f64 v[84:85], v[84:85], v[94:95], 0
	s_wait_loadcnt 0x1
	s_delay_alu instid0(VALU_DEP_1) | instskip(SKIP_4) | instid1(VALU_DEP_1)
	v_fmac_f64_e32 v[84:85], v[86:87], v[96:97]
	ds_load_b64 v[86:87], v2 offset:624
	s_wait_dscnt 0x1
	v_fmac_f64_e32 v[84:85], v[88:89], v[98:99]
	s_wait_loadcnt 0x0
	v_fmac_f64_e32 v[84:85], v[90:91], v[100:101]
	s_wait_dscnt 0x0
	s_delay_alu instid0(VALU_DEP_1) | instskip(NEXT) | instid1(VALU_DEP_1)
	v_fmac_f64_e32 v[84:85], v[92:93], v[86:87]
	v_add_f64_e64 v[82:83], v[82:83], -v[84:85]
	scratch_store_b64 off, v[82:83], off offset:264
	s_wait_xcnt 0x0
	v_cmpx_lt_u32_e32 32, v0
	s_cbranch_execz .LBB38_179
; %bb.178:
	scratch_load_b64 v[82:83], off, off offset:256
	v_mov_b64_e32 v[84:85], 0
	scratch_store_b64 off, v[84:85], off offset:256
	s_wait_loadcnt 0x0
	ds_store_b64 v1, v[82:83]
.LBB38_179:
	s_wait_xcnt 0x0
	s_or_b32 exec_lo, exec_lo, s0
	s_wait_storecnt_dscnt 0x0
	s_barrier_signal -1
	s_barrier_wait -1
	s_clause 0x3
	scratch_load_b128 v[82:85], off, off offset:256
	scratch_load_b128 v[86:89], off, off offset:272
	;; [unrolled: 1-line block ×3, first 2 shown]
	scratch_load_b64 v[102:103], off, off offset:304
	ds_load_2addr_b64 v[94:97], v2 offset0:73 offset1:74
	ds_load_2addr_b64 v[98:101], v2 offset0:75 offset1:76
	s_mov_b32 s0, exec_lo
	s_wait_loadcnt_dscnt 0x301
	v_fma_f64 v[94:95], v[84:85], v[94:95], 0
	s_wait_loadcnt 0x2
	s_delay_alu instid0(VALU_DEP_1) | instskip(SKIP_4) | instid1(VALU_DEP_1)
	v_fmac_f64_e32 v[94:95], v[86:87], v[96:97]
	ds_load_2addr_b64 v[84:87], v2 offset0:77 offset1:78
	s_wait_dscnt 0x1
	v_fmac_f64_e32 v[94:95], v[88:89], v[98:99]
	s_wait_loadcnt 0x1
	v_fmac_f64_e32 v[94:95], v[90:91], v[100:101]
	s_wait_dscnt 0x0
	s_delay_alu instid0(VALU_DEP_1) | instskip(SKIP_1) | instid1(VALU_DEP_1)
	v_fmac_f64_e32 v[94:95], v[92:93], v[84:85]
	s_wait_loadcnt 0x0
	v_fmac_f64_e32 v[94:95], v[102:103], v[86:87]
	s_delay_alu instid0(VALU_DEP_1)
	v_add_f64_e64 v[2:3], v[82:83], -v[94:95]
	scratch_store_b64 off, v[2:3], off offset:256
	s_wait_xcnt 0x0
	v_cmpx_lt_u32_e32 31, v0
	s_cbranch_execz .LBB38_181
; %bb.180:
	scratch_load_b64 v[2:3], off, off offset:248
	v_mov_b64_e32 v[82:83], 0
	scratch_store_b64 off, v[82:83], off offset:248
	s_wait_loadcnt 0x0
	ds_store_b64 v1, v[2:3]
.LBB38_181:
	s_wait_xcnt 0x0
	s_or_b32 exec_lo, exec_lo, s0
	s_wait_storecnt_dscnt 0x0
	s_barrier_signal -1
	s_barrier_wait -1
	s_clause 0x3
	scratch_load_b128 v[82:85], off, off offset:248
	scratch_load_b128 v[86:89], off, off offset:264
	scratch_load_b128 v[90:93], off, off offset:280
	scratch_load_b128 v[94:97], off, off offset:296
	v_mov_b32_e32 v2, 0
	ds_load_b128 v[98:101], v2 offset:576
	ds_load_b128 v[102:105], v2 offset:592
	s_mov_b32 s0, exec_lo
	s_wait_loadcnt_dscnt 0x301
	v_fma_f64 v[98:99], v[84:85], v[98:99], 0
	s_wait_loadcnt 0x2
	s_delay_alu instid0(VALU_DEP_1) | instskip(SKIP_1) | instid1(VALU_DEP_1)
	v_fmac_f64_e32 v[98:99], v[86:87], v[100:101]
	s_wait_dscnt 0x0
	v_fmac_f64_e32 v[98:99], v[88:89], v[102:103]
	ds_load_b128 v[84:87], v2 offset:608
	ds_load_b64 v[88:89], v2 offset:624
	s_wait_loadcnt 0x1
	v_fmac_f64_e32 v[98:99], v[90:91], v[104:105]
	s_wait_dscnt 0x1
	s_delay_alu instid0(VALU_DEP_1) | instskip(SKIP_1) | instid1(VALU_DEP_1)
	v_fmac_f64_e32 v[98:99], v[92:93], v[84:85]
	s_wait_loadcnt 0x0
	v_fmac_f64_e32 v[98:99], v[94:95], v[86:87]
	s_wait_dscnt 0x0
	s_delay_alu instid0(VALU_DEP_1) | instskip(NEXT) | instid1(VALU_DEP_1)
	v_fmac_f64_e32 v[98:99], v[96:97], v[88:89]
	v_add_f64_e64 v[82:83], v[82:83], -v[98:99]
	scratch_store_b64 off, v[82:83], off offset:248
	s_wait_xcnt 0x0
	v_cmpx_lt_u32_e32 30, v0
	s_cbranch_execz .LBB38_183
; %bb.182:
	scratch_load_b64 v[82:83], off, off offset:240
	v_mov_b64_e32 v[84:85], 0
	scratch_store_b64 off, v[84:85], off offset:240
	s_wait_loadcnt 0x0
	ds_store_b64 v1, v[82:83]
.LBB38_183:
	s_wait_xcnt 0x0
	s_or_b32 exec_lo, exec_lo, s0
	s_wait_storecnt_dscnt 0x0
	s_barrier_signal -1
	s_barrier_wait -1
	s_clause 0x4
	scratch_load_b128 v[82:85], off, off offset:240
	scratch_load_b128 v[86:89], off, off offset:256
	;; [unrolled: 1-line block ×4, first 2 shown]
	scratch_load_b64 v[106:107], off, off offset:304
	ds_load_2addr_b64 v[98:101], v2 offset0:71 offset1:72
	ds_load_2addr_b64 v[102:105], v2 offset0:73 offset1:74
	s_mov_b32 s0, exec_lo
	s_wait_loadcnt_dscnt 0x401
	v_fma_f64 v[98:99], v[84:85], v[98:99], 0
	s_wait_loadcnt 0x3
	s_delay_alu instid0(VALU_DEP_1) | instskip(SKIP_1) | instid1(VALU_DEP_1)
	v_fmac_f64_e32 v[98:99], v[86:87], v[100:101]
	s_wait_dscnt 0x0
	v_fmac_f64_e32 v[98:99], v[88:89], v[102:103]
	s_wait_loadcnt 0x2
	s_delay_alu instid0(VALU_DEP_1)
	v_fmac_f64_e32 v[98:99], v[90:91], v[104:105]
	ds_load_2addr_b64 v[84:87], v2 offset0:75 offset1:76
	ds_load_2addr_b64 v[88:91], v2 offset0:77 offset1:78
	s_wait_dscnt 0x1
	v_fmac_f64_e32 v[98:99], v[92:93], v[84:85]
	s_wait_loadcnt 0x1
	s_delay_alu instid0(VALU_DEP_1) | instskip(SKIP_1) | instid1(VALU_DEP_1)
	v_fmac_f64_e32 v[98:99], v[94:95], v[86:87]
	s_wait_dscnt 0x0
	v_fmac_f64_e32 v[98:99], v[96:97], v[88:89]
	s_wait_loadcnt 0x0
	s_delay_alu instid0(VALU_DEP_1) | instskip(NEXT) | instid1(VALU_DEP_1)
	v_fmac_f64_e32 v[98:99], v[106:107], v[90:91]
	v_add_f64_e64 v[2:3], v[82:83], -v[98:99]
	scratch_store_b64 off, v[2:3], off offset:240
	s_wait_xcnt 0x0
	v_cmpx_lt_u32_e32 29, v0
	s_cbranch_execz .LBB38_185
; %bb.184:
	scratch_load_b64 v[2:3], off, off offset:232
	v_mov_b64_e32 v[82:83], 0
	scratch_store_b64 off, v[82:83], off offset:232
	s_wait_loadcnt 0x0
	ds_store_b64 v1, v[2:3]
.LBB38_185:
	s_wait_xcnt 0x0
	s_or_b32 exec_lo, exec_lo, s0
	s_wait_storecnt_dscnt 0x0
	s_barrier_signal -1
	s_barrier_wait -1
	s_clause 0x4
	scratch_load_b128 v[82:85], off, off offset:232
	scratch_load_b128 v[86:89], off, off offset:248
	;; [unrolled: 1-line block ×5, first 2 shown]
	v_mov_b32_e32 v2, 0
	ds_load_b128 v[102:105], v2 offset:560
	ds_load_b128 v[106:109], v2 offset:576
	s_mov_b32 s0, exec_lo
	s_wait_loadcnt_dscnt 0x401
	v_fma_f64 v[102:103], v[84:85], v[102:103], 0
	s_wait_loadcnt 0x3
	s_delay_alu instid0(VALU_DEP_1) | instskip(SKIP_1) | instid1(VALU_DEP_1)
	v_fmac_f64_e32 v[102:103], v[86:87], v[104:105]
	s_wait_dscnt 0x0
	v_fmac_f64_e32 v[102:103], v[88:89], v[106:107]
	s_wait_loadcnt 0x2
	s_delay_alu instid0(VALU_DEP_1)
	v_fmac_f64_e32 v[102:103], v[90:91], v[108:109]
	ds_load_b128 v[84:87], v2 offset:592
	ds_load_b128 v[88:91], v2 offset:608
	s_wait_dscnt 0x1
	v_fmac_f64_e32 v[102:103], v[92:93], v[84:85]
	ds_load_b64 v[84:85], v2 offset:624
	s_wait_loadcnt 0x1
	v_fmac_f64_e32 v[102:103], v[94:95], v[86:87]
	s_wait_dscnt 0x1
	s_delay_alu instid0(VALU_DEP_1) | instskip(SKIP_1) | instid1(VALU_DEP_1)
	v_fmac_f64_e32 v[102:103], v[96:97], v[88:89]
	s_wait_loadcnt 0x0
	v_fmac_f64_e32 v[102:103], v[98:99], v[90:91]
	s_wait_dscnt 0x0
	s_delay_alu instid0(VALU_DEP_1) | instskip(NEXT) | instid1(VALU_DEP_1)
	v_fmac_f64_e32 v[102:103], v[100:101], v[84:85]
	v_add_f64_e64 v[82:83], v[82:83], -v[102:103]
	scratch_store_b64 off, v[82:83], off offset:232
	s_wait_xcnt 0x0
	v_cmpx_lt_u32_e32 28, v0
	s_cbranch_execz .LBB38_187
; %bb.186:
	scratch_load_b64 v[82:83], off, off offset:224
	v_mov_b64_e32 v[84:85], 0
	scratch_store_b64 off, v[84:85], off offset:224
	s_wait_loadcnt 0x0
	ds_store_b64 v1, v[82:83]
.LBB38_187:
	s_wait_xcnt 0x0
	s_or_b32 exec_lo, exec_lo, s0
	s_wait_storecnt_dscnt 0x0
	s_barrier_signal -1
	s_barrier_wait -1
	s_clause 0x5
	scratch_load_b128 v[82:85], off, off offset:224
	scratch_load_b128 v[86:89], off, off offset:240
	scratch_load_b128 v[90:93], off, off offset:256
	scratch_load_b128 v[94:97], off, off offset:272
	scratch_load_b128 v[98:101], off, off offset:288
	scratch_load_b64 v[110:111], off, off offset:304
	ds_load_2addr_b64 v[102:105], v2 offset0:69 offset1:70
	ds_load_2addr_b64 v[106:109], v2 offset0:71 offset1:72
	s_mov_b32 s0, exec_lo
	s_wait_loadcnt_dscnt 0x501
	v_fma_f64 v[102:103], v[84:85], v[102:103], 0
	s_wait_loadcnt 0x4
	s_delay_alu instid0(VALU_DEP_1) | instskip(SKIP_1) | instid1(VALU_DEP_1)
	v_fmac_f64_e32 v[102:103], v[86:87], v[104:105]
	s_wait_dscnt 0x0
	v_fmac_f64_e32 v[102:103], v[88:89], v[106:107]
	s_wait_loadcnt 0x3
	s_delay_alu instid0(VALU_DEP_1)
	v_fmac_f64_e32 v[102:103], v[90:91], v[108:109]
	ds_load_2addr_b64 v[84:87], v2 offset0:73 offset1:74
	ds_load_2addr_b64 v[88:91], v2 offset0:75 offset1:76
	s_wait_dscnt 0x1
	v_fmac_f64_e32 v[102:103], v[92:93], v[84:85]
	s_wait_loadcnt 0x2
	s_delay_alu instid0(VALU_DEP_1) | instskip(SKIP_4) | instid1(VALU_DEP_1)
	v_fmac_f64_e32 v[102:103], v[94:95], v[86:87]
	ds_load_2addr_b64 v[84:87], v2 offset0:77 offset1:78
	s_wait_dscnt 0x1
	v_fmac_f64_e32 v[102:103], v[96:97], v[88:89]
	s_wait_loadcnt 0x1
	v_fmac_f64_e32 v[102:103], v[98:99], v[90:91]
	s_wait_dscnt 0x0
	s_delay_alu instid0(VALU_DEP_1) | instskip(SKIP_1) | instid1(VALU_DEP_1)
	v_fmac_f64_e32 v[102:103], v[100:101], v[84:85]
	s_wait_loadcnt 0x0
	v_fmac_f64_e32 v[102:103], v[110:111], v[86:87]
	s_delay_alu instid0(VALU_DEP_1)
	v_add_f64_e64 v[2:3], v[82:83], -v[102:103]
	scratch_store_b64 off, v[2:3], off offset:224
	s_wait_xcnt 0x0
	v_cmpx_lt_u32_e32 27, v0
	s_cbranch_execz .LBB38_189
; %bb.188:
	scratch_load_b64 v[2:3], off, off offset:216
	v_mov_b64_e32 v[82:83], 0
	scratch_store_b64 off, v[82:83], off offset:216
	s_wait_loadcnt 0x0
	ds_store_b64 v1, v[2:3]
.LBB38_189:
	s_wait_xcnt 0x0
	s_or_b32 exec_lo, exec_lo, s0
	s_wait_storecnt_dscnt 0x0
	s_barrier_signal -1
	s_barrier_wait -1
	s_clause 0x5
	scratch_load_b128 v[82:85], off, off offset:216
	scratch_load_b128 v[86:89], off, off offset:232
	;; [unrolled: 1-line block ×6, first 2 shown]
	v_mov_b32_e32 v2, 0
	ds_load_b128 v[106:109], v2 offset:544
	ds_load_b128 v[110:113], v2 offset:560
	s_mov_b32 s0, exec_lo
	s_wait_loadcnt_dscnt 0x501
	v_fma_f64 v[106:107], v[84:85], v[106:107], 0
	s_wait_loadcnt 0x4
	s_delay_alu instid0(VALU_DEP_1) | instskip(SKIP_1) | instid1(VALU_DEP_1)
	v_fmac_f64_e32 v[106:107], v[86:87], v[108:109]
	s_wait_dscnt 0x0
	v_fmac_f64_e32 v[106:107], v[88:89], v[110:111]
	s_wait_loadcnt 0x3
	s_delay_alu instid0(VALU_DEP_1)
	v_fmac_f64_e32 v[106:107], v[90:91], v[112:113]
	ds_load_b128 v[84:87], v2 offset:576
	ds_load_b128 v[88:91], v2 offset:592
	s_wait_dscnt 0x1
	v_fmac_f64_e32 v[106:107], v[92:93], v[84:85]
	s_wait_loadcnt 0x2
	s_delay_alu instid0(VALU_DEP_1) | instskip(SKIP_1) | instid1(VALU_DEP_1)
	v_fmac_f64_e32 v[106:107], v[94:95], v[86:87]
	s_wait_dscnt 0x0
	v_fmac_f64_e32 v[106:107], v[96:97], v[88:89]
	ds_load_b128 v[84:87], v2 offset:608
	ds_load_b64 v[88:89], v2 offset:624
	s_wait_loadcnt 0x1
	v_fmac_f64_e32 v[106:107], v[98:99], v[90:91]
	s_wait_dscnt 0x1
	s_delay_alu instid0(VALU_DEP_1) | instskip(SKIP_1) | instid1(VALU_DEP_1)
	v_fmac_f64_e32 v[106:107], v[100:101], v[84:85]
	s_wait_loadcnt 0x0
	v_fmac_f64_e32 v[106:107], v[102:103], v[86:87]
	s_wait_dscnt 0x0
	s_delay_alu instid0(VALU_DEP_1) | instskip(NEXT) | instid1(VALU_DEP_1)
	v_fmac_f64_e32 v[106:107], v[104:105], v[88:89]
	v_add_f64_e64 v[82:83], v[82:83], -v[106:107]
	scratch_store_b64 off, v[82:83], off offset:216
	s_wait_xcnt 0x0
	v_cmpx_lt_u32_e32 26, v0
	s_cbranch_execz .LBB38_191
; %bb.190:
	scratch_load_b64 v[82:83], off, off offset:208
	v_mov_b64_e32 v[84:85], 0
	scratch_store_b64 off, v[84:85], off offset:208
	s_wait_loadcnt 0x0
	ds_store_b64 v1, v[82:83]
.LBB38_191:
	s_wait_xcnt 0x0
	s_or_b32 exec_lo, exec_lo, s0
	s_wait_storecnt_dscnt 0x0
	s_barrier_signal -1
	s_barrier_wait -1
	s_clause 0x5
	scratch_load_b128 v[82:85], off, off offset:208
	scratch_load_b128 v[86:89], off, off offset:224
	scratch_load_b128 v[90:93], off, off offset:240
	scratch_load_b128 v[94:97], off, off offset:256
	scratch_load_b128 v[98:101], off, off offset:272
	scratch_load_b128 v[102:105], off, off offset:288
	ds_load_2addr_b64 v[106:109], v2 offset0:67 offset1:68
	ds_load_2addr_b64 v[110:113], v2 offset0:69 offset1:70
	s_mov_b32 s0, exec_lo
	s_wait_loadcnt_dscnt 0x501
	v_fma_f64 v[106:107], v[84:85], v[106:107], 0
	s_wait_loadcnt 0x4
	s_delay_alu instid0(VALU_DEP_1) | instskip(SKIP_4) | instid1(VALU_DEP_1)
	v_fmac_f64_e32 v[106:107], v[86:87], v[108:109]
	scratch_load_b64 v[108:109], off, off offset:304
	s_wait_dscnt 0x0
	v_fmac_f64_e32 v[106:107], v[88:89], v[110:111]
	s_wait_loadcnt 0x4
	v_fmac_f64_e32 v[106:107], v[90:91], v[112:113]
	ds_load_2addr_b64 v[84:87], v2 offset0:71 offset1:72
	ds_load_2addr_b64 v[88:91], v2 offset0:73 offset1:74
	s_wait_dscnt 0x1
	v_fmac_f64_e32 v[106:107], v[92:93], v[84:85]
	s_wait_loadcnt 0x3
	s_delay_alu instid0(VALU_DEP_1) | instskip(SKIP_1) | instid1(VALU_DEP_1)
	v_fmac_f64_e32 v[106:107], v[94:95], v[86:87]
	s_wait_dscnt 0x0
	v_fmac_f64_e32 v[106:107], v[96:97], v[88:89]
	s_wait_loadcnt 0x2
	s_delay_alu instid0(VALU_DEP_1)
	v_fmac_f64_e32 v[106:107], v[98:99], v[90:91]
	ds_load_2addr_b64 v[84:87], v2 offset0:75 offset1:76
	ds_load_2addr_b64 v[88:91], v2 offset0:77 offset1:78
	s_wait_dscnt 0x1
	v_fmac_f64_e32 v[106:107], v[100:101], v[84:85]
	s_wait_loadcnt 0x1
	s_delay_alu instid0(VALU_DEP_1) | instskip(SKIP_1) | instid1(VALU_DEP_1)
	v_fmac_f64_e32 v[106:107], v[102:103], v[86:87]
	s_wait_dscnt 0x0
	v_fmac_f64_e32 v[106:107], v[104:105], v[88:89]
	s_wait_loadcnt 0x0
	s_delay_alu instid0(VALU_DEP_1) | instskip(NEXT) | instid1(VALU_DEP_1)
	v_fmac_f64_e32 v[106:107], v[108:109], v[90:91]
	v_add_f64_e64 v[2:3], v[82:83], -v[106:107]
	scratch_store_b64 off, v[2:3], off offset:208
	s_wait_xcnt 0x0
	v_cmpx_lt_u32_e32 25, v0
	s_cbranch_execz .LBB38_193
; %bb.192:
	scratch_load_b64 v[2:3], off, off offset:200
	v_mov_b64_e32 v[82:83], 0
	scratch_store_b64 off, v[82:83], off offset:200
	s_wait_loadcnt 0x0
	ds_store_b64 v1, v[2:3]
.LBB38_193:
	s_wait_xcnt 0x0
	s_or_b32 exec_lo, exec_lo, s0
	s_wait_storecnt_dscnt 0x0
	s_barrier_signal -1
	s_barrier_wait -1
	s_clause 0x5
	scratch_load_b128 v[82:85], off, off offset:200
	scratch_load_b128 v[86:89], off, off offset:216
	;; [unrolled: 1-line block ×6, first 2 shown]
	v_mov_b32_e32 v2, 0
	ds_load_b128 v[106:109], v2 offset:528
	ds_load_b128 v[110:113], v2 offset:544
	s_mov_b32 s0, exec_lo
	s_wait_loadcnt_dscnt 0x501
	v_fma_f64 v[114:115], v[84:85], v[106:107], 0
	s_wait_loadcnt 0x4
	s_delay_alu instid0(VALU_DEP_1) | instskip(SKIP_4) | instid1(VALU_DEP_1)
	v_fmac_f64_e32 v[114:115], v[86:87], v[108:109]
	scratch_load_b128 v[84:87], off, off offset:296
	s_wait_dscnt 0x0
	v_fmac_f64_e32 v[114:115], v[88:89], v[110:111]
	s_wait_loadcnt 0x4
	v_fmac_f64_e32 v[114:115], v[90:91], v[112:113]
	ds_load_b128 v[88:91], v2 offset:560
	ds_load_b128 v[106:109], v2 offset:576
	s_wait_dscnt 0x1
	v_fmac_f64_e32 v[114:115], v[92:93], v[88:89]
	s_wait_loadcnt 0x3
	s_delay_alu instid0(VALU_DEP_1)
	v_fmac_f64_e32 v[114:115], v[94:95], v[90:91]
	ds_load_b128 v[88:91], v2 offset:592
	ds_load_b128 v[92:95], v2 offset:608
	s_wait_dscnt 0x2
	v_fmac_f64_e32 v[114:115], v[96:97], v[106:107]
	s_wait_loadcnt 0x2
	s_delay_alu instid0(VALU_DEP_1) | instskip(SKIP_1) | instid1(VALU_DEP_1)
	v_fmac_f64_e32 v[114:115], v[98:99], v[108:109]
	s_wait_dscnt 0x1
	v_fmac_f64_e32 v[114:115], v[100:101], v[88:89]
	s_wait_loadcnt 0x1
	s_delay_alu instid0(VALU_DEP_1) | instskip(SKIP_1) | instid1(VALU_DEP_1)
	v_fmac_f64_e32 v[114:115], v[102:103], v[90:91]
	s_wait_dscnt 0x0
	v_fmac_f64_e32 v[114:115], v[104:105], v[92:93]
	s_wait_loadcnt 0x0
	s_delay_alu instid0(VALU_DEP_1) | instskip(SKIP_3) | instid1(VALU_DEP_1)
	v_fmac_f64_e32 v[114:115], v[84:85], v[94:95]
	ds_load_b64 v[84:85], v2 offset:624
	s_wait_dscnt 0x0
	v_fmac_f64_e32 v[114:115], v[86:87], v[84:85]
	v_add_f64_e64 v[82:83], v[82:83], -v[114:115]
	scratch_store_b64 off, v[82:83], off offset:200
	s_wait_xcnt 0x0
	v_cmpx_lt_u32_e32 24, v0
	s_cbranch_execz .LBB38_195
; %bb.194:
	scratch_load_b64 v[82:83], off, off offset:192
	v_mov_b64_e32 v[84:85], 0
	scratch_store_b64 off, v[84:85], off offset:192
	s_wait_loadcnt 0x0
	ds_store_b64 v1, v[82:83]
.LBB38_195:
	s_wait_xcnt 0x0
	s_or_b32 exec_lo, exec_lo, s0
	s_wait_storecnt_dscnt 0x0
	s_barrier_signal -1
	s_barrier_wait -1
	s_clause 0x5
	scratch_load_b128 v[82:85], off, off offset:192
	scratch_load_b128 v[86:89], off, off offset:208
	;; [unrolled: 1-line block ×6, first 2 shown]
	ds_load_2addr_b64 v[106:109], v2 offset0:65 offset1:66
	ds_load_2addr_b64 v[110:113], v2 offset0:67 offset1:68
	s_mov_b32 s0, exec_lo
	s_wait_loadcnt_dscnt 0x501
	v_fma_f64 v[114:115], v[84:85], v[106:107], 0
	s_wait_loadcnt 0x4
	s_delay_alu instid0(VALU_DEP_1)
	v_fmac_f64_e32 v[114:115], v[86:87], v[108:109]
	scratch_load_b128 v[84:87], off, off offset:288
	s_wait_dscnt 0x0
	v_fmac_f64_e32 v[114:115], v[88:89], v[110:111]
	scratch_load_b64 v[110:111], off, off offset:304
	s_wait_loadcnt 0x5
	v_fmac_f64_e32 v[114:115], v[90:91], v[112:113]
	ds_load_2addr_b64 v[88:91], v2 offset0:69 offset1:70
	ds_load_2addr_b64 v[106:109], v2 offset0:71 offset1:72
	s_wait_dscnt 0x1
	v_fmac_f64_e32 v[114:115], v[92:93], v[88:89]
	s_wait_loadcnt 0x4
	s_delay_alu instid0(VALU_DEP_1)
	v_fmac_f64_e32 v[114:115], v[94:95], v[90:91]
	ds_load_2addr_b64 v[88:91], v2 offset0:73 offset1:74
	ds_load_2addr_b64 v[92:95], v2 offset0:75 offset1:76
	s_wait_dscnt 0x2
	v_fmac_f64_e32 v[114:115], v[96:97], v[106:107]
	s_wait_loadcnt 0x3
	s_delay_alu instid0(VALU_DEP_1) | instskip(SKIP_1) | instid1(VALU_DEP_1)
	v_fmac_f64_e32 v[114:115], v[98:99], v[108:109]
	s_wait_dscnt 0x1
	v_fmac_f64_e32 v[114:115], v[100:101], v[88:89]
	s_wait_loadcnt 0x2
	s_delay_alu instid0(VALU_DEP_1) | instskip(SKIP_4) | instid1(VALU_DEP_1)
	v_fmac_f64_e32 v[114:115], v[102:103], v[90:91]
	ds_load_2addr_b64 v[88:91], v2 offset0:77 offset1:78
	s_wait_dscnt 0x1
	v_fmac_f64_e32 v[114:115], v[104:105], v[92:93]
	s_wait_loadcnt 0x1
	v_fmac_f64_e32 v[114:115], v[84:85], v[94:95]
	s_wait_dscnt 0x0
	s_delay_alu instid0(VALU_DEP_1) | instskip(SKIP_1) | instid1(VALU_DEP_1)
	v_fmac_f64_e32 v[114:115], v[86:87], v[88:89]
	s_wait_loadcnt 0x0
	v_fmac_f64_e32 v[114:115], v[110:111], v[90:91]
	s_delay_alu instid0(VALU_DEP_1)
	v_add_f64_e64 v[2:3], v[82:83], -v[114:115]
	scratch_store_b64 off, v[2:3], off offset:192
	s_wait_xcnt 0x0
	v_cmpx_lt_u32_e32 23, v0
	s_cbranch_execz .LBB38_197
; %bb.196:
	scratch_load_b64 v[2:3], off, off offset:184
	v_mov_b64_e32 v[82:83], 0
	scratch_store_b64 off, v[82:83], off offset:184
	s_wait_loadcnt 0x0
	ds_store_b64 v1, v[2:3]
.LBB38_197:
	s_wait_xcnt 0x0
	s_or_b32 exec_lo, exec_lo, s0
	s_wait_storecnt_dscnt 0x0
	s_barrier_signal -1
	s_barrier_wait -1
	s_clause 0x5
	scratch_load_b128 v[82:85], off, off offset:184
	scratch_load_b128 v[86:89], off, off offset:200
	;; [unrolled: 1-line block ×6, first 2 shown]
	v_mov_b32_e32 v2, 0
	ds_load_b128 v[106:109], v2 offset:512
	ds_load_b128 v[110:113], v2 offset:528
	s_mov_b32 s0, exec_lo
	s_wait_loadcnt_dscnt 0x501
	v_fma_f64 v[114:115], v[84:85], v[106:107], 0
	s_wait_loadcnt 0x4
	s_delay_alu instid0(VALU_DEP_1) | instskip(SKIP_4) | instid1(VALU_DEP_1)
	v_fmac_f64_e32 v[114:115], v[86:87], v[108:109]
	scratch_load_b128 v[84:87], off, off offset:280
	s_wait_dscnt 0x0
	v_fmac_f64_e32 v[114:115], v[88:89], v[110:111]
	s_wait_loadcnt 0x4
	v_fmac_f64_e32 v[114:115], v[90:91], v[112:113]
	scratch_load_b128 v[88:91], off, off offset:296
	ds_load_b128 v[106:109], v2 offset:544
	ds_load_b128 v[110:113], v2 offset:560
	s_wait_dscnt 0x1
	v_fmac_f64_e32 v[114:115], v[92:93], v[106:107]
	s_wait_loadcnt 0x4
	s_delay_alu instid0(VALU_DEP_1) | instskip(SKIP_1) | instid1(VALU_DEP_1)
	v_fmac_f64_e32 v[114:115], v[94:95], v[108:109]
	s_wait_dscnt 0x0
	v_fmac_f64_e32 v[114:115], v[96:97], v[110:111]
	s_wait_loadcnt 0x3
	s_delay_alu instid0(VALU_DEP_1)
	v_fmac_f64_e32 v[114:115], v[98:99], v[112:113]
	ds_load_b128 v[92:95], v2 offset:576
	ds_load_b128 v[96:99], v2 offset:592
	s_wait_dscnt 0x1
	v_fmac_f64_e32 v[114:115], v[100:101], v[92:93]
	s_wait_loadcnt 0x2
	s_delay_alu instid0(VALU_DEP_1) | instskip(SKIP_1) | instid1(VALU_DEP_1)
	v_fmac_f64_e32 v[114:115], v[102:103], v[94:95]
	s_wait_dscnt 0x0
	v_fmac_f64_e32 v[114:115], v[104:105], v[96:97]
	s_wait_loadcnt 0x1
	s_delay_alu instid0(VALU_DEP_1)
	v_fmac_f64_e32 v[114:115], v[84:85], v[98:99]
	ds_load_b128 v[92:95], v2 offset:608
	ds_load_b64 v[84:85], v2 offset:624
	s_wait_dscnt 0x1
	v_fmac_f64_e32 v[114:115], v[86:87], v[92:93]
	s_wait_loadcnt 0x0
	s_delay_alu instid0(VALU_DEP_1) | instskip(SKIP_1) | instid1(VALU_DEP_1)
	v_fmac_f64_e32 v[114:115], v[88:89], v[94:95]
	s_wait_dscnt 0x0
	v_fmac_f64_e32 v[114:115], v[90:91], v[84:85]
	s_delay_alu instid0(VALU_DEP_1)
	v_add_f64_e64 v[82:83], v[82:83], -v[114:115]
	scratch_store_b64 off, v[82:83], off offset:184
	s_wait_xcnt 0x0
	v_cmpx_lt_u32_e32 22, v0
	s_cbranch_execz .LBB38_199
; %bb.198:
	scratch_load_b64 v[82:83], off, off offset:176
	v_mov_b64_e32 v[84:85], 0
	scratch_store_b64 off, v[84:85], off offset:176
	s_wait_loadcnt 0x0
	ds_store_b64 v1, v[82:83]
.LBB38_199:
	s_wait_xcnt 0x0
	s_or_b32 exec_lo, exec_lo, s0
	s_wait_storecnt_dscnt 0x0
	s_barrier_signal -1
	s_barrier_wait -1
	s_clause 0x5
	scratch_load_b128 v[82:85], off, off offset:176
	scratch_load_b128 v[86:89], off, off offset:192
	;; [unrolled: 1-line block ×6, first 2 shown]
	ds_load_2addr_b64 v[106:109], v2 offset0:63 offset1:64
	ds_load_2addr_b64 v[110:113], v2 offset0:65 offset1:66
	s_mov_b32 s0, exec_lo
	s_wait_loadcnt_dscnt 0x501
	v_fma_f64 v[114:115], v[84:85], v[106:107], 0
	s_wait_loadcnt 0x4
	s_delay_alu instid0(VALU_DEP_1) | instskip(SKIP_4) | instid1(VALU_DEP_1)
	v_fmac_f64_e32 v[114:115], v[86:87], v[108:109]
	scratch_load_b128 v[84:87], off, off offset:272
	s_wait_dscnt 0x0
	v_fmac_f64_e32 v[114:115], v[88:89], v[110:111]
	s_wait_loadcnt 0x4
	v_fmac_f64_e32 v[114:115], v[90:91], v[112:113]
	scratch_load_b128 v[88:91], off, off offset:288
	ds_load_2addr_b64 v[106:109], v2 offset0:67 offset1:68
	ds_load_2addr_b64 v[110:113], v2 offset0:69 offset1:70
	s_wait_dscnt 0x1
	v_fmac_f64_e32 v[114:115], v[92:93], v[106:107]
	scratch_load_b64 v[106:107], off, off offset:304
	s_wait_loadcnt 0x5
	v_fmac_f64_e32 v[114:115], v[94:95], v[108:109]
	s_wait_dscnt 0x0
	s_delay_alu instid0(VALU_DEP_1) | instskip(SKIP_1) | instid1(VALU_DEP_1)
	v_fmac_f64_e32 v[114:115], v[96:97], v[110:111]
	s_wait_loadcnt 0x4
	v_fmac_f64_e32 v[114:115], v[98:99], v[112:113]
	ds_load_2addr_b64 v[92:95], v2 offset0:71 offset1:72
	ds_load_2addr_b64 v[96:99], v2 offset0:73 offset1:74
	s_wait_dscnt 0x1
	v_fmac_f64_e32 v[114:115], v[100:101], v[92:93]
	s_wait_loadcnt 0x3
	s_delay_alu instid0(VALU_DEP_1) | instskip(SKIP_1) | instid1(VALU_DEP_1)
	v_fmac_f64_e32 v[114:115], v[102:103], v[94:95]
	s_wait_dscnt 0x0
	v_fmac_f64_e32 v[114:115], v[104:105], v[96:97]
	s_wait_loadcnt 0x2
	s_delay_alu instid0(VALU_DEP_1)
	v_fmac_f64_e32 v[114:115], v[84:85], v[98:99]
	ds_load_2addr_b64 v[92:95], v2 offset0:75 offset1:76
	ds_load_2addr_b64 v[96:99], v2 offset0:77 offset1:78
	s_wait_dscnt 0x1
	v_fmac_f64_e32 v[114:115], v[86:87], v[92:93]
	s_wait_loadcnt 0x1
	s_delay_alu instid0(VALU_DEP_1) | instskip(SKIP_1) | instid1(VALU_DEP_1)
	v_fmac_f64_e32 v[114:115], v[88:89], v[94:95]
	s_wait_dscnt 0x0
	v_fmac_f64_e32 v[114:115], v[90:91], v[96:97]
	s_wait_loadcnt 0x0
	s_delay_alu instid0(VALU_DEP_1) | instskip(NEXT) | instid1(VALU_DEP_1)
	v_fmac_f64_e32 v[114:115], v[106:107], v[98:99]
	v_add_f64_e64 v[2:3], v[82:83], -v[114:115]
	scratch_store_b64 off, v[2:3], off offset:176
	s_wait_xcnt 0x0
	v_cmpx_lt_u32_e32 21, v0
	s_cbranch_execz .LBB38_201
; %bb.200:
	scratch_load_b64 v[2:3], off, off offset:168
	v_mov_b64_e32 v[82:83], 0
	scratch_store_b64 off, v[82:83], off offset:168
	s_wait_loadcnt 0x0
	ds_store_b64 v1, v[2:3]
.LBB38_201:
	s_wait_xcnt 0x0
	s_or_b32 exec_lo, exec_lo, s0
	s_wait_storecnt_dscnt 0x0
	s_barrier_signal -1
	s_barrier_wait -1
	s_clause 0x5
	scratch_load_b128 v[82:85], off, off offset:168
	scratch_load_b128 v[86:89], off, off offset:184
	;; [unrolled: 1-line block ×6, first 2 shown]
	v_mov_b32_e32 v2, 0
	ds_load_b128 v[106:109], v2 offset:496
	ds_load_b128 v[110:113], v2 offset:512
	s_mov_b32 s0, exec_lo
	s_wait_loadcnt_dscnt 0x501
	v_fma_f64 v[114:115], v[84:85], v[106:107], 0
	s_wait_loadcnt 0x4
	s_delay_alu instid0(VALU_DEP_1) | instskip(SKIP_4) | instid1(VALU_DEP_1)
	v_fmac_f64_e32 v[114:115], v[86:87], v[108:109]
	scratch_load_b128 v[84:87], off, off offset:264
	s_wait_dscnt 0x0
	v_fmac_f64_e32 v[114:115], v[88:89], v[110:111]
	s_wait_loadcnt 0x4
	v_fmac_f64_e32 v[114:115], v[90:91], v[112:113]
	scratch_load_b128 v[88:91], off, off offset:280
	ds_load_b128 v[106:109], v2 offset:528
	ds_load_b128 v[110:113], v2 offset:544
	s_wait_dscnt 0x1
	v_fmac_f64_e32 v[114:115], v[92:93], v[106:107]
	s_wait_loadcnt 0x4
	s_delay_alu instid0(VALU_DEP_1) | instskip(SKIP_4) | instid1(VALU_DEP_1)
	v_fmac_f64_e32 v[114:115], v[94:95], v[108:109]
	scratch_load_b128 v[92:95], off, off offset:296
	s_wait_dscnt 0x0
	v_fmac_f64_e32 v[114:115], v[96:97], v[110:111]
	s_wait_loadcnt 0x4
	v_fmac_f64_e32 v[114:115], v[98:99], v[112:113]
	ds_load_b128 v[96:99], v2 offset:560
	ds_load_b128 v[106:109], v2 offset:576
	s_wait_dscnt 0x1
	v_fmac_f64_e32 v[114:115], v[100:101], v[96:97]
	s_wait_loadcnt 0x3
	s_delay_alu instid0(VALU_DEP_1)
	v_fmac_f64_e32 v[114:115], v[102:103], v[98:99]
	ds_load_b128 v[96:99], v2 offset:592
	ds_load_b128 v[100:103], v2 offset:608
	s_wait_dscnt 0x2
	v_fmac_f64_e32 v[114:115], v[104:105], v[106:107]
	s_wait_loadcnt 0x2
	s_delay_alu instid0(VALU_DEP_1) | instskip(SKIP_4) | instid1(VALU_DEP_1)
	v_fmac_f64_e32 v[114:115], v[84:85], v[108:109]
	ds_load_b64 v[84:85], v2 offset:624
	s_wait_dscnt 0x2
	v_fmac_f64_e32 v[114:115], v[86:87], v[96:97]
	s_wait_loadcnt 0x1
	v_fmac_f64_e32 v[114:115], v[88:89], v[98:99]
	s_wait_dscnt 0x1
	s_delay_alu instid0(VALU_DEP_1) | instskip(SKIP_1) | instid1(VALU_DEP_1)
	v_fmac_f64_e32 v[114:115], v[90:91], v[100:101]
	s_wait_loadcnt 0x0
	v_fmac_f64_e32 v[114:115], v[92:93], v[102:103]
	s_wait_dscnt 0x0
	s_delay_alu instid0(VALU_DEP_1) | instskip(NEXT) | instid1(VALU_DEP_1)
	v_fmac_f64_e32 v[114:115], v[94:95], v[84:85]
	v_add_f64_e64 v[82:83], v[82:83], -v[114:115]
	scratch_store_b64 off, v[82:83], off offset:168
	s_wait_xcnt 0x0
	v_cmpx_lt_u32_e32 20, v0
	s_cbranch_execz .LBB38_203
; %bb.202:
	scratch_load_b64 v[82:83], off, off offset:160
	v_mov_b64_e32 v[84:85], 0
	scratch_store_b64 off, v[84:85], off offset:160
	s_wait_loadcnt 0x0
	ds_store_b64 v1, v[82:83]
.LBB38_203:
	s_wait_xcnt 0x0
	s_or_b32 exec_lo, exec_lo, s0
	s_wait_storecnt_dscnt 0x0
	s_barrier_signal -1
	s_barrier_wait -1
	s_clause 0x5
	scratch_load_b128 v[82:85], off, off offset:160
	scratch_load_b128 v[86:89], off, off offset:176
	scratch_load_b128 v[90:93], off, off offset:192
	scratch_load_b128 v[94:97], off, off offset:208
	scratch_load_b128 v[98:101], off, off offset:224
	scratch_load_b128 v[102:105], off, off offset:240
	ds_load_2addr_b64 v[106:109], v2 offset0:61 offset1:62
	ds_load_2addr_b64 v[110:113], v2 offset0:63 offset1:64
	s_mov_b32 s0, exec_lo
	s_wait_loadcnt_dscnt 0x501
	v_fma_f64 v[114:115], v[84:85], v[106:107], 0
	s_wait_loadcnt 0x4
	s_delay_alu instid0(VALU_DEP_1) | instskip(SKIP_4) | instid1(VALU_DEP_1)
	v_fmac_f64_e32 v[114:115], v[86:87], v[108:109]
	scratch_load_b128 v[84:87], off, off offset:256
	s_wait_dscnt 0x0
	v_fmac_f64_e32 v[114:115], v[88:89], v[110:111]
	s_wait_loadcnt 0x4
	v_fmac_f64_e32 v[114:115], v[90:91], v[112:113]
	scratch_load_b128 v[88:91], off, off offset:272
	ds_load_2addr_b64 v[106:109], v2 offset0:65 offset1:66
	ds_load_2addr_b64 v[110:113], v2 offset0:67 offset1:68
	s_wait_dscnt 0x1
	v_fmac_f64_e32 v[114:115], v[92:93], v[106:107]
	s_wait_loadcnt 0x4
	s_delay_alu instid0(VALU_DEP_1)
	v_fmac_f64_e32 v[114:115], v[94:95], v[108:109]
	scratch_load_b128 v[92:95], off, off offset:288
	s_wait_dscnt 0x0
	v_fmac_f64_e32 v[114:115], v[96:97], v[110:111]
	scratch_load_b64 v[110:111], off, off offset:304
	s_wait_loadcnt 0x5
	v_fmac_f64_e32 v[114:115], v[98:99], v[112:113]
	ds_load_2addr_b64 v[96:99], v2 offset0:69 offset1:70
	ds_load_2addr_b64 v[106:109], v2 offset0:71 offset1:72
	s_wait_dscnt 0x1
	v_fmac_f64_e32 v[114:115], v[100:101], v[96:97]
	s_wait_loadcnt 0x4
	s_delay_alu instid0(VALU_DEP_1)
	v_fmac_f64_e32 v[114:115], v[102:103], v[98:99]
	ds_load_2addr_b64 v[96:99], v2 offset0:73 offset1:74
	ds_load_2addr_b64 v[100:103], v2 offset0:75 offset1:76
	s_wait_dscnt 0x2
	v_fmac_f64_e32 v[114:115], v[104:105], v[106:107]
	s_wait_loadcnt 0x3
	s_delay_alu instid0(VALU_DEP_1) | instskip(SKIP_1) | instid1(VALU_DEP_1)
	v_fmac_f64_e32 v[114:115], v[84:85], v[108:109]
	s_wait_dscnt 0x1
	v_fmac_f64_e32 v[114:115], v[86:87], v[96:97]
	ds_load_2addr_b64 v[84:87], v2 offset0:77 offset1:78
	s_wait_loadcnt 0x2
	v_fmac_f64_e32 v[114:115], v[88:89], v[98:99]
	s_wait_dscnt 0x1
	s_delay_alu instid0(VALU_DEP_1) | instskip(SKIP_1) | instid1(VALU_DEP_1)
	v_fmac_f64_e32 v[114:115], v[90:91], v[100:101]
	s_wait_loadcnt 0x1
	v_fmac_f64_e32 v[114:115], v[92:93], v[102:103]
	s_wait_dscnt 0x0
	s_delay_alu instid0(VALU_DEP_1) | instskip(SKIP_1) | instid1(VALU_DEP_1)
	v_fmac_f64_e32 v[114:115], v[94:95], v[84:85]
	s_wait_loadcnt 0x0
	v_fmac_f64_e32 v[114:115], v[110:111], v[86:87]
	s_delay_alu instid0(VALU_DEP_1)
	v_add_f64_e64 v[2:3], v[82:83], -v[114:115]
	scratch_store_b64 off, v[2:3], off offset:160
	s_wait_xcnt 0x0
	v_cmpx_lt_u32_e32 19, v0
	s_cbranch_execz .LBB38_205
; %bb.204:
	scratch_load_b64 v[2:3], off, off offset:152
	v_mov_b64_e32 v[82:83], 0
	scratch_store_b64 off, v[82:83], off offset:152
	s_wait_loadcnt 0x0
	ds_store_b64 v1, v[2:3]
.LBB38_205:
	s_wait_xcnt 0x0
	s_or_b32 exec_lo, exec_lo, s0
	s_wait_storecnt_dscnt 0x0
	s_barrier_signal -1
	s_barrier_wait -1
	s_clause 0x5
	scratch_load_b128 v[82:85], off, off offset:152
	scratch_load_b128 v[86:89], off, off offset:168
	;; [unrolled: 1-line block ×6, first 2 shown]
	v_mov_b32_e32 v2, 0
	ds_load_b128 v[106:109], v2 offset:480
	ds_load_b128 v[110:113], v2 offset:496
	s_mov_b32 s0, exec_lo
	s_wait_loadcnt_dscnt 0x501
	v_fma_f64 v[114:115], v[84:85], v[106:107], 0
	s_wait_loadcnt 0x4
	s_delay_alu instid0(VALU_DEP_1) | instskip(SKIP_4) | instid1(VALU_DEP_1)
	v_fmac_f64_e32 v[114:115], v[86:87], v[108:109]
	scratch_load_b128 v[84:87], off, off offset:248
	s_wait_dscnt 0x0
	v_fmac_f64_e32 v[114:115], v[88:89], v[110:111]
	s_wait_loadcnt 0x4
	v_fmac_f64_e32 v[114:115], v[90:91], v[112:113]
	scratch_load_b128 v[88:91], off, off offset:264
	ds_load_b128 v[106:109], v2 offset:512
	ds_load_b128 v[110:113], v2 offset:528
	s_wait_dscnt 0x1
	v_fmac_f64_e32 v[114:115], v[92:93], v[106:107]
	s_wait_loadcnt 0x4
	s_delay_alu instid0(VALU_DEP_1) | instskip(SKIP_4) | instid1(VALU_DEP_1)
	v_fmac_f64_e32 v[114:115], v[94:95], v[108:109]
	scratch_load_b128 v[92:95], off, off offset:280
	s_wait_dscnt 0x0
	v_fmac_f64_e32 v[114:115], v[96:97], v[110:111]
	s_wait_loadcnt 0x4
	v_fmac_f64_e32 v[114:115], v[98:99], v[112:113]
	scratch_load_b128 v[96:99], off, off offset:296
	ds_load_b128 v[106:109], v2 offset:544
	ds_load_b128 v[110:113], v2 offset:560
	s_wait_dscnt 0x1
	v_fmac_f64_e32 v[114:115], v[100:101], v[106:107]
	s_wait_loadcnt 0x4
	s_delay_alu instid0(VALU_DEP_1) | instskip(SKIP_1) | instid1(VALU_DEP_1)
	v_fmac_f64_e32 v[114:115], v[102:103], v[108:109]
	s_wait_dscnt 0x0
	v_fmac_f64_e32 v[114:115], v[104:105], v[110:111]
	ds_load_b128 v[100:103], v2 offset:576
	ds_load_b128 v[104:107], v2 offset:592
	s_wait_loadcnt 0x3
	v_fmac_f64_e32 v[114:115], v[84:85], v[112:113]
	s_wait_dscnt 0x1
	s_delay_alu instid0(VALU_DEP_1) | instskip(SKIP_1) | instid1(VALU_DEP_1)
	v_fmac_f64_e32 v[114:115], v[86:87], v[100:101]
	s_wait_loadcnt 0x2
	v_fmac_f64_e32 v[114:115], v[88:89], v[102:103]
	ds_load_b128 v[84:87], v2 offset:608
	ds_load_b64 v[88:89], v2 offset:624
	s_wait_dscnt 0x2
	v_fmac_f64_e32 v[114:115], v[90:91], v[104:105]
	s_wait_loadcnt 0x1
	s_delay_alu instid0(VALU_DEP_1) | instskip(SKIP_1) | instid1(VALU_DEP_1)
	v_fmac_f64_e32 v[114:115], v[92:93], v[106:107]
	s_wait_dscnt 0x1
	v_fmac_f64_e32 v[114:115], v[94:95], v[84:85]
	s_wait_loadcnt 0x0
	s_delay_alu instid0(VALU_DEP_1) | instskip(SKIP_1) | instid1(VALU_DEP_1)
	v_fmac_f64_e32 v[114:115], v[96:97], v[86:87]
	s_wait_dscnt 0x0
	v_fmac_f64_e32 v[114:115], v[98:99], v[88:89]
	s_delay_alu instid0(VALU_DEP_1)
	v_add_f64_e64 v[82:83], v[82:83], -v[114:115]
	scratch_store_b64 off, v[82:83], off offset:152
	s_wait_xcnt 0x0
	v_cmpx_lt_u32_e32 18, v0
	s_cbranch_execz .LBB38_207
; %bb.206:
	scratch_load_b64 v[82:83], off, off offset:144
	v_mov_b64_e32 v[84:85], 0
	scratch_store_b64 off, v[84:85], off offset:144
	s_wait_loadcnt 0x0
	ds_store_b64 v1, v[82:83]
.LBB38_207:
	s_wait_xcnt 0x0
	s_or_b32 exec_lo, exec_lo, s0
	s_wait_storecnt_dscnt 0x0
	s_barrier_signal -1
	s_barrier_wait -1
	s_clause 0x5
	scratch_load_b128 v[82:85], off, off offset:144
	scratch_load_b128 v[86:89], off, off offset:160
	;; [unrolled: 1-line block ×6, first 2 shown]
	ds_load_2addr_b64 v[106:109], v2 offset0:59 offset1:60
	ds_load_2addr_b64 v[110:113], v2 offset0:61 offset1:62
	s_mov_b32 s0, exec_lo
	s_wait_loadcnt_dscnt 0x501
	v_fma_f64 v[114:115], v[84:85], v[106:107], 0
	s_wait_loadcnt 0x4
	s_delay_alu instid0(VALU_DEP_1) | instskip(SKIP_4) | instid1(VALU_DEP_1)
	v_fmac_f64_e32 v[114:115], v[86:87], v[108:109]
	scratch_load_b128 v[84:87], off, off offset:240
	s_wait_dscnt 0x0
	v_fmac_f64_e32 v[114:115], v[88:89], v[110:111]
	s_wait_loadcnt 0x4
	v_fmac_f64_e32 v[114:115], v[90:91], v[112:113]
	scratch_load_b128 v[88:91], off, off offset:256
	ds_load_2addr_b64 v[106:109], v2 offset0:63 offset1:64
	ds_load_2addr_b64 v[110:113], v2 offset0:65 offset1:66
	s_wait_dscnt 0x1
	v_fmac_f64_e32 v[114:115], v[92:93], v[106:107]
	s_wait_loadcnt 0x4
	s_delay_alu instid0(VALU_DEP_1) | instskip(SKIP_4) | instid1(VALU_DEP_1)
	v_fmac_f64_e32 v[114:115], v[94:95], v[108:109]
	scratch_load_b128 v[92:95], off, off offset:272
	s_wait_dscnt 0x0
	v_fmac_f64_e32 v[114:115], v[96:97], v[110:111]
	s_wait_loadcnt 0x4
	v_fmac_f64_e32 v[114:115], v[98:99], v[112:113]
	scratch_load_b128 v[96:99], off, off offset:288
	ds_load_2addr_b64 v[106:109], v2 offset0:67 offset1:68
	ds_load_2addr_b64 v[110:113], v2 offset0:69 offset1:70
	s_wait_dscnt 0x1
	v_fmac_f64_e32 v[114:115], v[100:101], v[106:107]
	s_wait_loadcnt 0x4
	s_delay_alu instid0(VALU_DEP_1)
	v_fmac_f64_e32 v[114:115], v[102:103], v[108:109]
	scratch_load_b64 v[108:109], off, off offset:304
	s_wait_dscnt 0x0
	v_fmac_f64_e32 v[114:115], v[104:105], v[110:111]
	ds_load_2addr_b64 v[100:103], v2 offset0:71 offset1:72
	ds_load_2addr_b64 v[104:107], v2 offset0:73 offset1:74
	s_wait_loadcnt 0x4
	v_fmac_f64_e32 v[114:115], v[84:85], v[112:113]
	s_wait_dscnt 0x1
	s_delay_alu instid0(VALU_DEP_1) | instskip(SKIP_1) | instid1(VALU_DEP_1)
	v_fmac_f64_e32 v[114:115], v[86:87], v[100:101]
	s_wait_loadcnt 0x3
	v_fmac_f64_e32 v[114:115], v[88:89], v[102:103]
	s_wait_dscnt 0x0
	s_delay_alu instid0(VALU_DEP_1)
	v_fmac_f64_e32 v[114:115], v[90:91], v[104:105]
	ds_load_2addr_b64 v[84:87], v2 offset0:75 offset1:76
	ds_load_2addr_b64 v[88:91], v2 offset0:77 offset1:78
	s_wait_loadcnt 0x2
	v_fmac_f64_e32 v[114:115], v[92:93], v[106:107]
	s_wait_dscnt 0x1
	s_delay_alu instid0(VALU_DEP_1) | instskip(SKIP_1) | instid1(VALU_DEP_1)
	v_fmac_f64_e32 v[114:115], v[94:95], v[84:85]
	s_wait_loadcnt 0x1
	v_fmac_f64_e32 v[114:115], v[96:97], v[86:87]
	s_wait_dscnt 0x0
	s_delay_alu instid0(VALU_DEP_1) | instskip(SKIP_1) | instid1(VALU_DEP_1)
	v_fmac_f64_e32 v[114:115], v[98:99], v[88:89]
	s_wait_loadcnt 0x0
	v_fmac_f64_e32 v[114:115], v[108:109], v[90:91]
	s_delay_alu instid0(VALU_DEP_1)
	v_add_f64_e64 v[2:3], v[82:83], -v[114:115]
	scratch_store_b64 off, v[2:3], off offset:144
	s_wait_xcnt 0x0
	v_cmpx_lt_u32_e32 17, v0
	s_cbranch_execz .LBB38_209
; %bb.208:
	scratch_load_b64 v[2:3], off, off offset:136
	v_mov_b64_e32 v[82:83], 0
	scratch_store_b64 off, v[82:83], off offset:136
	s_wait_loadcnt 0x0
	ds_store_b64 v1, v[2:3]
.LBB38_209:
	s_wait_xcnt 0x0
	s_or_b32 exec_lo, exec_lo, s0
	s_wait_storecnt_dscnt 0x0
	s_barrier_signal -1
	s_barrier_wait -1
	s_clause 0x5
	scratch_load_b128 v[82:85], off, off offset:136
	scratch_load_b128 v[86:89], off, off offset:152
	;; [unrolled: 1-line block ×6, first 2 shown]
	v_mov_b32_e32 v2, 0
	ds_load_b128 v[106:109], v2 offset:464
	ds_load_b128 v[110:113], v2 offset:480
	s_mov_b32 s0, exec_lo
	s_wait_loadcnt_dscnt 0x501
	v_fma_f64 v[114:115], v[84:85], v[106:107], 0
	s_wait_loadcnt 0x4
	s_delay_alu instid0(VALU_DEP_1) | instskip(SKIP_4) | instid1(VALU_DEP_1)
	v_fmac_f64_e32 v[114:115], v[86:87], v[108:109]
	scratch_load_b128 v[84:87], off, off offset:232
	s_wait_dscnt 0x0
	v_fmac_f64_e32 v[114:115], v[88:89], v[110:111]
	s_wait_loadcnt 0x4
	v_fmac_f64_e32 v[114:115], v[90:91], v[112:113]
	scratch_load_b128 v[88:91], off, off offset:248
	ds_load_b128 v[106:109], v2 offset:496
	ds_load_b128 v[110:113], v2 offset:512
	s_wait_dscnt 0x1
	v_fmac_f64_e32 v[114:115], v[92:93], v[106:107]
	s_wait_loadcnt 0x4
	s_delay_alu instid0(VALU_DEP_1) | instskip(SKIP_4) | instid1(VALU_DEP_1)
	v_fmac_f64_e32 v[114:115], v[94:95], v[108:109]
	scratch_load_b128 v[92:95], off, off offset:264
	s_wait_dscnt 0x0
	v_fmac_f64_e32 v[114:115], v[96:97], v[110:111]
	s_wait_loadcnt 0x4
	v_fmac_f64_e32 v[114:115], v[98:99], v[112:113]
	scratch_load_b128 v[96:99], off, off offset:280
	ds_load_b128 v[106:109], v2 offset:528
	ds_load_b128 v[110:113], v2 offset:544
	s_wait_dscnt 0x1
	v_fmac_f64_e32 v[114:115], v[100:101], v[106:107]
	s_wait_loadcnt 0x4
	s_delay_alu instid0(VALU_DEP_1)
	v_fmac_f64_e32 v[114:115], v[102:103], v[108:109]
	scratch_load_b128 v[100:103], off, off offset:296
	s_wait_dscnt 0x0
	v_fmac_f64_e32 v[114:115], v[104:105], v[110:111]
	ds_load_b128 v[104:107], v2 offset:560
	ds_load_b128 v[108:111], v2 offset:576
	s_wait_loadcnt 0x4
	v_fmac_f64_e32 v[114:115], v[84:85], v[112:113]
	s_wait_dscnt 0x1
	s_delay_alu instid0(VALU_DEP_1) | instskip(SKIP_1) | instid1(VALU_DEP_1)
	v_fmac_f64_e32 v[114:115], v[86:87], v[104:105]
	s_wait_loadcnt 0x3
	v_fmac_f64_e32 v[114:115], v[88:89], v[106:107]
	s_wait_dscnt 0x0
	s_delay_alu instid0(VALU_DEP_1)
	v_fmac_f64_e32 v[114:115], v[90:91], v[108:109]
	ds_load_b128 v[84:87], v2 offset:592
	ds_load_b128 v[88:91], v2 offset:608
	s_wait_loadcnt 0x2
	v_fmac_f64_e32 v[114:115], v[92:93], v[110:111]
	s_wait_dscnt 0x1
	s_delay_alu instid0(VALU_DEP_1) | instskip(SKIP_4) | instid1(VALU_DEP_1)
	v_fmac_f64_e32 v[114:115], v[94:95], v[84:85]
	ds_load_b64 v[84:85], v2 offset:624
	s_wait_loadcnt 0x1
	v_fmac_f64_e32 v[114:115], v[96:97], v[86:87]
	s_wait_dscnt 0x1
	v_fmac_f64_e32 v[114:115], v[98:99], v[88:89]
	s_wait_loadcnt 0x0
	s_delay_alu instid0(VALU_DEP_1) | instskip(SKIP_1) | instid1(VALU_DEP_1)
	v_fmac_f64_e32 v[114:115], v[100:101], v[90:91]
	s_wait_dscnt 0x0
	v_fmac_f64_e32 v[114:115], v[102:103], v[84:85]
	s_delay_alu instid0(VALU_DEP_1)
	v_add_f64_e64 v[82:83], v[82:83], -v[114:115]
	scratch_store_b64 off, v[82:83], off offset:136
	s_wait_xcnt 0x0
	v_cmpx_lt_u32_e32 16, v0
	s_cbranch_execz .LBB38_211
; %bb.210:
	scratch_load_b64 v[82:83], off, off offset:128
	v_mov_b64_e32 v[84:85], 0
	scratch_store_b64 off, v[84:85], off offset:128
	s_wait_loadcnt 0x0
	ds_store_b64 v1, v[82:83]
.LBB38_211:
	s_wait_xcnt 0x0
	s_or_b32 exec_lo, exec_lo, s0
	s_wait_storecnt_dscnt 0x0
	s_barrier_signal -1
	s_barrier_wait -1
	s_clause 0x5
	scratch_load_b128 v[82:85], off, off offset:128
	scratch_load_b128 v[86:89], off, off offset:144
	;; [unrolled: 1-line block ×6, first 2 shown]
	ds_load_2addr_b64 v[106:109], v2 offset0:57 offset1:58
	ds_load_2addr_b64 v[110:113], v2 offset0:59 offset1:60
	scratch_load_b128 v[114:117], off, off offset:224
	s_mov_b32 s0, exec_lo
	s_wait_loadcnt_dscnt 0x601
	v_fma_f64 v[118:119], v[84:85], v[106:107], 0
	s_wait_loadcnt 0x5
	s_delay_alu instid0(VALU_DEP_1) | instskip(SKIP_4) | instid1(VALU_DEP_1)
	v_fmac_f64_e32 v[118:119], v[86:87], v[108:109]
	scratch_load_b128 v[84:87], off, off offset:240
	s_wait_dscnt 0x0
	v_fmac_f64_e32 v[118:119], v[88:89], v[110:111]
	s_wait_loadcnt 0x5
	v_fmac_f64_e32 v[118:119], v[90:91], v[112:113]
	ds_load_2addr_b64 v[88:91], v2 offset0:61 offset1:62
	ds_load_2addr_b64 v[106:109], v2 offset0:63 offset1:64
	s_wait_dscnt 0x1
	v_fmac_f64_e32 v[118:119], v[92:93], v[88:89]
	s_wait_loadcnt 0x4
	s_delay_alu instid0(VALU_DEP_1)
	v_fmac_f64_e32 v[118:119], v[94:95], v[90:91]
	s_clause 0x1
	scratch_load_b128 v[88:91], off, off offset:256
	scratch_load_b128 v[92:95], off, off offset:272
	s_wait_dscnt 0x0
	v_fmac_f64_e32 v[118:119], v[96:97], v[106:107]
	s_wait_loadcnt 0x5
	s_delay_alu instid0(VALU_DEP_1)
	v_fmac_f64_e32 v[118:119], v[98:99], v[108:109]
	ds_load_2addr_b64 v[96:99], v2 offset0:65 offset1:66
	ds_load_2addr_b64 v[106:109], v2 offset0:67 offset1:68
	s_wait_dscnt 0x1
	v_fmac_f64_e32 v[118:119], v[100:101], v[96:97]
	s_wait_loadcnt 0x4
	s_delay_alu instid0(VALU_DEP_1) | instskip(SKIP_4) | instid1(VALU_DEP_1)
	v_fmac_f64_e32 v[118:119], v[102:103], v[98:99]
	scratch_load_b128 v[96:99], off, off offset:288
	s_wait_dscnt 0x0
	v_fmac_f64_e32 v[118:119], v[104:105], v[106:107]
	s_wait_loadcnt 0x4
	v_fmac_f64_e32 v[118:119], v[114:115], v[108:109]
	scratch_load_b64 v[108:109], off, off offset:304
	ds_load_2addr_b64 v[100:103], v2 offset0:69 offset1:70
	ds_load_2addr_b64 v[104:107], v2 offset0:71 offset1:72
	s_wait_dscnt 0x1
	v_fmac_f64_e32 v[118:119], v[116:117], v[100:101]
	s_wait_loadcnt 0x4
	s_delay_alu instid0(VALU_DEP_1) | instskip(SKIP_1) | instid1(VALU_DEP_1)
	v_fmac_f64_e32 v[118:119], v[84:85], v[102:103]
	s_wait_dscnt 0x0
	v_fmac_f64_e32 v[118:119], v[86:87], v[104:105]
	ds_load_2addr_b64 v[84:87], v2 offset0:73 offset1:74
	ds_load_2addr_b64 v[100:103], v2 offset0:75 offset1:76
	s_wait_loadcnt 0x3
	v_fmac_f64_e32 v[118:119], v[88:89], v[106:107]
	s_wait_dscnt 0x1
	s_delay_alu instid0(VALU_DEP_1) | instskip(SKIP_1) | instid1(VALU_DEP_1)
	v_fmac_f64_e32 v[118:119], v[90:91], v[84:85]
	s_wait_loadcnt 0x2
	v_fmac_f64_e32 v[118:119], v[92:93], v[86:87]
	ds_load_2addr_b64 v[84:87], v2 offset0:77 offset1:78
	s_wait_dscnt 0x1
	v_fmac_f64_e32 v[118:119], v[94:95], v[100:101]
	s_wait_loadcnt 0x1
	s_delay_alu instid0(VALU_DEP_1) | instskip(SKIP_1) | instid1(VALU_DEP_1)
	v_fmac_f64_e32 v[118:119], v[96:97], v[102:103]
	s_wait_dscnt 0x0
	v_fmac_f64_e32 v[118:119], v[98:99], v[84:85]
	s_wait_loadcnt 0x0
	s_delay_alu instid0(VALU_DEP_1) | instskip(NEXT) | instid1(VALU_DEP_1)
	v_fmac_f64_e32 v[118:119], v[108:109], v[86:87]
	v_add_f64_e64 v[2:3], v[82:83], -v[118:119]
	scratch_store_b64 off, v[2:3], off offset:128
	s_wait_xcnt 0x0
	v_cmpx_lt_u32_e32 15, v0
	s_cbranch_execz .LBB38_213
; %bb.212:
	scratch_load_b64 v[2:3], off, off offset:120
	v_mov_b64_e32 v[82:83], 0
	scratch_store_b64 off, v[82:83], off offset:120
	s_wait_loadcnt 0x0
	ds_store_b64 v1, v[2:3]
.LBB38_213:
	s_wait_xcnt 0x0
	s_or_b32 exec_lo, exec_lo, s0
	s_wait_storecnt_dscnt 0x0
	s_barrier_signal -1
	s_barrier_wait -1
	s_clause 0x5
	scratch_load_b128 v[82:85], off, off offset:120
	scratch_load_b128 v[86:89], off, off offset:136
	;; [unrolled: 1-line block ×6, first 2 shown]
	v_mov_b32_e32 v2, 0
	ds_load_b128 v[106:109], v2 offset:448
	ds_load_b128 v[110:113], v2 offset:464
	scratch_load_b128 v[114:117], off, off offset:216
	s_mov_b32 s0, exec_lo
	s_wait_loadcnt_dscnt 0x601
	v_fma_f64 v[118:119], v[84:85], v[106:107], 0
	s_wait_loadcnt 0x5
	s_delay_alu instid0(VALU_DEP_1) | instskip(SKIP_4) | instid1(VALU_DEP_1)
	v_fmac_f64_e32 v[118:119], v[86:87], v[108:109]
	scratch_load_b128 v[84:87], off, off offset:232
	s_wait_dscnt 0x0
	v_fmac_f64_e32 v[118:119], v[88:89], v[110:111]
	s_wait_loadcnt 0x5
	v_fmac_f64_e32 v[118:119], v[90:91], v[112:113]
	ds_load_b128 v[88:91], v2 offset:480
	ds_load_b128 v[106:109], v2 offset:496
	s_wait_dscnt 0x1
	v_fmac_f64_e32 v[118:119], v[92:93], v[88:89]
	s_wait_loadcnt 0x4
	s_delay_alu instid0(VALU_DEP_1)
	v_fmac_f64_e32 v[118:119], v[94:95], v[90:91]
	s_clause 0x1
	scratch_load_b128 v[88:91], off, off offset:248
	scratch_load_b128 v[92:95], off, off offset:264
	s_wait_dscnt 0x0
	v_fmac_f64_e32 v[118:119], v[96:97], v[106:107]
	s_wait_loadcnt 0x5
	s_delay_alu instid0(VALU_DEP_1)
	v_fmac_f64_e32 v[118:119], v[98:99], v[108:109]
	ds_load_b128 v[96:99], v2 offset:512
	ds_load_b128 v[106:109], v2 offset:528
	s_wait_dscnt 0x1
	v_fmac_f64_e32 v[118:119], v[100:101], v[96:97]
	s_wait_loadcnt 0x4
	s_delay_alu instid0(VALU_DEP_1)
	v_fmac_f64_e32 v[118:119], v[102:103], v[98:99]
	s_clause 0x1
	scratch_load_b128 v[96:99], off, off offset:280
	scratch_load_b128 v[100:103], off, off offset:296
	s_wait_dscnt 0x0
	v_fmac_f64_e32 v[118:119], v[104:105], v[106:107]
	s_wait_loadcnt 0x5
	s_delay_alu instid0(VALU_DEP_1)
	v_fmac_f64_e32 v[118:119], v[114:115], v[108:109]
	ds_load_b128 v[104:107], v2 offset:544
	ds_load_b128 v[108:111], v2 offset:560
	s_wait_dscnt 0x1
	v_fmac_f64_e32 v[118:119], v[116:117], v[104:105]
	s_wait_loadcnt 0x4
	s_delay_alu instid0(VALU_DEP_1) | instskip(SKIP_1) | instid1(VALU_DEP_1)
	v_fmac_f64_e32 v[118:119], v[84:85], v[106:107]
	s_wait_dscnt 0x0
	v_fmac_f64_e32 v[118:119], v[86:87], v[108:109]
	ds_load_b128 v[84:87], v2 offset:576
	ds_load_b128 v[104:107], v2 offset:592
	s_wait_loadcnt 0x3
	v_fmac_f64_e32 v[118:119], v[88:89], v[110:111]
	s_wait_dscnt 0x1
	s_delay_alu instid0(VALU_DEP_1) | instskip(SKIP_1) | instid1(VALU_DEP_1)
	v_fmac_f64_e32 v[118:119], v[90:91], v[84:85]
	s_wait_loadcnt 0x2
	v_fmac_f64_e32 v[118:119], v[92:93], v[86:87]
	ds_load_b128 v[84:87], v2 offset:608
	ds_load_b64 v[88:89], v2 offset:624
	s_wait_dscnt 0x2
	v_fmac_f64_e32 v[118:119], v[94:95], v[104:105]
	s_wait_loadcnt 0x1
	s_delay_alu instid0(VALU_DEP_1) | instskip(SKIP_1) | instid1(VALU_DEP_1)
	v_fmac_f64_e32 v[118:119], v[96:97], v[106:107]
	s_wait_dscnt 0x1
	v_fmac_f64_e32 v[118:119], v[98:99], v[84:85]
	s_wait_loadcnt 0x0
	s_delay_alu instid0(VALU_DEP_1) | instskip(SKIP_1) | instid1(VALU_DEP_1)
	v_fmac_f64_e32 v[118:119], v[100:101], v[86:87]
	s_wait_dscnt 0x0
	v_fmac_f64_e32 v[118:119], v[102:103], v[88:89]
	s_delay_alu instid0(VALU_DEP_1)
	v_add_f64_e64 v[82:83], v[82:83], -v[118:119]
	scratch_store_b64 off, v[82:83], off offset:120
	s_wait_xcnt 0x0
	v_cmpx_lt_u32_e32 14, v0
	s_cbranch_execz .LBB38_215
; %bb.214:
	scratch_load_b64 v[82:83], off, off offset:112
	v_mov_b64_e32 v[84:85], 0
	scratch_store_b64 off, v[84:85], off offset:112
	s_wait_loadcnt 0x0
	ds_store_b64 v1, v[82:83]
.LBB38_215:
	s_wait_xcnt 0x0
	s_or_b32 exec_lo, exec_lo, s0
	s_wait_storecnt_dscnt 0x0
	s_barrier_signal -1
	s_barrier_wait -1
	s_clause 0x5
	scratch_load_b128 v[82:85], off, off offset:112
	scratch_load_b128 v[86:89], off, off offset:128
	;; [unrolled: 1-line block ×6, first 2 shown]
	ds_load_2addr_b64 v[106:109], v2 offset0:55 offset1:56
	ds_load_2addr_b64 v[110:113], v2 offset0:57 offset1:58
	scratch_load_b128 v[114:117], off, off offset:208
	s_mov_b32 s0, exec_lo
	s_wait_loadcnt_dscnt 0x601
	v_fma_f64 v[118:119], v[84:85], v[106:107], 0
	s_wait_loadcnt 0x5
	s_delay_alu instid0(VALU_DEP_1) | instskip(SKIP_4) | instid1(VALU_DEP_1)
	v_fmac_f64_e32 v[118:119], v[86:87], v[108:109]
	scratch_load_b128 v[84:87], off, off offset:224
	s_wait_dscnt 0x0
	v_fmac_f64_e32 v[118:119], v[88:89], v[110:111]
	s_wait_loadcnt 0x5
	v_fmac_f64_e32 v[118:119], v[90:91], v[112:113]
	ds_load_2addr_b64 v[88:91], v2 offset0:59 offset1:60
	ds_load_2addr_b64 v[106:109], v2 offset0:61 offset1:62
	s_wait_dscnt 0x1
	v_fmac_f64_e32 v[118:119], v[92:93], v[88:89]
	s_wait_loadcnt 0x4
	s_delay_alu instid0(VALU_DEP_1)
	v_fmac_f64_e32 v[118:119], v[94:95], v[90:91]
	s_clause 0x1
	scratch_load_b128 v[88:91], off, off offset:240
	scratch_load_b128 v[92:95], off, off offset:256
	s_wait_dscnt 0x0
	v_fmac_f64_e32 v[118:119], v[96:97], v[106:107]
	s_wait_loadcnt 0x5
	s_delay_alu instid0(VALU_DEP_1)
	v_fmac_f64_e32 v[118:119], v[98:99], v[108:109]
	ds_load_2addr_b64 v[96:99], v2 offset0:63 offset1:64
	ds_load_2addr_b64 v[106:109], v2 offset0:65 offset1:66
	s_wait_dscnt 0x1
	v_fmac_f64_e32 v[118:119], v[100:101], v[96:97]
	s_wait_loadcnt 0x4
	s_delay_alu instid0(VALU_DEP_1)
	v_fmac_f64_e32 v[118:119], v[102:103], v[98:99]
	s_clause 0x1
	scratch_load_b128 v[96:99], off, off offset:272
	scratch_load_b128 v[100:103], off, off offset:288
	s_wait_dscnt 0x0
	v_fmac_f64_e32 v[118:119], v[104:105], v[106:107]
	s_wait_loadcnt 0x5
	s_delay_alu instid0(VALU_DEP_1)
	v_fmac_f64_e32 v[118:119], v[114:115], v[108:109]
	ds_load_2addr_b64 v[104:107], v2 offset0:67 offset1:68
	ds_load_2addr_b64 v[108:111], v2 offset0:69 offset1:70
	scratch_load_b64 v[112:113], off, off offset:304
	s_wait_dscnt 0x1
	v_fmac_f64_e32 v[118:119], v[116:117], v[104:105]
	s_wait_loadcnt 0x5
	s_delay_alu instid0(VALU_DEP_1) | instskip(SKIP_1) | instid1(VALU_DEP_1)
	v_fmac_f64_e32 v[118:119], v[84:85], v[106:107]
	s_wait_dscnt 0x0
	v_fmac_f64_e32 v[118:119], v[86:87], v[108:109]
	ds_load_2addr_b64 v[84:87], v2 offset0:71 offset1:72
	ds_load_2addr_b64 v[104:107], v2 offset0:73 offset1:74
	s_wait_loadcnt 0x4
	v_fmac_f64_e32 v[118:119], v[88:89], v[110:111]
	s_wait_dscnt 0x1
	s_delay_alu instid0(VALU_DEP_1) | instskip(SKIP_1) | instid1(VALU_DEP_1)
	v_fmac_f64_e32 v[118:119], v[90:91], v[84:85]
	s_wait_loadcnt 0x3
	v_fmac_f64_e32 v[118:119], v[92:93], v[86:87]
	ds_load_2addr_b64 v[84:87], v2 offset0:75 offset1:76
	ds_load_2addr_b64 v[88:91], v2 offset0:77 offset1:78
	s_wait_dscnt 0x2
	v_fmac_f64_e32 v[118:119], v[94:95], v[104:105]
	s_wait_loadcnt 0x2
	s_delay_alu instid0(VALU_DEP_1) | instskip(SKIP_1) | instid1(VALU_DEP_1)
	v_fmac_f64_e32 v[118:119], v[96:97], v[106:107]
	s_wait_dscnt 0x1
	v_fmac_f64_e32 v[118:119], v[98:99], v[84:85]
	s_wait_loadcnt 0x1
	s_delay_alu instid0(VALU_DEP_1) | instskip(SKIP_1) | instid1(VALU_DEP_1)
	v_fmac_f64_e32 v[118:119], v[100:101], v[86:87]
	s_wait_dscnt 0x0
	v_fmac_f64_e32 v[118:119], v[102:103], v[88:89]
	s_wait_loadcnt 0x0
	s_delay_alu instid0(VALU_DEP_1) | instskip(NEXT) | instid1(VALU_DEP_1)
	v_fmac_f64_e32 v[118:119], v[112:113], v[90:91]
	v_add_f64_e64 v[2:3], v[82:83], -v[118:119]
	scratch_store_b64 off, v[2:3], off offset:112
	s_wait_xcnt 0x0
	v_cmpx_lt_u32_e32 13, v0
	s_cbranch_execz .LBB38_217
; %bb.216:
	scratch_load_b64 v[2:3], off, off offset:104
	v_mov_b64_e32 v[82:83], 0
	scratch_store_b64 off, v[82:83], off offset:104
	s_wait_loadcnt 0x0
	ds_store_b64 v1, v[2:3]
.LBB38_217:
	s_wait_xcnt 0x0
	s_or_b32 exec_lo, exec_lo, s0
	s_wait_storecnt_dscnt 0x0
	s_barrier_signal -1
	s_barrier_wait -1
	s_clause 0x5
	scratch_load_b128 v[82:85], off, off offset:104
	scratch_load_b128 v[86:89], off, off offset:120
	;; [unrolled: 1-line block ×6, first 2 shown]
	v_mov_b32_e32 v2, 0
	ds_load_b128 v[106:109], v2 offset:432
	ds_load_b128 v[110:113], v2 offset:448
	scratch_load_b128 v[114:117], off, off offset:200
	s_mov_b32 s0, exec_lo
	s_wait_loadcnt_dscnt 0x601
	v_fma_f64 v[118:119], v[84:85], v[106:107], 0
	s_wait_loadcnt 0x5
	s_delay_alu instid0(VALU_DEP_1) | instskip(SKIP_4) | instid1(VALU_DEP_1)
	v_fmac_f64_e32 v[118:119], v[86:87], v[108:109]
	scratch_load_b128 v[84:87], off, off offset:216
	s_wait_dscnt 0x0
	v_fmac_f64_e32 v[118:119], v[88:89], v[110:111]
	s_wait_loadcnt 0x5
	v_fmac_f64_e32 v[118:119], v[90:91], v[112:113]
	ds_load_b128 v[88:91], v2 offset:464
	ds_load_b128 v[106:109], v2 offset:480
	s_wait_dscnt 0x1
	v_fmac_f64_e32 v[118:119], v[92:93], v[88:89]
	s_wait_loadcnt 0x4
	s_delay_alu instid0(VALU_DEP_1)
	v_fmac_f64_e32 v[118:119], v[94:95], v[90:91]
	s_clause 0x1
	scratch_load_b128 v[88:91], off, off offset:232
	scratch_load_b128 v[92:95], off, off offset:248
	s_wait_dscnt 0x0
	v_fmac_f64_e32 v[118:119], v[96:97], v[106:107]
	s_wait_loadcnt 0x5
	s_delay_alu instid0(VALU_DEP_1)
	v_fmac_f64_e32 v[118:119], v[98:99], v[108:109]
	ds_load_b128 v[96:99], v2 offset:496
	ds_load_b128 v[106:109], v2 offset:512
	s_wait_dscnt 0x1
	v_fmac_f64_e32 v[118:119], v[100:101], v[96:97]
	s_wait_loadcnt 0x4
	s_delay_alu instid0(VALU_DEP_1)
	v_fmac_f64_e32 v[118:119], v[102:103], v[98:99]
	s_clause 0x1
	scratch_load_b128 v[96:99], off, off offset:264
	scratch_load_b128 v[100:103], off, off offset:280
	s_wait_dscnt 0x0
	v_fmac_f64_e32 v[118:119], v[104:105], v[106:107]
	s_wait_loadcnt 0x5
	s_delay_alu instid0(VALU_DEP_1)
	v_fmac_f64_e32 v[118:119], v[114:115], v[108:109]
	ds_load_b128 v[104:107], v2 offset:528
	ds_load_b128 v[108:111], v2 offset:544
	s_wait_dscnt 0x1
	v_fmac_f64_e32 v[118:119], v[116:117], v[104:105]
	s_wait_loadcnt 0x4
	s_delay_alu instid0(VALU_DEP_1) | instskip(SKIP_4) | instid1(VALU_DEP_1)
	v_fmac_f64_e32 v[118:119], v[84:85], v[106:107]
	scratch_load_b128 v[104:107], off, off offset:296
	s_wait_dscnt 0x0
	v_fmac_f64_e32 v[118:119], v[86:87], v[108:109]
	s_wait_loadcnt 0x4
	v_fmac_f64_e32 v[118:119], v[88:89], v[110:111]
	ds_load_b128 v[84:87], v2 offset:560
	ds_load_b128 v[108:111], v2 offset:576
	s_wait_dscnt 0x1
	v_fmac_f64_e32 v[118:119], v[90:91], v[84:85]
	s_wait_loadcnt 0x3
	s_delay_alu instid0(VALU_DEP_1)
	v_fmac_f64_e32 v[118:119], v[92:93], v[86:87]
	ds_load_b128 v[84:87], v2 offset:592
	ds_load_b128 v[88:91], v2 offset:608
	s_wait_dscnt 0x2
	v_fmac_f64_e32 v[118:119], v[94:95], v[108:109]
	s_wait_loadcnt 0x2
	s_delay_alu instid0(VALU_DEP_1) | instskip(SKIP_1) | instid1(VALU_DEP_1)
	v_fmac_f64_e32 v[118:119], v[96:97], v[110:111]
	s_wait_dscnt 0x1
	v_fmac_f64_e32 v[118:119], v[98:99], v[84:85]
	ds_load_b64 v[84:85], v2 offset:624
	s_wait_loadcnt 0x1
	v_fmac_f64_e32 v[118:119], v[100:101], v[86:87]
	s_wait_dscnt 0x1
	s_delay_alu instid0(VALU_DEP_1) | instskip(SKIP_1) | instid1(VALU_DEP_1)
	v_fmac_f64_e32 v[118:119], v[102:103], v[88:89]
	s_wait_loadcnt 0x0
	v_fmac_f64_e32 v[118:119], v[104:105], v[90:91]
	s_wait_dscnt 0x0
	s_delay_alu instid0(VALU_DEP_1) | instskip(NEXT) | instid1(VALU_DEP_1)
	v_fmac_f64_e32 v[118:119], v[106:107], v[84:85]
	v_add_f64_e64 v[82:83], v[82:83], -v[118:119]
	scratch_store_b64 off, v[82:83], off offset:104
	s_wait_xcnt 0x0
	v_cmpx_lt_u32_e32 12, v0
	s_cbranch_execz .LBB38_219
; %bb.218:
	scratch_load_b64 v[82:83], off, off offset:96
	v_mov_b64_e32 v[84:85], 0
	scratch_store_b64 off, v[84:85], off offset:96
	s_wait_loadcnt 0x0
	ds_store_b64 v1, v[82:83]
.LBB38_219:
	s_wait_xcnt 0x0
	s_or_b32 exec_lo, exec_lo, s0
	s_wait_storecnt_dscnt 0x0
	s_barrier_signal -1
	s_barrier_wait -1
	s_clause 0x5
	scratch_load_b128 v[82:85], off, off offset:96
	scratch_load_b128 v[86:89], off, off offset:112
	;; [unrolled: 1-line block ×6, first 2 shown]
	ds_load_2addr_b64 v[106:109], v2 offset0:53 offset1:54
	ds_load_2addr_b64 v[110:113], v2 offset0:55 offset1:56
	scratch_load_b128 v[114:117], off, off offset:192
	s_mov_b32 s0, exec_lo
	s_wait_loadcnt_dscnt 0x601
	v_fma_f64 v[118:119], v[84:85], v[106:107], 0
	s_wait_loadcnt 0x5
	s_delay_alu instid0(VALU_DEP_1) | instskip(SKIP_4) | instid1(VALU_DEP_1)
	v_fmac_f64_e32 v[118:119], v[86:87], v[108:109]
	scratch_load_b128 v[84:87], off, off offset:208
	s_wait_dscnt 0x0
	v_fmac_f64_e32 v[118:119], v[88:89], v[110:111]
	s_wait_loadcnt 0x5
	v_fmac_f64_e32 v[118:119], v[90:91], v[112:113]
	ds_load_2addr_b64 v[88:91], v2 offset0:57 offset1:58
	ds_load_2addr_b64 v[106:109], v2 offset0:59 offset1:60
	scratch_load_b128 v[110:113], off, off offset:224
	s_wait_dscnt 0x1
	v_fmac_f64_e32 v[118:119], v[92:93], v[88:89]
	s_wait_loadcnt 0x5
	s_delay_alu instid0(VALU_DEP_1) | instskip(SKIP_4) | instid1(VALU_DEP_1)
	v_fmac_f64_e32 v[118:119], v[94:95], v[90:91]
	scratch_load_b128 v[88:91], off, off offset:240
	s_wait_dscnt 0x0
	v_fmac_f64_e32 v[118:119], v[96:97], v[106:107]
	s_wait_loadcnt 0x5
	v_fmac_f64_e32 v[118:119], v[98:99], v[108:109]
	ds_load_2addr_b64 v[92:95], v2 offset0:61 offset1:62
	ds_load_2addr_b64 v[96:99], v2 offset0:63 offset1:64
	s_wait_dscnt 0x1
	v_fmac_f64_e32 v[118:119], v[100:101], v[92:93]
	s_wait_loadcnt 0x4
	s_delay_alu instid0(VALU_DEP_1) | instskip(SKIP_4) | instid1(VALU_DEP_1)
	v_fmac_f64_e32 v[118:119], v[102:103], v[94:95]
	scratch_load_b128 v[92:95], off, off offset:256
	s_wait_dscnt 0x0
	v_fmac_f64_e32 v[118:119], v[104:105], v[96:97]
	s_wait_loadcnt 0x4
	v_fmac_f64_e32 v[118:119], v[114:115], v[98:99]
	scratch_load_b128 v[96:99], off, off offset:272
	ds_load_2addr_b64 v[100:103], v2 offset0:65 offset1:66
	ds_load_2addr_b64 v[104:107], v2 offset0:67 offset1:68
	scratch_load_b64 v[108:109], off, off offset:304
	s_wait_dscnt 0x1
	v_fmac_f64_e32 v[118:119], v[116:117], v[100:101]
	s_wait_loadcnt 0x5
	s_delay_alu instid0(VALU_DEP_1) | instskip(SKIP_4) | instid1(VALU_DEP_1)
	v_fmac_f64_e32 v[118:119], v[84:85], v[102:103]
	scratch_load_b128 v[100:103], off, off offset:288
	s_wait_dscnt 0x0
	v_fmac_f64_e32 v[118:119], v[86:87], v[104:105]
	s_wait_loadcnt 0x5
	v_fmac_f64_e32 v[118:119], v[110:111], v[106:107]
	ds_load_2addr_b64 v[84:87], v2 offset0:69 offset1:70
	ds_load_2addr_b64 v[104:107], v2 offset0:71 offset1:72
	s_wait_dscnt 0x1
	v_fmac_f64_e32 v[118:119], v[112:113], v[84:85]
	s_wait_loadcnt 0x4
	s_delay_alu instid0(VALU_DEP_1) | instskip(SKIP_1) | instid1(VALU_DEP_1)
	v_fmac_f64_e32 v[118:119], v[88:89], v[86:87]
	s_wait_dscnt 0x0
	v_fmac_f64_e32 v[118:119], v[90:91], v[104:105]
	ds_load_2addr_b64 v[84:87], v2 offset0:73 offset1:74
	ds_load_2addr_b64 v[88:91], v2 offset0:75 offset1:76
	s_wait_loadcnt 0x3
	v_fmac_f64_e32 v[118:119], v[92:93], v[106:107]
	s_wait_dscnt 0x1
	s_delay_alu instid0(VALU_DEP_1) | instskip(SKIP_1) | instid1(VALU_DEP_1)
	v_fmac_f64_e32 v[118:119], v[94:95], v[84:85]
	s_wait_loadcnt 0x2
	v_fmac_f64_e32 v[118:119], v[96:97], v[86:87]
	ds_load_2addr_b64 v[84:87], v2 offset0:77 offset1:78
	s_wait_dscnt 0x1
	v_fmac_f64_e32 v[118:119], v[98:99], v[88:89]
	s_wait_loadcnt 0x0
	s_delay_alu instid0(VALU_DEP_1) | instskip(SKIP_1) | instid1(VALU_DEP_1)
	v_fmac_f64_e32 v[118:119], v[100:101], v[90:91]
	s_wait_dscnt 0x0
	v_fmac_f64_e32 v[118:119], v[102:103], v[84:85]
	s_delay_alu instid0(VALU_DEP_1) | instskip(NEXT) | instid1(VALU_DEP_1)
	v_fmac_f64_e32 v[118:119], v[108:109], v[86:87]
	v_add_f64_e64 v[2:3], v[82:83], -v[118:119]
	scratch_store_b64 off, v[2:3], off offset:96
	s_wait_xcnt 0x0
	v_cmpx_lt_u32_e32 11, v0
	s_cbranch_execz .LBB38_221
; %bb.220:
	scratch_load_b64 v[2:3], off, off offset:88
	v_mov_b64_e32 v[82:83], 0
	scratch_store_b64 off, v[82:83], off offset:88
	s_wait_loadcnt 0x0
	ds_store_b64 v1, v[2:3]
.LBB38_221:
	s_wait_xcnt 0x0
	s_or_b32 exec_lo, exec_lo, s0
	s_wait_storecnt_dscnt 0x0
	s_barrier_signal -1
	s_barrier_wait -1
	s_clause 0x5
	scratch_load_b128 v[82:85], off, off offset:88
	scratch_load_b128 v[86:89], off, off offset:104
	;; [unrolled: 1-line block ×6, first 2 shown]
	v_mov_b32_e32 v2, 0
	ds_load_b128 v[106:109], v2 offset:416
	ds_load_b128 v[110:113], v2 offset:432
	scratch_load_b128 v[114:117], off, off offset:184
	s_mov_b32 s0, exec_lo
	s_wait_loadcnt_dscnt 0x601
	v_fma_f64 v[118:119], v[84:85], v[106:107], 0
	s_wait_loadcnt 0x5
	s_delay_alu instid0(VALU_DEP_1) | instskip(SKIP_4) | instid1(VALU_DEP_1)
	v_fmac_f64_e32 v[118:119], v[86:87], v[108:109]
	scratch_load_b128 v[84:87], off, off offset:200
	s_wait_dscnt 0x0
	v_fmac_f64_e32 v[118:119], v[88:89], v[110:111]
	s_wait_loadcnt 0x5
	v_fmac_f64_e32 v[118:119], v[90:91], v[112:113]
	ds_load_b128 v[88:91], v2 offset:448
	ds_load_b128 v[106:109], v2 offset:464
	scratch_load_b128 v[110:113], off, off offset:216
	s_wait_dscnt 0x1
	v_fmac_f64_e32 v[118:119], v[92:93], v[88:89]
	s_wait_loadcnt 0x5
	s_delay_alu instid0(VALU_DEP_1) | instskip(SKIP_4) | instid1(VALU_DEP_1)
	v_fmac_f64_e32 v[118:119], v[94:95], v[90:91]
	scratch_load_b128 v[88:91], off, off offset:232
	s_wait_dscnt 0x0
	v_fmac_f64_e32 v[118:119], v[96:97], v[106:107]
	s_wait_loadcnt 0x5
	v_fmac_f64_e32 v[118:119], v[98:99], v[108:109]
	ds_load_b128 v[92:95], v2 offset:480
	ds_load_b128 v[96:99], v2 offset:496
	s_wait_dscnt 0x1
	v_fmac_f64_e32 v[118:119], v[100:101], v[92:93]
	s_wait_loadcnt 0x4
	s_delay_alu instid0(VALU_DEP_1) | instskip(SKIP_4) | instid1(VALU_DEP_1)
	v_fmac_f64_e32 v[118:119], v[102:103], v[94:95]
	scratch_load_b128 v[92:95], off, off offset:248
	s_wait_dscnt 0x0
	v_fmac_f64_e32 v[118:119], v[104:105], v[96:97]
	s_wait_loadcnt 0x4
	v_fmac_f64_e32 v[118:119], v[114:115], v[98:99]
	scratch_load_b128 v[96:99], off, off offset:264
	ds_load_b128 v[100:103], v2 offset:512
	ds_load_b128 v[104:107], v2 offset:528
	s_wait_dscnt 0x1
	v_fmac_f64_e32 v[118:119], v[116:117], v[100:101]
	s_wait_loadcnt 0x4
	s_delay_alu instid0(VALU_DEP_1)
	v_fmac_f64_e32 v[118:119], v[84:85], v[102:103]
	scratch_load_b128 v[100:103], off, off offset:280
	s_wait_dscnt 0x0
	v_fmac_f64_e32 v[118:119], v[86:87], v[104:105]
	scratch_load_b128 v[84:87], off, off offset:296
	s_wait_loadcnt 0x5
	v_fmac_f64_e32 v[118:119], v[110:111], v[106:107]
	ds_load_b128 v[104:107], v2 offset:544
	ds_load_b128 v[108:111], v2 offset:560
	s_wait_dscnt 0x1
	v_fmac_f64_e32 v[118:119], v[112:113], v[104:105]
	s_wait_loadcnt 0x4
	s_delay_alu instid0(VALU_DEP_1) | instskip(SKIP_1) | instid1(VALU_DEP_1)
	v_fmac_f64_e32 v[118:119], v[88:89], v[106:107]
	s_wait_dscnt 0x0
	v_fmac_f64_e32 v[118:119], v[90:91], v[108:109]
	ds_load_b128 v[88:91], v2 offset:576
	ds_load_b128 v[104:107], v2 offset:592
	s_wait_loadcnt 0x3
	v_fmac_f64_e32 v[118:119], v[92:93], v[110:111]
	s_wait_dscnt 0x1
	s_delay_alu instid0(VALU_DEP_1) | instskip(SKIP_1) | instid1(VALU_DEP_1)
	v_fmac_f64_e32 v[118:119], v[94:95], v[88:89]
	s_wait_loadcnt 0x2
	v_fmac_f64_e32 v[118:119], v[96:97], v[90:91]
	ds_load_b128 v[88:91], v2 offset:608
	ds_load_b64 v[92:93], v2 offset:624
	s_wait_dscnt 0x2
	v_fmac_f64_e32 v[118:119], v[98:99], v[104:105]
	s_wait_loadcnt 0x1
	s_delay_alu instid0(VALU_DEP_1) | instskip(SKIP_1) | instid1(VALU_DEP_1)
	v_fmac_f64_e32 v[118:119], v[100:101], v[106:107]
	s_wait_dscnt 0x1
	v_fmac_f64_e32 v[118:119], v[102:103], v[88:89]
	s_wait_loadcnt 0x0
	s_delay_alu instid0(VALU_DEP_1) | instskip(SKIP_1) | instid1(VALU_DEP_1)
	v_fmac_f64_e32 v[118:119], v[84:85], v[90:91]
	s_wait_dscnt 0x0
	v_fmac_f64_e32 v[118:119], v[86:87], v[92:93]
	s_delay_alu instid0(VALU_DEP_1)
	v_add_f64_e64 v[82:83], v[82:83], -v[118:119]
	scratch_store_b64 off, v[82:83], off offset:88
	s_wait_xcnt 0x0
	v_cmpx_lt_u32_e32 10, v0
	s_cbranch_execz .LBB38_223
; %bb.222:
	scratch_load_b64 v[82:83], off, off offset:80
	v_mov_b64_e32 v[84:85], 0
	scratch_store_b64 off, v[84:85], off offset:80
	s_wait_loadcnt 0x0
	ds_store_b64 v1, v[82:83]
.LBB38_223:
	s_wait_xcnt 0x0
	s_or_b32 exec_lo, exec_lo, s0
	s_wait_storecnt_dscnt 0x0
	s_barrier_signal -1
	s_barrier_wait -1
	s_clause 0x5
	scratch_load_b128 v[82:85], off, off offset:80
	scratch_load_b128 v[86:89], off, off offset:96
	;; [unrolled: 1-line block ×6, first 2 shown]
	ds_load_2addr_b64 v[106:109], v2 offset0:51 offset1:52
	ds_load_2addr_b64 v[110:113], v2 offset0:53 offset1:54
	scratch_load_b128 v[114:117], off, off offset:176
	s_mov_b32 s0, exec_lo
	s_wait_loadcnt_dscnt 0x601
	v_fma_f64 v[118:119], v[84:85], v[106:107], 0
	s_wait_loadcnt 0x5
	s_delay_alu instid0(VALU_DEP_1) | instskip(SKIP_4) | instid1(VALU_DEP_1)
	v_fmac_f64_e32 v[118:119], v[86:87], v[108:109]
	scratch_load_b128 v[84:87], off, off offset:192
	s_wait_dscnt 0x0
	v_fmac_f64_e32 v[118:119], v[88:89], v[110:111]
	s_wait_loadcnt 0x5
	v_fmac_f64_e32 v[118:119], v[90:91], v[112:113]
	ds_load_2addr_b64 v[88:91], v2 offset0:55 offset1:56
	ds_load_2addr_b64 v[106:109], v2 offset0:57 offset1:58
	scratch_load_b128 v[110:113], off, off offset:208
	s_wait_dscnt 0x1
	v_fmac_f64_e32 v[118:119], v[92:93], v[88:89]
	s_wait_loadcnt 0x5
	s_delay_alu instid0(VALU_DEP_1) | instskip(SKIP_4) | instid1(VALU_DEP_1)
	v_fmac_f64_e32 v[118:119], v[94:95], v[90:91]
	scratch_load_b128 v[88:91], off, off offset:224
	s_wait_dscnt 0x0
	v_fmac_f64_e32 v[118:119], v[96:97], v[106:107]
	s_wait_loadcnt 0x5
	v_fmac_f64_e32 v[118:119], v[98:99], v[108:109]
	ds_load_2addr_b64 v[92:95], v2 offset0:59 offset1:60
	ds_load_2addr_b64 v[96:99], v2 offset0:61 offset1:62
	s_wait_dscnt 0x1
	v_fmac_f64_e32 v[118:119], v[100:101], v[92:93]
	s_wait_loadcnt 0x4
	s_delay_alu instid0(VALU_DEP_1) | instskip(SKIP_4) | instid1(VALU_DEP_1)
	v_fmac_f64_e32 v[118:119], v[102:103], v[94:95]
	scratch_load_b128 v[92:95], off, off offset:240
	s_wait_dscnt 0x0
	v_fmac_f64_e32 v[118:119], v[104:105], v[96:97]
	s_wait_loadcnt 0x4
	v_fmac_f64_e32 v[118:119], v[114:115], v[98:99]
	scratch_load_b128 v[96:99], off, off offset:256
	ds_load_2addr_b64 v[100:103], v2 offset0:63 offset1:64
	ds_load_2addr_b64 v[104:107], v2 offset0:65 offset1:66
	s_wait_dscnt 0x1
	v_fmac_f64_e32 v[118:119], v[116:117], v[100:101]
	s_wait_loadcnt 0x4
	s_delay_alu instid0(VALU_DEP_1)
	v_fmac_f64_e32 v[118:119], v[84:85], v[102:103]
	scratch_load_b128 v[100:103], off, off offset:272
	s_wait_dscnt 0x0
	v_fmac_f64_e32 v[118:119], v[86:87], v[104:105]
	scratch_load_b128 v[84:87], off, off offset:288
	s_wait_loadcnt 0x5
	v_fmac_f64_e32 v[118:119], v[110:111], v[106:107]
	ds_load_2addr_b64 v[104:107], v2 offset0:67 offset1:68
	ds_load_2addr_b64 v[108:111], v2 offset0:69 offset1:70
	s_wait_dscnt 0x1
	v_fmac_f64_e32 v[118:119], v[112:113], v[104:105]
	scratch_load_b64 v[112:113], off, off offset:304
	s_wait_loadcnt 0x5
	v_fmac_f64_e32 v[118:119], v[88:89], v[106:107]
	s_wait_dscnt 0x0
	s_delay_alu instid0(VALU_DEP_1)
	v_fmac_f64_e32 v[118:119], v[90:91], v[108:109]
	ds_load_2addr_b64 v[88:91], v2 offset0:71 offset1:72
	ds_load_2addr_b64 v[104:107], v2 offset0:73 offset1:74
	s_wait_loadcnt 0x4
	v_fmac_f64_e32 v[118:119], v[92:93], v[110:111]
	s_wait_dscnt 0x1
	s_delay_alu instid0(VALU_DEP_1) | instskip(SKIP_1) | instid1(VALU_DEP_1)
	v_fmac_f64_e32 v[118:119], v[94:95], v[88:89]
	s_wait_loadcnt 0x3
	v_fmac_f64_e32 v[118:119], v[96:97], v[90:91]
	ds_load_2addr_b64 v[88:91], v2 offset0:75 offset1:76
	ds_load_2addr_b64 v[92:95], v2 offset0:77 offset1:78
	s_wait_dscnt 0x2
	v_fmac_f64_e32 v[118:119], v[98:99], v[104:105]
	s_wait_loadcnt 0x2
	s_delay_alu instid0(VALU_DEP_1) | instskip(SKIP_1) | instid1(VALU_DEP_1)
	v_fmac_f64_e32 v[118:119], v[100:101], v[106:107]
	s_wait_dscnt 0x1
	v_fmac_f64_e32 v[118:119], v[102:103], v[88:89]
	s_wait_loadcnt 0x1
	s_delay_alu instid0(VALU_DEP_1) | instskip(SKIP_1) | instid1(VALU_DEP_1)
	v_fmac_f64_e32 v[118:119], v[84:85], v[90:91]
	s_wait_dscnt 0x0
	v_fmac_f64_e32 v[118:119], v[86:87], v[92:93]
	s_wait_loadcnt 0x0
	s_delay_alu instid0(VALU_DEP_1) | instskip(NEXT) | instid1(VALU_DEP_1)
	v_fmac_f64_e32 v[118:119], v[112:113], v[94:95]
	v_add_f64_e64 v[2:3], v[82:83], -v[118:119]
	scratch_store_b64 off, v[2:3], off offset:80
	s_wait_xcnt 0x0
	v_cmpx_lt_u32_e32 9, v0
	s_cbranch_execz .LBB38_225
; %bb.224:
	scratch_load_b64 v[2:3], off, off offset:72
	v_mov_b64_e32 v[82:83], 0
	scratch_store_b64 off, v[82:83], off offset:72
	s_wait_loadcnt 0x0
	ds_store_b64 v1, v[2:3]
.LBB38_225:
	s_wait_xcnt 0x0
	s_or_b32 exec_lo, exec_lo, s0
	s_wait_storecnt_dscnt 0x0
	s_barrier_signal -1
	s_barrier_wait -1
	s_clause 0x5
	scratch_load_b128 v[82:85], off, off offset:72
	scratch_load_b128 v[86:89], off, off offset:88
	;; [unrolled: 1-line block ×6, first 2 shown]
	v_mov_b32_e32 v2, 0
	ds_load_b128 v[106:109], v2 offset:400
	ds_load_b128 v[110:113], v2 offset:416
	scratch_load_b128 v[114:117], off, off offset:168
	s_mov_b32 s0, exec_lo
	s_wait_loadcnt_dscnt 0x601
	v_fma_f64 v[118:119], v[84:85], v[106:107], 0
	s_wait_loadcnt 0x5
	s_delay_alu instid0(VALU_DEP_1) | instskip(SKIP_4) | instid1(VALU_DEP_1)
	v_fmac_f64_e32 v[118:119], v[86:87], v[108:109]
	scratch_load_b128 v[84:87], off, off offset:184
	s_wait_dscnt 0x0
	v_fmac_f64_e32 v[118:119], v[88:89], v[110:111]
	s_wait_loadcnt 0x5
	v_fmac_f64_e32 v[118:119], v[90:91], v[112:113]
	ds_load_b128 v[88:91], v2 offset:432
	ds_load_b128 v[106:109], v2 offset:448
	scratch_load_b128 v[110:113], off, off offset:200
	s_wait_dscnt 0x1
	v_fmac_f64_e32 v[118:119], v[92:93], v[88:89]
	s_wait_loadcnt 0x5
	s_delay_alu instid0(VALU_DEP_1) | instskip(SKIP_4) | instid1(VALU_DEP_1)
	v_fmac_f64_e32 v[118:119], v[94:95], v[90:91]
	scratch_load_b128 v[88:91], off, off offset:216
	s_wait_dscnt 0x0
	v_fmac_f64_e32 v[118:119], v[96:97], v[106:107]
	s_wait_loadcnt 0x5
	v_fmac_f64_e32 v[118:119], v[98:99], v[108:109]
	ds_load_b128 v[92:95], v2 offset:464
	ds_load_b128 v[96:99], v2 offset:480
	s_wait_dscnt 0x1
	v_fmac_f64_e32 v[118:119], v[100:101], v[92:93]
	s_wait_loadcnt 0x4
	s_delay_alu instid0(VALU_DEP_1) | instskip(SKIP_4) | instid1(VALU_DEP_1)
	v_fmac_f64_e32 v[118:119], v[102:103], v[94:95]
	scratch_load_b128 v[92:95], off, off offset:232
	s_wait_dscnt 0x0
	v_fmac_f64_e32 v[118:119], v[104:105], v[96:97]
	s_wait_loadcnt 0x4
	v_fmac_f64_e32 v[118:119], v[114:115], v[98:99]
	scratch_load_b128 v[96:99], off, off offset:248
	ds_load_b128 v[100:103], v2 offset:496
	ds_load_b128 v[104:107], v2 offset:512
	s_wait_dscnt 0x1
	v_fmac_f64_e32 v[118:119], v[116:117], v[100:101]
	s_wait_loadcnt 0x4
	s_delay_alu instid0(VALU_DEP_1)
	v_fmac_f64_e32 v[118:119], v[84:85], v[102:103]
	scratch_load_b128 v[100:103], off, off offset:264
	s_wait_dscnt 0x0
	v_fmac_f64_e32 v[118:119], v[86:87], v[104:105]
	scratch_load_b128 v[84:87], off, off offset:280
	s_wait_loadcnt 0x5
	v_fmac_f64_e32 v[118:119], v[110:111], v[106:107]
	ds_load_b128 v[104:107], v2 offset:528
	ds_load_b128 v[108:111], v2 offset:544
	s_wait_dscnt 0x1
	v_fmac_f64_e32 v[118:119], v[112:113], v[104:105]
	s_wait_loadcnt 0x4
	s_delay_alu instid0(VALU_DEP_1) | instskip(SKIP_4) | instid1(VALU_DEP_1)
	v_fmac_f64_e32 v[118:119], v[88:89], v[106:107]
	scratch_load_b128 v[104:107], off, off offset:296
	s_wait_dscnt 0x0
	v_fmac_f64_e32 v[118:119], v[90:91], v[108:109]
	s_wait_loadcnt 0x4
	v_fmac_f64_e32 v[118:119], v[92:93], v[110:111]
	ds_load_b128 v[88:91], v2 offset:560
	ds_load_b128 v[108:111], v2 offset:576
	s_wait_dscnt 0x1
	v_fmac_f64_e32 v[118:119], v[94:95], v[88:89]
	s_wait_loadcnt 0x3
	s_delay_alu instid0(VALU_DEP_1)
	v_fmac_f64_e32 v[118:119], v[96:97], v[90:91]
	ds_load_b128 v[88:91], v2 offset:592
	ds_load_b128 v[92:95], v2 offset:608
	s_wait_dscnt 0x2
	v_fmac_f64_e32 v[118:119], v[98:99], v[108:109]
	s_wait_loadcnt 0x2
	s_delay_alu instid0(VALU_DEP_1) | instskip(SKIP_1) | instid1(VALU_DEP_1)
	v_fmac_f64_e32 v[118:119], v[100:101], v[110:111]
	s_wait_dscnt 0x1
	v_fmac_f64_e32 v[118:119], v[102:103], v[88:89]
	s_wait_loadcnt 0x1
	s_delay_alu instid0(VALU_DEP_1) | instskip(SKIP_4) | instid1(VALU_DEP_1)
	v_fmac_f64_e32 v[118:119], v[84:85], v[90:91]
	ds_load_b64 v[84:85], v2 offset:624
	s_wait_dscnt 0x1
	v_fmac_f64_e32 v[118:119], v[86:87], v[92:93]
	s_wait_loadcnt 0x0
	v_fmac_f64_e32 v[118:119], v[104:105], v[94:95]
	s_wait_dscnt 0x0
	s_delay_alu instid0(VALU_DEP_1) | instskip(NEXT) | instid1(VALU_DEP_1)
	v_fmac_f64_e32 v[118:119], v[106:107], v[84:85]
	v_add_f64_e64 v[82:83], v[82:83], -v[118:119]
	scratch_store_b64 off, v[82:83], off offset:72
	s_wait_xcnt 0x0
	v_cmpx_lt_u32_e32 8, v0
	s_cbranch_execz .LBB38_227
; %bb.226:
	scratch_load_b64 v[82:83], off, off offset:64
	v_mov_b64_e32 v[84:85], 0
	scratch_store_b64 off, v[84:85], off offset:64
	s_wait_loadcnt 0x0
	ds_store_b64 v1, v[82:83]
.LBB38_227:
	s_wait_xcnt 0x0
	s_or_b32 exec_lo, exec_lo, s0
	s_wait_storecnt_dscnt 0x0
	s_barrier_signal -1
	s_barrier_wait -1
	s_clause 0x5
	scratch_load_b128 v[82:85], off, off offset:64
	scratch_load_b128 v[86:89], off, off offset:80
	;; [unrolled: 1-line block ×6, first 2 shown]
	ds_load_2addr_b64 v[106:109], v2 offset0:49 offset1:50
	ds_load_2addr_b64 v[110:113], v2 offset0:51 offset1:52
	scratch_load_b128 v[114:117], off, off offset:160
	s_mov_b32 s0, exec_lo
	s_wait_loadcnt_dscnt 0x601
	v_fma_f64 v[118:119], v[84:85], v[106:107], 0
	s_wait_loadcnt 0x5
	s_delay_alu instid0(VALU_DEP_1) | instskip(SKIP_4) | instid1(VALU_DEP_1)
	v_fmac_f64_e32 v[118:119], v[86:87], v[108:109]
	scratch_load_b128 v[84:87], off, off offset:176
	s_wait_dscnt 0x0
	v_fmac_f64_e32 v[118:119], v[88:89], v[110:111]
	s_wait_loadcnt 0x5
	v_fmac_f64_e32 v[118:119], v[90:91], v[112:113]
	ds_load_2addr_b64 v[88:91], v2 offset0:53 offset1:54
	ds_load_2addr_b64 v[106:109], v2 offset0:55 offset1:56
	scratch_load_b128 v[110:113], off, off offset:192
	s_wait_dscnt 0x1
	v_fmac_f64_e32 v[118:119], v[92:93], v[88:89]
	s_wait_loadcnt 0x5
	s_delay_alu instid0(VALU_DEP_1) | instskip(SKIP_4) | instid1(VALU_DEP_1)
	v_fmac_f64_e32 v[118:119], v[94:95], v[90:91]
	scratch_load_b128 v[88:91], off, off offset:208
	s_wait_dscnt 0x0
	v_fmac_f64_e32 v[118:119], v[96:97], v[106:107]
	s_wait_loadcnt 0x5
	v_fmac_f64_e32 v[118:119], v[98:99], v[108:109]
	ds_load_2addr_b64 v[92:95], v2 offset0:57 offset1:58
	ds_load_2addr_b64 v[96:99], v2 offset0:59 offset1:60
	scratch_load_b128 v[106:109], off, off offset:224
	s_wait_dscnt 0x1
	v_fmac_f64_e32 v[118:119], v[100:101], v[92:93]
	s_wait_loadcnt 0x5
	s_delay_alu instid0(VALU_DEP_1) | instskip(SKIP_4) | instid1(VALU_DEP_1)
	v_fmac_f64_e32 v[118:119], v[102:103], v[94:95]
	scratch_load_b128 v[92:95], off, off offset:240
	s_wait_dscnt 0x0
	v_fmac_f64_e32 v[118:119], v[104:105], v[96:97]
	s_wait_loadcnt 0x5
	v_fmac_f64_e32 v[118:119], v[114:115], v[98:99]
	ds_load_2addr_b64 v[96:99], v2 offset0:61 offset1:62
	ds_load_2addr_b64 v[100:103], v2 offset0:63 offset1:64
	s_wait_dscnt 0x1
	v_fmac_f64_e32 v[118:119], v[116:117], v[96:97]
	s_wait_loadcnt 0x4
	s_delay_alu instid0(VALU_DEP_1)
	v_fmac_f64_e32 v[118:119], v[84:85], v[98:99]
	scratch_load_b128 v[96:99], off, off offset:256
	s_wait_dscnt 0x0
	v_fmac_f64_e32 v[118:119], v[86:87], v[100:101]
	scratch_load_b128 v[84:87], off, off offset:272
	s_wait_loadcnt 0x5
	v_fmac_f64_e32 v[118:119], v[110:111], v[102:103]
	ds_load_2addr_b64 v[100:103], v2 offset0:65 offset1:66
	ds_load_2addr_b64 v[114:117], v2 offset0:67 offset1:68
	scratch_load_b64 v[110:111], off, off offset:304
	s_wait_dscnt 0x1
	v_fmac_f64_e32 v[118:119], v[112:113], v[100:101]
	s_wait_loadcnt 0x5
	s_delay_alu instid0(VALU_DEP_1) | instskip(SKIP_4) | instid1(VALU_DEP_1)
	v_fmac_f64_e32 v[118:119], v[88:89], v[102:103]
	scratch_load_b128 v[100:103], off, off offset:288
	s_wait_dscnt 0x0
	v_fmac_f64_e32 v[118:119], v[90:91], v[114:115]
	s_wait_loadcnt 0x5
	v_fmac_f64_e32 v[118:119], v[106:107], v[116:117]
	ds_load_2addr_b64 v[88:91], v2 offset0:69 offset1:70
	ds_load_2addr_b64 v[104:107], v2 offset0:71 offset1:72
	s_wait_dscnt 0x1
	v_fmac_f64_e32 v[118:119], v[108:109], v[88:89]
	s_wait_loadcnt 0x4
	s_delay_alu instid0(VALU_DEP_1) | instskip(SKIP_1) | instid1(VALU_DEP_1)
	v_fmac_f64_e32 v[118:119], v[92:93], v[90:91]
	s_wait_dscnt 0x0
	v_fmac_f64_e32 v[118:119], v[94:95], v[104:105]
	ds_load_2addr_b64 v[88:91], v2 offset0:73 offset1:74
	ds_load_2addr_b64 v[92:95], v2 offset0:75 offset1:76
	s_wait_loadcnt 0x3
	v_fmac_f64_e32 v[118:119], v[96:97], v[106:107]
	s_wait_dscnt 0x1
	s_delay_alu instid0(VALU_DEP_1) | instskip(SKIP_1) | instid1(VALU_DEP_1)
	v_fmac_f64_e32 v[118:119], v[98:99], v[88:89]
	s_wait_loadcnt 0x2
	v_fmac_f64_e32 v[118:119], v[84:85], v[90:91]
	s_wait_dscnt 0x0
	s_delay_alu instid0(VALU_DEP_1) | instskip(SKIP_4) | instid1(VALU_DEP_1)
	v_fmac_f64_e32 v[118:119], v[86:87], v[92:93]
	ds_load_2addr_b64 v[84:87], v2 offset0:77 offset1:78
	s_wait_loadcnt 0x0
	v_fmac_f64_e32 v[118:119], v[100:101], v[94:95]
	s_wait_dscnt 0x0
	v_fmac_f64_e32 v[118:119], v[102:103], v[84:85]
	s_delay_alu instid0(VALU_DEP_1) | instskip(NEXT) | instid1(VALU_DEP_1)
	v_fmac_f64_e32 v[118:119], v[110:111], v[86:87]
	v_add_f64_e64 v[2:3], v[82:83], -v[118:119]
	scratch_store_b64 off, v[2:3], off offset:64
	s_wait_xcnt 0x0
	v_cmpx_lt_u32_e32 7, v0
	s_cbranch_execz .LBB38_229
; %bb.228:
	scratch_load_b64 v[2:3], off, off offset:56
	v_mov_b64_e32 v[82:83], 0
	scratch_store_b64 off, v[82:83], off offset:56
	s_wait_loadcnt 0x0
	ds_store_b64 v1, v[2:3]
.LBB38_229:
	s_wait_xcnt 0x0
	s_or_b32 exec_lo, exec_lo, s0
	s_wait_storecnt_dscnt 0x0
	s_barrier_signal -1
	s_barrier_wait -1
	s_clause 0x5
	scratch_load_b128 v[82:85], off, off offset:56
	scratch_load_b128 v[86:89], off, off offset:72
	;; [unrolled: 1-line block ×6, first 2 shown]
	v_mov_b32_e32 v2, 0
	ds_load_b128 v[106:109], v2 offset:384
	ds_load_b128 v[110:113], v2 offset:400
	scratch_load_b128 v[114:117], off, off offset:152
	s_mov_b32 s0, exec_lo
	s_wait_loadcnt_dscnt 0x601
	v_fma_f64 v[118:119], v[84:85], v[106:107], 0
	s_wait_loadcnt 0x5
	s_delay_alu instid0(VALU_DEP_1) | instskip(SKIP_4) | instid1(VALU_DEP_1)
	v_fmac_f64_e32 v[118:119], v[86:87], v[108:109]
	scratch_load_b128 v[84:87], off, off offset:168
	s_wait_dscnt 0x0
	v_fmac_f64_e32 v[118:119], v[88:89], v[110:111]
	s_wait_loadcnt 0x5
	v_fmac_f64_e32 v[118:119], v[90:91], v[112:113]
	ds_load_b128 v[88:91], v2 offset:416
	ds_load_b128 v[106:109], v2 offset:432
	scratch_load_b128 v[110:113], off, off offset:184
	s_wait_dscnt 0x1
	v_fmac_f64_e32 v[118:119], v[92:93], v[88:89]
	s_wait_loadcnt 0x5
	s_delay_alu instid0(VALU_DEP_1) | instskip(SKIP_4) | instid1(VALU_DEP_1)
	v_fmac_f64_e32 v[118:119], v[94:95], v[90:91]
	scratch_load_b128 v[88:91], off, off offset:200
	s_wait_dscnt 0x0
	v_fmac_f64_e32 v[118:119], v[96:97], v[106:107]
	s_wait_loadcnt 0x5
	v_fmac_f64_e32 v[118:119], v[98:99], v[108:109]
	ds_load_b128 v[92:95], v2 offset:448
	ds_load_b128 v[96:99], v2 offset:464
	scratch_load_b128 v[106:109], off, off offset:216
	s_wait_dscnt 0x1
	v_fmac_f64_e32 v[118:119], v[100:101], v[92:93]
	s_wait_loadcnt 0x5
	s_delay_alu instid0(VALU_DEP_1) | instskip(SKIP_4) | instid1(VALU_DEP_1)
	v_fmac_f64_e32 v[118:119], v[102:103], v[94:95]
	scratch_load_b128 v[92:95], off, off offset:232
	s_wait_dscnt 0x0
	v_fmac_f64_e32 v[118:119], v[104:105], v[96:97]
	s_wait_loadcnt 0x5
	v_fmac_f64_e32 v[118:119], v[114:115], v[98:99]
	ds_load_b128 v[96:99], v2 offset:480
	ds_load_b128 v[100:103], v2 offset:496
	s_wait_dscnt 0x1
	v_fmac_f64_e32 v[118:119], v[116:117], v[96:97]
	s_wait_loadcnt 0x4
	s_delay_alu instid0(VALU_DEP_1)
	v_fmac_f64_e32 v[118:119], v[84:85], v[98:99]
	scratch_load_b128 v[96:99], off, off offset:248
	s_wait_dscnt 0x0
	v_fmac_f64_e32 v[118:119], v[86:87], v[100:101]
	scratch_load_b128 v[84:87], off, off offset:264
	s_wait_loadcnt 0x5
	v_fmac_f64_e32 v[118:119], v[110:111], v[102:103]
	ds_load_b128 v[100:103], v2 offset:512
	ds_load_b128 v[114:117], v2 offset:528
	s_wait_dscnt 0x1
	v_fmac_f64_e32 v[118:119], v[112:113], v[100:101]
	s_wait_loadcnt 0x4
	s_delay_alu instid0(VALU_DEP_1)
	v_fmac_f64_e32 v[118:119], v[88:89], v[102:103]
	scratch_load_b128 v[100:103], off, off offset:280
	s_wait_dscnt 0x0
	v_fmac_f64_e32 v[118:119], v[90:91], v[114:115]
	scratch_load_b128 v[88:91], off, off offset:296
	s_wait_loadcnt 0x5
	v_fmac_f64_e32 v[118:119], v[106:107], v[116:117]
	ds_load_b128 v[104:107], v2 offset:544
	ds_load_b128 v[110:113], v2 offset:560
	s_wait_dscnt 0x1
	v_fmac_f64_e32 v[118:119], v[108:109], v[104:105]
	s_wait_loadcnt 0x4
	s_delay_alu instid0(VALU_DEP_1) | instskip(SKIP_1) | instid1(VALU_DEP_1)
	v_fmac_f64_e32 v[118:119], v[92:93], v[106:107]
	s_wait_dscnt 0x0
	v_fmac_f64_e32 v[118:119], v[94:95], v[110:111]
	ds_load_b128 v[92:95], v2 offset:576
	ds_load_b128 v[104:107], v2 offset:592
	s_wait_loadcnt 0x3
	v_fmac_f64_e32 v[118:119], v[96:97], v[112:113]
	s_wait_dscnt 0x1
	s_delay_alu instid0(VALU_DEP_1) | instskip(SKIP_1) | instid1(VALU_DEP_1)
	v_fmac_f64_e32 v[118:119], v[98:99], v[92:93]
	s_wait_loadcnt 0x2
	v_fmac_f64_e32 v[118:119], v[84:85], v[94:95]
	s_wait_dscnt 0x0
	s_delay_alu instid0(VALU_DEP_1)
	v_fmac_f64_e32 v[118:119], v[86:87], v[104:105]
	ds_load_b128 v[84:87], v2 offset:608
	ds_load_b64 v[92:93], v2 offset:624
	s_wait_loadcnt 0x1
	v_fmac_f64_e32 v[118:119], v[100:101], v[106:107]
	s_wait_dscnt 0x1
	s_delay_alu instid0(VALU_DEP_1) | instskip(SKIP_1) | instid1(VALU_DEP_1)
	v_fmac_f64_e32 v[118:119], v[102:103], v[84:85]
	s_wait_loadcnt 0x0
	v_fmac_f64_e32 v[118:119], v[88:89], v[86:87]
	s_wait_dscnt 0x0
	s_delay_alu instid0(VALU_DEP_1) | instskip(NEXT) | instid1(VALU_DEP_1)
	v_fmac_f64_e32 v[118:119], v[90:91], v[92:93]
	v_add_f64_e64 v[82:83], v[82:83], -v[118:119]
	scratch_store_b64 off, v[82:83], off offset:56
	s_wait_xcnt 0x0
	v_cmpx_lt_u32_e32 6, v0
	s_cbranch_execz .LBB38_231
; %bb.230:
	scratch_load_b64 v[82:83], off, off offset:48
	v_mov_b64_e32 v[84:85], 0
	scratch_store_b64 off, v[84:85], off offset:48
	s_wait_loadcnt 0x0
	ds_store_b64 v1, v[82:83]
.LBB38_231:
	s_wait_xcnt 0x0
	s_or_b32 exec_lo, exec_lo, s0
	s_wait_storecnt_dscnt 0x0
	s_barrier_signal -1
	s_barrier_wait -1
	s_clause 0x5
	scratch_load_b128 v[82:85], off, off offset:48
	scratch_load_b128 v[86:89], off, off offset:64
	;; [unrolled: 1-line block ×6, first 2 shown]
	ds_load_2addr_b64 v[106:109], v2 offset0:47 offset1:48
	ds_load_2addr_b64 v[110:113], v2 offset0:49 offset1:50
	scratch_load_b128 v[114:117], off, off offset:144
	s_mov_b32 s0, exec_lo
	s_wait_loadcnt_dscnt 0x601
	v_fma_f64 v[118:119], v[84:85], v[106:107], 0
	s_wait_loadcnt 0x5
	s_delay_alu instid0(VALU_DEP_1) | instskip(SKIP_4) | instid1(VALU_DEP_1)
	v_fmac_f64_e32 v[118:119], v[86:87], v[108:109]
	scratch_load_b128 v[84:87], off, off offset:160
	s_wait_dscnt 0x0
	v_fmac_f64_e32 v[118:119], v[88:89], v[110:111]
	s_wait_loadcnt 0x5
	v_fmac_f64_e32 v[118:119], v[90:91], v[112:113]
	ds_load_2addr_b64 v[88:91], v2 offset0:51 offset1:52
	ds_load_2addr_b64 v[106:109], v2 offset0:53 offset1:54
	scratch_load_b128 v[110:113], off, off offset:176
	s_wait_dscnt 0x1
	v_fmac_f64_e32 v[118:119], v[92:93], v[88:89]
	s_wait_loadcnt 0x5
	s_delay_alu instid0(VALU_DEP_1) | instskip(SKIP_4) | instid1(VALU_DEP_1)
	v_fmac_f64_e32 v[118:119], v[94:95], v[90:91]
	scratch_load_b128 v[88:91], off, off offset:192
	s_wait_dscnt 0x0
	v_fmac_f64_e32 v[118:119], v[96:97], v[106:107]
	s_wait_loadcnt 0x5
	v_fmac_f64_e32 v[118:119], v[98:99], v[108:109]
	ds_load_2addr_b64 v[92:95], v2 offset0:55 offset1:56
	ds_load_2addr_b64 v[96:99], v2 offset0:57 offset1:58
	scratch_load_b128 v[106:109], off, off offset:208
	s_wait_dscnt 0x1
	v_fmac_f64_e32 v[118:119], v[100:101], v[92:93]
	s_wait_loadcnt 0x5
	s_delay_alu instid0(VALU_DEP_1) | instskip(SKIP_4) | instid1(VALU_DEP_1)
	v_fmac_f64_e32 v[118:119], v[102:103], v[94:95]
	scratch_load_b128 v[92:95], off, off offset:224
	s_wait_dscnt 0x0
	v_fmac_f64_e32 v[118:119], v[104:105], v[96:97]
	s_wait_loadcnt 0x5
	v_fmac_f64_e32 v[118:119], v[114:115], v[98:99]
	ds_load_2addr_b64 v[96:99], v2 offset0:59 offset1:60
	ds_load_2addr_b64 v[100:103], v2 offset0:61 offset1:62
	s_wait_dscnt 0x1
	v_fmac_f64_e32 v[118:119], v[116:117], v[96:97]
	s_wait_loadcnt 0x4
	s_delay_alu instid0(VALU_DEP_1)
	v_fmac_f64_e32 v[118:119], v[84:85], v[98:99]
	scratch_load_b128 v[96:99], off, off offset:240
	s_wait_dscnt 0x0
	v_fmac_f64_e32 v[118:119], v[86:87], v[100:101]
	scratch_load_b128 v[84:87], off, off offset:256
	s_wait_loadcnt 0x5
	v_fmac_f64_e32 v[118:119], v[110:111], v[102:103]
	ds_load_2addr_b64 v[100:103], v2 offset0:63 offset1:64
	ds_load_2addr_b64 v[114:117], v2 offset0:65 offset1:66
	s_wait_dscnt 0x1
	v_fmac_f64_e32 v[118:119], v[112:113], v[100:101]
	s_wait_loadcnt 0x4
	s_delay_alu instid0(VALU_DEP_1)
	v_fmac_f64_e32 v[118:119], v[88:89], v[102:103]
	scratch_load_b128 v[100:103], off, off offset:272
	s_wait_dscnt 0x0
	v_fmac_f64_e32 v[118:119], v[90:91], v[114:115]
	scratch_load_b128 v[88:91], off, off offset:288
	s_wait_loadcnt 0x5
	v_fmac_f64_e32 v[118:119], v[106:107], v[116:117]
	ds_load_2addr_b64 v[104:107], v2 offset0:67 offset1:68
	ds_load_2addr_b64 v[110:113], v2 offset0:69 offset1:70
	s_wait_dscnt 0x1
	v_fmac_f64_e32 v[118:119], v[108:109], v[104:105]
	scratch_load_b64 v[108:109], off, off offset:304
	s_wait_loadcnt 0x5
	v_fmac_f64_e32 v[118:119], v[92:93], v[106:107]
	s_wait_dscnt 0x0
	s_delay_alu instid0(VALU_DEP_1)
	v_fmac_f64_e32 v[118:119], v[94:95], v[110:111]
	ds_load_2addr_b64 v[92:95], v2 offset0:71 offset1:72
	ds_load_2addr_b64 v[104:107], v2 offset0:73 offset1:74
	s_wait_loadcnt 0x4
	v_fmac_f64_e32 v[118:119], v[96:97], v[112:113]
	s_wait_dscnt 0x1
	s_delay_alu instid0(VALU_DEP_1) | instskip(SKIP_1) | instid1(VALU_DEP_1)
	v_fmac_f64_e32 v[118:119], v[98:99], v[92:93]
	s_wait_loadcnt 0x3
	v_fmac_f64_e32 v[118:119], v[84:85], v[94:95]
	s_wait_dscnt 0x0
	s_delay_alu instid0(VALU_DEP_1)
	v_fmac_f64_e32 v[118:119], v[86:87], v[104:105]
	ds_load_2addr_b64 v[84:87], v2 offset0:75 offset1:76
	ds_load_2addr_b64 v[92:95], v2 offset0:77 offset1:78
	s_wait_loadcnt 0x2
	v_fmac_f64_e32 v[118:119], v[100:101], v[106:107]
	s_wait_dscnt 0x1
	s_delay_alu instid0(VALU_DEP_1) | instskip(SKIP_1) | instid1(VALU_DEP_1)
	v_fmac_f64_e32 v[118:119], v[102:103], v[84:85]
	s_wait_loadcnt 0x1
	v_fmac_f64_e32 v[118:119], v[88:89], v[86:87]
	s_wait_dscnt 0x0
	s_delay_alu instid0(VALU_DEP_1) | instskip(SKIP_1) | instid1(VALU_DEP_1)
	v_fmac_f64_e32 v[118:119], v[90:91], v[92:93]
	s_wait_loadcnt 0x0
	v_fmac_f64_e32 v[118:119], v[108:109], v[94:95]
	s_delay_alu instid0(VALU_DEP_1)
	v_add_f64_e64 v[2:3], v[82:83], -v[118:119]
	scratch_store_b64 off, v[2:3], off offset:48
	s_wait_xcnt 0x0
	v_cmpx_lt_u32_e32 5, v0
	s_cbranch_execz .LBB38_233
; %bb.232:
	scratch_load_b64 v[2:3], off, off offset:40
	v_mov_b64_e32 v[82:83], 0
	scratch_store_b64 off, v[82:83], off offset:40
	s_wait_loadcnt 0x0
	ds_store_b64 v1, v[2:3]
.LBB38_233:
	s_wait_xcnt 0x0
	s_or_b32 exec_lo, exec_lo, s0
	s_wait_storecnt_dscnt 0x0
	s_barrier_signal -1
	s_barrier_wait -1
	s_clause 0x5
	scratch_load_b128 v[82:85], off, off offset:40
	scratch_load_b128 v[86:89], off, off offset:56
	;; [unrolled: 1-line block ×6, first 2 shown]
	v_mov_b32_e32 v2, 0
	ds_load_b128 v[106:109], v2 offset:368
	ds_load_b128 v[110:113], v2 offset:384
	scratch_load_b128 v[114:117], off, off offset:136
	s_mov_b32 s0, exec_lo
	s_wait_loadcnt_dscnt 0x601
	v_fma_f64 v[118:119], v[84:85], v[106:107], 0
	s_wait_loadcnt 0x5
	s_delay_alu instid0(VALU_DEP_1) | instskip(SKIP_4) | instid1(VALU_DEP_1)
	v_fmac_f64_e32 v[118:119], v[86:87], v[108:109]
	scratch_load_b128 v[84:87], off, off offset:152
	s_wait_dscnt 0x0
	v_fmac_f64_e32 v[118:119], v[88:89], v[110:111]
	s_wait_loadcnt 0x5
	v_fmac_f64_e32 v[118:119], v[90:91], v[112:113]
	ds_load_b128 v[88:91], v2 offset:400
	ds_load_b128 v[106:109], v2 offset:416
	scratch_load_b128 v[110:113], off, off offset:168
	s_wait_dscnt 0x1
	v_fmac_f64_e32 v[118:119], v[92:93], v[88:89]
	s_wait_loadcnt 0x5
	s_delay_alu instid0(VALU_DEP_1) | instskip(SKIP_4) | instid1(VALU_DEP_1)
	v_fmac_f64_e32 v[118:119], v[94:95], v[90:91]
	scratch_load_b128 v[88:91], off, off offset:184
	s_wait_dscnt 0x0
	v_fmac_f64_e32 v[118:119], v[96:97], v[106:107]
	s_wait_loadcnt 0x5
	v_fmac_f64_e32 v[118:119], v[98:99], v[108:109]
	ds_load_b128 v[92:95], v2 offset:432
	ds_load_b128 v[96:99], v2 offset:448
	scratch_load_b128 v[106:109], off, off offset:200
	s_wait_dscnt 0x1
	v_fmac_f64_e32 v[118:119], v[100:101], v[92:93]
	s_wait_loadcnt 0x5
	s_delay_alu instid0(VALU_DEP_1) | instskip(SKIP_4) | instid1(VALU_DEP_1)
	v_fmac_f64_e32 v[118:119], v[102:103], v[94:95]
	scratch_load_b128 v[92:95], off, off offset:216
	s_wait_dscnt 0x0
	v_fmac_f64_e32 v[118:119], v[104:105], v[96:97]
	s_wait_loadcnt 0x5
	v_fmac_f64_e32 v[118:119], v[114:115], v[98:99]
	ds_load_b128 v[96:99], v2 offset:464
	ds_load_b128 v[100:103], v2 offset:480
	s_wait_dscnt 0x1
	v_fmac_f64_e32 v[118:119], v[116:117], v[96:97]
	s_wait_loadcnt 0x4
	s_delay_alu instid0(VALU_DEP_1)
	v_fmac_f64_e32 v[118:119], v[84:85], v[98:99]
	scratch_load_b128 v[96:99], off, off offset:232
	s_wait_dscnt 0x0
	v_fmac_f64_e32 v[118:119], v[86:87], v[100:101]
	scratch_load_b128 v[84:87], off, off offset:248
	s_wait_loadcnt 0x5
	v_fmac_f64_e32 v[118:119], v[110:111], v[102:103]
	ds_load_b128 v[100:103], v2 offset:496
	ds_load_b128 v[114:117], v2 offset:512
	s_wait_dscnt 0x1
	v_fmac_f64_e32 v[118:119], v[112:113], v[100:101]
	s_wait_loadcnt 0x4
	s_delay_alu instid0(VALU_DEP_1)
	v_fmac_f64_e32 v[118:119], v[88:89], v[102:103]
	scratch_load_b128 v[100:103], off, off offset:264
	s_wait_dscnt 0x0
	v_fmac_f64_e32 v[118:119], v[90:91], v[114:115]
	scratch_load_b128 v[88:91], off, off offset:280
	s_wait_loadcnt 0x5
	v_fmac_f64_e32 v[118:119], v[106:107], v[116:117]
	ds_load_b128 v[104:107], v2 offset:528
	ds_load_b128 v[110:113], v2 offset:544
	s_wait_dscnt 0x1
	v_fmac_f64_e32 v[118:119], v[108:109], v[104:105]
	s_wait_loadcnt 0x4
	s_delay_alu instid0(VALU_DEP_1)
	v_fmac_f64_e32 v[118:119], v[92:93], v[106:107]
	scratch_load_b128 v[104:107], off, off offset:296
	s_wait_dscnt 0x0
	v_fmac_f64_e32 v[118:119], v[94:95], v[110:111]
	ds_load_b128 v[92:95], v2 offset:560
	ds_load_b128 v[108:111], v2 offset:576
	s_wait_loadcnt 0x4
	v_fmac_f64_e32 v[118:119], v[96:97], v[112:113]
	s_wait_dscnt 0x1
	s_delay_alu instid0(VALU_DEP_1) | instskip(SKIP_1) | instid1(VALU_DEP_1)
	v_fmac_f64_e32 v[118:119], v[98:99], v[92:93]
	s_wait_loadcnt 0x3
	v_fmac_f64_e32 v[118:119], v[84:85], v[94:95]
	s_wait_dscnt 0x0
	s_delay_alu instid0(VALU_DEP_1)
	v_fmac_f64_e32 v[118:119], v[86:87], v[108:109]
	ds_load_b128 v[84:87], v2 offset:592
	ds_load_b128 v[92:95], v2 offset:608
	s_wait_loadcnt 0x2
	v_fmac_f64_e32 v[118:119], v[100:101], v[110:111]
	s_wait_dscnt 0x1
	s_delay_alu instid0(VALU_DEP_1) | instskip(SKIP_4) | instid1(VALU_DEP_1)
	v_fmac_f64_e32 v[118:119], v[102:103], v[84:85]
	ds_load_b64 v[84:85], v2 offset:624
	s_wait_loadcnt 0x1
	v_fmac_f64_e32 v[118:119], v[88:89], v[86:87]
	s_wait_dscnt 0x1
	v_fmac_f64_e32 v[118:119], v[90:91], v[92:93]
	s_wait_loadcnt 0x0
	s_delay_alu instid0(VALU_DEP_1) | instskip(SKIP_1) | instid1(VALU_DEP_1)
	v_fmac_f64_e32 v[118:119], v[104:105], v[94:95]
	s_wait_dscnt 0x0
	v_fmac_f64_e32 v[118:119], v[106:107], v[84:85]
	s_delay_alu instid0(VALU_DEP_1)
	v_add_f64_e64 v[82:83], v[82:83], -v[118:119]
	scratch_store_b64 off, v[82:83], off offset:40
	s_wait_xcnt 0x0
	v_cmpx_lt_u32_e32 4, v0
	s_cbranch_execz .LBB38_235
; %bb.234:
	scratch_load_b64 v[82:83], off, off offset:32
	v_mov_b64_e32 v[84:85], 0
	scratch_store_b64 off, v[84:85], off offset:32
	s_wait_loadcnt 0x0
	ds_store_b64 v1, v[82:83]
.LBB38_235:
	s_wait_xcnt 0x0
	s_or_b32 exec_lo, exec_lo, s0
	s_wait_storecnt_dscnt 0x0
	s_barrier_signal -1
	s_barrier_wait -1
	s_clause 0x5
	scratch_load_b128 v[82:85], off, off offset:32
	scratch_load_b128 v[86:89], off, off offset:48
	;; [unrolled: 1-line block ×6, first 2 shown]
	ds_load_2addr_b64 v[106:109], v2 offset0:45 offset1:46
	ds_load_2addr_b64 v[110:113], v2 offset0:47 offset1:48
	scratch_load_b128 v[114:117], off, off offset:128
	s_mov_b32 s0, exec_lo
	s_wait_loadcnt_dscnt 0x601
	v_fma_f64 v[118:119], v[84:85], v[106:107], 0
	s_wait_loadcnt 0x5
	s_delay_alu instid0(VALU_DEP_1) | instskip(SKIP_4) | instid1(VALU_DEP_1)
	v_fmac_f64_e32 v[118:119], v[86:87], v[108:109]
	scratch_load_b128 v[84:87], off, off offset:144
	s_wait_dscnt 0x0
	v_fmac_f64_e32 v[118:119], v[88:89], v[110:111]
	s_wait_loadcnt 0x5
	v_fmac_f64_e32 v[118:119], v[90:91], v[112:113]
	ds_load_2addr_b64 v[88:91], v2 offset0:49 offset1:50
	ds_load_2addr_b64 v[106:109], v2 offset0:51 offset1:52
	scratch_load_b128 v[110:113], off, off offset:160
	s_wait_dscnt 0x1
	v_fmac_f64_e32 v[118:119], v[92:93], v[88:89]
	s_wait_loadcnt 0x5
	s_delay_alu instid0(VALU_DEP_1) | instskip(SKIP_4) | instid1(VALU_DEP_1)
	v_fmac_f64_e32 v[118:119], v[94:95], v[90:91]
	scratch_load_b128 v[88:91], off, off offset:176
	s_wait_dscnt 0x0
	v_fmac_f64_e32 v[118:119], v[96:97], v[106:107]
	s_wait_loadcnt 0x5
	v_fmac_f64_e32 v[118:119], v[98:99], v[108:109]
	ds_load_2addr_b64 v[92:95], v2 offset0:53 offset1:54
	ds_load_2addr_b64 v[96:99], v2 offset0:55 offset1:56
	scratch_load_b128 v[106:109], off, off offset:192
	s_wait_dscnt 0x1
	v_fmac_f64_e32 v[118:119], v[100:101], v[92:93]
	s_wait_loadcnt 0x5
	s_delay_alu instid0(VALU_DEP_1) | instskip(SKIP_4) | instid1(VALU_DEP_1)
	v_fmac_f64_e32 v[118:119], v[102:103], v[94:95]
	scratch_load_b128 v[92:95], off, off offset:208
	s_wait_dscnt 0x0
	v_fmac_f64_e32 v[118:119], v[104:105], v[96:97]
	s_wait_loadcnt 0x5
	v_fmac_f64_e32 v[118:119], v[114:115], v[98:99]
	ds_load_2addr_b64 v[96:99], v2 offset0:57 offset1:58
	ds_load_2addr_b64 v[100:103], v2 offset0:59 offset1:60
	s_wait_dscnt 0x1
	v_fmac_f64_e32 v[118:119], v[116:117], v[96:97]
	scratch_load_b128 v[114:117], off, off offset:224
	s_wait_loadcnt 0x5
	v_fmac_f64_e32 v[118:119], v[84:85], v[98:99]
	s_wait_dscnt 0x0
	s_delay_alu instid0(VALU_DEP_1)
	v_fmac_f64_e32 v[118:119], v[86:87], v[100:101]
	scratch_load_b128 v[84:87], off, off offset:240
	s_wait_loadcnt 0x5
	v_fmac_f64_e32 v[118:119], v[110:111], v[102:103]
	ds_load_2addr_b64 v[96:99], v2 offset0:61 offset1:62
	ds_load_2addr_b64 v[100:103], v2 offset0:63 offset1:64
	s_wait_dscnt 0x1
	v_fmac_f64_e32 v[118:119], v[112:113], v[96:97]
	s_wait_loadcnt 0x4
	s_delay_alu instid0(VALU_DEP_1)
	v_fmac_f64_e32 v[118:119], v[88:89], v[98:99]
	scratch_load_b128 v[96:99], off, off offset:256
	s_wait_dscnt 0x0
	v_fmac_f64_e32 v[118:119], v[90:91], v[100:101]
	scratch_load_b128 v[88:91], off, off offset:272
	s_wait_loadcnt 0x5
	v_fmac_f64_e32 v[118:119], v[106:107], v[102:103]
	ds_load_2addr_b64 v[100:103], v2 offset0:65 offset1:66
	ds_load_2addr_b64 v[104:107], v2 offset0:67 offset1:68
	s_wait_dscnt 0x1
	v_fmac_f64_e32 v[118:119], v[108:109], v[100:101]
	scratch_load_b64 v[108:109], off, off offset:304
	s_wait_loadcnt 0x5
	v_fmac_f64_e32 v[118:119], v[92:93], v[102:103]
	scratch_load_b128 v[100:103], off, off offset:288
	s_wait_dscnt 0x0
	v_fmac_f64_e32 v[118:119], v[94:95], v[104:105]
	s_wait_loadcnt 0x5
	s_delay_alu instid0(VALU_DEP_1)
	v_fmac_f64_e32 v[118:119], v[114:115], v[106:107]
	ds_load_2addr_b64 v[92:95], v2 offset0:69 offset1:70
	ds_load_2addr_b64 v[104:107], v2 offset0:71 offset1:72
	s_wait_dscnt 0x1
	v_fmac_f64_e32 v[118:119], v[116:117], v[92:93]
	s_wait_loadcnt 0x4
	s_delay_alu instid0(VALU_DEP_1) | instskip(SKIP_1) | instid1(VALU_DEP_1)
	v_fmac_f64_e32 v[118:119], v[84:85], v[94:95]
	s_wait_dscnt 0x0
	v_fmac_f64_e32 v[118:119], v[86:87], v[104:105]
	ds_load_2addr_b64 v[84:87], v2 offset0:73 offset1:74
	ds_load_2addr_b64 v[92:95], v2 offset0:75 offset1:76
	s_wait_loadcnt 0x3
	v_fmac_f64_e32 v[118:119], v[96:97], v[106:107]
	s_wait_dscnt 0x1
	s_delay_alu instid0(VALU_DEP_1) | instskip(SKIP_1) | instid1(VALU_DEP_1)
	v_fmac_f64_e32 v[118:119], v[98:99], v[84:85]
	s_wait_loadcnt 0x2
	v_fmac_f64_e32 v[118:119], v[88:89], v[86:87]
	ds_load_2addr_b64 v[84:87], v2 offset0:77 offset1:78
	s_wait_dscnt 0x1
	v_fmac_f64_e32 v[118:119], v[90:91], v[92:93]
	s_wait_loadcnt 0x0
	s_delay_alu instid0(VALU_DEP_1) | instskip(SKIP_1) | instid1(VALU_DEP_1)
	v_fmac_f64_e32 v[118:119], v[100:101], v[94:95]
	s_wait_dscnt 0x0
	v_fmac_f64_e32 v[118:119], v[102:103], v[84:85]
	s_delay_alu instid0(VALU_DEP_1) | instskip(NEXT) | instid1(VALU_DEP_1)
	v_fmac_f64_e32 v[118:119], v[108:109], v[86:87]
	v_add_f64_e64 v[2:3], v[82:83], -v[118:119]
	scratch_store_b64 off, v[2:3], off offset:32
	s_wait_xcnt 0x0
	v_cmpx_lt_u32_e32 3, v0
	s_cbranch_execz .LBB38_237
; %bb.236:
	scratch_load_b64 v[2:3], off, off offset:24
	v_mov_b64_e32 v[82:83], 0
	scratch_store_b64 off, v[82:83], off offset:24
	s_wait_loadcnt 0x0
	ds_store_b64 v1, v[2:3]
.LBB38_237:
	s_wait_xcnt 0x0
	s_or_b32 exec_lo, exec_lo, s0
	s_wait_storecnt_dscnt 0x0
	s_barrier_signal -1
	s_barrier_wait -1
	s_clause 0x5
	scratch_load_b128 v[82:85], off, off offset:24
	scratch_load_b128 v[86:89], off, off offset:40
	scratch_load_b128 v[90:93], off, off offset:56
	scratch_load_b128 v[94:97], off, off offset:72
	scratch_load_b128 v[98:101], off, off offset:88
	scratch_load_b128 v[102:105], off, off offset:104
	v_mov_b32_e32 v2, 0
	ds_load_b128 v[106:109], v2 offset:352
	ds_load_b128 v[110:113], v2 offset:368
	scratch_load_b128 v[114:117], off, off offset:120
	s_mov_b32 s0, exec_lo
	s_wait_loadcnt_dscnt 0x601
	v_fma_f64 v[118:119], v[84:85], v[106:107], 0
	s_wait_loadcnt 0x5
	s_delay_alu instid0(VALU_DEP_1) | instskip(SKIP_4) | instid1(VALU_DEP_1)
	v_fmac_f64_e32 v[118:119], v[86:87], v[108:109]
	scratch_load_b128 v[84:87], off, off offset:136
	s_wait_dscnt 0x0
	v_fmac_f64_e32 v[118:119], v[88:89], v[110:111]
	s_wait_loadcnt 0x5
	v_fmac_f64_e32 v[118:119], v[90:91], v[112:113]
	ds_load_b128 v[88:91], v2 offset:384
	ds_load_b128 v[106:109], v2 offset:400
	scratch_load_b128 v[110:113], off, off offset:152
	s_wait_dscnt 0x1
	v_fmac_f64_e32 v[118:119], v[92:93], v[88:89]
	s_wait_loadcnt 0x5
	s_delay_alu instid0(VALU_DEP_1) | instskip(SKIP_4) | instid1(VALU_DEP_1)
	v_fmac_f64_e32 v[118:119], v[94:95], v[90:91]
	scratch_load_b128 v[88:91], off, off offset:168
	s_wait_dscnt 0x0
	v_fmac_f64_e32 v[118:119], v[96:97], v[106:107]
	s_wait_loadcnt 0x5
	v_fmac_f64_e32 v[118:119], v[98:99], v[108:109]
	ds_load_b128 v[92:95], v2 offset:416
	ds_load_b128 v[96:99], v2 offset:432
	scratch_load_b128 v[106:109], off, off offset:184
	s_wait_dscnt 0x1
	v_fmac_f64_e32 v[118:119], v[100:101], v[92:93]
	s_wait_loadcnt 0x5
	s_delay_alu instid0(VALU_DEP_1) | instskip(SKIP_4) | instid1(VALU_DEP_1)
	v_fmac_f64_e32 v[118:119], v[102:103], v[94:95]
	scratch_load_b128 v[92:95], off, off offset:200
	s_wait_dscnt 0x0
	v_fmac_f64_e32 v[118:119], v[104:105], v[96:97]
	s_wait_loadcnt 0x5
	v_fmac_f64_e32 v[118:119], v[114:115], v[98:99]
	ds_load_b128 v[96:99], v2 offset:448
	ds_load_b128 v[100:103], v2 offset:464
	s_wait_dscnt 0x1
	v_fmac_f64_e32 v[118:119], v[116:117], v[96:97]
	scratch_load_b128 v[114:117], off, off offset:216
	s_wait_loadcnt 0x5
	v_fmac_f64_e32 v[118:119], v[84:85], v[98:99]
	s_wait_dscnt 0x0
	s_delay_alu instid0(VALU_DEP_1)
	v_fmac_f64_e32 v[118:119], v[86:87], v[100:101]
	scratch_load_b128 v[84:87], off, off offset:232
	s_wait_loadcnt 0x5
	v_fmac_f64_e32 v[118:119], v[110:111], v[102:103]
	ds_load_b128 v[96:99], v2 offset:480
	ds_load_b128 v[100:103], v2 offset:496
	s_wait_dscnt 0x1
	v_fmac_f64_e32 v[118:119], v[112:113], v[96:97]
	s_wait_loadcnt 0x4
	s_delay_alu instid0(VALU_DEP_1)
	v_fmac_f64_e32 v[118:119], v[88:89], v[98:99]
	scratch_load_b128 v[96:99], off, off offset:248
	s_wait_dscnt 0x0
	v_fmac_f64_e32 v[118:119], v[90:91], v[100:101]
	scratch_load_b128 v[88:91], off, off offset:264
	s_wait_loadcnt 0x5
	v_fmac_f64_e32 v[118:119], v[106:107], v[102:103]
	ds_load_b128 v[100:103], v2 offset:512
	ds_load_b128 v[104:107], v2 offset:528
	s_wait_dscnt 0x1
	v_fmac_f64_e32 v[118:119], v[108:109], v[100:101]
	s_wait_loadcnt 0x4
	s_delay_alu instid0(VALU_DEP_1)
	v_fmac_f64_e32 v[118:119], v[92:93], v[102:103]
	scratch_load_b128 v[100:103], off, off offset:280
	s_wait_dscnt 0x0
	v_fmac_f64_e32 v[118:119], v[94:95], v[104:105]
	scratch_load_b128 v[92:95], off, off offset:296
	s_wait_loadcnt 0x5
	v_fmac_f64_e32 v[118:119], v[114:115], v[106:107]
	ds_load_b128 v[104:107], v2 offset:544
	ds_load_b128 v[108:111], v2 offset:560
	s_wait_dscnt 0x1
	v_fmac_f64_e32 v[118:119], v[116:117], v[104:105]
	s_wait_loadcnt 0x4
	s_delay_alu instid0(VALU_DEP_1) | instskip(SKIP_1) | instid1(VALU_DEP_1)
	v_fmac_f64_e32 v[118:119], v[84:85], v[106:107]
	s_wait_dscnt 0x0
	v_fmac_f64_e32 v[118:119], v[86:87], v[108:109]
	ds_load_b128 v[84:87], v2 offset:576
	ds_load_b128 v[104:107], v2 offset:592
	s_wait_loadcnt 0x3
	v_fmac_f64_e32 v[118:119], v[96:97], v[110:111]
	s_wait_dscnt 0x1
	s_delay_alu instid0(VALU_DEP_1) | instskip(SKIP_1) | instid1(VALU_DEP_1)
	v_fmac_f64_e32 v[118:119], v[98:99], v[84:85]
	s_wait_loadcnt 0x2
	v_fmac_f64_e32 v[118:119], v[88:89], v[86:87]
	ds_load_b128 v[84:87], v2 offset:608
	ds_load_b64 v[88:89], v2 offset:624
	s_wait_dscnt 0x2
	v_fmac_f64_e32 v[118:119], v[90:91], v[104:105]
	s_wait_loadcnt 0x1
	s_delay_alu instid0(VALU_DEP_1) | instskip(SKIP_1) | instid1(VALU_DEP_1)
	v_fmac_f64_e32 v[118:119], v[100:101], v[106:107]
	s_wait_dscnt 0x1
	v_fmac_f64_e32 v[118:119], v[102:103], v[84:85]
	s_wait_loadcnt 0x0
	s_delay_alu instid0(VALU_DEP_1) | instskip(SKIP_1) | instid1(VALU_DEP_1)
	v_fmac_f64_e32 v[118:119], v[92:93], v[86:87]
	s_wait_dscnt 0x0
	v_fmac_f64_e32 v[118:119], v[94:95], v[88:89]
	s_delay_alu instid0(VALU_DEP_1)
	v_add_f64_e64 v[82:83], v[82:83], -v[118:119]
	scratch_store_b64 off, v[82:83], off offset:24
	s_wait_xcnt 0x0
	v_cmpx_lt_u32_e32 2, v0
	s_cbranch_execz .LBB38_239
; %bb.238:
	scratch_load_b64 v[82:83], off, off offset:16
	v_mov_b64_e32 v[84:85], 0
	scratch_store_b64 off, v[84:85], off offset:16
	s_wait_loadcnt 0x0
	ds_store_b64 v1, v[82:83]
.LBB38_239:
	s_wait_xcnt 0x0
	s_or_b32 exec_lo, exec_lo, s0
	s_wait_storecnt_dscnt 0x0
	s_barrier_signal -1
	s_barrier_wait -1
	s_clause 0x5
	scratch_load_b128 v[82:85], off, off offset:16
	scratch_load_b128 v[86:89], off, off offset:32
	;; [unrolled: 1-line block ×6, first 2 shown]
	ds_load_2addr_b64 v[106:109], v2 offset0:43 offset1:44
	ds_load_2addr_b64 v[110:113], v2 offset0:45 offset1:46
	scratch_load_b128 v[114:117], off, off offset:112
	s_mov_b32 s0, exec_lo
	s_wait_loadcnt_dscnt 0x601
	v_fma_f64 v[118:119], v[84:85], v[106:107], 0
	s_wait_loadcnt 0x5
	s_delay_alu instid0(VALU_DEP_1) | instskip(SKIP_4) | instid1(VALU_DEP_1)
	v_fmac_f64_e32 v[118:119], v[86:87], v[108:109]
	scratch_load_b128 v[84:87], off, off offset:128
	s_wait_dscnt 0x0
	v_fmac_f64_e32 v[118:119], v[88:89], v[110:111]
	s_wait_loadcnt 0x5
	v_fmac_f64_e32 v[118:119], v[90:91], v[112:113]
	ds_load_2addr_b64 v[88:91], v2 offset0:47 offset1:48
	ds_load_2addr_b64 v[106:109], v2 offset0:49 offset1:50
	scratch_load_b128 v[110:113], off, off offset:144
	s_wait_dscnt 0x1
	v_fmac_f64_e32 v[118:119], v[92:93], v[88:89]
	s_wait_loadcnt 0x5
	s_delay_alu instid0(VALU_DEP_1) | instskip(SKIP_4) | instid1(VALU_DEP_1)
	v_fmac_f64_e32 v[118:119], v[94:95], v[90:91]
	scratch_load_b128 v[88:91], off, off offset:160
	s_wait_dscnt 0x0
	v_fmac_f64_e32 v[118:119], v[96:97], v[106:107]
	s_wait_loadcnt 0x5
	v_fmac_f64_e32 v[118:119], v[98:99], v[108:109]
	ds_load_2addr_b64 v[92:95], v2 offset0:51 offset1:52
	ds_load_2addr_b64 v[96:99], v2 offset0:53 offset1:54
	scratch_load_b128 v[106:109], off, off offset:176
	s_wait_dscnt 0x1
	v_fmac_f64_e32 v[118:119], v[100:101], v[92:93]
	s_wait_loadcnt 0x5
	s_delay_alu instid0(VALU_DEP_1) | instskip(SKIP_4) | instid1(VALU_DEP_1)
	v_fmac_f64_e32 v[118:119], v[102:103], v[94:95]
	scratch_load_b128 v[92:95], off, off offset:192
	s_wait_dscnt 0x0
	v_fmac_f64_e32 v[118:119], v[104:105], v[96:97]
	s_wait_loadcnt 0x5
	v_fmac_f64_e32 v[118:119], v[114:115], v[98:99]
	ds_load_2addr_b64 v[96:99], v2 offset0:55 offset1:56
	ds_load_2addr_b64 v[100:103], v2 offset0:57 offset1:58
	s_wait_dscnt 0x1
	v_fmac_f64_e32 v[118:119], v[116:117], v[96:97]
	scratch_load_b128 v[114:117], off, off offset:208
	s_wait_loadcnt 0x5
	v_fmac_f64_e32 v[118:119], v[84:85], v[98:99]
	s_wait_dscnt 0x0
	s_delay_alu instid0(VALU_DEP_1)
	v_fmac_f64_e32 v[118:119], v[86:87], v[100:101]
	scratch_load_b128 v[84:87], off, off offset:224
	s_wait_loadcnt 0x5
	v_fmac_f64_e32 v[118:119], v[110:111], v[102:103]
	ds_load_2addr_b64 v[96:99], v2 offset0:59 offset1:60
	ds_load_2addr_b64 v[100:103], v2 offset0:61 offset1:62
	s_wait_dscnt 0x1
	v_fmac_f64_e32 v[118:119], v[112:113], v[96:97]
	s_wait_loadcnt 0x4
	s_delay_alu instid0(VALU_DEP_1)
	v_fmac_f64_e32 v[118:119], v[88:89], v[98:99]
	scratch_load_b128 v[96:99], off, off offset:240
	s_wait_dscnt 0x0
	v_fmac_f64_e32 v[118:119], v[90:91], v[100:101]
	scratch_load_b128 v[88:91], off, off offset:256
	s_wait_loadcnt 0x5
	v_fmac_f64_e32 v[118:119], v[106:107], v[102:103]
	ds_load_2addr_b64 v[100:103], v2 offset0:63 offset1:64
	ds_load_2addr_b64 v[104:107], v2 offset0:65 offset1:66
	s_wait_dscnt 0x1
	v_fmac_f64_e32 v[118:119], v[108:109], v[100:101]
	s_wait_loadcnt 0x4
	s_delay_alu instid0(VALU_DEP_1)
	v_fmac_f64_e32 v[118:119], v[92:93], v[102:103]
	scratch_load_b128 v[100:103], off, off offset:272
	s_wait_dscnt 0x0
	v_fmac_f64_e32 v[118:119], v[94:95], v[104:105]
	scratch_load_b128 v[92:95], off, off offset:288
	s_wait_loadcnt 0x5
	v_fmac_f64_e32 v[118:119], v[114:115], v[106:107]
	ds_load_2addr_b64 v[104:107], v2 offset0:67 offset1:68
	ds_load_2addr_b64 v[108:111], v2 offset0:69 offset1:70
	scratch_load_b64 v[112:113], off, off offset:304
	s_wait_dscnt 0x1
	v_fmac_f64_e32 v[118:119], v[116:117], v[104:105]
	s_wait_loadcnt 0x5
	s_delay_alu instid0(VALU_DEP_1) | instskip(SKIP_1) | instid1(VALU_DEP_1)
	v_fmac_f64_e32 v[118:119], v[84:85], v[106:107]
	s_wait_dscnt 0x0
	v_fmac_f64_e32 v[118:119], v[86:87], v[108:109]
	ds_load_2addr_b64 v[84:87], v2 offset0:71 offset1:72
	ds_load_2addr_b64 v[104:107], v2 offset0:73 offset1:74
	s_wait_loadcnt 0x4
	v_fmac_f64_e32 v[118:119], v[96:97], v[110:111]
	s_wait_dscnt 0x1
	s_delay_alu instid0(VALU_DEP_1) | instskip(SKIP_1) | instid1(VALU_DEP_1)
	v_fmac_f64_e32 v[118:119], v[98:99], v[84:85]
	s_wait_loadcnt 0x3
	v_fmac_f64_e32 v[118:119], v[88:89], v[86:87]
	s_wait_dscnt 0x0
	s_delay_alu instid0(VALU_DEP_1)
	v_fmac_f64_e32 v[118:119], v[90:91], v[104:105]
	ds_load_2addr_b64 v[84:87], v2 offset0:75 offset1:76
	ds_load_2addr_b64 v[88:91], v2 offset0:77 offset1:78
	s_wait_loadcnt 0x2
	v_fmac_f64_e32 v[118:119], v[100:101], v[106:107]
	s_wait_dscnt 0x1
	s_delay_alu instid0(VALU_DEP_1) | instskip(SKIP_1) | instid1(VALU_DEP_1)
	v_fmac_f64_e32 v[118:119], v[102:103], v[84:85]
	s_wait_loadcnt 0x1
	v_fmac_f64_e32 v[118:119], v[92:93], v[86:87]
	s_wait_dscnt 0x0
	s_delay_alu instid0(VALU_DEP_1) | instskip(SKIP_1) | instid1(VALU_DEP_1)
	v_fmac_f64_e32 v[118:119], v[94:95], v[88:89]
	s_wait_loadcnt 0x0
	v_fmac_f64_e32 v[118:119], v[112:113], v[90:91]
	s_delay_alu instid0(VALU_DEP_1)
	v_add_f64_e64 v[2:3], v[82:83], -v[118:119]
	scratch_store_b64 off, v[2:3], off offset:16
	s_wait_xcnt 0x0
	v_cmpx_lt_u32_e32 1, v0
	s_cbranch_execz .LBB38_241
; %bb.240:
	scratch_load_b64 v[2:3], off, off offset:8
	v_mov_b64_e32 v[82:83], 0
	scratch_store_b64 off, v[82:83], off offset:8
	s_wait_loadcnt 0x0
	ds_store_b64 v1, v[2:3]
.LBB38_241:
	s_wait_xcnt 0x0
	s_or_b32 exec_lo, exec_lo, s0
	s_wait_storecnt_dscnt 0x0
	s_barrier_signal -1
	s_barrier_wait -1
	s_clause 0x3
	scratch_load_b128 v[84:87], off, off offset:8
	scratch_load_b128 v[88:91], off, off offset:24
	;; [unrolled: 1-line block ×4, first 2 shown]
	v_dual_mov_b32 v82, 0 :: v_dual_ashrrev_i32 v9, 31, v8
	ds_load_b128 v[100:103], v82 offset:336
	ds_load_b128 v[104:107], v82 offset:352
	scratch_load_b128 v[108:111], off, off offset:72
	v_dual_ashrrev_i32 v11, 31, v10 :: v_dual_ashrrev_i32 v13, 31, v12
	v_dual_ashrrev_i32 v15, 31, v14 :: v_dual_ashrrev_i32 v17, 31, v16
	;; [unrolled: 1-line block ×17, first 2 shown]
	v_ashrrev_i32_e32 v79, 31, v78
	s_mov_b32 s0, exec_lo
	v_ashrrev_i32_e32 v33, 31, v32
	s_wait_loadcnt_dscnt 0x401
	v_fma_f64 v[2:3], v[86:87], v[100:101], 0
	s_wait_loadcnt 0x3
	s_delay_alu instid0(VALU_DEP_1) | instskip(SKIP_4) | instid1(VALU_DEP_1)
	v_fmac_f64_e32 v[2:3], v[88:89], v[102:103]
	scratch_load_b128 v[86:89], off, off offset:88
	s_wait_dscnt 0x0
	v_fmac_f64_e32 v[2:3], v[90:91], v[104:105]
	s_wait_loadcnt 0x3
	v_fmac_f64_e32 v[2:3], v[92:93], v[106:107]
	ds_load_b128 v[90:93], v82 offset:368
	ds_load_b128 v[100:103], v82 offset:384
	scratch_load_b128 v[104:107], off, off offset:104
	s_wait_dscnt 0x1
	v_fmac_f64_e32 v[2:3], v[94:95], v[90:91]
	s_wait_loadcnt 0x3
	s_delay_alu instid0(VALU_DEP_1)
	v_fmac_f64_e32 v[2:3], v[96:97], v[92:93]
	scratch_load_b128 v[90:93], off, off offset:120
	s_wait_dscnt 0x0
	v_fmac_f64_e32 v[2:3], v[98:99], v[100:101]
	ds_load_b128 v[94:97], v82 offset:400
	ds_load_b128 v[98:101], v82 offset:416
	s_wait_loadcnt 0x3
	v_fmac_f64_e32 v[2:3], v[108:109], v[102:103]
	s_wait_dscnt 0x1
	s_delay_alu instid0(VALU_DEP_1) | instskip(SKIP_4) | instid1(VALU_DEP_1)
	v_fmac_f64_e32 v[2:3], v[110:111], v[94:95]
	scratch_load_b128 v[108:111], off, off offset:136
	s_wait_loadcnt 0x3
	v_fmac_f64_e32 v[2:3], v[86:87], v[96:97]
	s_wait_dscnt 0x0
	v_fmac_f64_e32 v[2:3], v[88:89], v[98:99]
	scratch_load_b128 v[86:89], off, off offset:152
	s_wait_loadcnt 0x3
	v_fmac_f64_e32 v[2:3], v[104:105], v[100:101]
	ds_load_b128 v[94:97], v82 offset:432
	ds_load_b128 v[98:101], v82 offset:448
	scratch_load_b128 v[102:105], off, off offset:168
	s_wait_dscnt 0x1
	v_fmac_f64_e32 v[2:3], v[106:107], v[94:95]
	s_wait_loadcnt 0x3
	s_delay_alu instid0(VALU_DEP_1) | instskip(SKIP_1) | instid1(VALU_DEP_1)
	v_fmac_f64_e32 v[2:3], v[90:91], v[96:97]
	s_wait_dscnt 0x0
	v_fmac_f64_e32 v[2:3], v[92:93], v[98:99]
	scratch_load_b128 v[90:93], off, off offset:184
	s_wait_loadcnt 0x3
	v_fmac_f64_e32 v[2:3], v[108:109], v[100:101]
	ds_load_b128 v[94:97], v82 offset:464
	ds_load_b128 v[98:101], v82 offset:480
	scratch_load_b128 v[106:109], off, off offset:200
	s_wait_dscnt 0x1
	v_fmac_f64_e32 v[2:3], v[110:111], v[94:95]
	s_wait_loadcnt 0x3
	s_delay_alu instid0(VALU_DEP_1) | instskip(SKIP_1) | instid1(VALU_DEP_1)
	v_fmac_f64_e32 v[2:3], v[86:87], v[96:97]
	s_wait_dscnt 0x0
	v_fmac_f64_e32 v[2:3], v[88:89], v[98:99]
	scratch_load_b128 v[86:89], off, off offset:216
	s_wait_loadcnt 0x3
	v_fmac_f64_e32 v[2:3], v[102:103], v[100:101]
	ds_load_b128 v[94:97], v82 offset:496
	ds_load_b128 v[98:101], v82 offset:512
	s_wait_dscnt 0x1
	v_fmac_f64_e32 v[2:3], v[104:105], v[94:95]
	scratch_load_b128 v[102:105], off, off offset:232
	s_wait_loadcnt 0x3
	v_fmac_f64_e32 v[2:3], v[90:91], v[96:97]
	s_wait_dscnt 0x0
	s_delay_alu instid0(VALU_DEP_1)
	v_fmac_f64_e32 v[2:3], v[92:93], v[98:99]
	scratch_load_b128 v[90:93], off, off offset:248
	s_wait_loadcnt 0x3
	v_fmac_f64_e32 v[2:3], v[106:107], v[100:101]
	ds_load_b128 v[94:97], v82 offset:528
	ds_load_b128 v[98:101], v82 offset:544
	s_wait_dscnt 0x1
	v_fmac_f64_e32 v[2:3], v[108:109], v[94:95]
	scratch_load_b128 v[106:109], off, off offset:264
	s_wait_loadcnt 0x3
	v_fmac_f64_e32 v[2:3], v[86:87], v[96:97]
	s_wait_dscnt 0x0
	s_delay_alu instid0(VALU_DEP_1)
	;; [unrolled: 13-line block ×3, first 2 shown]
	v_fmac_f64_e32 v[2:3], v[92:93], v[98:99]
	ds_load_b128 v[90:93], v82 offset:592
	ds_load_b128 v[94:97], v82 offset:608
	s_wait_loadcnt 0x2
	v_fmac_f64_e32 v[2:3], v[106:107], v[100:101]
	s_wait_dscnt 0x1
	s_delay_alu instid0(VALU_DEP_1) | instskip(SKIP_1) | instid1(VALU_DEP_1)
	v_fmac_f64_e32 v[2:3], v[108:109], v[90:91]
	s_wait_loadcnt 0x1
	v_fmac_f64_e32 v[2:3], v[86:87], v[92:93]
	ds_load_b64 v[86:87], v82 offset:624
	s_wait_dscnt 0x1
	v_fmac_f64_e32 v[2:3], v[88:89], v[94:95]
	s_wait_loadcnt 0x0
	s_delay_alu instid0(VALU_DEP_1) | instskip(SKIP_1) | instid1(VALU_DEP_1)
	v_fmac_f64_e32 v[2:3], v[102:103], v[96:97]
	s_wait_dscnt 0x0
	v_fmac_f64_e32 v[2:3], v[104:105], v[86:87]
	s_delay_alu instid0(VALU_DEP_1)
	v_add_f64_e64 v[2:3], v[84:85], -v[2:3]
	scratch_store_b64 off, v[2:3], off offset:8
	s_wait_xcnt 0x0
	v_cmpx_ne_u32_e32 0, v0
	s_cbranch_execz .LBB38_243
; %bb.242:
	scratch_load_b64 v[2:3], off, off
	v_mov_b64_e32 v[84:85], 0
	scratch_store_b64 off, v[84:85], off
	s_wait_loadcnt 0x0
	ds_store_b64 v1, v[2:3]
.LBB38_243:
	s_wait_xcnt 0x0
	s_or_b32 exec_lo, exec_lo, s0
	s_wait_storecnt_dscnt 0x0
	s_barrier_signal -1
	s_barrier_wait -1
	s_clause 0x5
	scratch_load_b128 v[84:87], off, off
	scratch_load_b128 v[0:3], off, off offset:16
	scratch_load_b128 v[88:91], off, off offset:32
	;; [unrolled: 1-line block ×5, first 2 shown]
	ds_load_2addr_b64 v[104:107], v82 offset0:41 offset1:42
	scratch_load_b128 v[108:111], off, off offset:96
	s_and_b32 vcc_lo, exec_lo, s18
	scratch_load_b128 v[112:115], off, off offset:208
	s_wait_loadcnt_dscnt 0x700
	v_fma_f64 v[116:117], v[86:87], v[104:105], 0
	s_wait_loadcnt 0x6
	s_delay_alu instid0(VALU_DEP_1)
	v_fmac_f64_e32 v[116:117], v[0:1], v[106:107]
	ds_load_2addr_b64 v[104:107], v82 offset0:43 offset1:44
	s_wait_dscnt 0x0
	v_fmac_f64_e32 v[116:117], v[2:3], v[104:105]
	scratch_load_b128 v[0:3], off, off offset:112
	s_wait_loadcnt 0x6
	v_fmac_f64_e32 v[116:117], v[88:89], v[106:107]
	ds_load_2addr_b64 v[86:89], v82 offset0:45 offset1:46
	scratch_load_b128 v[104:107], off, off offset:128
	s_wait_dscnt 0x0
	v_fmac_f64_e32 v[116:117], v[90:91], v[86:87]
	s_wait_loadcnt 0x6
	s_delay_alu instid0(VALU_DEP_1)
	v_fmac_f64_e32 v[116:117], v[92:93], v[88:89]
	ds_load_2addr_b64 v[86:89], v82 offset0:47 offset1:48
	scratch_load_b128 v[90:93], off, off offset:144
	s_wait_dscnt 0x0
	v_fmac_f64_e32 v[116:117], v[94:95], v[86:87]
	s_wait_loadcnt 0x6
	s_delay_alu instid0(VALU_DEP_1)
	;; [unrolled: 7-line block ×4, first 2 shown]
	v_fmac_f64_e32 v[116:117], v[108:109], v[88:89]
	ds_load_2addr_b64 v[86:89], v82 offset0:53 offset1:54
	s_wait_dscnt 0x0
	v_fmac_f64_e32 v[116:117], v[110:111], v[86:87]
	scratch_load_b128 v[108:111], off, off offset:192
	s_wait_loadcnt 0x5
	v_fmac_f64_e32 v[116:117], v[0:1], v[88:89]
	ds_load_2addr_b64 v[86:89], v82 offset0:55 offset1:56
	s_wait_dscnt 0x0
	v_fmac_f64_e32 v[116:117], v[2:3], v[86:87]
	ds_load_2addr_b64 v[0:3], v82 offset0:57 offset1:58
	s_wait_loadcnt 0x4
	v_fmac_f64_e32 v[116:117], v[104:105], v[88:89]
	ds_load_2addr_b64 v[102:105], v82 offset0:65 offset1:66
	scratch_load_b128 v[86:89], off, off offset:224
	s_wait_dscnt 0x1
	v_fmac_f64_e32 v[116:117], v[106:107], v[0:1]
	scratch_load_b64 v[106:107], off, off offset:304
	s_wait_loadcnt 0x5
	v_fmac_f64_e32 v[116:117], v[90:91], v[2:3]
	ds_load_2addr_b64 v[0:3], v82 offset0:59 offset1:60
	s_wait_dscnt 0x0
	v_fmac_f64_e32 v[116:117], v[92:93], v[0:1]
	scratch_load_b128 v[90:93], off, off offset:240
	s_wait_loadcnt 0x5
	v_fmac_f64_e32 v[116:117], v[94:95], v[2:3]
	ds_load_2addr_b64 v[0:3], v82 offset0:61 offset1:62
	s_wait_dscnt 0x0
	v_fmac_f64_e32 v[116:117], v[96:97], v[0:1]
	scratch_load_b128 v[94:97], off, off offset:256
	;; [unrolled: 6-line block ×3, first 2 shown]
	s_wait_loadcnt 0x5
	v_fmac_f64_e32 v[116:117], v[108:109], v[2:3]
	scratch_load_b128 v[0:3], off, off offset:288
	v_fmac_f64_e32 v[116:117], v[110:111], v[102:103]
	s_delay_alu instid0(VALU_DEP_1) | instskip(SKIP_4) | instid1(VALU_DEP_1)
	v_fmac_f64_e32 v[116:117], v[112:113], v[104:105]
	ds_load_2addr_b64 v[102:105], v82 offset0:67 offset1:68
	s_wait_dscnt 0x0
	v_fmac_f64_e32 v[116:117], v[114:115], v[102:103]
	s_wait_loadcnt 0x5
	v_fmac_f64_e32 v[116:117], v[86:87], v[104:105]
	ds_load_2addr_b64 v[102:105], v82 offset0:69 offset1:70
	s_wait_dscnt 0x0
	v_fmac_f64_e32 v[116:117], v[88:89], v[102:103]
	ds_load_2addr_b64 v[86:89], v82 offset0:71 offset1:72
	s_wait_loadcnt 0x3
	v_fmac_f64_e32 v[116:117], v[90:91], v[104:105]
	s_wait_dscnt 0x0
	s_delay_alu instid0(VALU_DEP_1) | instskip(SKIP_1) | instid1(VALU_DEP_1)
	v_fmac_f64_e32 v[116:117], v[92:93], v[86:87]
	s_wait_loadcnt 0x2
	v_fmac_f64_e32 v[116:117], v[94:95], v[88:89]
	ds_load_2addr_b64 v[86:89], v82 offset0:73 offset1:74
	s_wait_dscnt 0x0
	v_fmac_f64_e32 v[116:117], v[96:97], v[86:87]
	s_wait_loadcnt 0x1
	s_delay_alu instid0(VALU_DEP_1) | instskip(SKIP_4) | instid1(VALU_DEP_1)
	v_fmac_f64_e32 v[116:117], v[98:99], v[88:89]
	ds_load_2addr_b64 v[86:89], v82 offset0:75 offset1:76
	s_wait_dscnt 0x0
	v_fmac_f64_e32 v[116:117], v[100:101], v[86:87]
	s_wait_loadcnt 0x0
	v_fmac_f64_e32 v[116:117], v[0:1], v[88:89]
	ds_load_2addr_b64 v[86:89], v82 offset0:77 offset1:78
	s_wait_dscnt 0x0
	v_fmac_f64_e32 v[116:117], v[2:3], v[86:87]
	s_delay_alu instid0(VALU_DEP_1) | instskip(NEXT) | instid1(VALU_DEP_1)
	v_fmac_f64_e32 v[116:117], v[106:107], v[88:89]
	v_add_f64_e64 v[102:103], v[84:85], -v[116:117]
	scratch_store_b64 off, v[102:103], off
	s_cbranch_vccz .LBB38_320
; %bb.244:
	v_mov_b32_e32 v0, 0
	global_load_b32 v1, v0, s[2:3] offset:148
	s_wait_loadcnt 0x0
	v_cmp_ne_u32_e32 vcc_lo, 38, v1
	s_cbranch_vccz .LBB38_246
; %bb.245:
	v_lshlrev_b32_e32 v1, 3, v1
	scratch_load_b64 v[82:83], v1, off offset:-8
	s_wait_loadcnt 0x0
	scratch_store_b64 off, v[82:83], off offset:296
	scratch_store_b64 v1, v[2:3], off offset:-8
.LBB38_246:
	global_load_b32 v0, v0, s[2:3] offset:144
	s_wait_loadcnt 0x0
	v_cmp_eq_u32_e32 vcc_lo, 37, v0
	s_cbranch_vccnz .LBB38_248
; %bb.247:
	s_wait_xcnt 0x0
	v_lshlrev_b32_e32 v0, 3, v0
	s_delay_alu instid0(VALU_DEP_1)
	v_mov_b32_e32 v82, v0
	scratch_load_b64 v[0:1], v82, off offset:-8
	scratch_load_b64 v[2:3], off, off offset:288
	s_wait_loadcnt 0x1
	scratch_store_b64 off, v[0:1], off offset:288
	s_wait_loadcnt 0x0
	scratch_store_b64 v82, v[2:3], off offset:-8
.LBB38_248:
	s_wait_xcnt 0x0
	v_mov_b32_e32 v0, 0
	global_load_b32 v1, v0, s[2:3] offset:140
	s_wait_loadcnt 0x0
	v_cmp_eq_u32_e32 vcc_lo, 36, v1
	s_cbranch_vccnz .LBB38_250
; %bb.249:
	v_lshlrev_b32_e32 v1, 3, v1
	scratch_load_b64 v[2:3], v1, off offset:-8
	scratch_load_b64 v[82:83], off, off offset:280
	s_wait_loadcnt 0x1
	scratch_store_b64 off, v[2:3], off offset:280
	s_wait_loadcnt 0x0
	scratch_store_b64 v1, v[82:83], off offset:-8
.LBB38_250:
	global_load_b32 v0, v0, s[2:3] offset:136
	s_wait_loadcnt 0x0
	v_cmp_eq_u32_e32 vcc_lo, 35, v0
	s_cbranch_vccnz .LBB38_252
; %bb.251:
	s_wait_xcnt 0x0
	v_lshlrev_b32_e32 v0, 3, v0
	s_delay_alu instid0(VALU_DEP_1)
	v_mov_b32_e32 v82, v0
	scratch_load_b64 v[0:1], v82, off offset:-8
	scratch_load_b64 v[2:3], off, off offset:272
	s_wait_loadcnt 0x1
	scratch_store_b64 off, v[0:1], off offset:272
	s_wait_loadcnt 0x0
	scratch_store_b64 v82, v[2:3], off offset:-8
.LBB38_252:
	s_wait_xcnt 0x0
	v_mov_b32_e32 v0, 0
	global_load_b32 v1, v0, s[2:3] offset:132
	s_wait_loadcnt 0x0
	v_cmp_eq_u32_e32 vcc_lo, 34, v1
	s_cbranch_vccnz .LBB38_254
; %bb.253:
	v_lshlrev_b32_e32 v1, 3, v1
	scratch_load_b64 v[2:3], v1, off offset:-8
	scratch_load_b64 v[82:83], off, off offset:264
	s_wait_loadcnt 0x1
	scratch_store_b64 off, v[2:3], off offset:264
	s_wait_loadcnt 0x0
	scratch_store_b64 v1, v[82:83], off offset:-8
.LBB38_254:
	;; [unrolled: 31-line block ×18, first 2 shown]
	global_load_b32 v0, v0, s[2:3]
	scratch_load_b64 v[102:103], off, off
	s_wait_loadcnt 0x1
	v_cmp_eq_u32_e32 vcc_lo, 1, v0
	s_cbranch_vccnz .LBB38_320
; %bb.319:
	s_wait_xcnt 0x1
	v_lshlrev_b32_e32 v0, 3, v0
	s_delay_alu instid0(VALU_DEP_1)
	v_mov_b32_e32 v2, v0
	scratch_load_b64 v[0:1], v2, off offset:-8
	s_wait_loadcnt 0x0
	scratch_store_b64 off, v[0:1], off
	scratch_store_b64 v2, v[102:103], off offset:-8
	scratch_load_b64 v[102:103], off, off
.LBB38_320:
	v_lshl_add_u64 v[104:105], v[8:9], 3, s[4:5]
	v_lshl_add_u64 v[98:99], v[10:11], 3, s[4:5]
	;; [unrolled: 1-line block ×35, first 2 shown]
	s_wait_xcnt 0x1
	v_lshl_add_u64 v[0:1], v[78:79], 3, s[4:5]
	s_clause 0x5
	scratch_load_b128 v[56:59], off, off offset:8
	scratch_load_b128 v[60:63], off, off offset:24
	;; [unrolled: 1-line block ×6, first 2 shown]
	s_wait_loadcnt 0x6
	global_store_b64 v[6:7], v[102:103], off
	s_clause 0x1
	scratch_load_b128 v[106:109], off, off offset:104
	scratch_load_b128 v[110:113], off, off offset:120
	v_lshl_add_u64 v[2:3], v[80:81], 3, s[4:5]
	s_wait_loadcnt 0x7
	s_clause 0x1
	global_store_b64 v[4:5], v[56:57], off
	global_store_b64 v[104:105], v[58:59], off
	s_clause 0x1
	scratch_load_b128 v[4:7], off, off offset:136
	scratch_load_b128 v[56:59], off, off offset:152
	s_wait_loadcnt 0x8
	s_clause 0x1
	global_store_b64 v[98:99], v[60:61], off
	global_store_b64 v[100:101], v[62:63], off
	s_clause 0x1
	scratch_load_b128 v[60:63], off, off offset:168
	scratch_load_b128 v[98:101], off, off offset:184
	;; [unrolled: 7-line block ×5, first 2 shown]
	s_wait_loadcnt 0xc
	s_clause 0x1
	global_store_b64 v[82:83], v[76:77], off
	global_store_b64 v[84:85], v[78:79], off
	scratch_load_b128 v[76:79], off, off offset:296
	s_wait_loadcnt 0xc
	s_clause 0x1
	global_store_b64 v[8:9], v[106:107], off
	global_store_b64 v[10:11], v[108:109], off
	s_wait_loadcnt 0xb
	s_clause 0x1
	global_store_b64 v[12:13], v[110:111], off
	global_store_b64 v[14:15], v[112:113], off
	;; [unrolled: 4-line block ×13, first 2 shown]
	s_sendmsg sendmsg(MSG_DEALLOC_VGPRS)
	s_endpgm
	.section	.rodata,"a",@progbits
	.p2align	6, 0x0
	.amdhsa_kernel _ZN9rocsolver6v33100L18getri_kernel_smallILi39EdPdEEvT1_iilPiilS4_bb
		.amdhsa_group_segment_fixed_size 632
		.amdhsa_private_segment_fixed_size 320
		.amdhsa_kernarg_size 60
		.amdhsa_user_sgpr_count 2
		.amdhsa_user_sgpr_dispatch_ptr 0
		.amdhsa_user_sgpr_queue_ptr 0
		.amdhsa_user_sgpr_kernarg_segment_ptr 1
		.amdhsa_user_sgpr_dispatch_id 0
		.amdhsa_user_sgpr_kernarg_preload_length 0
		.amdhsa_user_sgpr_kernarg_preload_offset 0
		.amdhsa_user_sgpr_private_segment_size 0
		.amdhsa_wavefront_size32 1
		.amdhsa_uses_dynamic_stack 0
		.amdhsa_enable_private_segment 1
		.amdhsa_system_sgpr_workgroup_id_x 1
		.amdhsa_system_sgpr_workgroup_id_y 0
		.amdhsa_system_sgpr_workgroup_id_z 0
		.amdhsa_system_sgpr_workgroup_info 0
		.amdhsa_system_vgpr_workitem_id 0
		.amdhsa_next_free_vgpr 120
		.amdhsa_next_free_sgpr 19
		.amdhsa_named_barrier_count 0
		.amdhsa_reserve_vcc 1
		.amdhsa_float_round_mode_32 0
		.amdhsa_float_round_mode_16_64 0
		.amdhsa_float_denorm_mode_32 3
		.amdhsa_float_denorm_mode_16_64 3
		.amdhsa_fp16_overflow 0
		.amdhsa_memory_ordered 1
		.amdhsa_forward_progress 1
		.amdhsa_inst_pref_size 255
		.amdhsa_round_robin_scheduling 0
		.amdhsa_exception_fp_ieee_invalid_op 0
		.amdhsa_exception_fp_denorm_src 0
		.amdhsa_exception_fp_ieee_div_zero 0
		.amdhsa_exception_fp_ieee_overflow 0
		.amdhsa_exception_fp_ieee_underflow 0
		.amdhsa_exception_fp_ieee_inexact 0
		.amdhsa_exception_int_div_zero 0
	.end_amdhsa_kernel
	.section	.text._ZN9rocsolver6v33100L18getri_kernel_smallILi39EdPdEEvT1_iilPiilS4_bb,"axG",@progbits,_ZN9rocsolver6v33100L18getri_kernel_smallILi39EdPdEEvT1_iilPiilS4_bb,comdat
.Lfunc_end38:
	.size	_ZN9rocsolver6v33100L18getri_kernel_smallILi39EdPdEEvT1_iilPiilS4_bb, .Lfunc_end38-_ZN9rocsolver6v33100L18getri_kernel_smallILi39EdPdEEvT1_iilPiilS4_bb
                                        ; -- End function
	.set _ZN9rocsolver6v33100L18getri_kernel_smallILi39EdPdEEvT1_iilPiilS4_bb.num_vgpr, 120
	.set _ZN9rocsolver6v33100L18getri_kernel_smallILi39EdPdEEvT1_iilPiilS4_bb.num_agpr, 0
	.set _ZN9rocsolver6v33100L18getri_kernel_smallILi39EdPdEEvT1_iilPiilS4_bb.numbered_sgpr, 19
	.set _ZN9rocsolver6v33100L18getri_kernel_smallILi39EdPdEEvT1_iilPiilS4_bb.num_named_barrier, 0
	.set _ZN9rocsolver6v33100L18getri_kernel_smallILi39EdPdEEvT1_iilPiilS4_bb.private_seg_size, 320
	.set _ZN9rocsolver6v33100L18getri_kernel_smallILi39EdPdEEvT1_iilPiilS4_bb.uses_vcc, 1
	.set _ZN9rocsolver6v33100L18getri_kernel_smallILi39EdPdEEvT1_iilPiilS4_bb.uses_flat_scratch, 1
	.set _ZN9rocsolver6v33100L18getri_kernel_smallILi39EdPdEEvT1_iilPiilS4_bb.has_dyn_sized_stack, 0
	.set _ZN9rocsolver6v33100L18getri_kernel_smallILi39EdPdEEvT1_iilPiilS4_bb.has_recursion, 0
	.set _ZN9rocsolver6v33100L18getri_kernel_smallILi39EdPdEEvT1_iilPiilS4_bb.has_indirect_call, 0
	.section	.AMDGPU.csdata,"",@progbits
; Kernel info:
; codeLenInByte = 33112
; TotalNumSgprs: 21
; NumVgprs: 120
; ScratchSize: 320
; MemoryBound: 0
; FloatMode: 240
; IeeeMode: 1
; LDSByteSize: 632 bytes/workgroup (compile time only)
; SGPRBlocks: 0
; VGPRBlocks: 7
; NumSGPRsForWavesPerEU: 21
; NumVGPRsForWavesPerEU: 120
; NamedBarCnt: 0
; Occupancy: 8
; WaveLimiterHint : 1
; COMPUTE_PGM_RSRC2:SCRATCH_EN: 1
; COMPUTE_PGM_RSRC2:USER_SGPR: 2
; COMPUTE_PGM_RSRC2:TRAP_HANDLER: 0
; COMPUTE_PGM_RSRC2:TGID_X_EN: 1
; COMPUTE_PGM_RSRC2:TGID_Y_EN: 0
; COMPUTE_PGM_RSRC2:TGID_Z_EN: 0
; COMPUTE_PGM_RSRC2:TIDIG_COMP_CNT: 0
	.section	.text._ZN9rocsolver6v33100L18getri_kernel_smallILi40EdPdEEvT1_iilPiilS4_bb,"axG",@progbits,_ZN9rocsolver6v33100L18getri_kernel_smallILi40EdPdEEvT1_iilPiilS4_bb,comdat
	.globl	_ZN9rocsolver6v33100L18getri_kernel_smallILi40EdPdEEvT1_iilPiilS4_bb ; -- Begin function _ZN9rocsolver6v33100L18getri_kernel_smallILi40EdPdEEvT1_iilPiilS4_bb
	.p2align	8
	.type	_ZN9rocsolver6v33100L18getri_kernel_smallILi40EdPdEEvT1_iilPiilS4_bb,@function
_ZN9rocsolver6v33100L18getri_kernel_smallILi40EdPdEEvT1_iilPiilS4_bb: ; @_ZN9rocsolver6v33100L18getri_kernel_smallILi40EdPdEEvT1_iilPiilS4_bb
; %bb.0:
	s_mov_b32 s2, exec_lo
	v_cmpx_gt_u32_e32 40, v0
	s_cbranch_execz .LBB39_170
; %bb.1:
	s_clause 0x2
	s_load_b32 s2, s[0:1], 0x38
	s_load_b128 s[12:15], s[0:1], 0x10
	s_load_b128 s[4:7], s[0:1], 0x28
	s_getreg_b32 s9, hwreg(HW_REG_IB_STS2, 6, 4)
                                        ; implicit-def: $sgpr16_sgpr17
	s_wait_kmcnt 0x0
	s_bitcmp1_b32 s2, 8
	s_cselect_b32 s20, -1, 0
	s_bfe_u32 s3, ttmp6, 0x4000c
	s_and_b32 s8, ttmp6, 15
	s_add_co_i32 s3, s3, 1
	s_delay_alu instid0(SALU_CYCLE_1) | instskip(NEXT) | instid1(SALU_CYCLE_1)
	s_mul_i32 s3, ttmp9, s3
	s_add_co_i32 s8, s8, s3
	s_cmp_eq_u32 s9, 0
	s_cselect_b32 s18, ttmp9, s8
	s_bfe_u32 s2, s2, 0x10008
	s_ashr_i32 s19, s18, 31
	s_cmp_eq_u32 s2, 0
	s_cbranch_scc1 .LBB39_3
; %bb.2:
	s_load_b32 s2, s[0:1], 0x20
	s_mul_u64 s[4:5], s[4:5], s[18:19]
	s_delay_alu instid0(SALU_CYCLE_1) | instskip(NEXT) | instid1(SALU_CYCLE_1)
	s_lshl_b64 s[4:5], s[4:5], 2
	s_add_nc_u64 s[4:5], s[14:15], s[4:5]
	s_wait_kmcnt 0x0
	s_ashr_i32 s3, s2, 31
	s_delay_alu instid0(SALU_CYCLE_1) | instskip(NEXT) | instid1(SALU_CYCLE_1)
	s_lshl_b64 s[2:3], s[2:3], 2
	s_add_nc_u64 s[16:17], s[4:5], s[2:3]
.LBB39_3:
	s_clause 0x1
	s_load_b128 s[8:11], s[0:1], 0x0
	s_load_b32 s4, s[0:1], 0x38
	s_wait_xcnt 0x0
	s_mul_u64 s[0:1], s[12:13], s[18:19]
	v_dual_mov_b32 v3, 0 :: v_dual_lshlrev_b32 v2, 3, v0
	s_lshl_b64 s[0:1], s[0:1], 3
	s_wait_kmcnt 0x0
	s_ashr_i32 s3, s10, 31
	s_mov_b32 s2, s10
	s_add_nc_u64 s[0:1], s[8:9], s[0:1]
	s_lshl_b64 s[2:3], s[2:3], 3
	v_add3_u32 v8, s11, s11, v0
	s_add_nc_u64 s[2:3], s[0:1], s[2:3]
	s_ashr_i32 s1, s11, 31
	v_add_nc_u64_e32 v[4:5], s[2:3], v[2:3]
	s_mov_b32 s0, s11
	v_add_nc_u32_e32 v10, s11, v8
	s_bitcmp0_b32 s4, 0
	s_delay_alu instid0(VALU_DEP_1) | instskip(NEXT) | instid1(VALU_DEP_3)
	v_add_nc_u32_e32 v12, s11, v10
	v_lshl_add_u64 v[6:7], s[0:1], 3, v[4:5]
	s_mov_b32 s1, -1
	s_clause 0x1
	global_load_b64 v[58:59], v0, s[2:3] scale_offset
	global_load_b64 v[60:61], v[6:7], off
	v_add_nc_u32_e32 v14, s11, v12
	s_delay_alu instid0(VALU_DEP_1) | instskip(SKIP_4) | instid1(VALU_DEP_1)
	v_add_nc_u32_e32 v16, s11, v14
	s_clause 0x1
	global_load_b64 v[62:63], v8, s[2:3] scale_offset
	global_load_b64 v[64:65], v10, s[2:3] scale_offset
	v_add_nc_u32_e32 v18, s11, v16
	v_add_nc_u32_e32 v20, s11, v18
	s_clause 0x3
	global_load_b64 v[66:67], v12, s[2:3] scale_offset
	global_load_b64 v[68:69], v14, s[2:3] scale_offset
	;; [unrolled: 1-line block ×4, first 2 shown]
	v_add_nc_u32_e32 v22, s11, v20
	s_delay_alu instid0(VALU_DEP_1) | instskip(NEXT) | instid1(VALU_DEP_1)
	v_add_nc_u32_e32 v24, s11, v22
	v_add_nc_u32_e32 v26, s11, v24
	s_delay_alu instid0(VALU_DEP_1) | instskip(SKIP_4) | instid1(VALU_DEP_1)
	v_add_nc_u32_e32 v28, s11, v26
	s_clause 0x1
	global_load_b64 v[74:75], v20, s[2:3] scale_offset
	global_load_b64 v[76:77], v22, s[2:3] scale_offset
	v_add_nc_u32_e32 v30, s11, v28
	v_add_nc_u32_e32 v32, s11, v30
	s_clause 0x3
	global_load_b64 v[78:79], v24, s[2:3] scale_offset
	global_load_b64 v[80:81], v26, s[2:3] scale_offset
	;; [unrolled: 1-line block ×4, first 2 shown]
	v_add_nc_u32_e32 v34, s11, v32
	s_delay_alu instid0(VALU_DEP_1) | instskip(NEXT) | instid1(VALU_DEP_1)
	v_add_nc_u32_e32 v36, s11, v34
	v_add_nc_u32_e32 v38, s11, v36
	s_delay_alu instid0(VALU_DEP_1) | instskip(NEXT) | instid1(VALU_DEP_1)
	v_add_nc_u32_e32 v40, s11, v38
	v_add_nc_u32_e32 v42, s11, v40
	s_delay_alu instid0(VALU_DEP_1)
	v_add_nc_u32_e32 v44, s11, v42
	s_clause 0x3
	global_load_b64 v[86:87], v32, s[2:3] scale_offset
	global_load_b64 v[88:89], v34, s[2:3] scale_offset
	;; [unrolled: 1-line block ×4, first 2 shown]
	v_add_nc_u32_e32 v46, s11, v44
	s_delay_alu instid0(VALU_DEP_1) | instskip(NEXT) | instid1(VALU_DEP_1)
	v_add_nc_u32_e32 v48, s11, v46
	v_add_nc_u32_e32 v50, s11, v48
	s_delay_alu instid0(VALU_DEP_1)
	v_add_nc_u32_e32 v52, s11, v50
	s_clause 0x3
	global_load_b64 v[94:95], v40, s[2:3] scale_offset
	global_load_b64 v[96:97], v42, s[2:3] scale_offset
	;; [unrolled: 1-line block ×4, first 2 shown]
	v_add_nc_u32_e32 v54, s11, v52
	s_delay_alu instid0(VALU_DEP_1)
	v_add_nc_u32_e32 v56, s11, v54
	s_wait_loadcnt 0x14
	scratch_store_b128 off, v[58:61], off
	s_wait_xcnt 0x0
	v_add_nc_u32_e32 v58, s11, v56
	s_clause 0x3
	global_load_b64 v[102:103], v48, s[2:3] scale_offset
	global_load_b64 v[104:105], v50, s[2:3] scale_offset
	;; [unrolled: 1-line block ×4, first 2 shown]
	v_add_nc_u32_e32 v60, s11, v58
	s_wait_loadcnt 0x16
	scratch_store_b128 off, v[62:65], off offset:16
	s_wait_xcnt 0x0
	v_add_nc_u32_e32 v62, s11, v60
	s_delay_alu instid0(VALU_DEP_1)
	v_add_nc_u32_e32 v64, s11, v62
	s_clause 0x1
	global_load_b64 v[110:111], v56, s[2:3] scale_offset
	global_load_b64 v[112:113], v58, s[2:3] scale_offset
	s_wait_loadcnt 0x16
	scratch_store_b128 off, v[66:69], off offset:32
	s_wait_loadcnt 0x14
	scratch_store_b128 off, v[70:73], off offset:48
	s_wait_xcnt 0x1
	v_add_nc_u32_e32 v66, s11, v64
	s_delay_alu instid0(VALU_DEP_1) | instskip(SKIP_1) | instid1(VALU_DEP_1)
	v_add_nc_u32_e32 v68, s11, v66
	s_wait_xcnt 0x0
	v_add_nc_u32_e32 v70, s11, v68
	s_delay_alu instid0(VALU_DEP_1) | instskip(SKIP_4) | instid1(VALU_DEP_1)
	v_add_nc_u32_e32 v72, s11, v70
	s_wait_loadcnt 0x12
	scratch_store_b128 off, v[74:77], off offset:64
	s_wait_xcnt 0x0
	v_add_nc_u32_e32 v74, s11, v72
	v_add_nc_u32_e32 v76, s11, v74
	s_wait_loadcnt 0x10
	scratch_store_b128 off, v[78:81], off offset:80
	s_wait_loadcnt 0xe
	scratch_store_b128 off, v[82:85], off offset:96
	s_wait_xcnt 0x1
	v_add_nc_u32_e32 v78, s11, v76
	s_delay_alu instid0(VALU_DEP_1) | instskip(SKIP_1) | instid1(VALU_DEP_1)
	v_add_nc_u32_e32 v80, s11, v78
	s_wait_xcnt 0x0
	v_add_nc_u32_e32 v82, s11, v80
	s_wait_loadcnt 0xc
	scratch_store_b128 off, v[86:89], off offset:112
	s_clause 0x1
	global_load_b64 v[84:85], v60, s[2:3] scale_offset
	global_load_b64 v[86:87], v62, s[2:3] scale_offset
	s_wait_loadcnt 0xc
	scratch_store_b128 off, v[90:93], off offset:128
	s_wait_loadcnt 0xa
	scratch_store_b128 off, v[94:97], off offset:144
	;; [unrolled: 2-line block ×3, first 2 shown]
	s_clause 0x3
	global_load_b64 v[88:89], v64, s[2:3] scale_offset
	global_load_b64 v[90:91], v66, s[2:3] scale_offset
	global_load_b64 v[92:93], v68, s[2:3] scale_offset
	global_load_b64 v[94:95], v70, s[2:3] scale_offset
	s_wait_loadcnt 0xa
	scratch_store_b128 off, v[102:105], off offset:176
	s_wait_loadcnt 0x8
	scratch_store_b128 off, v[106:109], off offset:192
	s_clause 0x3
	global_load_b64 v[96:97], v72, s[2:3] scale_offset
	global_load_b64 v[98:99], v74, s[2:3] scale_offset
	;; [unrolled: 1-line block ×4, first 2 shown]
	s_wait_loadcnt 0xa
	scratch_store_b128 off, v[110:113], off offset:208
	s_clause 0x1
	global_load_b64 v[104:105], v80, s[2:3] scale_offset
	global_load_b64 v[106:107], v82, s[2:3] scale_offset
	s_wait_loadcnt 0xa
	scratch_store_b128 off, v[84:87], off offset:224
	s_wait_loadcnt 0x8
	scratch_store_b128 off, v[88:91], off offset:240
	;; [unrolled: 2-line block ×6, first 2 shown]
	s_cbranch_scc1 .LBB39_168
; %bb.4:
	v_cmp_eq_u32_e64 s0, 0, v0
	s_wait_xcnt 0x0
	s_and_saveexec_b32 s1, s0
; %bb.5:
	v_mov_b32_e32 v1, 0
	ds_store_b32 v1, v1 offset:640
; %bb.6:
	s_or_b32 exec_lo, exec_lo, s1
	s_wait_storecnt_dscnt 0x0
	s_barrier_signal -1
	s_barrier_wait -1
	scratch_load_b64 v[84:85], v0, off scale_offset
	s_mov_b32 s4, exec_lo
	s_wait_loadcnt 0x0
	v_cmpx_eq_f64_e32 0, v[84:85]
	s_cbranch_execz .LBB39_10
; %bb.7:
	v_mov_b32_e32 v1, 0
	s_mov_b32 s5, 0
	ds_load_b32 v3, v1 offset:640
	s_wait_dscnt 0x0
	v_readfirstlane_b32 s1, v3
	v_add_nc_u32_e32 v3, 1, v0
	s_cmp_eq_u32 s1, 0
	s_delay_alu instid0(VALU_DEP_1) | instskip(SKIP_1) | instid1(SALU_CYCLE_1)
	v_cmp_gt_i32_e32 vcc_lo, s1, v3
	s_cselect_b32 s8, -1, 0
	s_or_b32 s8, s8, vcc_lo
	s_delay_alu instid0(SALU_CYCLE_1)
	s_and_b32 exec_lo, exec_lo, s8
	s_cbranch_execz .LBB39_10
; %bb.8:
	v_mov_b32_e32 v9, s1
.LBB39_9:                               ; =>This Inner Loop Header: Depth=1
	ds_cmpstore_rtn_b32 v9, v1, v3, v9 offset:640
	s_wait_dscnt 0x0
	v_cmp_ne_u32_e32 vcc_lo, 0, v9
	v_cmp_le_i32_e64 s1, v9, v3
	s_and_b32 s1, vcc_lo, s1
	s_delay_alu instid0(SALU_CYCLE_1) | instskip(NEXT) | instid1(SALU_CYCLE_1)
	s_and_b32 s1, exec_lo, s1
	s_or_b32 s5, s1, s5
	s_delay_alu instid0(SALU_CYCLE_1)
	s_and_not1_b32 exec_lo, exec_lo, s5
	s_cbranch_execnz .LBB39_9
.LBB39_10:
	s_or_b32 exec_lo, exec_lo, s4
	v_mov_b32_e32 v1, 0
	s_barrier_signal -1
	s_barrier_wait -1
	ds_load_b32 v3, v1 offset:640
	s_and_saveexec_b32 s1, s0
	s_cbranch_execz .LBB39_12
; %bb.11:
	s_lshl_b64 s[4:5], s[18:19], 2
	s_delay_alu instid0(SALU_CYCLE_1)
	s_add_nc_u64 s[4:5], s[6:7], s[4:5]
	s_wait_dscnt 0x0
	global_store_b32 v1, v3, s[4:5]
.LBB39_12:
	s_wait_xcnt 0x0
	s_or_b32 exec_lo, exec_lo, s1
	s_wait_dscnt 0x0
	v_cmp_ne_u32_e32 vcc_lo, 0, v3
	s_mov_b32 s1, 0
	s_cbranch_vccnz .LBB39_168
; %bb.13:
	v_lshl_add_u32 v3, v0, 3, 0
	v_add_nc_u32_e32 v1, 0x140, v2
	scratch_load_b64 v[84:85], v3, off
	s_wait_loadcnt 0x0
	v_div_scale_f64 v[86:87], null, v[84:85], v[84:85], 1.0
	v_div_scale_f64 v[92:93], vcc_lo, 1.0, v[84:85], 1.0
	s_delay_alu instid0(VALU_DEP_2) | instskip(SKIP_1) | instid1(TRANS32_DEP_1)
	v_rcp_f64_e32 v[88:89], v[86:87]
	v_nop
	v_fma_f64 v[90:91], -v[86:87], v[88:89], 1.0
	s_delay_alu instid0(VALU_DEP_1) | instskip(NEXT) | instid1(VALU_DEP_1)
	v_fmac_f64_e32 v[88:89], v[88:89], v[90:91]
	v_fma_f64 v[90:91], -v[86:87], v[88:89], 1.0
	s_delay_alu instid0(VALU_DEP_1) | instskip(NEXT) | instid1(VALU_DEP_1)
	v_fmac_f64_e32 v[88:89], v[88:89], v[90:91]
	v_mul_f64_e32 v[90:91], v[92:93], v[88:89]
	s_delay_alu instid0(VALU_DEP_1) | instskip(NEXT) | instid1(VALU_DEP_1)
	v_fma_f64 v[86:87], -v[86:87], v[90:91], v[92:93]
	v_div_fmas_f64 v[86:87], v[86:87], v[88:89], v[90:91]
	s_delay_alu instid0(VALU_DEP_1)
	v_div_fixup_f64 v[84:85], v[86:87], v[84:85], 1.0
	scratch_store_b64 v3, v[84:85], off
	scratch_load_b64 v[86:87], off, off offset:8
	s_wait_xcnt 0x1
	v_xor_b32_e32 v85, 0x80000000, v85
	s_wait_loadcnt 0x0
	ds_store_2addr_b64 v2, v[84:85], v[86:87] offset1:40
	s_wait_storecnt_dscnt 0x0
	s_barrier_signal -1
	s_barrier_wait -1
	s_wait_xcnt 0x0
	s_and_saveexec_b32 s1, s0
	s_cbranch_execz .LBB39_15
; %bb.14:
	scratch_load_b64 v[84:85], v3, off
	ds_load_b64 v[86:87], v1
	s_wait_loadcnt_dscnt 0x0
	v_fma_f64 v[84:85], v[84:85], v[86:87], 0
	v_mov_b32_e32 v9, 0
	ds_load_b64 v[88:89], v9 offset:8
	s_wait_dscnt 0x0
	v_mul_f64_e32 v[84:85], v[84:85], v[88:89]
	scratch_store_b64 off, v[84:85], off offset:8
.LBB39_15:
	s_wait_xcnt 0x0
	s_or_b32 exec_lo, exec_lo, s1
	s_wait_storecnt 0x0
	s_barrier_signal -1
	s_barrier_wait -1
	scratch_load_b64 v[84:85], off, off offset:16
	s_mov_b32 s1, exec_lo
	s_wait_loadcnt 0x0
	ds_store_b64 v1, v[84:85]
	s_wait_dscnt 0x0
	s_barrier_signal -1
	s_barrier_wait -1
	v_cmpx_gt_u32_e32 2, v0
	s_cbranch_execz .LBB39_19
; %bb.16:
	scratch_load_b64 v[84:85], v3, off
	ds_load_b64 v[86:87], v1
	s_wait_loadcnt_dscnt 0x0
	v_fma_f64 v[84:85], v[84:85], v[86:87], 0
	s_and_saveexec_b32 s4, s0
	s_cbranch_execz .LBB39_18
; %bb.17:
	scratch_load_b64 v[86:87], off, off offset:8
	v_mov_b32_e32 v3, 0
	ds_load_b64 v[88:89], v3 offset:328
	s_wait_loadcnt_dscnt 0x0
	v_fmac_f64_e32 v[84:85], v[86:87], v[88:89]
.LBB39_18:
	s_or_b32 exec_lo, exec_lo, s4
	v_mov_b32_e32 v3, 0
	ds_load_b64 v[86:87], v3 offset:16
	s_wait_dscnt 0x0
	v_mul_f64_e32 v[84:85], v[84:85], v[86:87]
	scratch_store_b64 off, v[84:85], off offset:16
.LBB39_19:
	s_wait_xcnt 0x0
	s_or_b32 exec_lo, exec_lo, s1
	s_wait_storecnt 0x0
	s_barrier_signal -1
	s_barrier_wait -1
	scratch_load_b64 v[84:85], off, off offset:24
	v_add_nc_u32_e32 v3, -1, v0
	s_mov_b32 s0, exec_lo
	s_wait_loadcnt 0x0
	ds_store_b64 v1, v[84:85]
	s_wait_dscnt 0x0
	s_barrier_signal -1
	s_barrier_wait -1
	v_cmpx_gt_u32_e32 3, v0
	s_cbranch_execz .LBB39_23
; %bb.20:
	v_mov_b64_e32 v[84:85], 0
	v_dual_add_nc_u32 v9, -1, v0 :: v_dual_mov_b32 v13, v2
	v_add_nc_u32_e32 v11, 0x140, v2
	s_mov_b32 s1, 0
.LBB39_21:                              ; =>This Inner Loop Header: Depth=1
	scratch_load_b64 v[86:87], v13, off
	ds_load_b64 v[88:89], v11
	v_dual_add_nc_u32 v9, 1, v9 :: v_dual_add_nc_u32 v11, 8, v11
	s_wait_xcnt 0x0
	v_add_nc_u32_e32 v13, 8, v13
	s_delay_alu instid0(VALU_DEP_2)
	v_cmp_lt_u32_e32 vcc_lo, 1, v9
	s_or_b32 s1, vcc_lo, s1
	s_wait_loadcnt_dscnt 0x0
	v_fmac_f64_e32 v[84:85], v[86:87], v[88:89]
	s_and_not1_b32 exec_lo, exec_lo, s1
	s_cbranch_execnz .LBB39_21
; %bb.22:
	s_or_b32 exec_lo, exec_lo, s1
	v_mov_b32_e32 v9, 0
	ds_load_b64 v[86:87], v9 offset:24
	s_wait_dscnt 0x0
	v_mul_f64_e32 v[84:85], v[84:85], v[86:87]
	scratch_store_b64 off, v[84:85], off offset:24
.LBB39_23:
	s_wait_xcnt 0x0
	s_or_b32 exec_lo, exec_lo, s0
	s_wait_storecnt 0x0
	s_barrier_signal -1
	s_barrier_wait -1
	scratch_load_b64 v[84:85], off, off offset:32
	s_mov_b32 s0, exec_lo
	s_wait_loadcnt 0x0
	ds_store_b64 v1, v[84:85]
	s_wait_dscnt 0x0
	s_barrier_signal -1
	s_barrier_wait -1
	v_cmpx_gt_u32_e32 4, v0
	s_cbranch_execz .LBB39_27
; %bb.24:
	v_mov_b64_e32 v[84:85], 0
	v_dual_add_nc_u32 v9, -1, v0 :: v_dual_mov_b32 v13, v2
	v_add_nc_u32_e32 v11, 0x140, v2
	s_mov_b32 s1, 0
.LBB39_25:                              ; =>This Inner Loop Header: Depth=1
	scratch_load_b64 v[86:87], v13, off
	ds_load_b64 v[88:89], v11
	v_dual_add_nc_u32 v9, 1, v9 :: v_dual_add_nc_u32 v11, 8, v11
	s_wait_xcnt 0x0
	v_add_nc_u32_e32 v13, 8, v13
	s_delay_alu instid0(VALU_DEP_2)
	v_cmp_lt_u32_e32 vcc_lo, 2, v9
	s_or_b32 s1, vcc_lo, s1
	s_wait_loadcnt_dscnt 0x0
	v_fmac_f64_e32 v[84:85], v[86:87], v[88:89]
	s_and_not1_b32 exec_lo, exec_lo, s1
	s_cbranch_execnz .LBB39_25
; %bb.26:
	s_or_b32 exec_lo, exec_lo, s1
	v_mov_b32_e32 v9, 0
	ds_load_b64 v[86:87], v9 offset:32
	s_wait_dscnt 0x0
	v_mul_f64_e32 v[84:85], v[84:85], v[86:87]
	scratch_store_b64 off, v[84:85], off offset:32
.LBB39_27:
	s_wait_xcnt 0x0
	s_or_b32 exec_lo, exec_lo, s0
	s_wait_storecnt 0x0
	s_barrier_signal -1
	s_barrier_wait -1
	scratch_load_b64 v[84:85], off, off offset:40
	s_mov_b32 s0, exec_lo
	s_wait_loadcnt 0x0
	ds_store_b64 v1, v[84:85]
	s_wait_dscnt 0x0
	s_barrier_signal -1
	s_barrier_wait -1
	v_cmpx_gt_u32_e32 5, v0
	s_cbranch_execz .LBB39_31
; %bb.28:
	v_mov_b64_e32 v[84:85], 0
	v_dual_add_nc_u32 v9, -1, v0 :: v_dual_mov_b32 v13, v2
	v_add_nc_u32_e32 v11, 0x140, v2
	s_mov_b32 s1, 0
.LBB39_29:                              ; =>This Inner Loop Header: Depth=1
	scratch_load_b64 v[86:87], v13, off
	ds_load_b64 v[88:89], v11
	v_dual_add_nc_u32 v9, 1, v9 :: v_dual_add_nc_u32 v11, 8, v11
	s_wait_xcnt 0x0
	v_add_nc_u32_e32 v13, 8, v13
	s_delay_alu instid0(VALU_DEP_2)
	v_cmp_lt_u32_e32 vcc_lo, 3, v9
	s_or_b32 s1, vcc_lo, s1
	s_wait_loadcnt_dscnt 0x0
	v_fmac_f64_e32 v[84:85], v[86:87], v[88:89]
	s_and_not1_b32 exec_lo, exec_lo, s1
	s_cbranch_execnz .LBB39_29
; %bb.30:
	s_or_b32 exec_lo, exec_lo, s1
	v_mov_b32_e32 v9, 0
	ds_load_b64 v[86:87], v9 offset:40
	s_wait_dscnt 0x0
	v_mul_f64_e32 v[84:85], v[84:85], v[86:87]
	scratch_store_b64 off, v[84:85], off offset:40
.LBB39_31:
	s_wait_xcnt 0x0
	s_or_b32 exec_lo, exec_lo, s0
	s_wait_storecnt 0x0
	s_barrier_signal -1
	s_barrier_wait -1
	scratch_load_b64 v[84:85], off, off offset:48
	s_mov_b32 s0, exec_lo
	s_wait_loadcnt 0x0
	ds_store_b64 v1, v[84:85]
	s_wait_dscnt 0x0
	s_barrier_signal -1
	s_barrier_wait -1
	v_cmpx_gt_u32_e32 6, v0
	s_cbranch_execz .LBB39_35
; %bb.32:
	v_mov_b64_e32 v[84:85], 0
	v_dual_add_nc_u32 v9, -1, v0 :: v_dual_mov_b32 v13, v2
	v_add_nc_u32_e32 v11, 0x140, v2
	s_mov_b32 s1, 0
.LBB39_33:                              ; =>This Inner Loop Header: Depth=1
	scratch_load_b64 v[86:87], v13, off
	ds_load_b64 v[88:89], v11
	v_dual_add_nc_u32 v9, 1, v9 :: v_dual_add_nc_u32 v11, 8, v11
	s_wait_xcnt 0x0
	v_add_nc_u32_e32 v13, 8, v13
	s_delay_alu instid0(VALU_DEP_2)
	v_cmp_lt_u32_e32 vcc_lo, 4, v9
	s_or_b32 s1, vcc_lo, s1
	s_wait_loadcnt_dscnt 0x0
	v_fmac_f64_e32 v[84:85], v[86:87], v[88:89]
	s_and_not1_b32 exec_lo, exec_lo, s1
	s_cbranch_execnz .LBB39_33
; %bb.34:
	s_or_b32 exec_lo, exec_lo, s1
	v_mov_b32_e32 v9, 0
	ds_load_b64 v[86:87], v9 offset:48
	s_wait_dscnt 0x0
	v_mul_f64_e32 v[84:85], v[84:85], v[86:87]
	scratch_store_b64 off, v[84:85], off offset:48
.LBB39_35:
	s_wait_xcnt 0x0
	s_or_b32 exec_lo, exec_lo, s0
	s_wait_storecnt 0x0
	s_barrier_signal -1
	s_barrier_wait -1
	scratch_load_b64 v[84:85], off, off offset:56
	s_mov_b32 s0, exec_lo
	s_wait_loadcnt 0x0
	ds_store_b64 v1, v[84:85]
	s_wait_dscnt 0x0
	s_barrier_signal -1
	s_barrier_wait -1
	v_cmpx_gt_u32_e32 7, v0
	s_cbranch_execz .LBB39_39
; %bb.36:
	v_mov_b64_e32 v[84:85], 0
	v_dual_add_nc_u32 v9, -1, v0 :: v_dual_mov_b32 v13, v2
	v_add_nc_u32_e32 v11, 0x140, v2
	s_mov_b32 s1, 0
.LBB39_37:                              ; =>This Inner Loop Header: Depth=1
	scratch_load_b64 v[86:87], v13, off
	ds_load_b64 v[88:89], v11
	v_dual_add_nc_u32 v9, 1, v9 :: v_dual_add_nc_u32 v11, 8, v11
	s_wait_xcnt 0x0
	v_add_nc_u32_e32 v13, 8, v13
	s_delay_alu instid0(VALU_DEP_2)
	v_cmp_lt_u32_e32 vcc_lo, 5, v9
	s_or_b32 s1, vcc_lo, s1
	s_wait_loadcnt_dscnt 0x0
	v_fmac_f64_e32 v[84:85], v[86:87], v[88:89]
	s_and_not1_b32 exec_lo, exec_lo, s1
	s_cbranch_execnz .LBB39_37
; %bb.38:
	s_or_b32 exec_lo, exec_lo, s1
	v_mov_b32_e32 v9, 0
	ds_load_b64 v[86:87], v9 offset:56
	s_wait_dscnt 0x0
	v_mul_f64_e32 v[84:85], v[84:85], v[86:87]
	scratch_store_b64 off, v[84:85], off offset:56
.LBB39_39:
	s_wait_xcnt 0x0
	s_or_b32 exec_lo, exec_lo, s0
	s_wait_storecnt 0x0
	s_barrier_signal -1
	s_barrier_wait -1
	scratch_load_b64 v[84:85], off, off offset:64
	s_mov_b32 s0, exec_lo
	s_wait_loadcnt 0x0
	ds_store_b64 v1, v[84:85]
	s_wait_dscnt 0x0
	s_barrier_signal -1
	s_barrier_wait -1
	v_cmpx_gt_u32_e32 8, v0
	s_cbranch_execz .LBB39_43
; %bb.40:
	v_mov_b64_e32 v[84:85], 0
	v_dual_add_nc_u32 v9, -1, v0 :: v_dual_mov_b32 v13, v2
	v_add_nc_u32_e32 v11, 0x140, v2
	s_mov_b32 s1, 0
.LBB39_41:                              ; =>This Inner Loop Header: Depth=1
	scratch_load_b64 v[86:87], v13, off
	ds_load_b64 v[88:89], v11
	v_dual_add_nc_u32 v9, 1, v9 :: v_dual_add_nc_u32 v11, 8, v11
	s_wait_xcnt 0x0
	v_add_nc_u32_e32 v13, 8, v13
	s_delay_alu instid0(VALU_DEP_2)
	v_cmp_lt_u32_e32 vcc_lo, 6, v9
	s_or_b32 s1, vcc_lo, s1
	s_wait_loadcnt_dscnt 0x0
	v_fmac_f64_e32 v[84:85], v[86:87], v[88:89]
	s_and_not1_b32 exec_lo, exec_lo, s1
	s_cbranch_execnz .LBB39_41
; %bb.42:
	s_or_b32 exec_lo, exec_lo, s1
	v_mov_b32_e32 v9, 0
	ds_load_b64 v[86:87], v9 offset:64
	s_wait_dscnt 0x0
	v_mul_f64_e32 v[84:85], v[84:85], v[86:87]
	scratch_store_b64 off, v[84:85], off offset:64
.LBB39_43:
	s_wait_xcnt 0x0
	s_or_b32 exec_lo, exec_lo, s0
	s_wait_storecnt 0x0
	s_barrier_signal -1
	s_barrier_wait -1
	scratch_load_b64 v[84:85], off, off offset:72
	s_mov_b32 s0, exec_lo
	s_wait_loadcnt 0x0
	ds_store_b64 v1, v[84:85]
	s_wait_dscnt 0x0
	s_barrier_signal -1
	s_barrier_wait -1
	v_cmpx_gt_u32_e32 9, v0
	s_cbranch_execz .LBB39_47
; %bb.44:
	v_mov_b64_e32 v[84:85], 0
	v_dual_add_nc_u32 v9, -1, v0 :: v_dual_mov_b32 v13, v2
	v_add_nc_u32_e32 v11, 0x140, v2
	s_mov_b32 s1, 0
.LBB39_45:                              ; =>This Inner Loop Header: Depth=1
	scratch_load_b64 v[86:87], v13, off
	ds_load_b64 v[88:89], v11
	v_dual_add_nc_u32 v9, 1, v9 :: v_dual_add_nc_u32 v11, 8, v11
	s_wait_xcnt 0x0
	v_add_nc_u32_e32 v13, 8, v13
	s_delay_alu instid0(VALU_DEP_2)
	v_cmp_lt_u32_e32 vcc_lo, 7, v9
	s_or_b32 s1, vcc_lo, s1
	s_wait_loadcnt_dscnt 0x0
	v_fmac_f64_e32 v[84:85], v[86:87], v[88:89]
	s_and_not1_b32 exec_lo, exec_lo, s1
	s_cbranch_execnz .LBB39_45
; %bb.46:
	s_or_b32 exec_lo, exec_lo, s1
	v_mov_b32_e32 v9, 0
	ds_load_b64 v[86:87], v9 offset:72
	s_wait_dscnt 0x0
	v_mul_f64_e32 v[84:85], v[84:85], v[86:87]
	scratch_store_b64 off, v[84:85], off offset:72
.LBB39_47:
	s_wait_xcnt 0x0
	s_or_b32 exec_lo, exec_lo, s0
	s_wait_storecnt 0x0
	s_barrier_signal -1
	s_barrier_wait -1
	scratch_load_b64 v[84:85], off, off offset:80
	s_mov_b32 s0, exec_lo
	s_wait_loadcnt 0x0
	ds_store_b64 v1, v[84:85]
	s_wait_dscnt 0x0
	s_barrier_signal -1
	s_barrier_wait -1
	v_cmpx_gt_u32_e32 10, v0
	s_cbranch_execz .LBB39_51
; %bb.48:
	v_mov_b64_e32 v[84:85], 0
	v_dual_add_nc_u32 v9, -1, v0 :: v_dual_mov_b32 v13, v2
	v_add_nc_u32_e32 v11, 0x140, v2
	s_mov_b32 s1, 0
.LBB39_49:                              ; =>This Inner Loop Header: Depth=1
	scratch_load_b64 v[86:87], v13, off
	ds_load_b64 v[88:89], v11
	v_dual_add_nc_u32 v9, 1, v9 :: v_dual_add_nc_u32 v11, 8, v11
	s_wait_xcnt 0x0
	v_add_nc_u32_e32 v13, 8, v13
	s_delay_alu instid0(VALU_DEP_2)
	v_cmp_lt_u32_e32 vcc_lo, 8, v9
	s_or_b32 s1, vcc_lo, s1
	s_wait_loadcnt_dscnt 0x0
	v_fmac_f64_e32 v[84:85], v[86:87], v[88:89]
	s_and_not1_b32 exec_lo, exec_lo, s1
	s_cbranch_execnz .LBB39_49
; %bb.50:
	s_or_b32 exec_lo, exec_lo, s1
	v_mov_b32_e32 v9, 0
	ds_load_b64 v[86:87], v9 offset:80
	s_wait_dscnt 0x0
	v_mul_f64_e32 v[84:85], v[84:85], v[86:87]
	scratch_store_b64 off, v[84:85], off offset:80
.LBB39_51:
	s_wait_xcnt 0x0
	s_or_b32 exec_lo, exec_lo, s0
	s_wait_storecnt 0x0
	s_barrier_signal -1
	s_barrier_wait -1
	scratch_load_b64 v[84:85], off, off offset:88
	s_mov_b32 s0, exec_lo
	s_wait_loadcnt 0x0
	ds_store_b64 v1, v[84:85]
	s_wait_dscnt 0x0
	s_barrier_signal -1
	s_barrier_wait -1
	v_cmpx_gt_u32_e32 11, v0
	s_cbranch_execz .LBB39_55
; %bb.52:
	v_mov_b64_e32 v[84:85], 0
	v_dual_add_nc_u32 v9, -1, v0 :: v_dual_mov_b32 v13, v2
	v_add_nc_u32_e32 v11, 0x140, v2
	s_mov_b32 s1, 0
.LBB39_53:                              ; =>This Inner Loop Header: Depth=1
	scratch_load_b64 v[86:87], v13, off
	ds_load_b64 v[88:89], v11
	v_dual_add_nc_u32 v9, 1, v9 :: v_dual_add_nc_u32 v11, 8, v11
	s_wait_xcnt 0x0
	v_add_nc_u32_e32 v13, 8, v13
	s_delay_alu instid0(VALU_DEP_2)
	v_cmp_lt_u32_e32 vcc_lo, 9, v9
	s_or_b32 s1, vcc_lo, s1
	s_wait_loadcnt_dscnt 0x0
	v_fmac_f64_e32 v[84:85], v[86:87], v[88:89]
	s_and_not1_b32 exec_lo, exec_lo, s1
	s_cbranch_execnz .LBB39_53
; %bb.54:
	s_or_b32 exec_lo, exec_lo, s1
	v_mov_b32_e32 v9, 0
	ds_load_b64 v[86:87], v9 offset:88
	s_wait_dscnt 0x0
	v_mul_f64_e32 v[84:85], v[84:85], v[86:87]
	scratch_store_b64 off, v[84:85], off offset:88
.LBB39_55:
	s_wait_xcnt 0x0
	s_or_b32 exec_lo, exec_lo, s0
	s_wait_storecnt 0x0
	s_barrier_signal -1
	s_barrier_wait -1
	scratch_load_b64 v[84:85], off, off offset:96
	s_mov_b32 s0, exec_lo
	s_wait_loadcnt 0x0
	ds_store_b64 v1, v[84:85]
	s_wait_dscnt 0x0
	s_barrier_signal -1
	s_barrier_wait -1
	v_cmpx_gt_u32_e32 12, v0
	s_cbranch_execz .LBB39_59
; %bb.56:
	v_mov_b64_e32 v[84:85], 0
	v_dual_add_nc_u32 v9, -1, v0 :: v_dual_mov_b32 v13, v2
	v_add_nc_u32_e32 v11, 0x140, v2
	s_mov_b32 s1, 0
.LBB39_57:                              ; =>This Inner Loop Header: Depth=1
	scratch_load_b64 v[86:87], v13, off
	ds_load_b64 v[88:89], v11
	v_dual_add_nc_u32 v9, 1, v9 :: v_dual_add_nc_u32 v11, 8, v11
	s_wait_xcnt 0x0
	v_add_nc_u32_e32 v13, 8, v13
	s_delay_alu instid0(VALU_DEP_2)
	v_cmp_lt_u32_e32 vcc_lo, 10, v9
	s_or_b32 s1, vcc_lo, s1
	s_wait_loadcnt_dscnt 0x0
	v_fmac_f64_e32 v[84:85], v[86:87], v[88:89]
	s_and_not1_b32 exec_lo, exec_lo, s1
	s_cbranch_execnz .LBB39_57
; %bb.58:
	s_or_b32 exec_lo, exec_lo, s1
	v_mov_b32_e32 v9, 0
	ds_load_b64 v[86:87], v9 offset:96
	s_wait_dscnt 0x0
	v_mul_f64_e32 v[84:85], v[84:85], v[86:87]
	scratch_store_b64 off, v[84:85], off offset:96
.LBB39_59:
	s_wait_xcnt 0x0
	s_or_b32 exec_lo, exec_lo, s0
	s_wait_storecnt 0x0
	s_barrier_signal -1
	s_barrier_wait -1
	scratch_load_b64 v[84:85], off, off offset:104
	s_mov_b32 s0, exec_lo
	s_wait_loadcnt 0x0
	ds_store_b64 v1, v[84:85]
	s_wait_dscnt 0x0
	s_barrier_signal -1
	s_barrier_wait -1
	v_cmpx_gt_u32_e32 13, v0
	s_cbranch_execz .LBB39_63
; %bb.60:
	v_mov_b64_e32 v[84:85], 0
	v_dual_add_nc_u32 v9, -1, v0 :: v_dual_mov_b32 v13, v2
	v_add_nc_u32_e32 v11, 0x140, v2
	s_mov_b32 s1, 0
.LBB39_61:                              ; =>This Inner Loop Header: Depth=1
	scratch_load_b64 v[86:87], v13, off
	ds_load_b64 v[88:89], v11
	v_dual_add_nc_u32 v9, 1, v9 :: v_dual_add_nc_u32 v11, 8, v11
	s_wait_xcnt 0x0
	v_add_nc_u32_e32 v13, 8, v13
	s_delay_alu instid0(VALU_DEP_2)
	v_cmp_lt_u32_e32 vcc_lo, 11, v9
	s_or_b32 s1, vcc_lo, s1
	s_wait_loadcnt_dscnt 0x0
	v_fmac_f64_e32 v[84:85], v[86:87], v[88:89]
	s_and_not1_b32 exec_lo, exec_lo, s1
	s_cbranch_execnz .LBB39_61
; %bb.62:
	s_or_b32 exec_lo, exec_lo, s1
	v_mov_b32_e32 v9, 0
	ds_load_b64 v[86:87], v9 offset:104
	s_wait_dscnt 0x0
	v_mul_f64_e32 v[84:85], v[84:85], v[86:87]
	scratch_store_b64 off, v[84:85], off offset:104
.LBB39_63:
	s_wait_xcnt 0x0
	s_or_b32 exec_lo, exec_lo, s0
	s_wait_storecnt 0x0
	s_barrier_signal -1
	s_barrier_wait -1
	scratch_load_b64 v[84:85], off, off offset:112
	s_mov_b32 s0, exec_lo
	s_wait_loadcnt 0x0
	ds_store_b64 v1, v[84:85]
	s_wait_dscnt 0x0
	s_barrier_signal -1
	s_barrier_wait -1
	v_cmpx_gt_u32_e32 14, v0
	s_cbranch_execz .LBB39_67
; %bb.64:
	v_mov_b64_e32 v[84:85], 0
	v_dual_add_nc_u32 v9, -1, v0 :: v_dual_mov_b32 v13, v2
	v_add_nc_u32_e32 v11, 0x140, v2
	s_mov_b32 s1, 0
.LBB39_65:                              ; =>This Inner Loop Header: Depth=1
	scratch_load_b64 v[86:87], v13, off
	ds_load_b64 v[88:89], v11
	v_dual_add_nc_u32 v9, 1, v9 :: v_dual_add_nc_u32 v11, 8, v11
	s_wait_xcnt 0x0
	v_add_nc_u32_e32 v13, 8, v13
	s_delay_alu instid0(VALU_DEP_2)
	v_cmp_lt_u32_e32 vcc_lo, 12, v9
	s_or_b32 s1, vcc_lo, s1
	s_wait_loadcnt_dscnt 0x0
	v_fmac_f64_e32 v[84:85], v[86:87], v[88:89]
	s_and_not1_b32 exec_lo, exec_lo, s1
	s_cbranch_execnz .LBB39_65
; %bb.66:
	s_or_b32 exec_lo, exec_lo, s1
	v_mov_b32_e32 v9, 0
	ds_load_b64 v[86:87], v9 offset:112
	s_wait_dscnt 0x0
	v_mul_f64_e32 v[84:85], v[84:85], v[86:87]
	scratch_store_b64 off, v[84:85], off offset:112
.LBB39_67:
	s_wait_xcnt 0x0
	s_or_b32 exec_lo, exec_lo, s0
	s_wait_storecnt 0x0
	s_barrier_signal -1
	s_barrier_wait -1
	scratch_load_b64 v[84:85], off, off offset:120
	s_mov_b32 s0, exec_lo
	s_wait_loadcnt 0x0
	ds_store_b64 v1, v[84:85]
	s_wait_dscnt 0x0
	s_barrier_signal -1
	s_barrier_wait -1
	v_cmpx_gt_u32_e32 15, v0
	s_cbranch_execz .LBB39_71
; %bb.68:
	v_mov_b64_e32 v[84:85], 0
	v_dual_add_nc_u32 v9, -1, v0 :: v_dual_mov_b32 v13, v2
	v_add_nc_u32_e32 v11, 0x140, v2
	s_mov_b32 s1, 0
.LBB39_69:                              ; =>This Inner Loop Header: Depth=1
	scratch_load_b64 v[86:87], v13, off
	ds_load_b64 v[88:89], v11
	v_dual_add_nc_u32 v9, 1, v9 :: v_dual_add_nc_u32 v11, 8, v11
	s_wait_xcnt 0x0
	v_add_nc_u32_e32 v13, 8, v13
	s_delay_alu instid0(VALU_DEP_2)
	v_cmp_lt_u32_e32 vcc_lo, 13, v9
	s_or_b32 s1, vcc_lo, s1
	s_wait_loadcnt_dscnt 0x0
	v_fmac_f64_e32 v[84:85], v[86:87], v[88:89]
	s_and_not1_b32 exec_lo, exec_lo, s1
	s_cbranch_execnz .LBB39_69
; %bb.70:
	s_or_b32 exec_lo, exec_lo, s1
	v_mov_b32_e32 v9, 0
	ds_load_b64 v[86:87], v9 offset:120
	s_wait_dscnt 0x0
	v_mul_f64_e32 v[84:85], v[84:85], v[86:87]
	scratch_store_b64 off, v[84:85], off offset:120
.LBB39_71:
	s_wait_xcnt 0x0
	s_or_b32 exec_lo, exec_lo, s0
	s_wait_storecnt 0x0
	s_barrier_signal -1
	s_barrier_wait -1
	scratch_load_b64 v[84:85], off, off offset:128
	s_mov_b32 s0, exec_lo
	s_wait_loadcnt 0x0
	ds_store_b64 v1, v[84:85]
	s_wait_dscnt 0x0
	s_barrier_signal -1
	s_barrier_wait -1
	v_cmpx_gt_u32_e32 16, v0
	s_cbranch_execz .LBB39_75
; %bb.72:
	v_mov_b64_e32 v[84:85], 0
	v_dual_add_nc_u32 v9, -1, v0 :: v_dual_mov_b32 v13, v2
	v_add_nc_u32_e32 v11, 0x140, v2
	s_mov_b32 s1, 0
.LBB39_73:                              ; =>This Inner Loop Header: Depth=1
	scratch_load_b64 v[86:87], v13, off
	ds_load_b64 v[88:89], v11
	v_dual_add_nc_u32 v9, 1, v9 :: v_dual_add_nc_u32 v11, 8, v11
	s_wait_xcnt 0x0
	v_add_nc_u32_e32 v13, 8, v13
	s_delay_alu instid0(VALU_DEP_2)
	v_cmp_lt_u32_e32 vcc_lo, 14, v9
	s_or_b32 s1, vcc_lo, s1
	s_wait_loadcnt_dscnt 0x0
	v_fmac_f64_e32 v[84:85], v[86:87], v[88:89]
	s_and_not1_b32 exec_lo, exec_lo, s1
	s_cbranch_execnz .LBB39_73
; %bb.74:
	s_or_b32 exec_lo, exec_lo, s1
	v_mov_b32_e32 v9, 0
	ds_load_b64 v[86:87], v9 offset:128
	s_wait_dscnt 0x0
	v_mul_f64_e32 v[84:85], v[84:85], v[86:87]
	scratch_store_b64 off, v[84:85], off offset:128
.LBB39_75:
	s_wait_xcnt 0x0
	s_or_b32 exec_lo, exec_lo, s0
	s_wait_storecnt 0x0
	s_barrier_signal -1
	s_barrier_wait -1
	scratch_load_b64 v[84:85], off, off offset:136
	s_mov_b32 s0, exec_lo
	s_wait_loadcnt 0x0
	ds_store_b64 v1, v[84:85]
	s_wait_dscnt 0x0
	s_barrier_signal -1
	s_barrier_wait -1
	v_cmpx_gt_u32_e32 17, v0
	s_cbranch_execz .LBB39_79
; %bb.76:
	v_mov_b64_e32 v[84:85], 0
	v_dual_add_nc_u32 v9, -1, v0 :: v_dual_mov_b32 v13, v2
	v_add_nc_u32_e32 v11, 0x140, v2
	s_mov_b32 s1, 0
.LBB39_77:                              ; =>This Inner Loop Header: Depth=1
	scratch_load_b64 v[86:87], v13, off
	ds_load_b64 v[88:89], v11
	v_dual_add_nc_u32 v9, 1, v9 :: v_dual_add_nc_u32 v11, 8, v11
	s_wait_xcnt 0x0
	v_add_nc_u32_e32 v13, 8, v13
	s_delay_alu instid0(VALU_DEP_2)
	v_cmp_lt_u32_e32 vcc_lo, 15, v9
	s_or_b32 s1, vcc_lo, s1
	s_wait_loadcnt_dscnt 0x0
	v_fmac_f64_e32 v[84:85], v[86:87], v[88:89]
	s_and_not1_b32 exec_lo, exec_lo, s1
	s_cbranch_execnz .LBB39_77
; %bb.78:
	s_or_b32 exec_lo, exec_lo, s1
	v_mov_b32_e32 v9, 0
	ds_load_b64 v[86:87], v9 offset:136
	s_wait_dscnt 0x0
	v_mul_f64_e32 v[84:85], v[84:85], v[86:87]
	scratch_store_b64 off, v[84:85], off offset:136
.LBB39_79:
	s_wait_xcnt 0x0
	s_or_b32 exec_lo, exec_lo, s0
	s_wait_storecnt 0x0
	s_barrier_signal -1
	s_barrier_wait -1
	scratch_load_b64 v[84:85], off, off offset:144
	s_mov_b32 s0, exec_lo
	s_wait_loadcnt 0x0
	ds_store_b64 v1, v[84:85]
	s_wait_dscnt 0x0
	s_barrier_signal -1
	s_barrier_wait -1
	v_cmpx_gt_u32_e32 18, v0
	s_cbranch_execz .LBB39_83
; %bb.80:
	v_mov_b64_e32 v[84:85], 0
	v_dual_add_nc_u32 v9, -1, v0 :: v_dual_mov_b32 v13, v2
	v_add_nc_u32_e32 v11, 0x140, v2
	s_mov_b32 s1, 0
.LBB39_81:                              ; =>This Inner Loop Header: Depth=1
	scratch_load_b64 v[86:87], v13, off
	ds_load_b64 v[88:89], v11
	v_dual_add_nc_u32 v9, 1, v9 :: v_dual_add_nc_u32 v11, 8, v11
	s_wait_xcnt 0x0
	v_add_nc_u32_e32 v13, 8, v13
	s_delay_alu instid0(VALU_DEP_2)
	v_cmp_lt_u32_e32 vcc_lo, 16, v9
	s_or_b32 s1, vcc_lo, s1
	s_wait_loadcnt_dscnt 0x0
	v_fmac_f64_e32 v[84:85], v[86:87], v[88:89]
	s_and_not1_b32 exec_lo, exec_lo, s1
	s_cbranch_execnz .LBB39_81
; %bb.82:
	s_or_b32 exec_lo, exec_lo, s1
	v_mov_b32_e32 v9, 0
	ds_load_b64 v[86:87], v9 offset:144
	s_wait_dscnt 0x0
	v_mul_f64_e32 v[84:85], v[84:85], v[86:87]
	scratch_store_b64 off, v[84:85], off offset:144
.LBB39_83:
	s_wait_xcnt 0x0
	s_or_b32 exec_lo, exec_lo, s0
	s_wait_storecnt 0x0
	s_barrier_signal -1
	s_barrier_wait -1
	scratch_load_b64 v[84:85], off, off offset:152
	s_mov_b32 s0, exec_lo
	s_wait_loadcnt 0x0
	ds_store_b64 v1, v[84:85]
	s_wait_dscnt 0x0
	s_barrier_signal -1
	s_barrier_wait -1
	v_cmpx_gt_u32_e32 19, v0
	s_cbranch_execz .LBB39_87
; %bb.84:
	v_mov_b64_e32 v[84:85], 0
	v_dual_add_nc_u32 v9, -1, v0 :: v_dual_mov_b32 v13, v2
	v_add_nc_u32_e32 v11, 0x140, v2
	s_mov_b32 s1, 0
.LBB39_85:                              ; =>This Inner Loop Header: Depth=1
	scratch_load_b64 v[86:87], v13, off
	ds_load_b64 v[88:89], v11
	v_dual_add_nc_u32 v9, 1, v9 :: v_dual_add_nc_u32 v11, 8, v11
	s_wait_xcnt 0x0
	v_add_nc_u32_e32 v13, 8, v13
	s_delay_alu instid0(VALU_DEP_2)
	v_cmp_lt_u32_e32 vcc_lo, 17, v9
	s_or_b32 s1, vcc_lo, s1
	s_wait_loadcnt_dscnt 0x0
	v_fmac_f64_e32 v[84:85], v[86:87], v[88:89]
	s_and_not1_b32 exec_lo, exec_lo, s1
	s_cbranch_execnz .LBB39_85
; %bb.86:
	s_or_b32 exec_lo, exec_lo, s1
	v_mov_b32_e32 v9, 0
	ds_load_b64 v[86:87], v9 offset:152
	s_wait_dscnt 0x0
	v_mul_f64_e32 v[84:85], v[84:85], v[86:87]
	scratch_store_b64 off, v[84:85], off offset:152
.LBB39_87:
	s_wait_xcnt 0x0
	s_or_b32 exec_lo, exec_lo, s0
	s_wait_storecnt 0x0
	s_barrier_signal -1
	s_barrier_wait -1
	scratch_load_b64 v[84:85], off, off offset:160
	s_mov_b32 s0, exec_lo
	s_wait_loadcnt 0x0
	ds_store_b64 v1, v[84:85]
	s_wait_dscnt 0x0
	s_barrier_signal -1
	s_barrier_wait -1
	v_cmpx_gt_u32_e32 20, v0
	s_cbranch_execz .LBB39_91
; %bb.88:
	v_mov_b64_e32 v[84:85], 0
	v_dual_add_nc_u32 v9, -1, v0 :: v_dual_mov_b32 v13, v2
	v_add_nc_u32_e32 v11, 0x140, v2
	s_mov_b32 s1, 0
.LBB39_89:                              ; =>This Inner Loop Header: Depth=1
	scratch_load_b64 v[86:87], v13, off
	ds_load_b64 v[88:89], v11
	v_dual_add_nc_u32 v9, 1, v9 :: v_dual_add_nc_u32 v11, 8, v11
	s_wait_xcnt 0x0
	v_add_nc_u32_e32 v13, 8, v13
	s_delay_alu instid0(VALU_DEP_2)
	v_cmp_lt_u32_e32 vcc_lo, 18, v9
	s_or_b32 s1, vcc_lo, s1
	s_wait_loadcnt_dscnt 0x0
	v_fmac_f64_e32 v[84:85], v[86:87], v[88:89]
	s_and_not1_b32 exec_lo, exec_lo, s1
	s_cbranch_execnz .LBB39_89
; %bb.90:
	s_or_b32 exec_lo, exec_lo, s1
	v_mov_b32_e32 v9, 0
	ds_load_b64 v[86:87], v9 offset:160
	s_wait_dscnt 0x0
	v_mul_f64_e32 v[84:85], v[84:85], v[86:87]
	scratch_store_b64 off, v[84:85], off offset:160
.LBB39_91:
	s_wait_xcnt 0x0
	s_or_b32 exec_lo, exec_lo, s0
	s_wait_storecnt 0x0
	s_barrier_signal -1
	s_barrier_wait -1
	scratch_load_b64 v[84:85], off, off offset:168
	s_mov_b32 s0, exec_lo
	s_wait_loadcnt 0x0
	ds_store_b64 v1, v[84:85]
	s_wait_dscnt 0x0
	s_barrier_signal -1
	s_barrier_wait -1
	v_cmpx_gt_u32_e32 21, v0
	s_cbranch_execz .LBB39_95
; %bb.92:
	v_mov_b64_e32 v[84:85], 0
	v_dual_add_nc_u32 v9, -1, v0 :: v_dual_mov_b32 v13, v2
	v_add_nc_u32_e32 v11, 0x140, v2
	s_mov_b32 s1, 0
.LBB39_93:                              ; =>This Inner Loop Header: Depth=1
	scratch_load_b64 v[86:87], v13, off
	ds_load_b64 v[88:89], v11
	v_dual_add_nc_u32 v9, 1, v9 :: v_dual_add_nc_u32 v11, 8, v11
	s_wait_xcnt 0x0
	v_add_nc_u32_e32 v13, 8, v13
	s_delay_alu instid0(VALU_DEP_2)
	v_cmp_lt_u32_e32 vcc_lo, 19, v9
	s_or_b32 s1, vcc_lo, s1
	s_wait_loadcnt_dscnt 0x0
	v_fmac_f64_e32 v[84:85], v[86:87], v[88:89]
	s_and_not1_b32 exec_lo, exec_lo, s1
	s_cbranch_execnz .LBB39_93
; %bb.94:
	s_or_b32 exec_lo, exec_lo, s1
	v_mov_b32_e32 v9, 0
	ds_load_b64 v[86:87], v9 offset:168
	s_wait_dscnt 0x0
	v_mul_f64_e32 v[84:85], v[84:85], v[86:87]
	scratch_store_b64 off, v[84:85], off offset:168
.LBB39_95:
	s_wait_xcnt 0x0
	s_or_b32 exec_lo, exec_lo, s0
	s_wait_storecnt 0x0
	s_barrier_signal -1
	s_barrier_wait -1
	scratch_load_b64 v[84:85], off, off offset:176
	s_mov_b32 s0, exec_lo
	s_wait_loadcnt 0x0
	ds_store_b64 v1, v[84:85]
	s_wait_dscnt 0x0
	s_barrier_signal -1
	s_barrier_wait -1
	v_cmpx_gt_u32_e32 22, v0
	s_cbranch_execz .LBB39_99
; %bb.96:
	v_mov_b64_e32 v[84:85], 0
	v_dual_add_nc_u32 v9, -1, v0 :: v_dual_mov_b32 v13, v2
	v_add_nc_u32_e32 v11, 0x140, v2
	s_mov_b32 s1, 0
.LBB39_97:                              ; =>This Inner Loop Header: Depth=1
	scratch_load_b64 v[86:87], v13, off
	ds_load_b64 v[88:89], v11
	v_dual_add_nc_u32 v9, 1, v9 :: v_dual_add_nc_u32 v11, 8, v11
	s_wait_xcnt 0x0
	v_add_nc_u32_e32 v13, 8, v13
	s_delay_alu instid0(VALU_DEP_2)
	v_cmp_lt_u32_e32 vcc_lo, 20, v9
	s_or_b32 s1, vcc_lo, s1
	s_wait_loadcnt_dscnt 0x0
	v_fmac_f64_e32 v[84:85], v[86:87], v[88:89]
	s_and_not1_b32 exec_lo, exec_lo, s1
	s_cbranch_execnz .LBB39_97
; %bb.98:
	s_or_b32 exec_lo, exec_lo, s1
	v_mov_b32_e32 v9, 0
	ds_load_b64 v[86:87], v9 offset:176
	s_wait_dscnt 0x0
	v_mul_f64_e32 v[84:85], v[84:85], v[86:87]
	scratch_store_b64 off, v[84:85], off offset:176
.LBB39_99:
	s_wait_xcnt 0x0
	s_or_b32 exec_lo, exec_lo, s0
	s_wait_storecnt 0x0
	s_barrier_signal -1
	s_barrier_wait -1
	scratch_load_b64 v[84:85], off, off offset:184
	s_mov_b32 s0, exec_lo
	s_wait_loadcnt 0x0
	ds_store_b64 v1, v[84:85]
	s_wait_dscnt 0x0
	s_barrier_signal -1
	s_barrier_wait -1
	v_cmpx_gt_u32_e32 23, v0
	s_cbranch_execz .LBB39_103
; %bb.100:
	v_mov_b64_e32 v[84:85], 0
	v_dual_add_nc_u32 v9, -1, v0 :: v_dual_mov_b32 v13, v2
	v_add_nc_u32_e32 v11, 0x140, v2
	s_mov_b32 s1, 0
.LBB39_101:                             ; =>This Inner Loop Header: Depth=1
	scratch_load_b64 v[86:87], v13, off
	ds_load_b64 v[88:89], v11
	v_dual_add_nc_u32 v9, 1, v9 :: v_dual_add_nc_u32 v11, 8, v11
	s_wait_xcnt 0x0
	v_add_nc_u32_e32 v13, 8, v13
	s_delay_alu instid0(VALU_DEP_2)
	v_cmp_lt_u32_e32 vcc_lo, 21, v9
	s_or_b32 s1, vcc_lo, s1
	s_wait_loadcnt_dscnt 0x0
	v_fmac_f64_e32 v[84:85], v[86:87], v[88:89]
	s_and_not1_b32 exec_lo, exec_lo, s1
	s_cbranch_execnz .LBB39_101
; %bb.102:
	s_or_b32 exec_lo, exec_lo, s1
	v_mov_b32_e32 v9, 0
	ds_load_b64 v[86:87], v9 offset:184
	s_wait_dscnt 0x0
	v_mul_f64_e32 v[84:85], v[84:85], v[86:87]
	scratch_store_b64 off, v[84:85], off offset:184
.LBB39_103:
	s_wait_xcnt 0x0
	s_or_b32 exec_lo, exec_lo, s0
	s_wait_storecnt 0x0
	s_barrier_signal -1
	s_barrier_wait -1
	scratch_load_b64 v[84:85], off, off offset:192
	s_mov_b32 s0, exec_lo
	s_wait_loadcnt 0x0
	ds_store_b64 v1, v[84:85]
	s_wait_dscnt 0x0
	s_barrier_signal -1
	s_barrier_wait -1
	v_cmpx_gt_u32_e32 24, v0
	s_cbranch_execz .LBB39_107
; %bb.104:
	v_mov_b64_e32 v[84:85], 0
	v_dual_add_nc_u32 v9, -1, v0 :: v_dual_mov_b32 v13, v2
	v_add_nc_u32_e32 v11, 0x140, v2
	s_mov_b32 s1, 0
.LBB39_105:                             ; =>This Inner Loop Header: Depth=1
	scratch_load_b64 v[86:87], v13, off
	ds_load_b64 v[88:89], v11
	v_dual_add_nc_u32 v9, 1, v9 :: v_dual_add_nc_u32 v11, 8, v11
	s_wait_xcnt 0x0
	v_add_nc_u32_e32 v13, 8, v13
	s_delay_alu instid0(VALU_DEP_2)
	v_cmp_lt_u32_e32 vcc_lo, 22, v9
	s_or_b32 s1, vcc_lo, s1
	s_wait_loadcnt_dscnt 0x0
	v_fmac_f64_e32 v[84:85], v[86:87], v[88:89]
	s_and_not1_b32 exec_lo, exec_lo, s1
	s_cbranch_execnz .LBB39_105
; %bb.106:
	s_or_b32 exec_lo, exec_lo, s1
	v_mov_b32_e32 v9, 0
	ds_load_b64 v[86:87], v9 offset:192
	s_wait_dscnt 0x0
	v_mul_f64_e32 v[84:85], v[84:85], v[86:87]
	scratch_store_b64 off, v[84:85], off offset:192
.LBB39_107:
	s_wait_xcnt 0x0
	s_or_b32 exec_lo, exec_lo, s0
	s_wait_storecnt 0x0
	s_barrier_signal -1
	s_barrier_wait -1
	scratch_load_b64 v[84:85], off, off offset:200
	;; [unrolled: 40-line block ×16, first 2 shown]
	s_mov_b32 s0, exec_lo
	s_wait_loadcnt 0x0
	ds_store_b64 v1, v[84:85]
	s_wait_dscnt 0x0
	s_barrier_signal -1
	s_barrier_wait -1
	v_cmpx_ne_u32_e32 39, v0
	s_cbranch_execz .LBB39_167
; %bb.164:
	v_mov_b64_e32 v[84:85], 0
	s_mov_b32 s1, 0
.LBB39_165:                             ; =>This Inner Loop Header: Depth=1
	scratch_load_b64 v[86:87], v2, off
	ds_load_b64 v[88:89], v1
	v_dual_add_nc_u32 v3, 1, v3 :: v_dual_add_nc_u32 v1, 8, v1
	s_wait_xcnt 0x0
	v_add_nc_u32_e32 v2, 8, v2
	s_delay_alu instid0(VALU_DEP_2)
	v_cmp_lt_u32_e32 vcc_lo, 37, v3
	s_or_b32 s1, vcc_lo, s1
	s_wait_loadcnt_dscnt 0x0
	v_fmac_f64_e32 v[84:85], v[86:87], v[88:89]
	s_and_not1_b32 exec_lo, exec_lo, s1
	s_cbranch_execnz .LBB39_165
; %bb.166:
	s_or_b32 exec_lo, exec_lo, s1
	v_mov_b32_e32 v1, 0
	ds_load_b64 v[2:3], v1 offset:312
	s_wait_dscnt 0x0
	v_mul_f64_e32 v[2:3], v[84:85], v[2:3]
	scratch_store_b64 off, v[2:3], off offset:312
.LBB39_167:
	s_wait_xcnt 0x0
	s_or_b32 exec_lo, exec_lo, s0
	s_mov_b32 s1, -1
	s_wait_storecnt 0x0
	s_barrier_signal -1
	s_barrier_wait -1
.LBB39_168:
	s_and_b32 vcc_lo, exec_lo, s1
	s_cbranch_vccz .LBB39_170
; %bb.169:
	v_mov_b32_e32 v1, 0
	s_lshl_b64 s[0:1], s[18:19], 2
	s_delay_alu instid0(SALU_CYCLE_1)
	s_add_nc_u64 s[0:1], s[6:7], s[0:1]
	global_load_b32 v1, v1, s[0:1]
	s_wait_loadcnt 0x0
	v_cmp_ne_u32_e32 vcc_lo, 0, v1
	s_cbranch_vccz .LBB39_171
.LBB39_170:
	s_sendmsg sendmsg(MSG_DEALLOC_VGPRS)
	s_endpgm
.LBB39_171:
	s_wait_xcnt 0x0
	v_lshl_add_u32 v1, v0, 3, 0x140
	s_mov_b32 s0, exec_lo
	v_cmpx_eq_u32_e32 39, v0
	s_cbranch_execz .LBB39_173
; %bb.172:
	scratch_load_b64 v[2:3], off, off offset:304
	v_mov_b64_e32 v[84:85], 0
	scratch_store_b64 off, v[84:85], off offset:304
	s_wait_loadcnt 0x0
	ds_store_b64 v1, v[2:3]
.LBB39_173:
	s_wait_xcnt 0x0
	s_or_b32 exec_lo, exec_lo, s0
	s_wait_storecnt_dscnt 0x0
	s_barrier_signal -1
	s_barrier_wait -1
	scratch_load_b128 v[84:87], off, off offset:304
	v_mov_b32_e32 v2, 0
	s_mov_b32 s0, exec_lo
	ds_load_b64 v[88:89], v2 offset:632
	s_wait_loadcnt_dscnt 0x0
	v_fma_f64 v[86:87], v[86:87], v[88:89], 0
	s_delay_alu instid0(VALU_DEP_1)
	v_add_f64_e64 v[84:85], v[84:85], -v[86:87]
	scratch_store_b64 off, v[84:85], off offset:304
	s_wait_xcnt 0x0
	v_cmpx_lt_u32_e32 37, v0
	s_cbranch_execz .LBB39_175
; %bb.174:
	scratch_load_b64 v[84:85], off, off offset:296
	v_mov_b64_e32 v[86:87], 0
	scratch_store_b64 off, v[86:87], off offset:296
	s_wait_loadcnt 0x0
	ds_store_b64 v1, v[84:85]
.LBB39_175:
	s_wait_xcnt 0x0
	s_or_b32 exec_lo, exec_lo, s0
	s_wait_storecnt_dscnt 0x0
	s_barrier_signal -1
	s_barrier_wait -1
	s_clause 0x1
	scratch_load_b128 v[84:87], off, off offset:296
	scratch_load_b64 v[92:93], off, off offset:312
	ds_load_b128 v[88:91], v2 offset:624
	s_mov_b32 s0, exec_lo
	s_wait_loadcnt_dscnt 0x100
	v_fma_f64 v[2:3], v[86:87], v[88:89], 0
	s_wait_loadcnt 0x0
	s_delay_alu instid0(VALU_DEP_1) | instskip(NEXT) | instid1(VALU_DEP_1)
	v_fmac_f64_e32 v[2:3], v[92:93], v[90:91]
	v_add_f64_e64 v[2:3], v[84:85], -v[2:3]
	scratch_store_b64 off, v[2:3], off offset:296
	s_wait_xcnt 0x0
	v_cmpx_lt_u32_e32 36, v0
	s_cbranch_execz .LBB39_177
; %bb.176:
	scratch_load_b64 v[2:3], off, off offset:288
	v_mov_b64_e32 v[84:85], 0
	scratch_store_b64 off, v[84:85], off offset:288
	s_wait_loadcnt 0x0
	ds_store_b64 v1, v[2:3]
.LBB39_177:
	s_wait_xcnt 0x0
	s_or_b32 exec_lo, exec_lo, s0
	s_wait_storecnt_dscnt 0x0
	s_barrier_signal -1
	s_barrier_wait -1
	s_clause 0x1
	scratch_load_b128 v[84:87], off, off offset:288
	scratch_load_b128 v[88:91], off, off offset:304
	v_mov_b32_e32 v2, 0
	ds_load_2addr_b64 v[92:95], v2 offset0:77 offset1:78
	ds_load_b64 v[96:97], v2 offset:632
	s_mov_b32 s0, exec_lo
	s_wait_loadcnt_dscnt 0x101
	v_fma_f64 v[86:87], v[86:87], v[92:93], 0
	s_wait_loadcnt 0x0
	s_delay_alu instid0(VALU_DEP_1) | instskip(SKIP_1) | instid1(VALU_DEP_1)
	v_fmac_f64_e32 v[86:87], v[88:89], v[94:95]
	s_wait_dscnt 0x0
	v_fmac_f64_e32 v[86:87], v[90:91], v[96:97]
	s_delay_alu instid0(VALU_DEP_1)
	v_add_f64_e64 v[84:85], v[84:85], -v[86:87]
	scratch_store_b64 off, v[84:85], off offset:288
	s_wait_xcnt 0x0
	v_cmpx_lt_u32_e32 35, v0
	s_cbranch_execz .LBB39_179
; %bb.178:
	scratch_load_b64 v[84:85], off, off offset:280
	v_mov_b64_e32 v[86:87], 0
	scratch_store_b64 off, v[86:87], off offset:280
	s_wait_loadcnt 0x0
	ds_store_b64 v1, v[84:85]
.LBB39_179:
	s_wait_xcnt 0x0
	s_or_b32 exec_lo, exec_lo, s0
	s_wait_storecnt_dscnt 0x0
	s_barrier_signal -1
	s_barrier_wait -1
	s_clause 0x2
	scratch_load_b128 v[84:87], off, off offset:280
	scratch_load_b128 v[88:91], off, off offset:296
	scratch_load_b64 v[100:101], off, off offset:312
	ds_load_b128 v[92:95], v2 offset:608
	ds_load_b128 v[96:99], v2 offset:624
	s_mov_b32 s0, exec_lo
	s_wait_loadcnt_dscnt 0x201
	v_fma_f64 v[2:3], v[86:87], v[92:93], 0
	s_wait_loadcnt 0x1
	s_delay_alu instid0(VALU_DEP_1) | instskip(SKIP_1) | instid1(VALU_DEP_1)
	v_fmac_f64_e32 v[2:3], v[88:89], v[94:95]
	s_wait_dscnt 0x0
	v_fmac_f64_e32 v[2:3], v[90:91], v[96:97]
	s_wait_loadcnt 0x0
	s_delay_alu instid0(VALU_DEP_1) | instskip(NEXT) | instid1(VALU_DEP_1)
	v_fmac_f64_e32 v[2:3], v[100:101], v[98:99]
	v_add_f64_e64 v[2:3], v[84:85], -v[2:3]
	scratch_store_b64 off, v[2:3], off offset:280
	s_wait_xcnt 0x0
	v_cmpx_lt_u32_e32 34, v0
	s_cbranch_execz .LBB39_181
; %bb.180:
	scratch_load_b64 v[2:3], off, off offset:272
	v_mov_b64_e32 v[84:85], 0
	scratch_store_b64 off, v[84:85], off offset:272
	s_wait_loadcnt 0x0
	ds_store_b64 v1, v[2:3]
.LBB39_181:
	s_wait_xcnt 0x0
	s_or_b32 exec_lo, exec_lo, s0
	s_wait_storecnt_dscnt 0x0
	s_barrier_signal -1
	s_barrier_wait -1
	s_clause 0x2
	scratch_load_b128 v[84:87], off, off offset:272
	scratch_load_b128 v[88:91], off, off offset:288
	;; [unrolled: 1-line block ×3, first 2 shown]
	v_mov_b32_e32 v2, 0
	ds_load_2addr_b64 v[96:99], v2 offset0:75 offset1:76
	ds_load_2addr_b64 v[100:103], v2 offset0:77 offset1:78
	s_mov_b32 s0, exec_lo
	s_wait_loadcnt_dscnt 0x201
	v_fma_f64 v[86:87], v[86:87], v[96:97], 0
	s_wait_loadcnt 0x1
	s_delay_alu instid0(VALU_DEP_1) | instskip(SKIP_4) | instid1(VALU_DEP_1)
	v_fmac_f64_e32 v[86:87], v[88:89], v[98:99]
	ds_load_b64 v[88:89], v2 offset:632
	s_wait_dscnt 0x1
	v_fmac_f64_e32 v[86:87], v[90:91], v[100:101]
	s_wait_loadcnt 0x0
	v_fmac_f64_e32 v[86:87], v[92:93], v[102:103]
	s_wait_dscnt 0x0
	s_delay_alu instid0(VALU_DEP_1) | instskip(NEXT) | instid1(VALU_DEP_1)
	v_fmac_f64_e32 v[86:87], v[94:95], v[88:89]
	v_add_f64_e64 v[84:85], v[84:85], -v[86:87]
	scratch_store_b64 off, v[84:85], off offset:272
	s_wait_xcnt 0x0
	v_cmpx_lt_u32_e32 33, v0
	s_cbranch_execz .LBB39_183
; %bb.182:
	scratch_load_b64 v[84:85], off, off offset:264
	v_mov_b64_e32 v[86:87], 0
	scratch_store_b64 off, v[86:87], off offset:264
	s_wait_loadcnt 0x0
	ds_store_b64 v1, v[84:85]
.LBB39_183:
	s_wait_xcnt 0x0
	s_or_b32 exec_lo, exec_lo, s0
	s_wait_storecnt_dscnt 0x0
	s_barrier_signal -1
	s_barrier_wait -1
	s_clause 0x3
	scratch_load_b128 v[84:87], off, off offset:264
	scratch_load_b128 v[88:91], off, off offset:280
	;; [unrolled: 1-line block ×3, first 2 shown]
	scratch_load_b64 v[104:105], off, off offset:312
	ds_load_b128 v[96:99], v2 offset:592
	ds_load_b128 v[100:103], v2 offset:608
	s_mov_b32 s0, exec_lo
	s_wait_loadcnt_dscnt 0x301
	v_fma_f64 v[96:97], v[86:87], v[96:97], 0
	s_wait_loadcnt 0x2
	s_delay_alu instid0(VALU_DEP_1) | instskip(SKIP_4) | instid1(VALU_DEP_1)
	v_fmac_f64_e32 v[96:97], v[88:89], v[98:99]
	ds_load_b128 v[86:89], v2 offset:624
	s_wait_dscnt 0x1
	v_fmac_f64_e32 v[96:97], v[90:91], v[100:101]
	s_wait_loadcnt 0x1
	v_fmac_f64_e32 v[96:97], v[92:93], v[102:103]
	s_wait_dscnt 0x0
	s_delay_alu instid0(VALU_DEP_1) | instskip(SKIP_1) | instid1(VALU_DEP_1)
	v_fmac_f64_e32 v[96:97], v[94:95], v[86:87]
	s_wait_loadcnt 0x0
	v_fmac_f64_e32 v[96:97], v[104:105], v[88:89]
	s_delay_alu instid0(VALU_DEP_1)
	v_add_f64_e64 v[2:3], v[84:85], -v[96:97]
	scratch_store_b64 off, v[2:3], off offset:264
	s_wait_xcnt 0x0
	v_cmpx_lt_u32_e32 32, v0
	s_cbranch_execz .LBB39_185
; %bb.184:
	scratch_load_b64 v[2:3], off, off offset:256
	v_mov_b64_e32 v[84:85], 0
	scratch_store_b64 off, v[84:85], off offset:256
	s_wait_loadcnt 0x0
	ds_store_b64 v1, v[2:3]
.LBB39_185:
	s_wait_xcnt 0x0
	s_or_b32 exec_lo, exec_lo, s0
	s_wait_storecnt_dscnt 0x0
	s_barrier_signal -1
	s_barrier_wait -1
	s_clause 0x3
	scratch_load_b128 v[84:87], off, off offset:256
	scratch_load_b128 v[88:91], off, off offset:272
	;; [unrolled: 1-line block ×4, first 2 shown]
	v_mov_b32_e32 v2, 0
	ds_load_2addr_b64 v[100:103], v2 offset0:73 offset1:74
	ds_load_2addr_b64 v[104:107], v2 offset0:75 offset1:76
	s_mov_b32 s0, exec_lo
	s_wait_loadcnt_dscnt 0x301
	v_fma_f64 v[100:101], v[86:87], v[100:101], 0
	s_wait_loadcnt 0x2
	s_delay_alu instid0(VALU_DEP_1) | instskip(SKIP_1) | instid1(VALU_DEP_1)
	v_fmac_f64_e32 v[100:101], v[88:89], v[102:103]
	s_wait_dscnt 0x0
	v_fmac_f64_e32 v[100:101], v[90:91], v[104:105]
	ds_load_2addr_b64 v[86:89], v2 offset0:77 offset1:78
	ds_load_b64 v[90:91], v2 offset:632
	s_wait_loadcnt 0x1
	v_fmac_f64_e32 v[100:101], v[92:93], v[106:107]
	s_wait_dscnt 0x1
	s_delay_alu instid0(VALU_DEP_1) | instskip(SKIP_1) | instid1(VALU_DEP_1)
	v_fmac_f64_e32 v[100:101], v[94:95], v[86:87]
	s_wait_loadcnt 0x0
	v_fmac_f64_e32 v[100:101], v[96:97], v[88:89]
	s_wait_dscnt 0x0
	s_delay_alu instid0(VALU_DEP_1) | instskip(NEXT) | instid1(VALU_DEP_1)
	v_fmac_f64_e32 v[100:101], v[98:99], v[90:91]
	v_add_f64_e64 v[84:85], v[84:85], -v[100:101]
	scratch_store_b64 off, v[84:85], off offset:256
	s_wait_xcnt 0x0
	v_cmpx_lt_u32_e32 31, v0
	s_cbranch_execz .LBB39_187
; %bb.186:
	scratch_load_b64 v[84:85], off, off offset:248
	v_mov_b64_e32 v[86:87], 0
	scratch_store_b64 off, v[86:87], off offset:248
	s_wait_loadcnt 0x0
	ds_store_b64 v1, v[84:85]
.LBB39_187:
	s_wait_xcnt 0x0
	s_or_b32 exec_lo, exec_lo, s0
	s_wait_storecnt_dscnt 0x0
	s_barrier_signal -1
	s_barrier_wait -1
	s_clause 0x4
	scratch_load_b128 v[84:87], off, off offset:248
	scratch_load_b128 v[88:91], off, off offset:264
	;; [unrolled: 1-line block ×4, first 2 shown]
	scratch_load_b64 v[108:109], off, off offset:312
	ds_load_b128 v[100:103], v2 offset:576
	ds_load_b128 v[104:107], v2 offset:592
	s_mov_b32 s0, exec_lo
	s_wait_loadcnt_dscnt 0x401
	v_fma_f64 v[100:101], v[86:87], v[100:101], 0
	s_wait_loadcnt 0x3
	s_delay_alu instid0(VALU_DEP_1) | instskip(SKIP_1) | instid1(VALU_DEP_1)
	v_fmac_f64_e32 v[100:101], v[88:89], v[102:103]
	s_wait_dscnt 0x0
	v_fmac_f64_e32 v[100:101], v[90:91], v[104:105]
	s_wait_loadcnt 0x2
	s_delay_alu instid0(VALU_DEP_1)
	v_fmac_f64_e32 v[100:101], v[92:93], v[106:107]
	ds_load_b128 v[86:89], v2 offset:608
	ds_load_b128 v[90:93], v2 offset:624
	s_wait_dscnt 0x1
	v_fmac_f64_e32 v[100:101], v[94:95], v[86:87]
	s_wait_loadcnt 0x1
	s_delay_alu instid0(VALU_DEP_1) | instskip(SKIP_1) | instid1(VALU_DEP_1)
	v_fmac_f64_e32 v[100:101], v[96:97], v[88:89]
	s_wait_dscnt 0x0
	v_fmac_f64_e32 v[100:101], v[98:99], v[90:91]
	s_wait_loadcnt 0x0
	s_delay_alu instid0(VALU_DEP_1) | instskip(NEXT) | instid1(VALU_DEP_1)
	v_fmac_f64_e32 v[100:101], v[108:109], v[92:93]
	v_add_f64_e64 v[2:3], v[84:85], -v[100:101]
	scratch_store_b64 off, v[2:3], off offset:248
	s_wait_xcnt 0x0
	v_cmpx_lt_u32_e32 30, v0
	s_cbranch_execz .LBB39_189
; %bb.188:
	scratch_load_b64 v[2:3], off, off offset:240
	v_mov_b64_e32 v[84:85], 0
	scratch_store_b64 off, v[84:85], off offset:240
	s_wait_loadcnt 0x0
	ds_store_b64 v1, v[2:3]
.LBB39_189:
	s_wait_xcnt 0x0
	s_or_b32 exec_lo, exec_lo, s0
	s_wait_storecnt_dscnt 0x0
	s_barrier_signal -1
	s_barrier_wait -1
	s_clause 0x4
	scratch_load_b128 v[84:87], off, off offset:240
	scratch_load_b128 v[88:91], off, off offset:256
	;; [unrolled: 1-line block ×5, first 2 shown]
	v_mov_b32_e32 v2, 0
	ds_load_2addr_b64 v[104:107], v2 offset0:71 offset1:72
	ds_load_2addr_b64 v[108:111], v2 offset0:73 offset1:74
	s_mov_b32 s0, exec_lo
	s_wait_loadcnt_dscnt 0x401
	v_fma_f64 v[104:105], v[86:87], v[104:105], 0
	s_wait_loadcnt 0x3
	s_delay_alu instid0(VALU_DEP_1) | instskip(SKIP_1) | instid1(VALU_DEP_1)
	v_fmac_f64_e32 v[104:105], v[88:89], v[106:107]
	s_wait_dscnt 0x0
	v_fmac_f64_e32 v[104:105], v[90:91], v[108:109]
	s_wait_loadcnt 0x2
	s_delay_alu instid0(VALU_DEP_1)
	v_fmac_f64_e32 v[104:105], v[92:93], v[110:111]
	ds_load_2addr_b64 v[86:89], v2 offset0:75 offset1:76
	ds_load_2addr_b64 v[90:93], v2 offset0:77 offset1:78
	s_wait_dscnt 0x1
	v_fmac_f64_e32 v[104:105], v[94:95], v[86:87]
	ds_load_b64 v[86:87], v2 offset:632
	s_wait_loadcnt 0x1
	v_fmac_f64_e32 v[104:105], v[96:97], v[88:89]
	s_wait_dscnt 0x1
	s_delay_alu instid0(VALU_DEP_1) | instskip(SKIP_1) | instid1(VALU_DEP_1)
	v_fmac_f64_e32 v[104:105], v[98:99], v[90:91]
	s_wait_loadcnt 0x0
	v_fmac_f64_e32 v[104:105], v[100:101], v[92:93]
	s_wait_dscnt 0x0
	s_delay_alu instid0(VALU_DEP_1) | instskip(NEXT) | instid1(VALU_DEP_1)
	v_fmac_f64_e32 v[104:105], v[102:103], v[86:87]
	v_add_f64_e64 v[84:85], v[84:85], -v[104:105]
	scratch_store_b64 off, v[84:85], off offset:240
	s_wait_xcnt 0x0
	v_cmpx_lt_u32_e32 29, v0
	s_cbranch_execz .LBB39_191
; %bb.190:
	scratch_load_b64 v[84:85], off, off offset:232
	v_mov_b64_e32 v[86:87], 0
	scratch_store_b64 off, v[86:87], off offset:232
	s_wait_loadcnt 0x0
	ds_store_b64 v1, v[84:85]
.LBB39_191:
	s_wait_xcnt 0x0
	s_or_b32 exec_lo, exec_lo, s0
	s_wait_storecnt_dscnt 0x0
	s_barrier_signal -1
	s_barrier_wait -1
	s_clause 0x5
	scratch_load_b128 v[84:87], off, off offset:232
	scratch_load_b128 v[88:91], off, off offset:248
	;; [unrolled: 1-line block ×5, first 2 shown]
	scratch_load_b64 v[112:113], off, off offset:312
	ds_load_b128 v[104:107], v2 offset:560
	ds_load_b128 v[108:111], v2 offset:576
	s_mov_b32 s0, exec_lo
	s_wait_loadcnt_dscnt 0x501
	v_fma_f64 v[104:105], v[86:87], v[104:105], 0
	s_wait_loadcnt 0x4
	s_delay_alu instid0(VALU_DEP_1) | instskip(SKIP_1) | instid1(VALU_DEP_1)
	v_fmac_f64_e32 v[104:105], v[88:89], v[106:107]
	s_wait_dscnt 0x0
	v_fmac_f64_e32 v[104:105], v[90:91], v[108:109]
	s_wait_loadcnt 0x3
	s_delay_alu instid0(VALU_DEP_1)
	v_fmac_f64_e32 v[104:105], v[92:93], v[110:111]
	ds_load_b128 v[86:89], v2 offset:592
	ds_load_b128 v[90:93], v2 offset:608
	s_wait_dscnt 0x1
	v_fmac_f64_e32 v[104:105], v[94:95], v[86:87]
	s_wait_loadcnt 0x2
	s_delay_alu instid0(VALU_DEP_1) | instskip(SKIP_4) | instid1(VALU_DEP_1)
	v_fmac_f64_e32 v[104:105], v[96:97], v[88:89]
	ds_load_b128 v[86:89], v2 offset:624
	s_wait_dscnt 0x1
	v_fmac_f64_e32 v[104:105], v[98:99], v[90:91]
	s_wait_loadcnt 0x1
	v_fmac_f64_e32 v[104:105], v[100:101], v[92:93]
	s_wait_dscnt 0x0
	s_delay_alu instid0(VALU_DEP_1) | instskip(SKIP_1) | instid1(VALU_DEP_1)
	v_fmac_f64_e32 v[104:105], v[102:103], v[86:87]
	s_wait_loadcnt 0x0
	v_fmac_f64_e32 v[104:105], v[112:113], v[88:89]
	s_delay_alu instid0(VALU_DEP_1)
	v_add_f64_e64 v[2:3], v[84:85], -v[104:105]
	scratch_store_b64 off, v[2:3], off offset:232
	s_wait_xcnt 0x0
	v_cmpx_lt_u32_e32 28, v0
	s_cbranch_execz .LBB39_193
; %bb.192:
	scratch_load_b64 v[2:3], off, off offset:224
	v_mov_b64_e32 v[84:85], 0
	scratch_store_b64 off, v[84:85], off offset:224
	s_wait_loadcnt 0x0
	ds_store_b64 v1, v[2:3]
.LBB39_193:
	s_wait_xcnt 0x0
	s_or_b32 exec_lo, exec_lo, s0
	s_wait_storecnt_dscnt 0x0
	s_barrier_signal -1
	s_barrier_wait -1
	s_clause 0x5
	scratch_load_b128 v[84:87], off, off offset:224
	scratch_load_b128 v[88:91], off, off offset:240
	;; [unrolled: 1-line block ×6, first 2 shown]
	v_mov_b32_e32 v2, 0
	ds_load_2addr_b64 v[108:111], v2 offset0:69 offset1:70
	ds_load_2addr_b64 v[112:115], v2 offset0:71 offset1:72
	s_mov_b32 s0, exec_lo
	s_wait_loadcnt_dscnt 0x501
	v_fma_f64 v[108:109], v[86:87], v[108:109], 0
	s_wait_loadcnt 0x4
	s_delay_alu instid0(VALU_DEP_1) | instskip(SKIP_1) | instid1(VALU_DEP_1)
	v_fmac_f64_e32 v[108:109], v[88:89], v[110:111]
	s_wait_dscnt 0x0
	v_fmac_f64_e32 v[108:109], v[90:91], v[112:113]
	s_wait_loadcnt 0x3
	s_delay_alu instid0(VALU_DEP_1)
	v_fmac_f64_e32 v[108:109], v[92:93], v[114:115]
	ds_load_2addr_b64 v[86:89], v2 offset0:73 offset1:74
	ds_load_2addr_b64 v[90:93], v2 offset0:75 offset1:76
	s_wait_dscnt 0x1
	v_fmac_f64_e32 v[108:109], v[94:95], v[86:87]
	s_wait_loadcnt 0x2
	s_delay_alu instid0(VALU_DEP_1) | instskip(SKIP_1) | instid1(VALU_DEP_1)
	v_fmac_f64_e32 v[108:109], v[96:97], v[88:89]
	s_wait_dscnt 0x0
	v_fmac_f64_e32 v[108:109], v[98:99], v[90:91]
	ds_load_2addr_b64 v[86:89], v2 offset0:77 offset1:78
	ds_load_b64 v[90:91], v2 offset:632
	s_wait_loadcnt 0x1
	v_fmac_f64_e32 v[108:109], v[100:101], v[92:93]
	s_wait_dscnt 0x1
	s_delay_alu instid0(VALU_DEP_1) | instskip(SKIP_1) | instid1(VALU_DEP_1)
	v_fmac_f64_e32 v[108:109], v[102:103], v[86:87]
	s_wait_loadcnt 0x0
	v_fmac_f64_e32 v[108:109], v[104:105], v[88:89]
	s_wait_dscnt 0x0
	s_delay_alu instid0(VALU_DEP_1) | instskip(NEXT) | instid1(VALU_DEP_1)
	v_fmac_f64_e32 v[108:109], v[106:107], v[90:91]
	v_add_f64_e64 v[84:85], v[84:85], -v[108:109]
	scratch_store_b64 off, v[84:85], off offset:224
	s_wait_xcnt 0x0
	v_cmpx_lt_u32_e32 27, v0
	s_cbranch_execz .LBB39_195
; %bb.194:
	scratch_load_b64 v[84:85], off, off offset:216
	v_mov_b64_e32 v[86:87], 0
	scratch_store_b64 off, v[86:87], off offset:216
	s_wait_loadcnt 0x0
	ds_store_b64 v1, v[84:85]
.LBB39_195:
	s_wait_xcnt 0x0
	s_or_b32 exec_lo, exec_lo, s0
	s_wait_storecnt_dscnt 0x0
	s_barrier_signal -1
	s_barrier_wait -1
	s_clause 0x5
	scratch_load_b128 v[84:87], off, off offset:216
	scratch_load_b128 v[88:91], off, off offset:232
	;; [unrolled: 1-line block ×6, first 2 shown]
	ds_load_b128 v[108:111], v2 offset:544
	ds_load_b128 v[112:115], v2 offset:560
	s_mov_b32 s0, exec_lo
	s_wait_loadcnt_dscnt 0x501
	v_fma_f64 v[108:109], v[86:87], v[108:109], 0
	s_wait_loadcnt 0x4
	s_delay_alu instid0(VALU_DEP_1) | instskip(SKIP_4) | instid1(VALU_DEP_1)
	v_fmac_f64_e32 v[108:109], v[88:89], v[110:111]
	scratch_load_b64 v[110:111], off, off offset:312
	s_wait_dscnt 0x0
	v_fmac_f64_e32 v[108:109], v[90:91], v[112:113]
	s_wait_loadcnt 0x4
	v_fmac_f64_e32 v[108:109], v[92:93], v[114:115]
	ds_load_b128 v[86:89], v2 offset:576
	ds_load_b128 v[90:93], v2 offset:592
	s_wait_dscnt 0x1
	v_fmac_f64_e32 v[108:109], v[94:95], v[86:87]
	s_wait_loadcnt 0x3
	s_delay_alu instid0(VALU_DEP_1) | instskip(SKIP_1) | instid1(VALU_DEP_1)
	v_fmac_f64_e32 v[108:109], v[96:97], v[88:89]
	s_wait_dscnt 0x0
	v_fmac_f64_e32 v[108:109], v[98:99], v[90:91]
	s_wait_loadcnt 0x2
	s_delay_alu instid0(VALU_DEP_1)
	v_fmac_f64_e32 v[108:109], v[100:101], v[92:93]
	ds_load_b128 v[86:89], v2 offset:608
	ds_load_b128 v[90:93], v2 offset:624
	s_wait_dscnt 0x1
	v_fmac_f64_e32 v[108:109], v[102:103], v[86:87]
	s_wait_loadcnt 0x1
	s_delay_alu instid0(VALU_DEP_1) | instskip(SKIP_1) | instid1(VALU_DEP_1)
	v_fmac_f64_e32 v[108:109], v[104:105], v[88:89]
	s_wait_dscnt 0x0
	v_fmac_f64_e32 v[108:109], v[106:107], v[90:91]
	s_wait_loadcnt 0x0
	s_delay_alu instid0(VALU_DEP_1) | instskip(NEXT) | instid1(VALU_DEP_1)
	v_fmac_f64_e32 v[108:109], v[110:111], v[92:93]
	v_add_f64_e64 v[2:3], v[84:85], -v[108:109]
	scratch_store_b64 off, v[2:3], off offset:216
	s_wait_xcnt 0x0
	v_cmpx_lt_u32_e32 26, v0
	s_cbranch_execz .LBB39_197
; %bb.196:
	scratch_load_b64 v[2:3], off, off offset:208
	v_mov_b64_e32 v[84:85], 0
	scratch_store_b64 off, v[84:85], off offset:208
	s_wait_loadcnt 0x0
	ds_store_b64 v1, v[2:3]
.LBB39_197:
	s_wait_xcnt 0x0
	s_or_b32 exec_lo, exec_lo, s0
	s_wait_storecnt_dscnt 0x0
	s_barrier_signal -1
	s_barrier_wait -1
	s_clause 0x5
	scratch_load_b128 v[84:87], off, off offset:208
	scratch_load_b128 v[88:91], off, off offset:224
	;; [unrolled: 1-line block ×6, first 2 shown]
	v_mov_b32_e32 v2, 0
	ds_load_2addr_b64 v[108:111], v2 offset0:67 offset1:68
	ds_load_2addr_b64 v[112:115], v2 offset0:69 offset1:70
	s_mov_b32 s0, exec_lo
	s_wait_loadcnt_dscnt 0x501
	v_fma_f64 v[116:117], v[86:87], v[108:109], 0
	s_wait_loadcnt 0x4
	s_delay_alu instid0(VALU_DEP_1) | instskip(SKIP_4) | instid1(VALU_DEP_1)
	v_fmac_f64_e32 v[116:117], v[88:89], v[110:111]
	scratch_load_b128 v[86:89], off, off offset:304
	s_wait_dscnt 0x0
	v_fmac_f64_e32 v[116:117], v[90:91], v[112:113]
	s_wait_loadcnt 0x4
	v_fmac_f64_e32 v[116:117], v[92:93], v[114:115]
	ds_load_2addr_b64 v[90:93], v2 offset0:71 offset1:72
	ds_load_2addr_b64 v[108:111], v2 offset0:73 offset1:74
	s_wait_dscnt 0x1
	v_fmac_f64_e32 v[116:117], v[94:95], v[90:91]
	s_wait_loadcnt 0x3
	s_delay_alu instid0(VALU_DEP_1)
	v_fmac_f64_e32 v[116:117], v[96:97], v[92:93]
	ds_load_2addr_b64 v[90:93], v2 offset0:75 offset1:76
	ds_load_2addr_b64 v[94:97], v2 offset0:77 offset1:78
	s_wait_dscnt 0x2
	v_fmac_f64_e32 v[116:117], v[98:99], v[108:109]
	s_wait_loadcnt 0x2
	s_delay_alu instid0(VALU_DEP_1) | instskip(SKIP_1) | instid1(VALU_DEP_1)
	v_fmac_f64_e32 v[116:117], v[100:101], v[110:111]
	s_wait_dscnt 0x1
	v_fmac_f64_e32 v[116:117], v[102:103], v[90:91]
	s_wait_loadcnt 0x1
	s_delay_alu instid0(VALU_DEP_1) | instskip(SKIP_1) | instid1(VALU_DEP_1)
	v_fmac_f64_e32 v[116:117], v[104:105], v[92:93]
	s_wait_dscnt 0x0
	v_fmac_f64_e32 v[116:117], v[106:107], v[94:95]
	s_wait_loadcnt 0x0
	s_delay_alu instid0(VALU_DEP_1) | instskip(SKIP_3) | instid1(VALU_DEP_1)
	v_fmac_f64_e32 v[116:117], v[86:87], v[96:97]
	ds_load_b64 v[86:87], v2 offset:632
	s_wait_dscnt 0x0
	v_fmac_f64_e32 v[116:117], v[88:89], v[86:87]
	v_add_f64_e64 v[84:85], v[84:85], -v[116:117]
	scratch_store_b64 off, v[84:85], off offset:208
	s_wait_xcnt 0x0
	v_cmpx_lt_u32_e32 25, v0
	s_cbranch_execz .LBB39_199
; %bb.198:
	scratch_load_b64 v[84:85], off, off offset:200
	v_mov_b64_e32 v[86:87], 0
	scratch_store_b64 off, v[86:87], off offset:200
	s_wait_loadcnt 0x0
	ds_store_b64 v1, v[84:85]
.LBB39_199:
	s_wait_xcnt 0x0
	s_or_b32 exec_lo, exec_lo, s0
	s_wait_storecnt_dscnt 0x0
	s_barrier_signal -1
	s_barrier_wait -1
	s_clause 0x5
	scratch_load_b128 v[84:87], off, off offset:200
	scratch_load_b128 v[88:91], off, off offset:216
	;; [unrolled: 1-line block ×6, first 2 shown]
	ds_load_b128 v[108:111], v2 offset:528
	ds_load_b128 v[112:115], v2 offset:544
	s_mov_b32 s0, exec_lo
	s_wait_loadcnt_dscnt 0x501
	v_fma_f64 v[116:117], v[86:87], v[108:109], 0
	s_wait_loadcnt 0x4
	s_delay_alu instid0(VALU_DEP_1)
	v_fmac_f64_e32 v[116:117], v[88:89], v[110:111]
	scratch_load_b128 v[86:89], off, off offset:296
	s_wait_dscnt 0x0
	v_fmac_f64_e32 v[116:117], v[90:91], v[112:113]
	scratch_load_b64 v[112:113], off, off offset:312
	s_wait_loadcnt 0x5
	v_fmac_f64_e32 v[116:117], v[92:93], v[114:115]
	ds_load_b128 v[90:93], v2 offset:560
	ds_load_b128 v[108:111], v2 offset:576
	s_wait_dscnt 0x1
	v_fmac_f64_e32 v[116:117], v[94:95], v[90:91]
	s_wait_loadcnt 0x4
	s_delay_alu instid0(VALU_DEP_1)
	v_fmac_f64_e32 v[116:117], v[96:97], v[92:93]
	ds_load_b128 v[90:93], v2 offset:592
	ds_load_b128 v[94:97], v2 offset:608
	s_wait_dscnt 0x2
	v_fmac_f64_e32 v[116:117], v[98:99], v[108:109]
	s_wait_loadcnt 0x3
	s_delay_alu instid0(VALU_DEP_1) | instskip(SKIP_1) | instid1(VALU_DEP_1)
	v_fmac_f64_e32 v[116:117], v[100:101], v[110:111]
	s_wait_dscnt 0x1
	v_fmac_f64_e32 v[116:117], v[102:103], v[90:91]
	s_wait_loadcnt 0x2
	s_delay_alu instid0(VALU_DEP_1) | instskip(SKIP_4) | instid1(VALU_DEP_1)
	v_fmac_f64_e32 v[116:117], v[104:105], v[92:93]
	ds_load_b128 v[90:93], v2 offset:624
	s_wait_dscnt 0x1
	v_fmac_f64_e32 v[116:117], v[106:107], v[94:95]
	s_wait_loadcnt 0x1
	v_fmac_f64_e32 v[116:117], v[86:87], v[96:97]
	s_wait_dscnt 0x0
	s_delay_alu instid0(VALU_DEP_1) | instskip(SKIP_1) | instid1(VALU_DEP_1)
	v_fmac_f64_e32 v[116:117], v[88:89], v[90:91]
	s_wait_loadcnt 0x0
	v_fmac_f64_e32 v[116:117], v[112:113], v[92:93]
	s_delay_alu instid0(VALU_DEP_1)
	v_add_f64_e64 v[2:3], v[84:85], -v[116:117]
	scratch_store_b64 off, v[2:3], off offset:200
	s_wait_xcnt 0x0
	v_cmpx_lt_u32_e32 24, v0
	s_cbranch_execz .LBB39_201
; %bb.200:
	scratch_load_b64 v[2:3], off, off offset:192
	v_mov_b64_e32 v[84:85], 0
	scratch_store_b64 off, v[84:85], off offset:192
	s_wait_loadcnt 0x0
	ds_store_b64 v1, v[2:3]
.LBB39_201:
	s_wait_xcnt 0x0
	s_or_b32 exec_lo, exec_lo, s0
	s_wait_storecnt_dscnt 0x0
	s_barrier_signal -1
	s_barrier_wait -1
	s_clause 0x5
	scratch_load_b128 v[84:87], off, off offset:192
	scratch_load_b128 v[88:91], off, off offset:208
	;; [unrolled: 1-line block ×6, first 2 shown]
	v_mov_b32_e32 v2, 0
	ds_load_2addr_b64 v[108:111], v2 offset0:65 offset1:66
	ds_load_2addr_b64 v[112:115], v2 offset0:67 offset1:68
	s_mov_b32 s0, exec_lo
	s_wait_loadcnt_dscnt 0x501
	v_fma_f64 v[116:117], v[86:87], v[108:109], 0
	s_wait_loadcnt 0x4
	s_delay_alu instid0(VALU_DEP_1) | instskip(SKIP_4) | instid1(VALU_DEP_1)
	v_fmac_f64_e32 v[116:117], v[88:89], v[110:111]
	scratch_load_b128 v[86:89], off, off offset:288
	s_wait_dscnt 0x0
	v_fmac_f64_e32 v[116:117], v[90:91], v[112:113]
	s_wait_loadcnt 0x4
	v_fmac_f64_e32 v[116:117], v[92:93], v[114:115]
	scratch_load_b128 v[90:93], off, off offset:304
	ds_load_2addr_b64 v[108:111], v2 offset0:69 offset1:70
	ds_load_2addr_b64 v[112:115], v2 offset0:71 offset1:72
	s_wait_dscnt 0x1
	v_fmac_f64_e32 v[116:117], v[94:95], v[108:109]
	s_wait_loadcnt 0x4
	s_delay_alu instid0(VALU_DEP_1) | instskip(SKIP_1) | instid1(VALU_DEP_1)
	v_fmac_f64_e32 v[116:117], v[96:97], v[110:111]
	s_wait_dscnt 0x0
	v_fmac_f64_e32 v[116:117], v[98:99], v[112:113]
	s_wait_loadcnt 0x3
	s_delay_alu instid0(VALU_DEP_1)
	v_fmac_f64_e32 v[116:117], v[100:101], v[114:115]
	ds_load_2addr_b64 v[94:97], v2 offset0:73 offset1:74
	ds_load_2addr_b64 v[98:101], v2 offset0:75 offset1:76
	s_wait_dscnt 0x1
	v_fmac_f64_e32 v[116:117], v[102:103], v[94:95]
	s_wait_loadcnt 0x2
	s_delay_alu instid0(VALU_DEP_1) | instskip(SKIP_1) | instid1(VALU_DEP_1)
	v_fmac_f64_e32 v[116:117], v[104:105], v[96:97]
	s_wait_dscnt 0x0
	v_fmac_f64_e32 v[116:117], v[106:107], v[98:99]
	s_wait_loadcnt 0x1
	s_delay_alu instid0(VALU_DEP_1)
	v_fmac_f64_e32 v[116:117], v[86:87], v[100:101]
	ds_load_2addr_b64 v[94:97], v2 offset0:77 offset1:78
	ds_load_b64 v[86:87], v2 offset:632
	s_wait_dscnt 0x1
	v_fmac_f64_e32 v[116:117], v[88:89], v[94:95]
	s_wait_loadcnt 0x0
	s_delay_alu instid0(VALU_DEP_1) | instskip(SKIP_1) | instid1(VALU_DEP_1)
	v_fmac_f64_e32 v[116:117], v[90:91], v[96:97]
	s_wait_dscnt 0x0
	v_fmac_f64_e32 v[116:117], v[92:93], v[86:87]
	s_delay_alu instid0(VALU_DEP_1)
	v_add_f64_e64 v[84:85], v[84:85], -v[116:117]
	scratch_store_b64 off, v[84:85], off offset:192
	s_wait_xcnt 0x0
	v_cmpx_lt_u32_e32 23, v0
	s_cbranch_execz .LBB39_203
; %bb.202:
	scratch_load_b64 v[84:85], off, off offset:184
	v_mov_b64_e32 v[86:87], 0
	scratch_store_b64 off, v[86:87], off offset:184
	s_wait_loadcnt 0x0
	ds_store_b64 v1, v[84:85]
.LBB39_203:
	s_wait_xcnt 0x0
	s_or_b32 exec_lo, exec_lo, s0
	s_wait_storecnt_dscnt 0x0
	s_barrier_signal -1
	s_barrier_wait -1
	s_clause 0x5
	scratch_load_b128 v[84:87], off, off offset:184
	scratch_load_b128 v[88:91], off, off offset:200
	;; [unrolled: 1-line block ×6, first 2 shown]
	ds_load_b128 v[108:111], v2 offset:512
	ds_load_b128 v[112:115], v2 offset:528
	s_mov_b32 s0, exec_lo
	s_wait_loadcnt_dscnt 0x501
	v_fma_f64 v[116:117], v[86:87], v[108:109], 0
	s_wait_loadcnt 0x4
	s_delay_alu instid0(VALU_DEP_1) | instskip(SKIP_4) | instid1(VALU_DEP_1)
	v_fmac_f64_e32 v[116:117], v[88:89], v[110:111]
	scratch_load_b128 v[86:89], off, off offset:280
	s_wait_dscnt 0x0
	v_fmac_f64_e32 v[116:117], v[90:91], v[112:113]
	s_wait_loadcnt 0x4
	v_fmac_f64_e32 v[116:117], v[92:93], v[114:115]
	scratch_load_b128 v[90:93], off, off offset:296
	ds_load_b128 v[108:111], v2 offset:544
	ds_load_b128 v[112:115], v2 offset:560
	s_wait_dscnt 0x1
	v_fmac_f64_e32 v[116:117], v[94:95], v[108:109]
	scratch_load_b64 v[108:109], off, off offset:312
	s_wait_loadcnt 0x5
	v_fmac_f64_e32 v[116:117], v[96:97], v[110:111]
	s_wait_dscnt 0x0
	s_delay_alu instid0(VALU_DEP_1) | instskip(SKIP_1) | instid1(VALU_DEP_1)
	v_fmac_f64_e32 v[116:117], v[98:99], v[112:113]
	s_wait_loadcnt 0x4
	v_fmac_f64_e32 v[116:117], v[100:101], v[114:115]
	ds_load_b128 v[94:97], v2 offset:576
	ds_load_b128 v[98:101], v2 offset:592
	s_wait_dscnt 0x1
	v_fmac_f64_e32 v[116:117], v[102:103], v[94:95]
	s_wait_loadcnt 0x3
	s_delay_alu instid0(VALU_DEP_1) | instskip(SKIP_1) | instid1(VALU_DEP_1)
	v_fmac_f64_e32 v[116:117], v[104:105], v[96:97]
	s_wait_dscnt 0x0
	v_fmac_f64_e32 v[116:117], v[106:107], v[98:99]
	s_wait_loadcnt 0x2
	s_delay_alu instid0(VALU_DEP_1)
	v_fmac_f64_e32 v[116:117], v[86:87], v[100:101]
	ds_load_b128 v[94:97], v2 offset:608
	ds_load_b128 v[98:101], v2 offset:624
	s_wait_dscnt 0x1
	v_fmac_f64_e32 v[116:117], v[88:89], v[94:95]
	s_wait_loadcnt 0x1
	s_delay_alu instid0(VALU_DEP_1) | instskip(SKIP_1) | instid1(VALU_DEP_1)
	v_fmac_f64_e32 v[116:117], v[90:91], v[96:97]
	s_wait_dscnt 0x0
	v_fmac_f64_e32 v[116:117], v[92:93], v[98:99]
	s_wait_loadcnt 0x0
	s_delay_alu instid0(VALU_DEP_1) | instskip(NEXT) | instid1(VALU_DEP_1)
	v_fmac_f64_e32 v[116:117], v[108:109], v[100:101]
	v_add_f64_e64 v[2:3], v[84:85], -v[116:117]
	scratch_store_b64 off, v[2:3], off offset:184
	s_wait_xcnt 0x0
	v_cmpx_lt_u32_e32 22, v0
	s_cbranch_execz .LBB39_205
; %bb.204:
	scratch_load_b64 v[2:3], off, off offset:176
	v_mov_b64_e32 v[84:85], 0
	scratch_store_b64 off, v[84:85], off offset:176
	s_wait_loadcnt 0x0
	ds_store_b64 v1, v[2:3]
.LBB39_205:
	s_wait_xcnt 0x0
	s_or_b32 exec_lo, exec_lo, s0
	s_wait_storecnt_dscnt 0x0
	s_barrier_signal -1
	s_barrier_wait -1
	s_clause 0x5
	scratch_load_b128 v[84:87], off, off offset:176
	scratch_load_b128 v[88:91], off, off offset:192
	;; [unrolled: 1-line block ×6, first 2 shown]
	v_mov_b32_e32 v2, 0
	ds_load_2addr_b64 v[108:111], v2 offset0:63 offset1:64
	ds_load_2addr_b64 v[112:115], v2 offset0:65 offset1:66
	s_mov_b32 s0, exec_lo
	s_wait_loadcnt_dscnt 0x501
	v_fma_f64 v[116:117], v[86:87], v[108:109], 0
	s_wait_loadcnt 0x4
	s_delay_alu instid0(VALU_DEP_1) | instskip(SKIP_4) | instid1(VALU_DEP_1)
	v_fmac_f64_e32 v[116:117], v[88:89], v[110:111]
	scratch_load_b128 v[86:89], off, off offset:272
	s_wait_dscnt 0x0
	v_fmac_f64_e32 v[116:117], v[90:91], v[112:113]
	s_wait_loadcnt 0x4
	v_fmac_f64_e32 v[116:117], v[92:93], v[114:115]
	scratch_load_b128 v[90:93], off, off offset:288
	ds_load_2addr_b64 v[108:111], v2 offset0:67 offset1:68
	ds_load_2addr_b64 v[112:115], v2 offset0:69 offset1:70
	s_wait_dscnt 0x1
	v_fmac_f64_e32 v[116:117], v[94:95], v[108:109]
	s_wait_loadcnt 0x4
	s_delay_alu instid0(VALU_DEP_1) | instskip(SKIP_4) | instid1(VALU_DEP_1)
	v_fmac_f64_e32 v[116:117], v[96:97], v[110:111]
	scratch_load_b128 v[94:97], off, off offset:304
	s_wait_dscnt 0x0
	v_fmac_f64_e32 v[116:117], v[98:99], v[112:113]
	s_wait_loadcnt 0x4
	v_fmac_f64_e32 v[116:117], v[100:101], v[114:115]
	ds_load_2addr_b64 v[98:101], v2 offset0:71 offset1:72
	ds_load_2addr_b64 v[108:111], v2 offset0:73 offset1:74
	s_wait_dscnt 0x1
	v_fmac_f64_e32 v[116:117], v[102:103], v[98:99]
	s_wait_loadcnt 0x3
	s_delay_alu instid0(VALU_DEP_1)
	v_fmac_f64_e32 v[116:117], v[104:105], v[100:101]
	ds_load_2addr_b64 v[98:101], v2 offset0:75 offset1:76
	ds_load_2addr_b64 v[102:105], v2 offset0:77 offset1:78
	s_wait_dscnt 0x2
	v_fmac_f64_e32 v[116:117], v[106:107], v[108:109]
	s_wait_loadcnt 0x2
	s_delay_alu instid0(VALU_DEP_1) | instskip(SKIP_4) | instid1(VALU_DEP_1)
	v_fmac_f64_e32 v[116:117], v[86:87], v[110:111]
	ds_load_b64 v[86:87], v2 offset:632
	s_wait_dscnt 0x2
	v_fmac_f64_e32 v[116:117], v[88:89], v[98:99]
	s_wait_loadcnt 0x1
	v_fmac_f64_e32 v[116:117], v[90:91], v[100:101]
	s_wait_dscnt 0x1
	s_delay_alu instid0(VALU_DEP_1) | instskip(SKIP_1) | instid1(VALU_DEP_1)
	v_fmac_f64_e32 v[116:117], v[92:93], v[102:103]
	s_wait_loadcnt 0x0
	v_fmac_f64_e32 v[116:117], v[94:95], v[104:105]
	s_wait_dscnt 0x0
	s_delay_alu instid0(VALU_DEP_1) | instskip(NEXT) | instid1(VALU_DEP_1)
	v_fmac_f64_e32 v[116:117], v[96:97], v[86:87]
	v_add_f64_e64 v[84:85], v[84:85], -v[116:117]
	scratch_store_b64 off, v[84:85], off offset:176
	s_wait_xcnt 0x0
	v_cmpx_lt_u32_e32 21, v0
	s_cbranch_execz .LBB39_207
; %bb.206:
	scratch_load_b64 v[84:85], off, off offset:168
	v_mov_b64_e32 v[86:87], 0
	scratch_store_b64 off, v[86:87], off offset:168
	s_wait_loadcnt 0x0
	ds_store_b64 v1, v[84:85]
.LBB39_207:
	s_wait_xcnt 0x0
	s_or_b32 exec_lo, exec_lo, s0
	s_wait_storecnt_dscnt 0x0
	s_barrier_signal -1
	s_barrier_wait -1
	s_clause 0x5
	scratch_load_b128 v[84:87], off, off offset:168
	scratch_load_b128 v[88:91], off, off offset:184
	;; [unrolled: 1-line block ×6, first 2 shown]
	ds_load_b128 v[108:111], v2 offset:496
	ds_load_b128 v[112:115], v2 offset:512
	s_mov_b32 s0, exec_lo
	s_wait_loadcnt_dscnt 0x501
	v_fma_f64 v[116:117], v[86:87], v[108:109], 0
	s_wait_loadcnt 0x4
	s_delay_alu instid0(VALU_DEP_1) | instskip(SKIP_4) | instid1(VALU_DEP_1)
	v_fmac_f64_e32 v[116:117], v[88:89], v[110:111]
	scratch_load_b128 v[86:89], off, off offset:264
	s_wait_dscnt 0x0
	v_fmac_f64_e32 v[116:117], v[90:91], v[112:113]
	s_wait_loadcnt 0x4
	v_fmac_f64_e32 v[116:117], v[92:93], v[114:115]
	scratch_load_b128 v[90:93], off, off offset:280
	ds_load_b128 v[108:111], v2 offset:528
	ds_load_b128 v[112:115], v2 offset:544
	s_wait_dscnt 0x1
	v_fmac_f64_e32 v[116:117], v[94:95], v[108:109]
	s_wait_loadcnt 0x4
	s_delay_alu instid0(VALU_DEP_1)
	v_fmac_f64_e32 v[116:117], v[96:97], v[110:111]
	scratch_load_b128 v[94:97], off, off offset:296
	s_wait_dscnt 0x0
	v_fmac_f64_e32 v[116:117], v[98:99], v[112:113]
	scratch_load_b64 v[112:113], off, off offset:312
	s_wait_loadcnt 0x5
	v_fmac_f64_e32 v[116:117], v[100:101], v[114:115]
	ds_load_b128 v[98:101], v2 offset:560
	ds_load_b128 v[108:111], v2 offset:576
	s_wait_dscnt 0x1
	v_fmac_f64_e32 v[116:117], v[102:103], v[98:99]
	s_wait_loadcnt 0x4
	s_delay_alu instid0(VALU_DEP_1)
	v_fmac_f64_e32 v[116:117], v[104:105], v[100:101]
	ds_load_b128 v[98:101], v2 offset:592
	ds_load_b128 v[102:105], v2 offset:608
	s_wait_dscnt 0x2
	v_fmac_f64_e32 v[116:117], v[106:107], v[108:109]
	s_wait_loadcnt 0x3
	s_delay_alu instid0(VALU_DEP_1) | instskip(SKIP_1) | instid1(VALU_DEP_1)
	v_fmac_f64_e32 v[116:117], v[86:87], v[110:111]
	s_wait_dscnt 0x1
	v_fmac_f64_e32 v[116:117], v[88:89], v[98:99]
	ds_load_b128 v[86:89], v2 offset:624
	s_wait_loadcnt 0x2
	v_fmac_f64_e32 v[116:117], v[90:91], v[100:101]
	s_wait_dscnt 0x1
	s_delay_alu instid0(VALU_DEP_1) | instskip(SKIP_1) | instid1(VALU_DEP_1)
	v_fmac_f64_e32 v[116:117], v[92:93], v[102:103]
	s_wait_loadcnt 0x1
	v_fmac_f64_e32 v[116:117], v[94:95], v[104:105]
	s_wait_dscnt 0x0
	s_delay_alu instid0(VALU_DEP_1) | instskip(SKIP_1) | instid1(VALU_DEP_1)
	v_fmac_f64_e32 v[116:117], v[96:97], v[86:87]
	s_wait_loadcnt 0x0
	v_fmac_f64_e32 v[116:117], v[112:113], v[88:89]
	s_delay_alu instid0(VALU_DEP_1)
	v_add_f64_e64 v[2:3], v[84:85], -v[116:117]
	scratch_store_b64 off, v[2:3], off offset:168
	s_wait_xcnt 0x0
	v_cmpx_lt_u32_e32 20, v0
	s_cbranch_execz .LBB39_209
; %bb.208:
	scratch_load_b64 v[2:3], off, off offset:160
	v_mov_b64_e32 v[84:85], 0
	scratch_store_b64 off, v[84:85], off offset:160
	s_wait_loadcnt 0x0
	ds_store_b64 v1, v[2:3]
.LBB39_209:
	s_wait_xcnt 0x0
	s_or_b32 exec_lo, exec_lo, s0
	s_wait_storecnt_dscnt 0x0
	s_barrier_signal -1
	s_barrier_wait -1
	s_clause 0x5
	scratch_load_b128 v[84:87], off, off offset:160
	scratch_load_b128 v[88:91], off, off offset:176
	;; [unrolled: 1-line block ×6, first 2 shown]
	v_mov_b32_e32 v2, 0
	ds_load_2addr_b64 v[108:111], v2 offset0:61 offset1:62
	ds_load_2addr_b64 v[112:115], v2 offset0:63 offset1:64
	s_mov_b32 s0, exec_lo
	s_wait_loadcnt_dscnt 0x501
	v_fma_f64 v[116:117], v[86:87], v[108:109], 0
	s_wait_loadcnt 0x4
	s_delay_alu instid0(VALU_DEP_1) | instskip(SKIP_4) | instid1(VALU_DEP_1)
	v_fmac_f64_e32 v[116:117], v[88:89], v[110:111]
	scratch_load_b128 v[86:89], off, off offset:256
	s_wait_dscnt 0x0
	v_fmac_f64_e32 v[116:117], v[90:91], v[112:113]
	s_wait_loadcnt 0x4
	v_fmac_f64_e32 v[116:117], v[92:93], v[114:115]
	scratch_load_b128 v[90:93], off, off offset:272
	ds_load_2addr_b64 v[108:111], v2 offset0:65 offset1:66
	ds_load_2addr_b64 v[112:115], v2 offset0:67 offset1:68
	s_wait_dscnt 0x1
	v_fmac_f64_e32 v[116:117], v[94:95], v[108:109]
	s_wait_loadcnt 0x4
	s_delay_alu instid0(VALU_DEP_1) | instskip(SKIP_4) | instid1(VALU_DEP_1)
	v_fmac_f64_e32 v[116:117], v[96:97], v[110:111]
	scratch_load_b128 v[94:97], off, off offset:288
	s_wait_dscnt 0x0
	v_fmac_f64_e32 v[116:117], v[98:99], v[112:113]
	s_wait_loadcnt 0x4
	v_fmac_f64_e32 v[116:117], v[100:101], v[114:115]
	scratch_load_b128 v[98:101], off, off offset:304
	ds_load_2addr_b64 v[108:111], v2 offset0:69 offset1:70
	ds_load_2addr_b64 v[112:115], v2 offset0:71 offset1:72
	s_wait_dscnt 0x1
	v_fmac_f64_e32 v[116:117], v[102:103], v[108:109]
	s_wait_loadcnt 0x4
	s_delay_alu instid0(VALU_DEP_1) | instskip(SKIP_1) | instid1(VALU_DEP_1)
	v_fmac_f64_e32 v[116:117], v[104:105], v[110:111]
	s_wait_dscnt 0x0
	v_fmac_f64_e32 v[116:117], v[106:107], v[112:113]
	ds_load_2addr_b64 v[102:105], v2 offset0:73 offset1:74
	ds_load_2addr_b64 v[106:109], v2 offset0:75 offset1:76
	s_wait_loadcnt 0x3
	v_fmac_f64_e32 v[116:117], v[86:87], v[114:115]
	s_wait_dscnt 0x1
	s_delay_alu instid0(VALU_DEP_1) | instskip(SKIP_1) | instid1(VALU_DEP_1)
	v_fmac_f64_e32 v[116:117], v[88:89], v[102:103]
	s_wait_loadcnt 0x2
	v_fmac_f64_e32 v[116:117], v[90:91], v[104:105]
	ds_load_2addr_b64 v[86:89], v2 offset0:77 offset1:78
	ds_load_b64 v[90:91], v2 offset:632
	s_wait_dscnt 0x2
	v_fmac_f64_e32 v[116:117], v[92:93], v[106:107]
	s_wait_loadcnt 0x1
	s_delay_alu instid0(VALU_DEP_1) | instskip(SKIP_1) | instid1(VALU_DEP_1)
	v_fmac_f64_e32 v[116:117], v[94:95], v[108:109]
	s_wait_dscnt 0x1
	v_fmac_f64_e32 v[116:117], v[96:97], v[86:87]
	s_wait_loadcnt 0x0
	s_delay_alu instid0(VALU_DEP_1) | instskip(SKIP_1) | instid1(VALU_DEP_1)
	v_fmac_f64_e32 v[116:117], v[98:99], v[88:89]
	s_wait_dscnt 0x0
	v_fmac_f64_e32 v[116:117], v[100:101], v[90:91]
	s_delay_alu instid0(VALU_DEP_1)
	v_add_f64_e64 v[84:85], v[84:85], -v[116:117]
	scratch_store_b64 off, v[84:85], off offset:160
	s_wait_xcnt 0x0
	v_cmpx_lt_u32_e32 19, v0
	s_cbranch_execz .LBB39_211
; %bb.210:
	scratch_load_b64 v[84:85], off, off offset:152
	v_mov_b64_e32 v[86:87], 0
	scratch_store_b64 off, v[86:87], off offset:152
	s_wait_loadcnt 0x0
	ds_store_b64 v1, v[84:85]
.LBB39_211:
	s_wait_xcnt 0x0
	s_or_b32 exec_lo, exec_lo, s0
	s_wait_storecnt_dscnt 0x0
	s_barrier_signal -1
	s_barrier_wait -1
	s_clause 0x5
	scratch_load_b128 v[84:87], off, off offset:152
	scratch_load_b128 v[88:91], off, off offset:168
	;; [unrolled: 1-line block ×6, first 2 shown]
	ds_load_b128 v[108:111], v2 offset:480
	ds_load_b128 v[112:115], v2 offset:496
	s_mov_b32 s0, exec_lo
	s_wait_loadcnt_dscnt 0x501
	v_fma_f64 v[116:117], v[86:87], v[108:109], 0
	s_wait_loadcnt 0x4
	s_delay_alu instid0(VALU_DEP_1) | instskip(SKIP_4) | instid1(VALU_DEP_1)
	v_fmac_f64_e32 v[116:117], v[88:89], v[110:111]
	scratch_load_b128 v[86:89], off, off offset:248
	s_wait_dscnt 0x0
	v_fmac_f64_e32 v[116:117], v[90:91], v[112:113]
	s_wait_loadcnt 0x4
	v_fmac_f64_e32 v[116:117], v[92:93], v[114:115]
	scratch_load_b128 v[90:93], off, off offset:264
	ds_load_b128 v[108:111], v2 offset:512
	ds_load_b128 v[112:115], v2 offset:528
	s_wait_dscnt 0x1
	v_fmac_f64_e32 v[116:117], v[94:95], v[108:109]
	s_wait_loadcnt 0x4
	s_delay_alu instid0(VALU_DEP_1) | instskip(SKIP_4) | instid1(VALU_DEP_1)
	v_fmac_f64_e32 v[116:117], v[96:97], v[110:111]
	scratch_load_b128 v[94:97], off, off offset:280
	s_wait_dscnt 0x0
	v_fmac_f64_e32 v[116:117], v[98:99], v[112:113]
	s_wait_loadcnt 0x4
	v_fmac_f64_e32 v[116:117], v[100:101], v[114:115]
	scratch_load_b128 v[98:101], off, off offset:296
	ds_load_b128 v[108:111], v2 offset:544
	ds_load_b128 v[112:115], v2 offset:560
	s_wait_dscnt 0x1
	v_fmac_f64_e32 v[116:117], v[102:103], v[108:109]
	s_wait_loadcnt 0x4
	s_delay_alu instid0(VALU_DEP_1)
	v_fmac_f64_e32 v[116:117], v[104:105], v[110:111]
	scratch_load_b64 v[110:111], off, off offset:312
	s_wait_dscnt 0x0
	v_fmac_f64_e32 v[116:117], v[106:107], v[112:113]
	ds_load_b128 v[102:105], v2 offset:576
	ds_load_b128 v[106:109], v2 offset:592
	s_wait_loadcnt 0x4
	v_fmac_f64_e32 v[116:117], v[86:87], v[114:115]
	s_wait_dscnt 0x1
	s_delay_alu instid0(VALU_DEP_1) | instskip(SKIP_1) | instid1(VALU_DEP_1)
	v_fmac_f64_e32 v[116:117], v[88:89], v[102:103]
	s_wait_loadcnt 0x3
	v_fmac_f64_e32 v[116:117], v[90:91], v[104:105]
	s_wait_dscnt 0x0
	s_delay_alu instid0(VALU_DEP_1)
	v_fmac_f64_e32 v[116:117], v[92:93], v[106:107]
	ds_load_b128 v[86:89], v2 offset:608
	ds_load_b128 v[90:93], v2 offset:624
	s_wait_loadcnt 0x2
	v_fmac_f64_e32 v[116:117], v[94:95], v[108:109]
	s_wait_dscnt 0x1
	s_delay_alu instid0(VALU_DEP_1) | instskip(SKIP_1) | instid1(VALU_DEP_1)
	v_fmac_f64_e32 v[116:117], v[96:97], v[86:87]
	s_wait_loadcnt 0x1
	v_fmac_f64_e32 v[116:117], v[98:99], v[88:89]
	s_wait_dscnt 0x0
	s_delay_alu instid0(VALU_DEP_1) | instskip(SKIP_1) | instid1(VALU_DEP_1)
	v_fmac_f64_e32 v[116:117], v[100:101], v[90:91]
	s_wait_loadcnt 0x0
	v_fmac_f64_e32 v[116:117], v[110:111], v[92:93]
	s_delay_alu instid0(VALU_DEP_1)
	v_add_f64_e64 v[2:3], v[84:85], -v[116:117]
	scratch_store_b64 off, v[2:3], off offset:152
	s_wait_xcnt 0x0
	v_cmpx_lt_u32_e32 18, v0
	s_cbranch_execz .LBB39_213
; %bb.212:
	scratch_load_b64 v[2:3], off, off offset:144
	v_mov_b64_e32 v[84:85], 0
	scratch_store_b64 off, v[84:85], off offset:144
	s_wait_loadcnt 0x0
	ds_store_b64 v1, v[2:3]
.LBB39_213:
	s_wait_xcnt 0x0
	s_or_b32 exec_lo, exec_lo, s0
	s_wait_storecnt_dscnt 0x0
	s_barrier_signal -1
	s_barrier_wait -1
	s_clause 0x5
	scratch_load_b128 v[84:87], off, off offset:144
	scratch_load_b128 v[88:91], off, off offset:160
	;; [unrolled: 1-line block ×6, first 2 shown]
	v_mov_b32_e32 v2, 0
	ds_load_2addr_b64 v[108:111], v2 offset0:59 offset1:60
	ds_load_2addr_b64 v[112:115], v2 offset0:61 offset1:62
	s_mov_b32 s0, exec_lo
	s_wait_loadcnt_dscnt 0x501
	v_fma_f64 v[116:117], v[86:87], v[108:109], 0
	s_wait_loadcnt 0x4
	s_delay_alu instid0(VALU_DEP_1) | instskip(SKIP_4) | instid1(VALU_DEP_1)
	v_fmac_f64_e32 v[116:117], v[88:89], v[110:111]
	scratch_load_b128 v[86:89], off, off offset:240
	s_wait_dscnt 0x0
	v_fmac_f64_e32 v[116:117], v[90:91], v[112:113]
	s_wait_loadcnt 0x4
	v_fmac_f64_e32 v[116:117], v[92:93], v[114:115]
	scratch_load_b128 v[90:93], off, off offset:256
	ds_load_2addr_b64 v[108:111], v2 offset0:63 offset1:64
	ds_load_2addr_b64 v[112:115], v2 offset0:65 offset1:66
	s_wait_dscnt 0x1
	v_fmac_f64_e32 v[116:117], v[94:95], v[108:109]
	s_wait_loadcnt 0x4
	s_delay_alu instid0(VALU_DEP_1) | instskip(SKIP_4) | instid1(VALU_DEP_1)
	v_fmac_f64_e32 v[116:117], v[96:97], v[110:111]
	scratch_load_b128 v[94:97], off, off offset:272
	s_wait_dscnt 0x0
	v_fmac_f64_e32 v[116:117], v[98:99], v[112:113]
	s_wait_loadcnt 0x4
	v_fmac_f64_e32 v[116:117], v[100:101], v[114:115]
	scratch_load_b128 v[98:101], off, off offset:288
	ds_load_2addr_b64 v[108:111], v2 offset0:67 offset1:68
	ds_load_2addr_b64 v[112:115], v2 offset0:69 offset1:70
	s_wait_dscnt 0x1
	v_fmac_f64_e32 v[116:117], v[102:103], v[108:109]
	s_wait_loadcnt 0x4
	s_delay_alu instid0(VALU_DEP_1)
	v_fmac_f64_e32 v[116:117], v[104:105], v[110:111]
	scratch_load_b128 v[102:105], off, off offset:304
	s_wait_dscnt 0x0
	v_fmac_f64_e32 v[116:117], v[106:107], v[112:113]
	ds_load_2addr_b64 v[106:109], v2 offset0:71 offset1:72
	ds_load_2addr_b64 v[110:113], v2 offset0:73 offset1:74
	s_wait_loadcnt 0x4
	v_fmac_f64_e32 v[116:117], v[86:87], v[114:115]
	s_wait_dscnt 0x1
	s_delay_alu instid0(VALU_DEP_1) | instskip(SKIP_1) | instid1(VALU_DEP_1)
	v_fmac_f64_e32 v[116:117], v[88:89], v[106:107]
	s_wait_loadcnt 0x3
	v_fmac_f64_e32 v[116:117], v[90:91], v[108:109]
	s_wait_dscnt 0x0
	s_delay_alu instid0(VALU_DEP_1)
	v_fmac_f64_e32 v[116:117], v[92:93], v[110:111]
	ds_load_2addr_b64 v[86:89], v2 offset0:75 offset1:76
	ds_load_2addr_b64 v[90:93], v2 offset0:77 offset1:78
	s_wait_loadcnt 0x2
	v_fmac_f64_e32 v[116:117], v[94:95], v[112:113]
	s_wait_dscnt 0x1
	s_delay_alu instid0(VALU_DEP_1) | instskip(SKIP_4) | instid1(VALU_DEP_1)
	v_fmac_f64_e32 v[116:117], v[96:97], v[86:87]
	ds_load_b64 v[86:87], v2 offset:632
	s_wait_loadcnt 0x1
	v_fmac_f64_e32 v[116:117], v[98:99], v[88:89]
	s_wait_dscnt 0x1
	v_fmac_f64_e32 v[116:117], v[100:101], v[90:91]
	s_wait_loadcnt 0x0
	s_delay_alu instid0(VALU_DEP_1) | instskip(SKIP_1) | instid1(VALU_DEP_1)
	v_fmac_f64_e32 v[116:117], v[102:103], v[92:93]
	s_wait_dscnt 0x0
	v_fmac_f64_e32 v[116:117], v[104:105], v[86:87]
	s_delay_alu instid0(VALU_DEP_1)
	v_add_f64_e64 v[84:85], v[84:85], -v[116:117]
	scratch_store_b64 off, v[84:85], off offset:144
	s_wait_xcnt 0x0
	v_cmpx_lt_u32_e32 17, v0
	s_cbranch_execz .LBB39_215
; %bb.214:
	scratch_load_b64 v[84:85], off, off offset:136
	v_mov_b64_e32 v[86:87], 0
	scratch_store_b64 off, v[86:87], off offset:136
	s_wait_loadcnt 0x0
	ds_store_b64 v1, v[84:85]
.LBB39_215:
	s_wait_xcnt 0x0
	s_or_b32 exec_lo, exec_lo, s0
	s_wait_storecnt_dscnt 0x0
	s_barrier_signal -1
	s_barrier_wait -1
	s_clause 0x5
	scratch_load_b128 v[84:87], off, off offset:136
	scratch_load_b128 v[88:91], off, off offset:152
	;; [unrolled: 1-line block ×6, first 2 shown]
	ds_load_b128 v[108:111], v2 offset:464
	ds_load_b128 v[112:115], v2 offset:480
	scratch_load_b128 v[116:119], off, off offset:232
	s_mov_b32 s0, exec_lo
	s_wait_loadcnt_dscnt 0x601
	v_fma_f64 v[120:121], v[86:87], v[108:109], 0
	s_wait_loadcnt 0x5
	s_delay_alu instid0(VALU_DEP_1) | instskip(SKIP_4) | instid1(VALU_DEP_1)
	v_fmac_f64_e32 v[120:121], v[88:89], v[110:111]
	scratch_load_b128 v[86:89], off, off offset:248
	s_wait_dscnt 0x0
	v_fmac_f64_e32 v[120:121], v[90:91], v[112:113]
	s_wait_loadcnt 0x5
	v_fmac_f64_e32 v[120:121], v[92:93], v[114:115]
	ds_load_b128 v[90:93], v2 offset:496
	ds_load_b128 v[108:111], v2 offset:512
	s_wait_dscnt 0x1
	v_fmac_f64_e32 v[120:121], v[94:95], v[90:91]
	s_wait_loadcnt 0x4
	s_delay_alu instid0(VALU_DEP_1)
	v_fmac_f64_e32 v[120:121], v[96:97], v[92:93]
	s_clause 0x1
	scratch_load_b128 v[90:93], off, off offset:264
	scratch_load_b128 v[94:97], off, off offset:280
	s_wait_dscnt 0x0
	v_fmac_f64_e32 v[120:121], v[98:99], v[108:109]
	s_wait_loadcnt 0x5
	s_delay_alu instid0(VALU_DEP_1)
	v_fmac_f64_e32 v[120:121], v[100:101], v[110:111]
	ds_load_b128 v[98:101], v2 offset:528
	ds_load_b128 v[108:111], v2 offset:544
	s_wait_dscnt 0x1
	v_fmac_f64_e32 v[120:121], v[102:103], v[98:99]
	s_wait_loadcnt 0x4
	s_delay_alu instid0(VALU_DEP_1) | instskip(SKIP_4) | instid1(VALU_DEP_1)
	v_fmac_f64_e32 v[120:121], v[104:105], v[100:101]
	scratch_load_b128 v[98:101], off, off offset:296
	s_wait_dscnt 0x0
	v_fmac_f64_e32 v[120:121], v[106:107], v[108:109]
	s_wait_loadcnt 0x4
	v_fmac_f64_e32 v[120:121], v[116:117], v[110:111]
	scratch_load_b64 v[110:111], off, off offset:312
	ds_load_b128 v[102:105], v2 offset:560
	ds_load_b128 v[106:109], v2 offset:576
	s_wait_dscnt 0x1
	v_fmac_f64_e32 v[120:121], v[118:119], v[102:103]
	s_wait_loadcnt 0x4
	s_delay_alu instid0(VALU_DEP_1) | instskip(SKIP_1) | instid1(VALU_DEP_1)
	v_fmac_f64_e32 v[120:121], v[86:87], v[104:105]
	s_wait_dscnt 0x0
	v_fmac_f64_e32 v[120:121], v[88:89], v[106:107]
	ds_load_b128 v[86:89], v2 offset:592
	ds_load_b128 v[102:105], v2 offset:608
	s_wait_loadcnt 0x3
	v_fmac_f64_e32 v[120:121], v[90:91], v[108:109]
	s_wait_dscnt 0x1
	s_delay_alu instid0(VALU_DEP_1) | instskip(SKIP_1) | instid1(VALU_DEP_1)
	v_fmac_f64_e32 v[120:121], v[92:93], v[86:87]
	s_wait_loadcnt 0x2
	v_fmac_f64_e32 v[120:121], v[94:95], v[88:89]
	ds_load_b128 v[86:89], v2 offset:624
	s_wait_dscnt 0x1
	v_fmac_f64_e32 v[120:121], v[96:97], v[102:103]
	s_wait_loadcnt 0x1
	s_delay_alu instid0(VALU_DEP_1) | instskip(SKIP_1) | instid1(VALU_DEP_1)
	v_fmac_f64_e32 v[120:121], v[98:99], v[104:105]
	s_wait_dscnt 0x0
	v_fmac_f64_e32 v[120:121], v[100:101], v[86:87]
	s_wait_loadcnt 0x0
	s_delay_alu instid0(VALU_DEP_1) | instskip(NEXT) | instid1(VALU_DEP_1)
	v_fmac_f64_e32 v[120:121], v[110:111], v[88:89]
	v_add_f64_e64 v[2:3], v[84:85], -v[120:121]
	scratch_store_b64 off, v[2:3], off offset:136
	s_wait_xcnt 0x0
	v_cmpx_lt_u32_e32 16, v0
	s_cbranch_execz .LBB39_217
; %bb.216:
	scratch_load_b64 v[2:3], off, off offset:128
	v_mov_b64_e32 v[84:85], 0
	scratch_store_b64 off, v[84:85], off offset:128
	s_wait_loadcnt 0x0
	ds_store_b64 v1, v[2:3]
.LBB39_217:
	s_wait_xcnt 0x0
	s_or_b32 exec_lo, exec_lo, s0
	s_wait_storecnt_dscnt 0x0
	s_barrier_signal -1
	s_barrier_wait -1
	s_clause 0x5
	scratch_load_b128 v[84:87], off, off offset:128
	scratch_load_b128 v[88:91], off, off offset:144
	;; [unrolled: 1-line block ×6, first 2 shown]
	v_mov_b32_e32 v2, 0
	ds_load_2addr_b64 v[108:111], v2 offset0:57 offset1:58
	ds_load_2addr_b64 v[112:115], v2 offset0:59 offset1:60
	scratch_load_b128 v[116:119], off, off offset:224
	s_mov_b32 s0, exec_lo
	s_wait_loadcnt_dscnt 0x601
	v_fma_f64 v[120:121], v[86:87], v[108:109], 0
	s_wait_loadcnt 0x5
	s_delay_alu instid0(VALU_DEP_1) | instskip(SKIP_4) | instid1(VALU_DEP_1)
	v_fmac_f64_e32 v[120:121], v[88:89], v[110:111]
	scratch_load_b128 v[86:89], off, off offset:240
	s_wait_dscnt 0x0
	v_fmac_f64_e32 v[120:121], v[90:91], v[112:113]
	s_wait_loadcnt 0x5
	v_fmac_f64_e32 v[120:121], v[92:93], v[114:115]
	ds_load_2addr_b64 v[90:93], v2 offset0:61 offset1:62
	ds_load_2addr_b64 v[108:111], v2 offset0:63 offset1:64
	s_wait_dscnt 0x1
	v_fmac_f64_e32 v[120:121], v[94:95], v[90:91]
	s_wait_loadcnt 0x4
	s_delay_alu instid0(VALU_DEP_1)
	v_fmac_f64_e32 v[120:121], v[96:97], v[92:93]
	s_clause 0x1
	scratch_load_b128 v[90:93], off, off offset:256
	scratch_load_b128 v[94:97], off, off offset:272
	s_wait_dscnt 0x0
	v_fmac_f64_e32 v[120:121], v[98:99], v[108:109]
	s_wait_loadcnt 0x5
	s_delay_alu instid0(VALU_DEP_1)
	v_fmac_f64_e32 v[120:121], v[100:101], v[110:111]
	ds_load_2addr_b64 v[98:101], v2 offset0:65 offset1:66
	ds_load_2addr_b64 v[108:111], v2 offset0:67 offset1:68
	s_wait_dscnt 0x1
	v_fmac_f64_e32 v[120:121], v[102:103], v[98:99]
	s_wait_loadcnt 0x4
	s_delay_alu instid0(VALU_DEP_1)
	v_fmac_f64_e32 v[120:121], v[104:105], v[100:101]
	s_clause 0x1
	scratch_load_b128 v[98:101], off, off offset:288
	scratch_load_b128 v[102:105], off, off offset:304
	s_wait_dscnt 0x0
	v_fmac_f64_e32 v[120:121], v[106:107], v[108:109]
	s_wait_loadcnt 0x5
	s_delay_alu instid0(VALU_DEP_1)
	v_fmac_f64_e32 v[120:121], v[116:117], v[110:111]
	ds_load_2addr_b64 v[106:109], v2 offset0:69 offset1:70
	ds_load_2addr_b64 v[110:113], v2 offset0:71 offset1:72
	s_wait_dscnt 0x1
	v_fmac_f64_e32 v[120:121], v[118:119], v[106:107]
	s_wait_loadcnt 0x4
	s_delay_alu instid0(VALU_DEP_1) | instskip(SKIP_1) | instid1(VALU_DEP_1)
	v_fmac_f64_e32 v[120:121], v[86:87], v[108:109]
	s_wait_dscnt 0x0
	v_fmac_f64_e32 v[120:121], v[88:89], v[110:111]
	ds_load_2addr_b64 v[86:89], v2 offset0:73 offset1:74
	ds_load_2addr_b64 v[106:109], v2 offset0:75 offset1:76
	s_wait_loadcnt 0x3
	v_fmac_f64_e32 v[120:121], v[90:91], v[112:113]
	s_wait_dscnt 0x1
	s_delay_alu instid0(VALU_DEP_1) | instskip(SKIP_1) | instid1(VALU_DEP_1)
	v_fmac_f64_e32 v[120:121], v[92:93], v[86:87]
	s_wait_loadcnt 0x2
	v_fmac_f64_e32 v[120:121], v[94:95], v[88:89]
	ds_load_2addr_b64 v[86:89], v2 offset0:77 offset1:78
	ds_load_b64 v[90:91], v2 offset:632
	s_wait_dscnt 0x2
	v_fmac_f64_e32 v[120:121], v[96:97], v[106:107]
	s_wait_loadcnt 0x1
	s_delay_alu instid0(VALU_DEP_1) | instskip(SKIP_1) | instid1(VALU_DEP_1)
	v_fmac_f64_e32 v[120:121], v[98:99], v[108:109]
	s_wait_dscnt 0x1
	v_fmac_f64_e32 v[120:121], v[100:101], v[86:87]
	s_wait_loadcnt 0x0
	s_delay_alu instid0(VALU_DEP_1) | instskip(SKIP_1) | instid1(VALU_DEP_1)
	v_fmac_f64_e32 v[120:121], v[102:103], v[88:89]
	s_wait_dscnt 0x0
	v_fmac_f64_e32 v[120:121], v[104:105], v[90:91]
	s_delay_alu instid0(VALU_DEP_1)
	v_add_f64_e64 v[84:85], v[84:85], -v[120:121]
	scratch_store_b64 off, v[84:85], off offset:128
	s_wait_xcnt 0x0
	v_cmpx_lt_u32_e32 15, v0
	s_cbranch_execz .LBB39_219
; %bb.218:
	scratch_load_b64 v[84:85], off, off offset:120
	v_mov_b64_e32 v[86:87], 0
	scratch_store_b64 off, v[86:87], off offset:120
	s_wait_loadcnt 0x0
	ds_store_b64 v1, v[84:85]
.LBB39_219:
	s_wait_xcnt 0x0
	s_or_b32 exec_lo, exec_lo, s0
	s_wait_storecnt_dscnt 0x0
	s_barrier_signal -1
	s_barrier_wait -1
	s_clause 0x5
	scratch_load_b128 v[84:87], off, off offset:120
	scratch_load_b128 v[88:91], off, off offset:136
	;; [unrolled: 1-line block ×6, first 2 shown]
	ds_load_b128 v[108:111], v2 offset:448
	ds_load_b128 v[112:115], v2 offset:464
	scratch_load_b128 v[116:119], off, off offset:216
	s_mov_b32 s0, exec_lo
	s_wait_loadcnt_dscnt 0x601
	v_fma_f64 v[120:121], v[86:87], v[108:109], 0
	s_wait_loadcnt 0x5
	s_delay_alu instid0(VALU_DEP_1) | instskip(SKIP_4) | instid1(VALU_DEP_1)
	v_fmac_f64_e32 v[120:121], v[88:89], v[110:111]
	scratch_load_b128 v[86:89], off, off offset:232
	s_wait_dscnt 0x0
	v_fmac_f64_e32 v[120:121], v[90:91], v[112:113]
	s_wait_loadcnt 0x5
	v_fmac_f64_e32 v[120:121], v[92:93], v[114:115]
	ds_load_b128 v[90:93], v2 offset:480
	ds_load_b128 v[108:111], v2 offset:496
	s_wait_dscnt 0x1
	v_fmac_f64_e32 v[120:121], v[94:95], v[90:91]
	s_wait_loadcnt 0x4
	s_delay_alu instid0(VALU_DEP_1)
	v_fmac_f64_e32 v[120:121], v[96:97], v[92:93]
	s_clause 0x1
	scratch_load_b128 v[90:93], off, off offset:248
	scratch_load_b128 v[94:97], off, off offset:264
	s_wait_dscnt 0x0
	v_fmac_f64_e32 v[120:121], v[98:99], v[108:109]
	s_wait_loadcnt 0x5
	s_delay_alu instid0(VALU_DEP_1)
	v_fmac_f64_e32 v[120:121], v[100:101], v[110:111]
	ds_load_b128 v[98:101], v2 offset:512
	ds_load_b128 v[108:111], v2 offset:528
	s_wait_dscnt 0x1
	v_fmac_f64_e32 v[120:121], v[102:103], v[98:99]
	s_wait_loadcnt 0x4
	s_delay_alu instid0(VALU_DEP_1)
	v_fmac_f64_e32 v[120:121], v[104:105], v[100:101]
	s_clause 0x1
	scratch_load_b128 v[98:101], off, off offset:280
	scratch_load_b128 v[102:105], off, off offset:296
	s_wait_dscnt 0x0
	v_fmac_f64_e32 v[120:121], v[106:107], v[108:109]
	s_wait_loadcnt 0x5
	s_delay_alu instid0(VALU_DEP_1)
	v_fmac_f64_e32 v[120:121], v[116:117], v[110:111]
	ds_load_b128 v[106:109], v2 offset:544
	ds_load_b128 v[110:113], v2 offset:560
	scratch_load_b64 v[114:115], off, off offset:312
	s_wait_dscnt 0x1
	v_fmac_f64_e32 v[120:121], v[118:119], v[106:107]
	s_wait_loadcnt 0x5
	s_delay_alu instid0(VALU_DEP_1) | instskip(SKIP_1) | instid1(VALU_DEP_1)
	v_fmac_f64_e32 v[120:121], v[86:87], v[108:109]
	s_wait_dscnt 0x0
	v_fmac_f64_e32 v[120:121], v[88:89], v[110:111]
	ds_load_b128 v[86:89], v2 offset:576
	ds_load_b128 v[106:109], v2 offset:592
	s_wait_loadcnt 0x4
	v_fmac_f64_e32 v[120:121], v[90:91], v[112:113]
	s_wait_dscnt 0x1
	s_delay_alu instid0(VALU_DEP_1) | instskip(SKIP_1) | instid1(VALU_DEP_1)
	v_fmac_f64_e32 v[120:121], v[92:93], v[86:87]
	s_wait_loadcnt 0x3
	v_fmac_f64_e32 v[120:121], v[94:95], v[88:89]
	ds_load_b128 v[86:89], v2 offset:608
	ds_load_b128 v[90:93], v2 offset:624
	s_wait_dscnt 0x2
	v_fmac_f64_e32 v[120:121], v[96:97], v[106:107]
	s_wait_loadcnt 0x2
	s_delay_alu instid0(VALU_DEP_1) | instskip(SKIP_1) | instid1(VALU_DEP_1)
	v_fmac_f64_e32 v[120:121], v[98:99], v[108:109]
	s_wait_dscnt 0x1
	v_fmac_f64_e32 v[120:121], v[100:101], v[86:87]
	s_wait_loadcnt 0x1
	s_delay_alu instid0(VALU_DEP_1) | instskip(SKIP_1) | instid1(VALU_DEP_1)
	v_fmac_f64_e32 v[120:121], v[102:103], v[88:89]
	s_wait_dscnt 0x0
	v_fmac_f64_e32 v[120:121], v[104:105], v[90:91]
	s_wait_loadcnt 0x0
	s_delay_alu instid0(VALU_DEP_1) | instskip(NEXT) | instid1(VALU_DEP_1)
	v_fmac_f64_e32 v[120:121], v[114:115], v[92:93]
	v_add_f64_e64 v[2:3], v[84:85], -v[120:121]
	scratch_store_b64 off, v[2:3], off offset:120
	s_wait_xcnt 0x0
	v_cmpx_lt_u32_e32 14, v0
	s_cbranch_execz .LBB39_221
; %bb.220:
	scratch_load_b64 v[2:3], off, off offset:112
	v_mov_b64_e32 v[84:85], 0
	scratch_store_b64 off, v[84:85], off offset:112
	s_wait_loadcnt 0x0
	ds_store_b64 v1, v[2:3]
.LBB39_221:
	s_wait_xcnt 0x0
	s_or_b32 exec_lo, exec_lo, s0
	s_wait_storecnt_dscnt 0x0
	s_barrier_signal -1
	s_barrier_wait -1
	s_clause 0x5
	scratch_load_b128 v[84:87], off, off offset:112
	scratch_load_b128 v[88:91], off, off offset:128
	;; [unrolled: 1-line block ×6, first 2 shown]
	v_mov_b32_e32 v2, 0
	ds_load_2addr_b64 v[108:111], v2 offset0:55 offset1:56
	ds_load_2addr_b64 v[112:115], v2 offset0:57 offset1:58
	scratch_load_b128 v[116:119], off, off offset:208
	s_mov_b32 s0, exec_lo
	s_wait_loadcnt_dscnt 0x601
	v_fma_f64 v[120:121], v[86:87], v[108:109], 0
	s_wait_loadcnt 0x5
	s_delay_alu instid0(VALU_DEP_1) | instskip(SKIP_4) | instid1(VALU_DEP_1)
	v_fmac_f64_e32 v[120:121], v[88:89], v[110:111]
	scratch_load_b128 v[86:89], off, off offset:224
	s_wait_dscnt 0x0
	v_fmac_f64_e32 v[120:121], v[90:91], v[112:113]
	s_wait_loadcnt 0x5
	v_fmac_f64_e32 v[120:121], v[92:93], v[114:115]
	ds_load_2addr_b64 v[90:93], v2 offset0:59 offset1:60
	ds_load_2addr_b64 v[108:111], v2 offset0:61 offset1:62
	s_wait_dscnt 0x1
	v_fmac_f64_e32 v[120:121], v[94:95], v[90:91]
	s_wait_loadcnt 0x4
	s_delay_alu instid0(VALU_DEP_1)
	v_fmac_f64_e32 v[120:121], v[96:97], v[92:93]
	s_clause 0x1
	scratch_load_b128 v[90:93], off, off offset:240
	scratch_load_b128 v[94:97], off, off offset:256
	s_wait_dscnt 0x0
	v_fmac_f64_e32 v[120:121], v[98:99], v[108:109]
	s_wait_loadcnt 0x5
	s_delay_alu instid0(VALU_DEP_1)
	v_fmac_f64_e32 v[120:121], v[100:101], v[110:111]
	ds_load_2addr_b64 v[98:101], v2 offset0:63 offset1:64
	ds_load_2addr_b64 v[108:111], v2 offset0:65 offset1:66
	s_wait_dscnt 0x1
	v_fmac_f64_e32 v[120:121], v[102:103], v[98:99]
	s_wait_loadcnt 0x4
	s_delay_alu instid0(VALU_DEP_1)
	v_fmac_f64_e32 v[120:121], v[104:105], v[100:101]
	s_clause 0x1
	scratch_load_b128 v[98:101], off, off offset:272
	scratch_load_b128 v[102:105], off, off offset:288
	s_wait_dscnt 0x0
	v_fmac_f64_e32 v[120:121], v[106:107], v[108:109]
	s_wait_loadcnt 0x5
	s_delay_alu instid0(VALU_DEP_1)
	v_fmac_f64_e32 v[120:121], v[116:117], v[110:111]
	ds_load_2addr_b64 v[106:109], v2 offset0:67 offset1:68
	ds_load_2addr_b64 v[110:113], v2 offset0:69 offset1:70
	s_wait_dscnt 0x1
	v_fmac_f64_e32 v[120:121], v[118:119], v[106:107]
	s_wait_loadcnt 0x4
	s_delay_alu instid0(VALU_DEP_1) | instskip(SKIP_4) | instid1(VALU_DEP_1)
	v_fmac_f64_e32 v[120:121], v[86:87], v[108:109]
	scratch_load_b128 v[106:109], off, off offset:304
	s_wait_dscnt 0x0
	v_fmac_f64_e32 v[120:121], v[88:89], v[110:111]
	s_wait_loadcnt 0x4
	v_fmac_f64_e32 v[120:121], v[90:91], v[112:113]
	ds_load_2addr_b64 v[86:89], v2 offset0:71 offset1:72
	ds_load_2addr_b64 v[110:113], v2 offset0:73 offset1:74
	s_wait_dscnt 0x1
	v_fmac_f64_e32 v[120:121], v[92:93], v[86:87]
	s_wait_loadcnt 0x3
	s_delay_alu instid0(VALU_DEP_1)
	v_fmac_f64_e32 v[120:121], v[94:95], v[88:89]
	ds_load_2addr_b64 v[86:89], v2 offset0:75 offset1:76
	ds_load_2addr_b64 v[90:93], v2 offset0:77 offset1:78
	s_wait_dscnt 0x2
	v_fmac_f64_e32 v[120:121], v[96:97], v[110:111]
	s_wait_loadcnt 0x2
	s_delay_alu instid0(VALU_DEP_1) | instskip(SKIP_1) | instid1(VALU_DEP_1)
	v_fmac_f64_e32 v[120:121], v[98:99], v[112:113]
	s_wait_dscnt 0x1
	v_fmac_f64_e32 v[120:121], v[100:101], v[86:87]
	ds_load_b64 v[86:87], v2 offset:632
	s_wait_loadcnt 0x1
	v_fmac_f64_e32 v[120:121], v[102:103], v[88:89]
	s_wait_dscnt 0x1
	s_delay_alu instid0(VALU_DEP_1) | instskip(SKIP_1) | instid1(VALU_DEP_1)
	v_fmac_f64_e32 v[120:121], v[104:105], v[90:91]
	s_wait_loadcnt 0x0
	v_fmac_f64_e32 v[120:121], v[106:107], v[92:93]
	s_wait_dscnt 0x0
	s_delay_alu instid0(VALU_DEP_1) | instskip(NEXT) | instid1(VALU_DEP_1)
	v_fmac_f64_e32 v[120:121], v[108:109], v[86:87]
	v_add_f64_e64 v[84:85], v[84:85], -v[120:121]
	scratch_store_b64 off, v[84:85], off offset:112
	s_wait_xcnt 0x0
	v_cmpx_lt_u32_e32 13, v0
	s_cbranch_execz .LBB39_223
; %bb.222:
	scratch_load_b64 v[84:85], off, off offset:104
	v_mov_b64_e32 v[86:87], 0
	scratch_store_b64 off, v[86:87], off offset:104
	s_wait_loadcnt 0x0
	ds_store_b64 v1, v[84:85]
.LBB39_223:
	s_wait_xcnt 0x0
	s_or_b32 exec_lo, exec_lo, s0
	s_wait_storecnt_dscnt 0x0
	s_barrier_signal -1
	s_barrier_wait -1
	s_clause 0x5
	scratch_load_b128 v[84:87], off, off offset:104
	scratch_load_b128 v[88:91], off, off offset:120
	;; [unrolled: 1-line block ×6, first 2 shown]
	ds_load_b128 v[108:111], v2 offset:432
	ds_load_b128 v[112:115], v2 offset:448
	scratch_load_b128 v[116:119], off, off offset:200
	s_mov_b32 s0, exec_lo
	s_wait_loadcnt_dscnt 0x601
	v_fma_f64 v[120:121], v[86:87], v[108:109], 0
	s_wait_loadcnt 0x5
	s_delay_alu instid0(VALU_DEP_1) | instskip(SKIP_4) | instid1(VALU_DEP_1)
	v_fmac_f64_e32 v[120:121], v[88:89], v[110:111]
	scratch_load_b128 v[86:89], off, off offset:216
	s_wait_dscnt 0x0
	v_fmac_f64_e32 v[120:121], v[90:91], v[112:113]
	s_wait_loadcnt 0x5
	v_fmac_f64_e32 v[120:121], v[92:93], v[114:115]
	ds_load_b128 v[90:93], v2 offset:464
	ds_load_b128 v[108:111], v2 offset:480
	scratch_load_b128 v[112:115], off, off offset:232
	s_wait_dscnt 0x1
	v_fmac_f64_e32 v[120:121], v[94:95], v[90:91]
	s_wait_loadcnt 0x5
	s_delay_alu instid0(VALU_DEP_1) | instskip(SKIP_4) | instid1(VALU_DEP_1)
	v_fmac_f64_e32 v[120:121], v[96:97], v[92:93]
	scratch_load_b128 v[90:93], off, off offset:248
	s_wait_dscnt 0x0
	v_fmac_f64_e32 v[120:121], v[98:99], v[108:109]
	s_wait_loadcnt 0x5
	v_fmac_f64_e32 v[120:121], v[100:101], v[110:111]
	ds_load_b128 v[94:97], v2 offset:496
	ds_load_b128 v[98:101], v2 offset:512
	s_wait_dscnt 0x1
	v_fmac_f64_e32 v[120:121], v[102:103], v[94:95]
	s_wait_loadcnt 0x4
	s_delay_alu instid0(VALU_DEP_1) | instskip(SKIP_4) | instid1(VALU_DEP_1)
	v_fmac_f64_e32 v[120:121], v[104:105], v[96:97]
	scratch_load_b128 v[94:97], off, off offset:264
	s_wait_dscnt 0x0
	v_fmac_f64_e32 v[120:121], v[106:107], v[98:99]
	s_wait_loadcnt 0x4
	v_fmac_f64_e32 v[120:121], v[116:117], v[100:101]
	scratch_load_b128 v[98:101], off, off offset:280
	ds_load_b128 v[102:105], v2 offset:528
	ds_load_b128 v[106:109], v2 offset:544
	scratch_load_b64 v[110:111], off, off offset:312
	s_wait_dscnt 0x1
	v_fmac_f64_e32 v[120:121], v[118:119], v[102:103]
	s_wait_loadcnt 0x5
	s_delay_alu instid0(VALU_DEP_1) | instskip(SKIP_4) | instid1(VALU_DEP_1)
	v_fmac_f64_e32 v[120:121], v[86:87], v[104:105]
	scratch_load_b128 v[102:105], off, off offset:296
	s_wait_dscnt 0x0
	v_fmac_f64_e32 v[120:121], v[88:89], v[106:107]
	s_wait_loadcnt 0x5
	v_fmac_f64_e32 v[120:121], v[112:113], v[108:109]
	ds_load_b128 v[86:89], v2 offset:560
	ds_load_b128 v[106:109], v2 offset:576
	s_wait_dscnt 0x1
	v_fmac_f64_e32 v[120:121], v[114:115], v[86:87]
	s_wait_loadcnt 0x4
	s_delay_alu instid0(VALU_DEP_1) | instskip(SKIP_1) | instid1(VALU_DEP_1)
	v_fmac_f64_e32 v[120:121], v[90:91], v[88:89]
	s_wait_dscnt 0x0
	v_fmac_f64_e32 v[120:121], v[92:93], v[106:107]
	ds_load_b128 v[86:89], v2 offset:592
	ds_load_b128 v[90:93], v2 offset:608
	s_wait_loadcnt 0x3
	v_fmac_f64_e32 v[120:121], v[94:95], v[108:109]
	s_wait_dscnt 0x1
	s_delay_alu instid0(VALU_DEP_1) | instskip(SKIP_1) | instid1(VALU_DEP_1)
	v_fmac_f64_e32 v[120:121], v[96:97], v[86:87]
	s_wait_loadcnt 0x2
	v_fmac_f64_e32 v[120:121], v[98:99], v[88:89]
	ds_load_b128 v[86:89], v2 offset:624
	s_wait_dscnt 0x1
	v_fmac_f64_e32 v[120:121], v[100:101], v[90:91]
	s_wait_loadcnt 0x0
	s_delay_alu instid0(VALU_DEP_1) | instskip(SKIP_1) | instid1(VALU_DEP_1)
	v_fmac_f64_e32 v[120:121], v[102:103], v[92:93]
	s_wait_dscnt 0x0
	v_fmac_f64_e32 v[120:121], v[104:105], v[86:87]
	s_delay_alu instid0(VALU_DEP_1) | instskip(NEXT) | instid1(VALU_DEP_1)
	v_fmac_f64_e32 v[120:121], v[110:111], v[88:89]
	v_add_f64_e64 v[2:3], v[84:85], -v[120:121]
	scratch_store_b64 off, v[2:3], off offset:104
	s_wait_xcnt 0x0
	v_cmpx_lt_u32_e32 12, v0
	s_cbranch_execz .LBB39_225
; %bb.224:
	scratch_load_b64 v[2:3], off, off offset:96
	v_mov_b64_e32 v[84:85], 0
	scratch_store_b64 off, v[84:85], off offset:96
	s_wait_loadcnt 0x0
	ds_store_b64 v1, v[2:3]
.LBB39_225:
	s_wait_xcnt 0x0
	s_or_b32 exec_lo, exec_lo, s0
	s_wait_storecnt_dscnt 0x0
	s_barrier_signal -1
	s_barrier_wait -1
	s_clause 0x5
	scratch_load_b128 v[84:87], off, off offset:96
	scratch_load_b128 v[88:91], off, off offset:112
	;; [unrolled: 1-line block ×6, first 2 shown]
	v_mov_b32_e32 v2, 0
	ds_load_2addr_b64 v[108:111], v2 offset0:53 offset1:54
	ds_load_2addr_b64 v[112:115], v2 offset0:55 offset1:56
	scratch_load_b128 v[116:119], off, off offset:192
	s_mov_b32 s0, exec_lo
	s_wait_loadcnt_dscnt 0x601
	v_fma_f64 v[120:121], v[86:87], v[108:109], 0
	s_wait_loadcnt 0x5
	s_delay_alu instid0(VALU_DEP_1) | instskip(SKIP_4) | instid1(VALU_DEP_1)
	v_fmac_f64_e32 v[120:121], v[88:89], v[110:111]
	scratch_load_b128 v[86:89], off, off offset:208
	s_wait_dscnt 0x0
	v_fmac_f64_e32 v[120:121], v[90:91], v[112:113]
	s_wait_loadcnt 0x5
	v_fmac_f64_e32 v[120:121], v[92:93], v[114:115]
	ds_load_2addr_b64 v[90:93], v2 offset0:57 offset1:58
	ds_load_2addr_b64 v[108:111], v2 offset0:59 offset1:60
	scratch_load_b128 v[112:115], off, off offset:224
	s_wait_dscnt 0x1
	v_fmac_f64_e32 v[120:121], v[94:95], v[90:91]
	s_wait_loadcnt 0x5
	s_delay_alu instid0(VALU_DEP_1) | instskip(SKIP_4) | instid1(VALU_DEP_1)
	v_fmac_f64_e32 v[120:121], v[96:97], v[92:93]
	scratch_load_b128 v[90:93], off, off offset:240
	s_wait_dscnt 0x0
	v_fmac_f64_e32 v[120:121], v[98:99], v[108:109]
	s_wait_loadcnt 0x5
	v_fmac_f64_e32 v[120:121], v[100:101], v[110:111]
	ds_load_2addr_b64 v[94:97], v2 offset0:61 offset1:62
	ds_load_2addr_b64 v[98:101], v2 offset0:63 offset1:64
	s_wait_dscnt 0x1
	v_fmac_f64_e32 v[120:121], v[102:103], v[94:95]
	s_wait_loadcnt 0x4
	s_delay_alu instid0(VALU_DEP_1) | instskip(SKIP_4) | instid1(VALU_DEP_1)
	v_fmac_f64_e32 v[120:121], v[104:105], v[96:97]
	scratch_load_b128 v[94:97], off, off offset:256
	s_wait_dscnt 0x0
	v_fmac_f64_e32 v[120:121], v[106:107], v[98:99]
	s_wait_loadcnt 0x4
	v_fmac_f64_e32 v[120:121], v[116:117], v[100:101]
	scratch_load_b128 v[98:101], off, off offset:272
	ds_load_2addr_b64 v[102:105], v2 offset0:65 offset1:66
	ds_load_2addr_b64 v[106:109], v2 offset0:67 offset1:68
	s_wait_dscnt 0x1
	v_fmac_f64_e32 v[120:121], v[118:119], v[102:103]
	s_wait_loadcnt 0x4
	s_delay_alu instid0(VALU_DEP_1)
	v_fmac_f64_e32 v[120:121], v[86:87], v[104:105]
	scratch_load_b128 v[102:105], off, off offset:288
	s_wait_dscnt 0x0
	v_fmac_f64_e32 v[120:121], v[88:89], v[106:107]
	scratch_load_b128 v[86:89], off, off offset:304
	s_wait_loadcnt 0x5
	v_fmac_f64_e32 v[120:121], v[112:113], v[108:109]
	ds_load_2addr_b64 v[106:109], v2 offset0:69 offset1:70
	ds_load_2addr_b64 v[110:113], v2 offset0:71 offset1:72
	s_wait_dscnt 0x1
	v_fmac_f64_e32 v[120:121], v[114:115], v[106:107]
	s_wait_loadcnt 0x4
	s_delay_alu instid0(VALU_DEP_1) | instskip(SKIP_1) | instid1(VALU_DEP_1)
	v_fmac_f64_e32 v[120:121], v[90:91], v[108:109]
	s_wait_dscnt 0x0
	v_fmac_f64_e32 v[120:121], v[92:93], v[110:111]
	ds_load_2addr_b64 v[90:93], v2 offset0:73 offset1:74
	ds_load_2addr_b64 v[106:109], v2 offset0:75 offset1:76
	s_wait_loadcnt 0x3
	v_fmac_f64_e32 v[120:121], v[94:95], v[112:113]
	s_wait_dscnt 0x1
	s_delay_alu instid0(VALU_DEP_1) | instskip(SKIP_1) | instid1(VALU_DEP_1)
	v_fmac_f64_e32 v[120:121], v[96:97], v[90:91]
	s_wait_loadcnt 0x2
	v_fmac_f64_e32 v[120:121], v[98:99], v[92:93]
	ds_load_2addr_b64 v[90:93], v2 offset0:77 offset1:78
	ds_load_b64 v[94:95], v2 offset:632
	s_wait_dscnt 0x2
	v_fmac_f64_e32 v[120:121], v[100:101], v[106:107]
	s_wait_loadcnt 0x1
	s_delay_alu instid0(VALU_DEP_1) | instskip(SKIP_1) | instid1(VALU_DEP_1)
	v_fmac_f64_e32 v[120:121], v[102:103], v[108:109]
	s_wait_dscnt 0x1
	v_fmac_f64_e32 v[120:121], v[104:105], v[90:91]
	s_wait_loadcnt 0x0
	s_delay_alu instid0(VALU_DEP_1) | instskip(SKIP_1) | instid1(VALU_DEP_1)
	v_fmac_f64_e32 v[120:121], v[86:87], v[92:93]
	s_wait_dscnt 0x0
	v_fmac_f64_e32 v[120:121], v[88:89], v[94:95]
	s_delay_alu instid0(VALU_DEP_1)
	v_add_f64_e64 v[84:85], v[84:85], -v[120:121]
	scratch_store_b64 off, v[84:85], off offset:96
	s_wait_xcnt 0x0
	v_cmpx_lt_u32_e32 11, v0
	s_cbranch_execz .LBB39_227
; %bb.226:
	scratch_load_b64 v[84:85], off, off offset:88
	v_mov_b64_e32 v[86:87], 0
	scratch_store_b64 off, v[86:87], off offset:88
	s_wait_loadcnt 0x0
	ds_store_b64 v1, v[84:85]
.LBB39_227:
	s_wait_xcnt 0x0
	s_or_b32 exec_lo, exec_lo, s0
	s_wait_storecnt_dscnt 0x0
	s_barrier_signal -1
	s_barrier_wait -1
	s_clause 0x5
	scratch_load_b128 v[84:87], off, off offset:88
	scratch_load_b128 v[88:91], off, off offset:104
	;; [unrolled: 1-line block ×6, first 2 shown]
	ds_load_b128 v[108:111], v2 offset:416
	ds_load_b128 v[112:115], v2 offset:432
	scratch_load_b128 v[116:119], off, off offset:184
	s_mov_b32 s0, exec_lo
	s_wait_loadcnt_dscnt 0x601
	v_fma_f64 v[120:121], v[86:87], v[108:109], 0
	s_wait_loadcnt 0x5
	s_delay_alu instid0(VALU_DEP_1) | instskip(SKIP_4) | instid1(VALU_DEP_1)
	v_fmac_f64_e32 v[120:121], v[88:89], v[110:111]
	scratch_load_b128 v[86:89], off, off offset:200
	s_wait_dscnt 0x0
	v_fmac_f64_e32 v[120:121], v[90:91], v[112:113]
	s_wait_loadcnt 0x5
	v_fmac_f64_e32 v[120:121], v[92:93], v[114:115]
	ds_load_b128 v[90:93], v2 offset:448
	ds_load_b128 v[108:111], v2 offset:464
	scratch_load_b128 v[112:115], off, off offset:216
	s_wait_dscnt 0x1
	v_fmac_f64_e32 v[120:121], v[94:95], v[90:91]
	s_wait_loadcnt 0x5
	s_delay_alu instid0(VALU_DEP_1) | instskip(SKIP_4) | instid1(VALU_DEP_1)
	v_fmac_f64_e32 v[120:121], v[96:97], v[92:93]
	scratch_load_b128 v[90:93], off, off offset:232
	s_wait_dscnt 0x0
	v_fmac_f64_e32 v[120:121], v[98:99], v[108:109]
	s_wait_loadcnt 0x5
	v_fmac_f64_e32 v[120:121], v[100:101], v[110:111]
	ds_load_b128 v[94:97], v2 offset:480
	ds_load_b128 v[98:101], v2 offset:496
	s_wait_dscnt 0x1
	v_fmac_f64_e32 v[120:121], v[102:103], v[94:95]
	s_wait_loadcnt 0x4
	s_delay_alu instid0(VALU_DEP_1) | instskip(SKIP_4) | instid1(VALU_DEP_1)
	v_fmac_f64_e32 v[120:121], v[104:105], v[96:97]
	scratch_load_b128 v[94:97], off, off offset:248
	s_wait_dscnt 0x0
	v_fmac_f64_e32 v[120:121], v[106:107], v[98:99]
	s_wait_loadcnt 0x4
	v_fmac_f64_e32 v[120:121], v[116:117], v[100:101]
	scratch_load_b128 v[98:101], off, off offset:264
	ds_load_b128 v[102:105], v2 offset:512
	ds_load_b128 v[106:109], v2 offset:528
	s_wait_dscnt 0x1
	v_fmac_f64_e32 v[120:121], v[118:119], v[102:103]
	s_wait_loadcnt 0x4
	s_delay_alu instid0(VALU_DEP_1)
	v_fmac_f64_e32 v[120:121], v[86:87], v[104:105]
	scratch_load_b128 v[102:105], off, off offset:280
	s_wait_dscnt 0x0
	v_fmac_f64_e32 v[120:121], v[88:89], v[106:107]
	scratch_load_b128 v[86:89], off, off offset:296
	s_wait_loadcnt 0x5
	v_fmac_f64_e32 v[120:121], v[112:113], v[108:109]
	ds_load_b128 v[106:109], v2 offset:544
	ds_load_b128 v[110:113], v2 offset:560
	s_wait_dscnt 0x1
	v_fmac_f64_e32 v[120:121], v[114:115], v[106:107]
	scratch_load_b64 v[114:115], off, off offset:312
	s_wait_loadcnt 0x5
	v_fmac_f64_e32 v[120:121], v[90:91], v[108:109]
	s_wait_dscnt 0x0
	s_delay_alu instid0(VALU_DEP_1)
	v_fmac_f64_e32 v[120:121], v[92:93], v[110:111]
	ds_load_b128 v[90:93], v2 offset:576
	ds_load_b128 v[106:109], v2 offset:592
	s_wait_loadcnt 0x4
	v_fmac_f64_e32 v[120:121], v[94:95], v[112:113]
	s_wait_dscnt 0x1
	s_delay_alu instid0(VALU_DEP_1) | instskip(SKIP_1) | instid1(VALU_DEP_1)
	v_fmac_f64_e32 v[120:121], v[96:97], v[90:91]
	s_wait_loadcnt 0x3
	v_fmac_f64_e32 v[120:121], v[98:99], v[92:93]
	ds_load_b128 v[90:93], v2 offset:608
	ds_load_b128 v[94:97], v2 offset:624
	s_wait_dscnt 0x2
	v_fmac_f64_e32 v[120:121], v[100:101], v[106:107]
	s_wait_loadcnt 0x2
	s_delay_alu instid0(VALU_DEP_1) | instskip(SKIP_1) | instid1(VALU_DEP_1)
	v_fmac_f64_e32 v[120:121], v[102:103], v[108:109]
	s_wait_dscnt 0x1
	v_fmac_f64_e32 v[120:121], v[104:105], v[90:91]
	s_wait_loadcnt 0x1
	s_delay_alu instid0(VALU_DEP_1) | instskip(SKIP_1) | instid1(VALU_DEP_1)
	v_fmac_f64_e32 v[120:121], v[86:87], v[92:93]
	s_wait_dscnt 0x0
	v_fmac_f64_e32 v[120:121], v[88:89], v[94:95]
	s_wait_loadcnt 0x0
	s_delay_alu instid0(VALU_DEP_1) | instskip(NEXT) | instid1(VALU_DEP_1)
	v_fmac_f64_e32 v[120:121], v[114:115], v[96:97]
	v_add_f64_e64 v[2:3], v[84:85], -v[120:121]
	scratch_store_b64 off, v[2:3], off offset:88
	s_wait_xcnt 0x0
	v_cmpx_lt_u32_e32 10, v0
	s_cbranch_execz .LBB39_229
; %bb.228:
	scratch_load_b64 v[2:3], off, off offset:80
	v_mov_b64_e32 v[84:85], 0
	scratch_store_b64 off, v[84:85], off offset:80
	s_wait_loadcnt 0x0
	ds_store_b64 v1, v[2:3]
.LBB39_229:
	s_wait_xcnt 0x0
	s_or_b32 exec_lo, exec_lo, s0
	s_wait_storecnt_dscnt 0x0
	s_barrier_signal -1
	s_barrier_wait -1
	s_clause 0x5
	scratch_load_b128 v[84:87], off, off offset:80
	scratch_load_b128 v[88:91], off, off offset:96
	;; [unrolled: 1-line block ×6, first 2 shown]
	v_mov_b32_e32 v2, 0
	ds_load_2addr_b64 v[108:111], v2 offset0:51 offset1:52
	ds_load_2addr_b64 v[112:115], v2 offset0:53 offset1:54
	scratch_load_b128 v[116:119], off, off offset:176
	s_mov_b32 s0, exec_lo
	s_wait_loadcnt_dscnt 0x601
	v_fma_f64 v[120:121], v[86:87], v[108:109], 0
	s_wait_loadcnt 0x5
	s_delay_alu instid0(VALU_DEP_1) | instskip(SKIP_4) | instid1(VALU_DEP_1)
	v_fmac_f64_e32 v[120:121], v[88:89], v[110:111]
	scratch_load_b128 v[86:89], off, off offset:192
	s_wait_dscnt 0x0
	v_fmac_f64_e32 v[120:121], v[90:91], v[112:113]
	s_wait_loadcnt 0x5
	v_fmac_f64_e32 v[120:121], v[92:93], v[114:115]
	ds_load_2addr_b64 v[90:93], v2 offset0:55 offset1:56
	ds_load_2addr_b64 v[108:111], v2 offset0:57 offset1:58
	scratch_load_b128 v[112:115], off, off offset:208
	s_wait_dscnt 0x1
	v_fmac_f64_e32 v[120:121], v[94:95], v[90:91]
	s_wait_loadcnt 0x5
	s_delay_alu instid0(VALU_DEP_1) | instskip(SKIP_4) | instid1(VALU_DEP_1)
	v_fmac_f64_e32 v[120:121], v[96:97], v[92:93]
	scratch_load_b128 v[90:93], off, off offset:224
	s_wait_dscnt 0x0
	v_fmac_f64_e32 v[120:121], v[98:99], v[108:109]
	s_wait_loadcnt 0x5
	v_fmac_f64_e32 v[120:121], v[100:101], v[110:111]
	ds_load_2addr_b64 v[94:97], v2 offset0:59 offset1:60
	ds_load_2addr_b64 v[98:101], v2 offset0:61 offset1:62
	s_wait_dscnt 0x1
	v_fmac_f64_e32 v[120:121], v[102:103], v[94:95]
	s_wait_loadcnt 0x4
	s_delay_alu instid0(VALU_DEP_1) | instskip(SKIP_4) | instid1(VALU_DEP_1)
	v_fmac_f64_e32 v[120:121], v[104:105], v[96:97]
	scratch_load_b128 v[94:97], off, off offset:240
	s_wait_dscnt 0x0
	v_fmac_f64_e32 v[120:121], v[106:107], v[98:99]
	s_wait_loadcnt 0x4
	v_fmac_f64_e32 v[120:121], v[116:117], v[100:101]
	scratch_load_b128 v[98:101], off, off offset:256
	ds_load_2addr_b64 v[102:105], v2 offset0:63 offset1:64
	ds_load_2addr_b64 v[106:109], v2 offset0:65 offset1:66
	s_wait_dscnt 0x1
	v_fmac_f64_e32 v[120:121], v[118:119], v[102:103]
	s_wait_loadcnt 0x4
	s_delay_alu instid0(VALU_DEP_1)
	v_fmac_f64_e32 v[120:121], v[86:87], v[104:105]
	scratch_load_b128 v[102:105], off, off offset:272
	s_wait_dscnt 0x0
	v_fmac_f64_e32 v[120:121], v[88:89], v[106:107]
	scratch_load_b128 v[86:89], off, off offset:288
	s_wait_loadcnt 0x5
	v_fmac_f64_e32 v[120:121], v[112:113], v[108:109]
	ds_load_2addr_b64 v[106:109], v2 offset0:67 offset1:68
	ds_load_2addr_b64 v[110:113], v2 offset0:69 offset1:70
	s_wait_dscnt 0x1
	v_fmac_f64_e32 v[120:121], v[114:115], v[106:107]
	s_wait_loadcnt 0x4
	s_delay_alu instid0(VALU_DEP_1) | instskip(SKIP_4) | instid1(VALU_DEP_1)
	v_fmac_f64_e32 v[120:121], v[90:91], v[108:109]
	scratch_load_b128 v[106:109], off, off offset:304
	s_wait_dscnt 0x0
	v_fmac_f64_e32 v[120:121], v[92:93], v[110:111]
	s_wait_loadcnt 0x4
	v_fmac_f64_e32 v[120:121], v[94:95], v[112:113]
	ds_load_2addr_b64 v[90:93], v2 offset0:71 offset1:72
	ds_load_2addr_b64 v[110:113], v2 offset0:73 offset1:74
	s_wait_dscnt 0x1
	v_fmac_f64_e32 v[120:121], v[96:97], v[90:91]
	s_wait_loadcnt 0x3
	s_delay_alu instid0(VALU_DEP_1)
	v_fmac_f64_e32 v[120:121], v[98:99], v[92:93]
	ds_load_2addr_b64 v[90:93], v2 offset0:75 offset1:76
	ds_load_2addr_b64 v[94:97], v2 offset0:77 offset1:78
	s_wait_dscnt 0x2
	v_fmac_f64_e32 v[120:121], v[100:101], v[110:111]
	s_wait_loadcnt 0x2
	s_delay_alu instid0(VALU_DEP_1) | instskip(SKIP_1) | instid1(VALU_DEP_1)
	v_fmac_f64_e32 v[120:121], v[102:103], v[112:113]
	s_wait_dscnt 0x1
	v_fmac_f64_e32 v[120:121], v[104:105], v[90:91]
	s_wait_loadcnt 0x1
	s_delay_alu instid0(VALU_DEP_1) | instskip(SKIP_4) | instid1(VALU_DEP_1)
	v_fmac_f64_e32 v[120:121], v[86:87], v[92:93]
	ds_load_b64 v[86:87], v2 offset:632
	s_wait_dscnt 0x1
	v_fmac_f64_e32 v[120:121], v[88:89], v[94:95]
	s_wait_loadcnt 0x0
	v_fmac_f64_e32 v[120:121], v[106:107], v[96:97]
	s_wait_dscnt 0x0
	s_delay_alu instid0(VALU_DEP_1) | instskip(NEXT) | instid1(VALU_DEP_1)
	v_fmac_f64_e32 v[120:121], v[108:109], v[86:87]
	v_add_f64_e64 v[84:85], v[84:85], -v[120:121]
	scratch_store_b64 off, v[84:85], off offset:80
	s_wait_xcnt 0x0
	v_cmpx_lt_u32_e32 9, v0
	s_cbranch_execz .LBB39_231
; %bb.230:
	scratch_load_b64 v[84:85], off, off offset:72
	v_mov_b64_e32 v[86:87], 0
	scratch_store_b64 off, v[86:87], off offset:72
	s_wait_loadcnt 0x0
	ds_store_b64 v1, v[84:85]
.LBB39_231:
	s_wait_xcnt 0x0
	s_or_b32 exec_lo, exec_lo, s0
	s_wait_storecnt_dscnt 0x0
	s_barrier_signal -1
	s_barrier_wait -1
	s_clause 0x5
	scratch_load_b128 v[84:87], off, off offset:72
	scratch_load_b128 v[88:91], off, off offset:88
	;; [unrolled: 1-line block ×6, first 2 shown]
	ds_load_b128 v[108:111], v2 offset:400
	ds_load_b128 v[112:115], v2 offset:416
	scratch_load_b128 v[116:119], off, off offset:168
	s_mov_b32 s0, exec_lo
	s_wait_loadcnt_dscnt 0x601
	v_fma_f64 v[120:121], v[86:87], v[108:109], 0
	s_wait_loadcnt 0x5
	s_delay_alu instid0(VALU_DEP_1) | instskip(SKIP_4) | instid1(VALU_DEP_1)
	v_fmac_f64_e32 v[120:121], v[88:89], v[110:111]
	scratch_load_b128 v[86:89], off, off offset:184
	s_wait_dscnt 0x0
	v_fmac_f64_e32 v[120:121], v[90:91], v[112:113]
	s_wait_loadcnt 0x5
	v_fmac_f64_e32 v[120:121], v[92:93], v[114:115]
	ds_load_b128 v[90:93], v2 offset:432
	ds_load_b128 v[108:111], v2 offset:448
	scratch_load_b128 v[112:115], off, off offset:200
	s_wait_dscnt 0x1
	v_fmac_f64_e32 v[120:121], v[94:95], v[90:91]
	s_wait_loadcnt 0x5
	s_delay_alu instid0(VALU_DEP_1) | instskip(SKIP_4) | instid1(VALU_DEP_1)
	v_fmac_f64_e32 v[120:121], v[96:97], v[92:93]
	scratch_load_b128 v[90:93], off, off offset:216
	s_wait_dscnt 0x0
	v_fmac_f64_e32 v[120:121], v[98:99], v[108:109]
	s_wait_loadcnt 0x5
	v_fmac_f64_e32 v[120:121], v[100:101], v[110:111]
	ds_load_b128 v[94:97], v2 offset:464
	ds_load_b128 v[98:101], v2 offset:480
	scratch_load_b128 v[108:111], off, off offset:232
	s_wait_dscnt 0x1
	v_fmac_f64_e32 v[120:121], v[102:103], v[94:95]
	s_wait_loadcnt 0x5
	s_delay_alu instid0(VALU_DEP_1) | instskip(SKIP_4) | instid1(VALU_DEP_1)
	v_fmac_f64_e32 v[120:121], v[104:105], v[96:97]
	scratch_load_b128 v[94:97], off, off offset:248
	s_wait_dscnt 0x0
	v_fmac_f64_e32 v[120:121], v[106:107], v[98:99]
	s_wait_loadcnt 0x5
	v_fmac_f64_e32 v[120:121], v[116:117], v[100:101]
	ds_load_b128 v[98:101], v2 offset:496
	ds_load_b128 v[102:105], v2 offset:512
	s_wait_dscnt 0x1
	v_fmac_f64_e32 v[120:121], v[118:119], v[98:99]
	s_wait_loadcnt 0x4
	s_delay_alu instid0(VALU_DEP_1)
	v_fmac_f64_e32 v[120:121], v[86:87], v[100:101]
	scratch_load_b128 v[98:101], off, off offset:264
	s_wait_dscnt 0x0
	v_fmac_f64_e32 v[120:121], v[88:89], v[102:103]
	scratch_load_b128 v[86:89], off, off offset:280
	s_wait_loadcnt 0x5
	v_fmac_f64_e32 v[120:121], v[112:113], v[104:105]
	ds_load_b128 v[102:105], v2 offset:528
	ds_load_b128 v[116:119], v2 offset:544
	scratch_load_b64 v[112:113], off, off offset:312
	s_wait_dscnt 0x1
	v_fmac_f64_e32 v[120:121], v[114:115], v[102:103]
	s_wait_loadcnt 0x5
	s_delay_alu instid0(VALU_DEP_1) | instskip(SKIP_4) | instid1(VALU_DEP_1)
	v_fmac_f64_e32 v[120:121], v[90:91], v[104:105]
	scratch_load_b128 v[102:105], off, off offset:296
	s_wait_dscnt 0x0
	v_fmac_f64_e32 v[120:121], v[92:93], v[116:117]
	s_wait_loadcnt 0x5
	v_fmac_f64_e32 v[120:121], v[108:109], v[118:119]
	ds_load_b128 v[90:93], v2 offset:560
	ds_load_b128 v[106:109], v2 offset:576
	s_wait_dscnt 0x1
	v_fmac_f64_e32 v[120:121], v[110:111], v[90:91]
	s_wait_loadcnt 0x4
	s_delay_alu instid0(VALU_DEP_1) | instskip(SKIP_1) | instid1(VALU_DEP_1)
	v_fmac_f64_e32 v[120:121], v[94:95], v[92:93]
	s_wait_dscnt 0x0
	v_fmac_f64_e32 v[120:121], v[96:97], v[106:107]
	ds_load_b128 v[90:93], v2 offset:592
	ds_load_b128 v[94:97], v2 offset:608
	s_wait_loadcnt 0x3
	v_fmac_f64_e32 v[120:121], v[98:99], v[108:109]
	s_wait_dscnt 0x1
	s_delay_alu instid0(VALU_DEP_1) | instskip(SKIP_1) | instid1(VALU_DEP_1)
	v_fmac_f64_e32 v[120:121], v[100:101], v[90:91]
	s_wait_loadcnt 0x2
	v_fmac_f64_e32 v[120:121], v[86:87], v[92:93]
	s_wait_dscnt 0x0
	s_delay_alu instid0(VALU_DEP_1) | instskip(SKIP_4) | instid1(VALU_DEP_1)
	v_fmac_f64_e32 v[120:121], v[88:89], v[94:95]
	ds_load_b128 v[86:89], v2 offset:624
	s_wait_loadcnt 0x0
	v_fmac_f64_e32 v[120:121], v[102:103], v[96:97]
	s_wait_dscnt 0x0
	v_fmac_f64_e32 v[120:121], v[104:105], v[86:87]
	s_delay_alu instid0(VALU_DEP_1) | instskip(NEXT) | instid1(VALU_DEP_1)
	v_fmac_f64_e32 v[120:121], v[112:113], v[88:89]
	v_add_f64_e64 v[2:3], v[84:85], -v[120:121]
	scratch_store_b64 off, v[2:3], off offset:72
	s_wait_xcnt 0x0
	v_cmpx_lt_u32_e32 8, v0
	s_cbranch_execz .LBB39_233
; %bb.232:
	scratch_load_b64 v[2:3], off, off offset:64
	v_mov_b64_e32 v[84:85], 0
	scratch_store_b64 off, v[84:85], off offset:64
	s_wait_loadcnt 0x0
	ds_store_b64 v1, v[2:3]
.LBB39_233:
	s_wait_xcnt 0x0
	s_or_b32 exec_lo, exec_lo, s0
	s_wait_storecnt_dscnt 0x0
	s_barrier_signal -1
	s_barrier_wait -1
	s_clause 0x5
	scratch_load_b128 v[84:87], off, off offset:64
	scratch_load_b128 v[88:91], off, off offset:80
	;; [unrolled: 1-line block ×6, first 2 shown]
	v_mov_b32_e32 v2, 0
	ds_load_2addr_b64 v[108:111], v2 offset0:49 offset1:50
	ds_load_2addr_b64 v[112:115], v2 offset0:51 offset1:52
	scratch_load_b128 v[116:119], off, off offset:160
	s_mov_b32 s0, exec_lo
	s_wait_loadcnt_dscnt 0x601
	v_fma_f64 v[120:121], v[86:87], v[108:109], 0
	s_wait_loadcnt 0x5
	s_delay_alu instid0(VALU_DEP_1) | instskip(SKIP_4) | instid1(VALU_DEP_1)
	v_fmac_f64_e32 v[120:121], v[88:89], v[110:111]
	scratch_load_b128 v[86:89], off, off offset:176
	s_wait_dscnt 0x0
	v_fmac_f64_e32 v[120:121], v[90:91], v[112:113]
	s_wait_loadcnt 0x5
	v_fmac_f64_e32 v[120:121], v[92:93], v[114:115]
	ds_load_2addr_b64 v[90:93], v2 offset0:53 offset1:54
	ds_load_2addr_b64 v[108:111], v2 offset0:55 offset1:56
	scratch_load_b128 v[112:115], off, off offset:192
	s_wait_dscnt 0x1
	v_fmac_f64_e32 v[120:121], v[94:95], v[90:91]
	s_wait_loadcnt 0x5
	s_delay_alu instid0(VALU_DEP_1) | instskip(SKIP_4) | instid1(VALU_DEP_1)
	v_fmac_f64_e32 v[120:121], v[96:97], v[92:93]
	scratch_load_b128 v[90:93], off, off offset:208
	s_wait_dscnt 0x0
	v_fmac_f64_e32 v[120:121], v[98:99], v[108:109]
	s_wait_loadcnt 0x5
	v_fmac_f64_e32 v[120:121], v[100:101], v[110:111]
	ds_load_2addr_b64 v[94:97], v2 offset0:57 offset1:58
	ds_load_2addr_b64 v[98:101], v2 offset0:59 offset1:60
	scratch_load_b128 v[108:111], off, off offset:224
	s_wait_dscnt 0x1
	v_fmac_f64_e32 v[120:121], v[102:103], v[94:95]
	s_wait_loadcnt 0x5
	s_delay_alu instid0(VALU_DEP_1) | instskip(SKIP_4) | instid1(VALU_DEP_1)
	v_fmac_f64_e32 v[120:121], v[104:105], v[96:97]
	scratch_load_b128 v[94:97], off, off offset:240
	s_wait_dscnt 0x0
	v_fmac_f64_e32 v[120:121], v[106:107], v[98:99]
	s_wait_loadcnt 0x5
	v_fmac_f64_e32 v[120:121], v[116:117], v[100:101]
	ds_load_2addr_b64 v[98:101], v2 offset0:61 offset1:62
	ds_load_2addr_b64 v[102:105], v2 offset0:63 offset1:64
	s_wait_dscnt 0x1
	v_fmac_f64_e32 v[120:121], v[118:119], v[98:99]
	s_wait_loadcnt 0x4
	s_delay_alu instid0(VALU_DEP_1)
	v_fmac_f64_e32 v[120:121], v[86:87], v[100:101]
	scratch_load_b128 v[98:101], off, off offset:256
	s_wait_dscnt 0x0
	v_fmac_f64_e32 v[120:121], v[88:89], v[102:103]
	scratch_load_b128 v[86:89], off, off offset:272
	s_wait_loadcnt 0x5
	v_fmac_f64_e32 v[120:121], v[112:113], v[104:105]
	ds_load_2addr_b64 v[102:105], v2 offset0:65 offset1:66
	ds_load_2addr_b64 v[116:119], v2 offset0:67 offset1:68
	s_wait_dscnt 0x1
	v_fmac_f64_e32 v[120:121], v[114:115], v[102:103]
	s_wait_loadcnt 0x4
	s_delay_alu instid0(VALU_DEP_1)
	v_fmac_f64_e32 v[120:121], v[90:91], v[104:105]
	scratch_load_b128 v[102:105], off, off offset:288
	s_wait_dscnt 0x0
	v_fmac_f64_e32 v[120:121], v[92:93], v[116:117]
	scratch_load_b128 v[90:93], off, off offset:304
	s_wait_loadcnt 0x5
	v_fmac_f64_e32 v[120:121], v[108:109], v[118:119]
	ds_load_2addr_b64 v[106:109], v2 offset0:69 offset1:70
	ds_load_2addr_b64 v[112:115], v2 offset0:71 offset1:72
	s_wait_dscnt 0x1
	v_fmac_f64_e32 v[120:121], v[110:111], v[106:107]
	s_wait_loadcnt 0x4
	s_delay_alu instid0(VALU_DEP_1) | instskip(SKIP_1) | instid1(VALU_DEP_1)
	v_fmac_f64_e32 v[120:121], v[94:95], v[108:109]
	s_wait_dscnt 0x0
	v_fmac_f64_e32 v[120:121], v[96:97], v[112:113]
	ds_load_2addr_b64 v[94:97], v2 offset0:73 offset1:74
	ds_load_2addr_b64 v[106:109], v2 offset0:75 offset1:76
	s_wait_loadcnt 0x3
	v_fmac_f64_e32 v[120:121], v[98:99], v[114:115]
	s_wait_dscnt 0x1
	s_delay_alu instid0(VALU_DEP_1) | instskip(SKIP_1) | instid1(VALU_DEP_1)
	v_fmac_f64_e32 v[120:121], v[100:101], v[94:95]
	s_wait_loadcnt 0x2
	v_fmac_f64_e32 v[120:121], v[86:87], v[96:97]
	s_wait_dscnt 0x0
	s_delay_alu instid0(VALU_DEP_1)
	v_fmac_f64_e32 v[120:121], v[88:89], v[106:107]
	ds_load_2addr_b64 v[86:89], v2 offset0:77 offset1:78
	ds_load_b64 v[94:95], v2 offset:632
	s_wait_loadcnt 0x1
	v_fmac_f64_e32 v[120:121], v[102:103], v[108:109]
	s_wait_dscnt 0x1
	s_delay_alu instid0(VALU_DEP_1) | instskip(SKIP_1) | instid1(VALU_DEP_1)
	v_fmac_f64_e32 v[120:121], v[104:105], v[86:87]
	s_wait_loadcnt 0x0
	v_fmac_f64_e32 v[120:121], v[90:91], v[88:89]
	s_wait_dscnt 0x0
	s_delay_alu instid0(VALU_DEP_1) | instskip(NEXT) | instid1(VALU_DEP_1)
	v_fmac_f64_e32 v[120:121], v[92:93], v[94:95]
	v_add_f64_e64 v[84:85], v[84:85], -v[120:121]
	scratch_store_b64 off, v[84:85], off offset:64
	s_wait_xcnt 0x0
	v_cmpx_lt_u32_e32 7, v0
	s_cbranch_execz .LBB39_235
; %bb.234:
	scratch_load_b64 v[84:85], off, off offset:56
	v_mov_b64_e32 v[86:87], 0
	scratch_store_b64 off, v[86:87], off offset:56
	s_wait_loadcnt 0x0
	ds_store_b64 v1, v[84:85]
.LBB39_235:
	s_wait_xcnt 0x0
	s_or_b32 exec_lo, exec_lo, s0
	s_wait_storecnt_dscnt 0x0
	s_barrier_signal -1
	s_barrier_wait -1
	s_clause 0x5
	scratch_load_b128 v[84:87], off, off offset:56
	scratch_load_b128 v[88:91], off, off offset:72
	;; [unrolled: 1-line block ×6, first 2 shown]
	ds_load_b128 v[108:111], v2 offset:384
	ds_load_b128 v[112:115], v2 offset:400
	scratch_load_b128 v[116:119], off, off offset:152
	s_mov_b32 s0, exec_lo
	s_wait_loadcnt_dscnt 0x601
	v_fma_f64 v[120:121], v[86:87], v[108:109], 0
	s_wait_loadcnt 0x5
	s_delay_alu instid0(VALU_DEP_1) | instskip(SKIP_4) | instid1(VALU_DEP_1)
	v_fmac_f64_e32 v[120:121], v[88:89], v[110:111]
	scratch_load_b128 v[86:89], off, off offset:168
	s_wait_dscnt 0x0
	v_fmac_f64_e32 v[120:121], v[90:91], v[112:113]
	s_wait_loadcnt 0x5
	v_fmac_f64_e32 v[120:121], v[92:93], v[114:115]
	ds_load_b128 v[90:93], v2 offset:416
	ds_load_b128 v[108:111], v2 offset:432
	scratch_load_b128 v[112:115], off, off offset:184
	s_wait_dscnt 0x1
	v_fmac_f64_e32 v[120:121], v[94:95], v[90:91]
	s_wait_loadcnt 0x5
	s_delay_alu instid0(VALU_DEP_1) | instskip(SKIP_4) | instid1(VALU_DEP_1)
	v_fmac_f64_e32 v[120:121], v[96:97], v[92:93]
	scratch_load_b128 v[90:93], off, off offset:200
	s_wait_dscnt 0x0
	v_fmac_f64_e32 v[120:121], v[98:99], v[108:109]
	s_wait_loadcnt 0x5
	v_fmac_f64_e32 v[120:121], v[100:101], v[110:111]
	ds_load_b128 v[94:97], v2 offset:448
	ds_load_b128 v[98:101], v2 offset:464
	scratch_load_b128 v[108:111], off, off offset:216
	s_wait_dscnt 0x1
	v_fmac_f64_e32 v[120:121], v[102:103], v[94:95]
	s_wait_loadcnt 0x5
	s_delay_alu instid0(VALU_DEP_1) | instskip(SKIP_4) | instid1(VALU_DEP_1)
	v_fmac_f64_e32 v[120:121], v[104:105], v[96:97]
	scratch_load_b128 v[94:97], off, off offset:232
	s_wait_dscnt 0x0
	v_fmac_f64_e32 v[120:121], v[106:107], v[98:99]
	s_wait_loadcnt 0x5
	v_fmac_f64_e32 v[120:121], v[116:117], v[100:101]
	ds_load_b128 v[98:101], v2 offset:480
	ds_load_b128 v[102:105], v2 offset:496
	s_wait_dscnt 0x1
	v_fmac_f64_e32 v[120:121], v[118:119], v[98:99]
	s_wait_loadcnt 0x4
	s_delay_alu instid0(VALU_DEP_1)
	v_fmac_f64_e32 v[120:121], v[86:87], v[100:101]
	scratch_load_b128 v[98:101], off, off offset:248
	s_wait_dscnt 0x0
	v_fmac_f64_e32 v[120:121], v[88:89], v[102:103]
	scratch_load_b128 v[86:89], off, off offset:264
	s_wait_loadcnt 0x5
	v_fmac_f64_e32 v[120:121], v[112:113], v[104:105]
	ds_load_b128 v[102:105], v2 offset:512
	ds_load_b128 v[116:119], v2 offset:528
	s_wait_dscnt 0x1
	v_fmac_f64_e32 v[120:121], v[114:115], v[102:103]
	s_wait_loadcnt 0x4
	s_delay_alu instid0(VALU_DEP_1)
	v_fmac_f64_e32 v[120:121], v[90:91], v[104:105]
	scratch_load_b128 v[102:105], off, off offset:280
	s_wait_dscnt 0x0
	v_fmac_f64_e32 v[120:121], v[92:93], v[116:117]
	scratch_load_b128 v[90:93], off, off offset:296
	s_wait_loadcnt 0x5
	v_fmac_f64_e32 v[120:121], v[108:109], v[118:119]
	ds_load_b128 v[106:109], v2 offset:544
	ds_load_b128 v[112:115], v2 offset:560
	s_wait_dscnt 0x1
	v_fmac_f64_e32 v[120:121], v[110:111], v[106:107]
	scratch_load_b64 v[110:111], off, off offset:312
	s_wait_loadcnt 0x5
	v_fmac_f64_e32 v[120:121], v[94:95], v[108:109]
	s_wait_dscnt 0x0
	s_delay_alu instid0(VALU_DEP_1)
	v_fmac_f64_e32 v[120:121], v[96:97], v[112:113]
	ds_load_b128 v[94:97], v2 offset:576
	ds_load_b128 v[106:109], v2 offset:592
	s_wait_loadcnt 0x4
	v_fmac_f64_e32 v[120:121], v[98:99], v[114:115]
	s_wait_dscnt 0x1
	s_delay_alu instid0(VALU_DEP_1) | instskip(SKIP_1) | instid1(VALU_DEP_1)
	v_fmac_f64_e32 v[120:121], v[100:101], v[94:95]
	s_wait_loadcnt 0x3
	v_fmac_f64_e32 v[120:121], v[86:87], v[96:97]
	s_wait_dscnt 0x0
	s_delay_alu instid0(VALU_DEP_1)
	v_fmac_f64_e32 v[120:121], v[88:89], v[106:107]
	ds_load_b128 v[86:89], v2 offset:608
	ds_load_b128 v[94:97], v2 offset:624
	s_wait_loadcnt 0x2
	v_fmac_f64_e32 v[120:121], v[102:103], v[108:109]
	s_wait_dscnt 0x1
	s_delay_alu instid0(VALU_DEP_1) | instskip(SKIP_1) | instid1(VALU_DEP_1)
	v_fmac_f64_e32 v[120:121], v[104:105], v[86:87]
	s_wait_loadcnt 0x1
	v_fmac_f64_e32 v[120:121], v[90:91], v[88:89]
	s_wait_dscnt 0x0
	s_delay_alu instid0(VALU_DEP_1) | instskip(SKIP_1) | instid1(VALU_DEP_1)
	v_fmac_f64_e32 v[120:121], v[92:93], v[94:95]
	s_wait_loadcnt 0x0
	v_fmac_f64_e32 v[120:121], v[110:111], v[96:97]
	s_delay_alu instid0(VALU_DEP_1)
	v_add_f64_e64 v[2:3], v[84:85], -v[120:121]
	scratch_store_b64 off, v[2:3], off offset:56
	s_wait_xcnt 0x0
	v_cmpx_lt_u32_e32 6, v0
	s_cbranch_execz .LBB39_237
; %bb.236:
	scratch_load_b64 v[2:3], off, off offset:48
	v_mov_b64_e32 v[84:85], 0
	scratch_store_b64 off, v[84:85], off offset:48
	s_wait_loadcnt 0x0
	ds_store_b64 v1, v[2:3]
.LBB39_237:
	s_wait_xcnt 0x0
	s_or_b32 exec_lo, exec_lo, s0
	s_wait_storecnt_dscnt 0x0
	s_barrier_signal -1
	s_barrier_wait -1
	s_clause 0x5
	scratch_load_b128 v[84:87], off, off offset:48
	scratch_load_b128 v[88:91], off, off offset:64
	;; [unrolled: 1-line block ×6, first 2 shown]
	v_mov_b32_e32 v2, 0
	ds_load_2addr_b64 v[108:111], v2 offset0:47 offset1:48
	ds_load_2addr_b64 v[112:115], v2 offset0:49 offset1:50
	scratch_load_b128 v[116:119], off, off offset:144
	s_mov_b32 s0, exec_lo
	s_wait_loadcnt_dscnt 0x601
	v_fma_f64 v[120:121], v[86:87], v[108:109], 0
	s_wait_loadcnt 0x5
	s_delay_alu instid0(VALU_DEP_1) | instskip(SKIP_4) | instid1(VALU_DEP_1)
	v_fmac_f64_e32 v[120:121], v[88:89], v[110:111]
	scratch_load_b128 v[86:89], off, off offset:160
	s_wait_dscnt 0x0
	v_fmac_f64_e32 v[120:121], v[90:91], v[112:113]
	s_wait_loadcnt 0x5
	v_fmac_f64_e32 v[120:121], v[92:93], v[114:115]
	ds_load_2addr_b64 v[90:93], v2 offset0:51 offset1:52
	ds_load_2addr_b64 v[108:111], v2 offset0:53 offset1:54
	scratch_load_b128 v[112:115], off, off offset:176
	s_wait_dscnt 0x1
	v_fmac_f64_e32 v[120:121], v[94:95], v[90:91]
	s_wait_loadcnt 0x5
	s_delay_alu instid0(VALU_DEP_1) | instskip(SKIP_4) | instid1(VALU_DEP_1)
	v_fmac_f64_e32 v[120:121], v[96:97], v[92:93]
	scratch_load_b128 v[90:93], off, off offset:192
	s_wait_dscnt 0x0
	v_fmac_f64_e32 v[120:121], v[98:99], v[108:109]
	s_wait_loadcnt 0x5
	v_fmac_f64_e32 v[120:121], v[100:101], v[110:111]
	ds_load_2addr_b64 v[94:97], v2 offset0:55 offset1:56
	ds_load_2addr_b64 v[98:101], v2 offset0:57 offset1:58
	scratch_load_b128 v[108:111], off, off offset:208
	s_wait_dscnt 0x1
	v_fmac_f64_e32 v[120:121], v[102:103], v[94:95]
	s_wait_loadcnt 0x5
	s_delay_alu instid0(VALU_DEP_1) | instskip(SKIP_4) | instid1(VALU_DEP_1)
	v_fmac_f64_e32 v[120:121], v[104:105], v[96:97]
	scratch_load_b128 v[94:97], off, off offset:224
	s_wait_dscnt 0x0
	v_fmac_f64_e32 v[120:121], v[106:107], v[98:99]
	s_wait_loadcnt 0x5
	v_fmac_f64_e32 v[120:121], v[116:117], v[100:101]
	ds_load_2addr_b64 v[98:101], v2 offset0:59 offset1:60
	ds_load_2addr_b64 v[102:105], v2 offset0:61 offset1:62
	s_wait_dscnt 0x1
	v_fmac_f64_e32 v[120:121], v[118:119], v[98:99]
	s_wait_loadcnt 0x4
	s_delay_alu instid0(VALU_DEP_1)
	v_fmac_f64_e32 v[120:121], v[86:87], v[100:101]
	scratch_load_b128 v[98:101], off, off offset:240
	s_wait_dscnt 0x0
	v_fmac_f64_e32 v[120:121], v[88:89], v[102:103]
	scratch_load_b128 v[86:89], off, off offset:256
	s_wait_loadcnt 0x5
	v_fmac_f64_e32 v[120:121], v[112:113], v[104:105]
	ds_load_2addr_b64 v[102:105], v2 offset0:63 offset1:64
	ds_load_2addr_b64 v[116:119], v2 offset0:65 offset1:66
	s_wait_dscnt 0x1
	v_fmac_f64_e32 v[120:121], v[114:115], v[102:103]
	s_wait_loadcnt 0x4
	s_delay_alu instid0(VALU_DEP_1)
	v_fmac_f64_e32 v[120:121], v[90:91], v[104:105]
	scratch_load_b128 v[102:105], off, off offset:272
	s_wait_dscnt 0x0
	v_fmac_f64_e32 v[120:121], v[92:93], v[116:117]
	scratch_load_b128 v[90:93], off, off offset:288
	s_wait_loadcnt 0x5
	v_fmac_f64_e32 v[120:121], v[108:109], v[118:119]
	ds_load_2addr_b64 v[106:109], v2 offset0:67 offset1:68
	ds_load_2addr_b64 v[112:115], v2 offset0:69 offset1:70
	s_wait_dscnt 0x1
	v_fmac_f64_e32 v[120:121], v[110:111], v[106:107]
	s_wait_loadcnt 0x4
	s_delay_alu instid0(VALU_DEP_1)
	v_fmac_f64_e32 v[120:121], v[94:95], v[108:109]
	scratch_load_b128 v[106:109], off, off offset:304
	s_wait_dscnt 0x0
	v_fmac_f64_e32 v[120:121], v[96:97], v[112:113]
	ds_load_2addr_b64 v[94:97], v2 offset0:71 offset1:72
	ds_load_2addr_b64 v[110:113], v2 offset0:73 offset1:74
	s_wait_loadcnt 0x4
	v_fmac_f64_e32 v[120:121], v[98:99], v[114:115]
	s_wait_dscnt 0x1
	s_delay_alu instid0(VALU_DEP_1) | instskip(SKIP_1) | instid1(VALU_DEP_1)
	v_fmac_f64_e32 v[120:121], v[100:101], v[94:95]
	s_wait_loadcnt 0x3
	v_fmac_f64_e32 v[120:121], v[86:87], v[96:97]
	s_wait_dscnt 0x0
	s_delay_alu instid0(VALU_DEP_1)
	v_fmac_f64_e32 v[120:121], v[88:89], v[110:111]
	ds_load_2addr_b64 v[86:89], v2 offset0:75 offset1:76
	ds_load_2addr_b64 v[94:97], v2 offset0:77 offset1:78
	s_wait_loadcnt 0x2
	v_fmac_f64_e32 v[120:121], v[102:103], v[112:113]
	s_wait_dscnt 0x1
	s_delay_alu instid0(VALU_DEP_1) | instskip(SKIP_4) | instid1(VALU_DEP_1)
	v_fmac_f64_e32 v[120:121], v[104:105], v[86:87]
	ds_load_b64 v[86:87], v2 offset:632
	s_wait_loadcnt 0x1
	v_fmac_f64_e32 v[120:121], v[90:91], v[88:89]
	s_wait_dscnt 0x1
	v_fmac_f64_e32 v[120:121], v[92:93], v[94:95]
	s_wait_loadcnt 0x0
	s_delay_alu instid0(VALU_DEP_1) | instskip(SKIP_1) | instid1(VALU_DEP_1)
	v_fmac_f64_e32 v[120:121], v[106:107], v[96:97]
	s_wait_dscnt 0x0
	v_fmac_f64_e32 v[120:121], v[108:109], v[86:87]
	s_delay_alu instid0(VALU_DEP_1)
	v_add_f64_e64 v[84:85], v[84:85], -v[120:121]
	scratch_store_b64 off, v[84:85], off offset:48
	s_wait_xcnt 0x0
	v_cmpx_lt_u32_e32 5, v0
	s_cbranch_execz .LBB39_239
; %bb.238:
	scratch_load_b64 v[84:85], off, off offset:40
	v_mov_b64_e32 v[86:87], 0
	scratch_store_b64 off, v[86:87], off offset:40
	s_wait_loadcnt 0x0
	ds_store_b64 v1, v[84:85]
.LBB39_239:
	s_wait_xcnt 0x0
	s_or_b32 exec_lo, exec_lo, s0
	s_wait_storecnt_dscnt 0x0
	s_barrier_signal -1
	s_barrier_wait -1
	s_clause 0x5
	scratch_load_b128 v[84:87], off, off offset:40
	scratch_load_b128 v[88:91], off, off offset:56
	;; [unrolled: 1-line block ×6, first 2 shown]
	ds_load_b128 v[108:111], v2 offset:368
	ds_load_b128 v[112:115], v2 offset:384
	scratch_load_b128 v[116:119], off, off offset:136
	s_mov_b32 s0, exec_lo
	s_wait_loadcnt_dscnt 0x601
	v_fma_f64 v[120:121], v[86:87], v[108:109], 0
	s_wait_loadcnt 0x5
	s_delay_alu instid0(VALU_DEP_1) | instskip(SKIP_4) | instid1(VALU_DEP_1)
	v_fmac_f64_e32 v[120:121], v[88:89], v[110:111]
	scratch_load_b128 v[86:89], off, off offset:152
	s_wait_dscnt 0x0
	v_fmac_f64_e32 v[120:121], v[90:91], v[112:113]
	s_wait_loadcnt 0x5
	v_fmac_f64_e32 v[120:121], v[92:93], v[114:115]
	ds_load_b128 v[90:93], v2 offset:400
	ds_load_b128 v[108:111], v2 offset:416
	scratch_load_b128 v[112:115], off, off offset:168
	s_wait_dscnt 0x1
	v_fmac_f64_e32 v[120:121], v[94:95], v[90:91]
	s_wait_loadcnt 0x5
	s_delay_alu instid0(VALU_DEP_1) | instskip(SKIP_4) | instid1(VALU_DEP_1)
	v_fmac_f64_e32 v[120:121], v[96:97], v[92:93]
	scratch_load_b128 v[90:93], off, off offset:184
	s_wait_dscnt 0x0
	v_fmac_f64_e32 v[120:121], v[98:99], v[108:109]
	s_wait_loadcnt 0x5
	v_fmac_f64_e32 v[120:121], v[100:101], v[110:111]
	ds_load_b128 v[94:97], v2 offset:432
	ds_load_b128 v[98:101], v2 offset:448
	scratch_load_b128 v[108:111], off, off offset:200
	s_wait_dscnt 0x1
	v_fmac_f64_e32 v[120:121], v[102:103], v[94:95]
	s_wait_loadcnt 0x5
	s_delay_alu instid0(VALU_DEP_1) | instskip(SKIP_4) | instid1(VALU_DEP_1)
	v_fmac_f64_e32 v[120:121], v[104:105], v[96:97]
	scratch_load_b128 v[94:97], off, off offset:216
	s_wait_dscnt 0x0
	v_fmac_f64_e32 v[120:121], v[106:107], v[98:99]
	s_wait_loadcnt 0x5
	v_fmac_f64_e32 v[120:121], v[116:117], v[100:101]
	ds_load_b128 v[98:101], v2 offset:464
	ds_load_b128 v[102:105], v2 offset:480
	s_wait_dscnt 0x1
	v_fmac_f64_e32 v[120:121], v[118:119], v[98:99]
	scratch_load_b128 v[116:119], off, off offset:232
	s_wait_loadcnt 0x5
	v_fmac_f64_e32 v[120:121], v[86:87], v[100:101]
	s_wait_dscnt 0x0
	s_delay_alu instid0(VALU_DEP_1)
	v_fmac_f64_e32 v[120:121], v[88:89], v[102:103]
	scratch_load_b128 v[86:89], off, off offset:248
	s_wait_loadcnt 0x5
	v_fmac_f64_e32 v[120:121], v[112:113], v[104:105]
	ds_load_b128 v[98:101], v2 offset:496
	ds_load_b128 v[102:105], v2 offset:512
	s_wait_dscnt 0x1
	v_fmac_f64_e32 v[120:121], v[114:115], v[98:99]
	s_wait_loadcnt 0x4
	s_delay_alu instid0(VALU_DEP_1)
	v_fmac_f64_e32 v[120:121], v[90:91], v[100:101]
	scratch_load_b128 v[98:101], off, off offset:264
	s_wait_dscnt 0x0
	v_fmac_f64_e32 v[120:121], v[92:93], v[102:103]
	scratch_load_b128 v[90:93], off, off offset:280
	s_wait_loadcnt 0x5
	v_fmac_f64_e32 v[120:121], v[108:109], v[104:105]
	ds_load_b128 v[102:105], v2 offset:528
	ds_load_b128 v[106:109], v2 offset:544
	s_wait_dscnt 0x1
	v_fmac_f64_e32 v[120:121], v[110:111], v[102:103]
	scratch_load_b64 v[110:111], off, off offset:312
	s_wait_loadcnt 0x5
	v_fmac_f64_e32 v[120:121], v[94:95], v[104:105]
	scratch_load_b128 v[102:105], off, off offset:296
	s_wait_dscnt 0x0
	v_fmac_f64_e32 v[120:121], v[96:97], v[106:107]
	s_wait_loadcnt 0x5
	s_delay_alu instid0(VALU_DEP_1)
	v_fmac_f64_e32 v[120:121], v[116:117], v[108:109]
	ds_load_b128 v[94:97], v2 offset:560
	ds_load_b128 v[106:109], v2 offset:576
	s_wait_dscnt 0x1
	v_fmac_f64_e32 v[120:121], v[118:119], v[94:95]
	s_wait_loadcnt 0x4
	s_delay_alu instid0(VALU_DEP_1) | instskip(SKIP_1) | instid1(VALU_DEP_1)
	v_fmac_f64_e32 v[120:121], v[86:87], v[96:97]
	s_wait_dscnt 0x0
	v_fmac_f64_e32 v[120:121], v[88:89], v[106:107]
	ds_load_b128 v[86:89], v2 offset:592
	ds_load_b128 v[94:97], v2 offset:608
	s_wait_loadcnt 0x3
	v_fmac_f64_e32 v[120:121], v[98:99], v[108:109]
	s_wait_dscnt 0x1
	s_delay_alu instid0(VALU_DEP_1) | instskip(SKIP_1) | instid1(VALU_DEP_1)
	v_fmac_f64_e32 v[120:121], v[100:101], v[86:87]
	s_wait_loadcnt 0x2
	v_fmac_f64_e32 v[120:121], v[90:91], v[88:89]
	ds_load_b128 v[86:89], v2 offset:624
	s_wait_dscnt 0x1
	v_fmac_f64_e32 v[120:121], v[92:93], v[94:95]
	s_wait_loadcnt 0x0
	s_delay_alu instid0(VALU_DEP_1) | instskip(SKIP_1) | instid1(VALU_DEP_1)
	v_fmac_f64_e32 v[120:121], v[102:103], v[96:97]
	s_wait_dscnt 0x0
	v_fmac_f64_e32 v[120:121], v[104:105], v[86:87]
	s_delay_alu instid0(VALU_DEP_1) | instskip(NEXT) | instid1(VALU_DEP_1)
	v_fmac_f64_e32 v[120:121], v[110:111], v[88:89]
	v_add_f64_e64 v[2:3], v[84:85], -v[120:121]
	scratch_store_b64 off, v[2:3], off offset:40
	s_wait_xcnt 0x0
	v_cmpx_lt_u32_e32 4, v0
	s_cbranch_execz .LBB39_241
; %bb.240:
	scratch_load_b64 v[2:3], off, off offset:32
	v_mov_b64_e32 v[84:85], 0
	scratch_store_b64 off, v[84:85], off offset:32
	s_wait_loadcnt 0x0
	ds_store_b64 v1, v[2:3]
.LBB39_241:
	s_wait_xcnt 0x0
	s_or_b32 exec_lo, exec_lo, s0
	s_wait_storecnt_dscnt 0x0
	s_barrier_signal -1
	s_barrier_wait -1
	s_clause 0x5
	scratch_load_b128 v[84:87], off, off offset:32
	scratch_load_b128 v[88:91], off, off offset:48
	;; [unrolled: 1-line block ×6, first 2 shown]
	v_mov_b32_e32 v2, 0
	ds_load_2addr_b64 v[108:111], v2 offset0:45 offset1:46
	ds_load_2addr_b64 v[112:115], v2 offset0:47 offset1:48
	scratch_load_b128 v[116:119], off, off offset:128
	s_mov_b32 s0, exec_lo
	s_wait_loadcnt_dscnt 0x601
	v_fma_f64 v[120:121], v[86:87], v[108:109], 0
	s_wait_loadcnt 0x5
	s_delay_alu instid0(VALU_DEP_1) | instskip(SKIP_4) | instid1(VALU_DEP_1)
	v_fmac_f64_e32 v[120:121], v[88:89], v[110:111]
	scratch_load_b128 v[86:89], off, off offset:144
	s_wait_dscnt 0x0
	v_fmac_f64_e32 v[120:121], v[90:91], v[112:113]
	s_wait_loadcnt 0x5
	v_fmac_f64_e32 v[120:121], v[92:93], v[114:115]
	ds_load_2addr_b64 v[90:93], v2 offset0:49 offset1:50
	ds_load_2addr_b64 v[108:111], v2 offset0:51 offset1:52
	scratch_load_b128 v[112:115], off, off offset:160
	s_wait_dscnt 0x1
	v_fmac_f64_e32 v[120:121], v[94:95], v[90:91]
	s_wait_loadcnt 0x5
	s_delay_alu instid0(VALU_DEP_1) | instskip(SKIP_4) | instid1(VALU_DEP_1)
	v_fmac_f64_e32 v[120:121], v[96:97], v[92:93]
	scratch_load_b128 v[90:93], off, off offset:176
	s_wait_dscnt 0x0
	v_fmac_f64_e32 v[120:121], v[98:99], v[108:109]
	s_wait_loadcnt 0x5
	v_fmac_f64_e32 v[120:121], v[100:101], v[110:111]
	ds_load_2addr_b64 v[94:97], v2 offset0:53 offset1:54
	ds_load_2addr_b64 v[98:101], v2 offset0:55 offset1:56
	scratch_load_b128 v[108:111], off, off offset:192
	s_wait_dscnt 0x1
	v_fmac_f64_e32 v[120:121], v[102:103], v[94:95]
	s_wait_loadcnt 0x5
	s_delay_alu instid0(VALU_DEP_1) | instskip(SKIP_4) | instid1(VALU_DEP_1)
	v_fmac_f64_e32 v[120:121], v[104:105], v[96:97]
	scratch_load_b128 v[94:97], off, off offset:208
	s_wait_dscnt 0x0
	v_fmac_f64_e32 v[120:121], v[106:107], v[98:99]
	s_wait_loadcnt 0x5
	v_fmac_f64_e32 v[120:121], v[116:117], v[100:101]
	ds_load_2addr_b64 v[98:101], v2 offset0:57 offset1:58
	ds_load_2addr_b64 v[102:105], v2 offset0:59 offset1:60
	s_wait_dscnt 0x1
	v_fmac_f64_e32 v[120:121], v[118:119], v[98:99]
	scratch_load_b128 v[116:119], off, off offset:224
	s_wait_loadcnt 0x5
	v_fmac_f64_e32 v[120:121], v[86:87], v[100:101]
	s_wait_dscnt 0x0
	s_delay_alu instid0(VALU_DEP_1)
	v_fmac_f64_e32 v[120:121], v[88:89], v[102:103]
	scratch_load_b128 v[86:89], off, off offset:240
	s_wait_loadcnt 0x5
	v_fmac_f64_e32 v[120:121], v[112:113], v[104:105]
	ds_load_2addr_b64 v[98:101], v2 offset0:61 offset1:62
	ds_load_2addr_b64 v[102:105], v2 offset0:63 offset1:64
	s_wait_dscnt 0x1
	v_fmac_f64_e32 v[120:121], v[114:115], v[98:99]
	s_wait_loadcnt 0x4
	s_delay_alu instid0(VALU_DEP_1)
	v_fmac_f64_e32 v[120:121], v[90:91], v[100:101]
	scratch_load_b128 v[98:101], off, off offset:256
	s_wait_dscnt 0x0
	v_fmac_f64_e32 v[120:121], v[92:93], v[102:103]
	scratch_load_b128 v[90:93], off, off offset:272
	s_wait_loadcnt 0x5
	v_fmac_f64_e32 v[120:121], v[108:109], v[104:105]
	ds_load_2addr_b64 v[102:105], v2 offset0:65 offset1:66
	ds_load_2addr_b64 v[106:109], v2 offset0:67 offset1:68
	s_wait_dscnt 0x1
	v_fmac_f64_e32 v[120:121], v[110:111], v[102:103]
	s_wait_loadcnt 0x4
	s_delay_alu instid0(VALU_DEP_1)
	v_fmac_f64_e32 v[120:121], v[94:95], v[104:105]
	scratch_load_b128 v[102:105], off, off offset:288
	s_wait_dscnt 0x0
	v_fmac_f64_e32 v[120:121], v[96:97], v[106:107]
	scratch_load_b128 v[94:97], off, off offset:304
	s_wait_loadcnt 0x5
	v_fmac_f64_e32 v[120:121], v[116:117], v[108:109]
	ds_load_2addr_b64 v[106:109], v2 offset0:69 offset1:70
	ds_load_2addr_b64 v[110:113], v2 offset0:71 offset1:72
	s_wait_dscnt 0x1
	v_fmac_f64_e32 v[120:121], v[118:119], v[106:107]
	s_wait_loadcnt 0x4
	s_delay_alu instid0(VALU_DEP_1) | instskip(SKIP_1) | instid1(VALU_DEP_1)
	v_fmac_f64_e32 v[120:121], v[86:87], v[108:109]
	s_wait_dscnt 0x0
	v_fmac_f64_e32 v[120:121], v[88:89], v[110:111]
	ds_load_2addr_b64 v[86:89], v2 offset0:73 offset1:74
	ds_load_2addr_b64 v[106:109], v2 offset0:75 offset1:76
	s_wait_loadcnt 0x3
	v_fmac_f64_e32 v[120:121], v[98:99], v[112:113]
	s_wait_dscnt 0x1
	s_delay_alu instid0(VALU_DEP_1) | instskip(SKIP_1) | instid1(VALU_DEP_1)
	v_fmac_f64_e32 v[120:121], v[100:101], v[86:87]
	s_wait_loadcnt 0x2
	v_fmac_f64_e32 v[120:121], v[90:91], v[88:89]
	ds_load_2addr_b64 v[86:89], v2 offset0:77 offset1:78
	ds_load_b64 v[90:91], v2 offset:632
	s_wait_dscnt 0x2
	v_fmac_f64_e32 v[120:121], v[92:93], v[106:107]
	s_wait_loadcnt 0x1
	s_delay_alu instid0(VALU_DEP_1) | instskip(SKIP_1) | instid1(VALU_DEP_1)
	v_fmac_f64_e32 v[120:121], v[102:103], v[108:109]
	s_wait_dscnt 0x1
	v_fmac_f64_e32 v[120:121], v[104:105], v[86:87]
	s_wait_loadcnt 0x0
	s_delay_alu instid0(VALU_DEP_1) | instskip(SKIP_1) | instid1(VALU_DEP_1)
	v_fmac_f64_e32 v[120:121], v[94:95], v[88:89]
	s_wait_dscnt 0x0
	v_fmac_f64_e32 v[120:121], v[96:97], v[90:91]
	s_delay_alu instid0(VALU_DEP_1)
	v_add_f64_e64 v[84:85], v[84:85], -v[120:121]
	scratch_store_b64 off, v[84:85], off offset:32
	s_wait_xcnt 0x0
	v_cmpx_lt_u32_e32 3, v0
	s_cbranch_execz .LBB39_243
; %bb.242:
	scratch_load_b64 v[84:85], off, off offset:24
	v_mov_b64_e32 v[86:87], 0
	scratch_store_b64 off, v[86:87], off offset:24
	s_wait_loadcnt 0x0
	ds_store_b64 v1, v[84:85]
.LBB39_243:
	s_wait_xcnt 0x0
	s_or_b32 exec_lo, exec_lo, s0
	s_wait_storecnt_dscnt 0x0
	s_barrier_signal -1
	s_barrier_wait -1
	s_clause 0x5
	scratch_load_b128 v[84:87], off, off offset:24
	scratch_load_b128 v[88:91], off, off offset:40
	;; [unrolled: 1-line block ×6, first 2 shown]
	ds_load_b128 v[108:111], v2 offset:352
	ds_load_b128 v[112:115], v2 offset:368
	scratch_load_b128 v[116:119], off, off offset:120
	s_mov_b32 s0, exec_lo
	s_wait_loadcnt_dscnt 0x601
	v_fma_f64 v[120:121], v[86:87], v[108:109], 0
	s_wait_loadcnt 0x5
	s_delay_alu instid0(VALU_DEP_1) | instskip(SKIP_4) | instid1(VALU_DEP_1)
	v_fmac_f64_e32 v[120:121], v[88:89], v[110:111]
	scratch_load_b128 v[86:89], off, off offset:136
	s_wait_dscnt 0x0
	v_fmac_f64_e32 v[120:121], v[90:91], v[112:113]
	s_wait_loadcnt 0x5
	v_fmac_f64_e32 v[120:121], v[92:93], v[114:115]
	ds_load_b128 v[90:93], v2 offset:384
	ds_load_b128 v[108:111], v2 offset:400
	scratch_load_b128 v[112:115], off, off offset:152
	s_wait_dscnt 0x1
	v_fmac_f64_e32 v[120:121], v[94:95], v[90:91]
	s_wait_loadcnt 0x5
	s_delay_alu instid0(VALU_DEP_1) | instskip(SKIP_4) | instid1(VALU_DEP_1)
	v_fmac_f64_e32 v[120:121], v[96:97], v[92:93]
	scratch_load_b128 v[90:93], off, off offset:168
	s_wait_dscnt 0x0
	v_fmac_f64_e32 v[120:121], v[98:99], v[108:109]
	s_wait_loadcnt 0x5
	v_fmac_f64_e32 v[120:121], v[100:101], v[110:111]
	ds_load_b128 v[94:97], v2 offset:416
	ds_load_b128 v[98:101], v2 offset:432
	scratch_load_b128 v[108:111], off, off offset:184
	s_wait_dscnt 0x1
	v_fmac_f64_e32 v[120:121], v[102:103], v[94:95]
	s_wait_loadcnt 0x5
	s_delay_alu instid0(VALU_DEP_1) | instskip(SKIP_4) | instid1(VALU_DEP_1)
	v_fmac_f64_e32 v[120:121], v[104:105], v[96:97]
	scratch_load_b128 v[94:97], off, off offset:200
	s_wait_dscnt 0x0
	v_fmac_f64_e32 v[120:121], v[106:107], v[98:99]
	s_wait_loadcnt 0x5
	v_fmac_f64_e32 v[120:121], v[116:117], v[100:101]
	ds_load_b128 v[98:101], v2 offset:448
	ds_load_b128 v[102:105], v2 offset:464
	s_wait_dscnt 0x1
	v_fmac_f64_e32 v[120:121], v[118:119], v[98:99]
	scratch_load_b128 v[116:119], off, off offset:216
	s_wait_loadcnt 0x5
	v_fmac_f64_e32 v[120:121], v[86:87], v[100:101]
	s_wait_dscnt 0x0
	s_delay_alu instid0(VALU_DEP_1)
	v_fmac_f64_e32 v[120:121], v[88:89], v[102:103]
	scratch_load_b128 v[86:89], off, off offset:232
	s_wait_loadcnt 0x5
	v_fmac_f64_e32 v[120:121], v[112:113], v[104:105]
	ds_load_b128 v[98:101], v2 offset:480
	ds_load_b128 v[102:105], v2 offset:496
	s_wait_dscnt 0x1
	v_fmac_f64_e32 v[120:121], v[114:115], v[98:99]
	s_wait_loadcnt 0x4
	s_delay_alu instid0(VALU_DEP_1)
	v_fmac_f64_e32 v[120:121], v[90:91], v[100:101]
	scratch_load_b128 v[98:101], off, off offset:248
	s_wait_dscnt 0x0
	v_fmac_f64_e32 v[120:121], v[92:93], v[102:103]
	scratch_load_b128 v[90:93], off, off offset:264
	s_wait_loadcnt 0x5
	v_fmac_f64_e32 v[120:121], v[108:109], v[104:105]
	ds_load_b128 v[102:105], v2 offset:512
	ds_load_b128 v[106:109], v2 offset:528
	s_wait_dscnt 0x1
	v_fmac_f64_e32 v[120:121], v[110:111], v[102:103]
	s_wait_loadcnt 0x4
	s_delay_alu instid0(VALU_DEP_1)
	v_fmac_f64_e32 v[120:121], v[94:95], v[104:105]
	scratch_load_b128 v[102:105], off, off offset:280
	s_wait_dscnt 0x0
	v_fmac_f64_e32 v[120:121], v[96:97], v[106:107]
	scratch_load_b128 v[94:97], off, off offset:296
	s_wait_loadcnt 0x5
	v_fmac_f64_e32 v[120:121], v[116:117], v[108:109]
	ds_load_b128 v[106:109], v2 offset:544
	ds_load_b128 v[110:113], v2 offset:560
	scratch_load_b64 v[114:115], off, off offset:312
	s_wait_dscnt 0x1
	v_fmac_f64_e32 v[120:121], v[118:119], v[106:107]
	s_wait_loadcnt 0x5
	s_delay_alu instid0(VALU_DEP_1) | instskip(SKIP_1) | instid1(VALU_DEP_1)
	v_fmac_f64_e32 v[120:121], v[86:87], v[108:109]
	s_wait_dscnt 0x0
	v_fmac_f64_e32 v[120:121], v[88:89], v[110:111]
	ds_load_b128 v[86:89], v2 offset:576
	ds_load_b128 v[106:109], v2 offset:592
	s_wait_loadcnt 0x4
	v_fmac_f64_e32 v[120:121], v[98:99], v[112:113]
	s_wait_dscnt 0x1
	s_delay_alu instid0(VALU_DEP_1) | instskip(SKIP_1) | instid1(VALU_DEP_1)
	v_fmac_f64_e32 v[120:121], v[100:101], v[86:87]
	s_wait_loadcnt 0x3
	v_fmac_f64_e32 v[120:121], v[90:91], v[88:89]
	s_wait_dscnt 0x0
	s_delay_alu instid0(VALU_DEP_1)
	v_fmac_f64_e32 v[120:121], v[92:93], v[106:107]
	ds_load_b128 v[86:89], v2 offset:608
	ds_load_b128 v[90:93], v2 offset:624
	s_wait_loadcnt 0x2
	v_fmac_f64_e32 v[120:121], v[102:103], v[108:109]
	s_wait_dscnt 0x1
	s_delay_alu instid0(VALU_DEP_1) | instskip(SKIP_1) | instid1(VALU_DEP_1)
	v_fmac_f64_e32 v[120:121], v[104:105], v[86:87]
	s_wait_loadcnt 0x1
	v_fmac_f64_e32 v[120:121], v[94:95], v[88:89]
	s_wait_dscnt 0x0
	s_delay_alu instid0(VALU_DEP_1) | instskip(SKIP_1) | instid1(VALU_DEP_1)
	v_fmac_f64_e32 v[120:121], v[96:97], v[90:91]
	s_wait_loadcnt 0x0
	v_fmac_f64_e32 v[120:121], v[114:115], v[92:93]
	s_delay_alu instid0(VALU_DEP_1)
	v_add_f64_e64 v[2:3], v[84:85], -v[120:121]
	scratch_store_b64 off, v[2:3], off offset:24
	s_wait_xcnt 0x0
	v_cmpx_lt_u32_e32 2, v0
	s_cbranch_execz .LBB39_245
; %bb.244:
	scratch_load_b64 v[2:3], off, off offset:16
	v_mov_b64_e32 v[84:85], 0
	scratch_store_b64 off, v[84:85], off offset:16
	s_wait_loadcnt 0x0
	ds_store_b64 v1, v[2:3]
.LBB39_245:
	s_wait_xcnt 0x0
	s_or_b32 exec_lo, exec_lo, s0
	s_wait_storecnt_dscnt 0x0
	s_barrier_signal -1
	s_barrier_wait -1
	s_clause 0x5
	scratch_load_b128 v[84:87], off, off offset:16
	scratch_load_b128 v[88:91], off, off offset:32
	;; [unrolled: 1-line block ×6, first 2 shown]
	v_mov_b32_e32 v2, 0
	ds_load_2addr_b64 v[108:111], v2 offset0:43 offset1:44
	ds_load_2addr_b64 v[112:115], v2 offset0:45 offset1:46
	scratch_load_b128 v[116:119], off, off offset:112
	s_mov_b32 s0, exec_lo
	s_wait_loadcnt_dscnt 0x601
	v_fma_f64 v[120:121], v[86:87], v[108:109], 0
	s_wait_loadcnt 0x5
	s_delay_alu instid0(VALU_DEP_1) | instskip(SKIP_4) | instid1(VALU_DEP_1)
	v_fmac_f64_e32 v[120:121], v[88:89], v[110:111]
	scratch_load_b128 v[86:89], off, off offset:128
	s_wait_dscnt 0x0
	v_fmac_f64_e32 v[120:121], v[90:91], v[112:113]
	s_wait_loadcnt 0x5
	v_fmac_f64_e32 v[120:121], v[92:93], v[114:115]
	ds_load_2addr_b64 v[90:93], v2 offset0:47 offset1:48
	ds_load_2addr_b64 v[108:111], v2 offset0:49 offset1:50
	scratch_load_b128 v[112:115], off, off offset:144
	s_wait_dscnt 0x1
	v_fmac_f64_e32 v[120:121], v[94:95], v[90:91]
	s_wait_loadcnt 0x5
	s_delay_alu instid0(VALU_DEP_1) | instskip(SKIP_4) | instid1(VALU_DEP_1)
	v_fmac_f64_e32 v[120:121], v[96:97], v[92:93]
	scratch_load_b128 v[90:93], off, off offset:160
	s_wait_dscnt 0x0
	v_fmac_f64_e32 v[120:121], v[98:99], v[108:109]
	s_wait_loadcnt 0x5
	v_fmac_f64_e32 v[120:121], v[100:101], v[110:111]
	ds_load_2addr_b64 v[94:97], v2 offset0:51 offset1:52
	ds_load_2addr_b64 v[98:101], v2 offset0:53 offset1:54
	scratch_load_b128 v[108:111], off, off offset:176
	s_wait_dscnt 0x1
	v_fmac_f64_e32 v[120:121], v[102:103], v[94:95]
	s_wait_loadcnt 0x5
	s_delay_alu instid0(VALU_DEP_1) | instskip(SKIP_4) | instid1(VALU_DEP_1)
	v_fmac_f64_e32 v[120:121], v[104:105], v[96:97]
	scratch_load_b128 v[94:97], off, off offset:192
	s_wait_dscnt 0x0
	v_fmac_f64_e32 v[120:121], v[106:107], v[98:99]
	s_wait_loadcnt 0x5
	v_fmac_f64_e32 v[120:121], v[116:117], v[100:101]
	ds_load_2addr_b64 v[98:101], v2 offset0:55 offset1:56
	ds_load_2addr_b64 v[102:105], v2 offset0:57 offset1:58
	s_wait_dscnt 0x1
	v_fmac_f64_e32 v[120:121], v[118:119], v[98:99]
	scratch_load_b128 v[116:119], off, off offset:208
	s_wait_loadcnt 0x5
	v_fmac_f64_e32 v[120:121], v[86:87], v[100:101]
	s_wait_dscnt 0x0
	s_delay_alu instid0(VALU_DEP_1)
	v_fmac_f64_e32 v[120:121], v[88:89], v[102:103]
	scratch_load_b128 v[86:89], off, off offset:224
	s_wait_loadcnt 0x5
	v_fmac_f64_e32 v[120:121], v[112:113], v[104:105]
	ds_load_2addr_b64 v[98:101], v2 offset0:59 offset1:60
	ds_load_2addr_b64 v[102:105], v2 offset0:61 offset1:62
	s_wait_dscnt 0x1
	v_fmac_f64_e32 v[120:121], v[114:115], v[98:99]
	s_wait_loadcnt 0x4
	s_delay_alu instid0(VALU_DEP_1)
	v_fmac_f64_e32 v[120:121], v[90:91], v[100:101]
	scratch_load_b128 v[98:101], off, off offset:240
	s_wait_dscnt 0x0
	v_fmac_f64_e32 v[120:121], v[92:93], v[102:103]
	scratch_load_b128 v[90:93], off, off offset:256
	s_wait_loadcnt 0x5
	v_fmac_f64_e32 v[120:121], v[108:109], v[104:105]
	ds_load_2addr_b64 v[102:105], v2 offset0:63 offset1:64
	ds_load_2addr_b64 v[106:109], v2 offset0:65 offset1:66
	s_wait_dscnt 0x1
	v_fmac_f64_e32 v[120:121], v[110:111], v[102:103]
	s_wait_loadcnt 0x4
	s_delay_alu instid0(VALU_DEP_1)
	v_fmac_f64_e32 v[120:121], v[94:95], v[104:105]
	scratch_load_b128 v[102:105], off, off offset:272
	s_wait_dscnt 0x0
	v_fmac_f64_e32 v[120:121], v[96:97], v[106:107]
	scratch_load_b128 v[94:97], off, off offset:288
	s_wait_loadcnt 0x5
	v_fmac_f64_e32 v[120:121], v[116:117], v[108:109]
	ds_load_2addr_b64 v[106:109], v2 offset0:67 offset1:68
	ds_load_2addr_b64 v[110:113], v2 offset0:69 offset1:70
	s_wait_dscnt 0x1
	v_fmac_f64_e32 v[120:121], v[118:119], v[106:107]
	s_wait_loadcnt 0x4
	s_delay_alu instid0(VALU_DEP_1) | instskip(SKIP_4) | instid1(VALU_DEP_1)
	v_fmac_f64_e32 v[120:121], v[86:87], v[108:109]
	scratch_load_b128 v[106:109], off, off offset:304
	s_wait_dscnt 0x0
	v_fmac_f64_e32 v[120:121], v[88:89], v[110:111]
	s_wait_loadcnt 0x4
	v_fmac_f64_e32 v[120:121], v[98:99], v[112:113]
	ds_load_2addr_b64 v[86:89], v2 offset0:71 offset1:72
	ds_load_2addr_b64 v[110:113], v2 offset0:73 offset1:74
	s_wait_dscnt 0x1
	v_fmac_f64_e32 v[120:121], v[100:101], v[86:87]
	s_wait_loadcnt 0x3
	s_delay_alu instid0(VALU_DEP_1) | instskip(SKIP_1) | instid1(VALU_DEP_1)
	v_fmac_f64_e32 v[120:121], v[90:91], v[88:89]
	s_wait_dscnt 0x0
	v_fmac_f64_e32 v[120:121], v[92:93], v[110:111]
	ds_load_2addr_b64 v[86:89], v2 offset0:75 offset1:76
	ds_load_2addr_b64 v[90:93], v2 offset0:77 offset1:78
	s_wait_loadcnt 0x2
	v_fmac_f64_e32 v[120:121], v[102:103], v[112:113]
	s_wait_dscnt 0x1
	s_delay_alu instid0(VALU_DEP_1) | instskip(SKIP_4) | instid1(VALU_DEP_1)
	v_fmac_f64_e32 v[120:121], v[104:105], v[86:87]
	ds_load_b64 v[86:87], v2 offset:632
	s_wait_loadcnt 0x1
	v_fmac_f64_e32 v[120:121], v[94:95], v[88:89]
	s_wait_dscnt 0x1
	v_fmac_f64_e32 v[120:121], v[96:97], v[90:91]
	s_wait_loadcnt 0x0
	s_delay_alu instid0(VALU_DEP_1) | instskip(SKIP_1) | instid1(VALU_DEP_1)
	v_fmac_f64_e32 v[120:121], v[106:107], v[92:93]
	s_wait_dscnt 0x0
	v_fmac_f64_e32 v[120:121], v[108:109], v[86:87]
	s_delay_alu instid0(VALU_DEP_1)
	v_add_f64_e64 v[84:85], v[84:85], -v[120:121]
	scratch_store_b64 off, v[84:85], off offset:16
	s_wait_xcnt 0x0
	v_cmpx_lt_u32_e32 1, v0
	s_cbranch_execz .LBB39_247
; %bb.246:
	scratch_load_b64 v[84:85], off, off offset:8
	v_mov_b64_e32 v[86:87], 0
	scratch_store_b64 off, v[86:87], off offset:8
	s_wait_loadcnt 0x0
	ds_store_b64 v1, v[84:85]
.LBB39_247:
	s_wait_xcnt 0x0
	s_or_b32 exec_lo, exec_lo, s0
	s_wait_storecnt_dscnt 0x0
	s_barrier_signal -1
	s_barrier_wait -1
	s_clause 0x3
	scratch_load_b128 v[84:87], off, off offset:8
	scratch_load_b128 v[88:91], off, off offset:24
	;; [unrolled: 1-line block ×4, first 2 shown]
	ds_load_b128 v[100:103], v2 offset:336
	ds_load_b128 v[104:107], v2 offset:352
	scratch_load_b128 v[108:111], off, off offset:72
	v_dual_ashrrev_i32 v9, 31, v8 :: v_dual_ashrrev_i32 v11, 31, v10
	v_dual_ashrrev_i32 v13, 31, v12 :: v_dual_ashrrev_i32 v15, 31, v14
	;; [unrolled: 1-line block ×18, first 2 shown]
	v_ashrrev_i32_e32 v81, 31, v80
	s_mov_b32 s0, exec_lo
	v_ashrrev_i32_e32 v35, 31, v34
	s_wait_loadcnt_dscnt 0x401
	v_fma_f64 v[112:113], v[86:87], v[100:101], 0
	s_wait_loadcnt 0x3
	s_delay_alu instid0(VALU_DEP_1) | instskip(SKIP_4) | instid1(VALU_DEP_1)
	v_fmac_f64_e32 v[112:113], v[88:89], v[102:103]
	scratch_load_b128 v[86:89], off, off offset:88
	s_wait_dscnt 0x0
	v_fmac_f64_e32 v[112:113], v[90:91], v[104:105]
	s_wait_loadcnt 0x3
	v_fmac_f64_e32 v[112:113], v[92:93], v[106:107]
	ds_load_b128 v[90:93], v2 offset:368
	ds_load_b128 v[100:103], v2 offset:384
	scratch_load_b128 v[104:107], off, off offset:104
	s_wait_dscnt 0x1
	v_fmac_f64_e32 v[112:113], v[94:95], v[90:91]
	s_wait_loadcnt 0x3
	s_delay_alu instid0(VALU_DEP_1)
	v_fmac_f64_e32 v[112:113], v[96:97], v[92:93]
	scratch_load_b128 v[90:93], off, off offset:120
	s_wait_dscnt 0x0
	v_fmac_f64_e32 v[112:113], v[98:99], v[100:101]
	ds_load_b128 v[94:97], v2 offset:400
	ds_load_b128 v[98:101], v2 offset:416
	s_wait_loadcnt 0x3
	v_fmac_f64_e32 v[112:113], v[108:109], v[102:103]
	s_wait_dscnt 0x1
	s_delay_alu instid0(VALU_DEP_1) | instskip(SKIP_4) | instid1(VALU_DEP_1)
	v_fmac_f64_e32 v[112:113], v[110:111], v[94:95]
	scratch_load_b128 v[108:111], off, off offset:136
	s_wait_loadcnt 0x3
	v_fmac_f64_e32 v[112:113], v[86:87], v[96:97]
	s_wait_dscnt 0x0
	v_fmac_f64_e32 v[112:113], v[88:89], v[98:99]
	scratch_load_b128 v[86:89], off, off offset:152
	s_wait_loadcnt 0x3
	v_fmac_f64_e32 v[112:113], v[104:105], v[100:101]
	ds_load_b128 v[94:97], v2 offset:432
	ds_load_b128 v[98:101], v2 offset:448
	scratch_load_b128 v[102:105], off, off offset:168
	s_wait_dscnt 0x1
	v_fmac_f64_e32 v[112:113], v[106:107], v[94:95]
	s_wait_loadcnt 0x3
	s_delay_alu instid0(VALU_DEP_1) | instskip(SKIP_4) | instid1(VALU_DEP_1)
	v_fmac_f64_e32 v[112:113], v[90:91], v[96:97]
	scratch_load_b128 v[94:97], off, off offset:184
	s_wait_dscnt 0x0
	v_fmac_f64_e32 v[112:113], v[92:93], v[98:99]
	s_wait_loadcnt 0x3
	v_fmac_f64_e32 v[112:113], v[108:109], v[100:101]
	ds_load_b128 v[90:93], v2 offset:464
	ds_load_b128 v[98:101], v2 offset:480
	scratch_load_b128 v[106:109], off, off offset:200
	s_wait_dscnt 0x1
	v_fmac_f64_e32 v[112:113], v[110:111], v[90:91]
	s_wait_loadcnt 0x3
	s_delay_alu instid0(VALU_DEP_1) | instskip(SKIP_1) | instid1(VALU_DEP_1)
	v_fmac_f64_e32 v[112:113], v[86:87], v[92:93]
	s_wait_dscnt 0x0
	v_fmac_f64_e32 v[112:113], v[88:89], v[98:99]
	scratch_load_b128 v[86:89], off, off offset:216
	s_wait_loadcnt 0x3
	v_fmac_f64_e32 v[112:113], v[102:103], v[100:101]
	ds_load_b128 v[90:93], v2 offset:496
	ds_load_b128 v[98:101], v2 offset:512
	s_wait_dscnt 0x1
	v_fmac_f64_e32 v[112:113], v[104:105], v[90:91]
	scratch_load_b128 v[102:105], off, off offset:232
	s_wait_loadcnt 0x3
	v_fmac_f64_e32 v[112:113], v[94:95], v[92:93]
	scratch_load_b128 v[90:93], off, off offset:248
	s_wait_dscnt 0x0
	v_fmac_f64_e32 v[112:113], v[96:97], v[98:99]
	s_wait_loadcnt 0x3
	s_delay_alu instid0(VALU_DEP_1)
	v_fmac_f64_e32 v[112:113], v[106:107], v[100:101]
	ds_load_b128 v[94:97], v2 offset:528
	ds_load_b128 v[98:101], v2 offset:544
	s_wait_dscnt 0x1
	v_fmac_f64_e32 v[112:113], v[108:109], v[94:95]
	scratch_load_b128 v[106:109], off, off offset:264
	s_wait_loadcnt 0x3
	v_fmac_f64_e32 v[112:113], v[86:87], v[96:97]
	s_wait_dscnt 0x0
	s_delay_alu instid0(VALU_DEP_1)
	v_fmac_f64_e32 v[112:113], v[88:89], v[98:99]
	scratch_load_b128 v[86:89], off, off offset:280
	s_wait_loadcnt 0x3
	v_fmac_f64_e32 v[112:113], v[102:103], v[100:101]
	ds_load_b128 v[94:97], v2 offset:560
	ds_load_b128 v[98:101], v2 offset:576
	scratch_load_b64 v[110:111], off, off offset:312
	s_wait_dscnt 0x1
	v_fmac_f64_e32 v[112:113], v[104:105], v[94:95]
	scratch_load_b128 v[102:105], off, off offset:296
	s_wait_loadcnt 0x4
	v_fmac_f64_e32 v[112:113], v[90:91], v[96:97]
	s_wait_dscnt 0x0
	s_delay_alu instid0(VALU_DEP_1)
	v_fmac_f64_e32 v[112:113], v[92:93], v[98:99]
	ds_load_b128 v[90:93], v2 offset:592
	ds_load_b128 v[94:97], v2 offset:608
	s_wait_loadcnt 0x3
	v_fmac_f64_e32 v[112:113], v[106:107], v[100:101]
	s_wait_dscnt 0x1
	s_delay_alu instid0(VALU_DEP_1) | instskip(SKIP_1) | instid1(VALU_DEP_1)
	v_fmac_f64_e32 v[112:113], v[108:109], v[90:91]
	s_wait_loadcnt 0x2
	v_fmac_f64_e32 v[112:113], v[86:87], v[92:93]
	s_wait_dscnt 0x0
	s_delay_alu instid0(VALU_DEP_1) | instskip(SKIP_4) | instid1(VALU_DEP_1)
	v_fmac_f64_e32 v[112:113], v[88:89], v[94:95]
	ds_load_b128 v[86:89], v2 offset:624
	s_wait_loadcnt 0x0
	v_fmac_f64_e32 v[112:113], v[102:103], v[96:97]
	s_wait_dscnt 0x0
	v_fmac_f64_e32 v[112:113], v[104:105], v[86:87]
	s_delay_alu instid0(VALU_DEP_1) | instskip(NEXT) | instid1(VALU_DEP_1)
	v_fmac_f64_e32 v[112:113], v[110:111], v[88:89]
	v_add_f64_e64 v[2:3], v[84:85], -v[112:113]
	scratch_store_b64 off, v[2:3], off offset:8
	s_wait_xcnt 0x0
	v_cmpx_ne_u32_e32 0, v0
	s_cbranch_execz .LBB39_249
; %bb.248:
	scratch_load_b64 v[2:3], off, off
	v_mov_b64_e32 v[84:85], 0
	scratch_store_b64 off, v[84:85], off
	s_wait_loadcnt 0x0
	ds_store_b64 v1, v[2:3]
.LBB39_249:
	s_wait_xcnt 0x0
	s_or_b32 exec_lo, exec_lo, s0
	s_wait_storecnt_dscnt 0x0
	s_barrier_signal -1
	s_barrier_wait -1
	s_clause 0x5
	scratch_load_b128 v[86:89], off, off
	scratch_load_b128 v[0:3], off, off offset:16
	scratch_load_b128 v[90:93], off, off offset:32
	;; [unrolled: 1-line block ×5, first 2 shown]
	v_mov_b32_e32 v84, 0
	scratch_load_b128 v[110:113], off, off offset:96
	s_and_b32 vcc_lo, exec_lo, s20
	ds_load_2addr_b64 v[106:109], v84 offset0:41 offset1:42
	s_wait_loadcnt_dscnt 0x600
	v_fma_f64 v[114:115], v[88:89], v[106:107], 0
	s_wait_loadcnt 0x5
	s_delay_alu instid0(VALU_DEP_1)
	v_fmac_f64_e32 v[114:115], v[0:1], v[108:109]
	ds_load_2addr_b64 v[106:109], v84 offset0:43 offset1:44
	s_wait_dscnt 0x0
	v_fmac_f64_e32 v[114:115], v[2:3], v[106:107]
	scratch_load_b128 v[0:3], off, off offset:112
	s_wait_loadcnt 0x5
	v_fmac_f64_e32 v[114:115], v[90:91], v[108:109]
	ds_load_2addr_b64 v[88:91], v84 offset0:45 offset1:46
	scratch_load_b128 v[106:109], off, off offset:128
	s_wait_dscnt 0x0
	v_fmac_f64_e32 v[114:115], v[92:93], v[88:89]
	s_wait_loadcnt 0x5
	s_delay_alu instid0(VALU_DEP_1)
	v_fmac_f64_e32 v[114:115], v[94:95], v[90:91]
	ds_load_2addr_b64 v[88:91], v84 offset0:47 offset1:48
	scratch_load_b128 v[92:95], off, off offset:144
	s_wait_dscnt 0x0
	v_fmac_f64_e32 v[114:115], v[96:97], v[88:89]
	s_wait_loadcnt 0x5
	s_delay_alu instid0(VALU_DEP_1)
	;; [unrolled: 7-line block ×4, first 2 shown]
	v_fmac_f64_e32 v[114:115], v[110:111], v[90:91]
	ds_load_2addr_b64 v[88:91], v84 offset0:53 offset1:54
	s_wait_dscnt 0x0
	v_fmac_f64_e32 v[114:115], v[112:113], v[88:89]
	scratch_load_b128 v[110:113], off, off offset:192
	s_wait_loadcnt 0x5
	v_fmac_f64_e32 v[114:115], v[0:1], v[90:91]
	ds_load_2addr_b64 v[88:91], v84 offset0:55 offset1:56
	s_wait_dscnt 0x0
	v_fmac_f64_e32 v[114:115], v[2:3], v[88:89]
	scratch_load_b128 v[0:3], off, off offset:208
	s_wait_loadcnt 0x5
	v_fmac_f64_e32 v[114:115], v[106:107], v[90:91]
	ds_load_2addr_b64 v[88:91], v84 offset0:57 offset1:58
	scratch_load_b128 v[104:107], off, off offset:224
	s_wait_dscnt 0x0
	v_fmac_f64_e32 v[114:115], v[108:109], v[88:89]
	s_wait_loadcnt 0x5
	s_delay_alu instid0(VALU_DEP_1)
	v_fmac_f64_e32 v[114:115], v[92:93], v[90:91]
	ds_load_2addr_b64 v[88:91], v84 offset0:59 offset1:60
	s_wait_dscnt 0x0
	v_fmac_f64_e32 v[114:115], v[94:95], v[88:89]
	scratch_load_b128 v[92:95], off, off offset:240
	s_wait_loadcnt 0x5
	v_fmac_f64_e32 v[114:115], v[96:97], v[90:91]
	ds_load_2addr_b64 v[88:91], v84 offset0:61 offset1:62
	s_wait_dscnt 0x0
	v_fmac_f64_e32 v[114:115], v[98:99], v[88:89]
	scratch_load_b128 v[96:99], off, off offset:256
	s_wait_loadcnt 0x5
	;; [unrolled: 6-line block ×3, first 2 shown]
	v_fmac_f64_e32 v[114:115], v[110:111], v[90:91]
	ds_load_2addr_b64 v[88:91], v84 offset0:65 offset1:66
	scratch_load_b128 v[108:111], off, off offset:288
	s_wait_dscnt 0x0
	v_fmac_f64_e32 v[114:115], v[112:113], v[88:89]
	s_wait_loadcnt 0x5
	s_delay_alu instid0(VALU_DEP_1)
	v_fmac_f64_e32 v[114:115], v[0:1], v[90:91]
	ds_load_2addr_b64 v[88:91], v84 offset0:67 offset1:68
	s_wait_dscnt 0x0
	v_fmac_f64_e32 v[114:115], v[2:3], v[88:89]
	scratch_load_b128 v[0:3], off, off offset:304
	s_wait_loadcnt 0x5
	v_fmac_f64_e32 v[114:115], v[104:105], v[90:91]
	ds_load_2addr_b64 v[88:91], v84 offset0:69 offset1:70
	s_wait_dscnt 0x0
	v_fmac_f64_e32 v[114:115], v[106:107], v[88:89]
	s_wait_loadcnt 0x4
	s_delay_alu instid0(VALU_DEP_1) | instskip(SKIP_4) | instid1(VALU_DEP_1)
	v_fmac_f64_e32 v[114:115], v[92:93], v[90:91]
	ds_load_2addr_b64 v[88:91], v84 offset0:71 offset1:72
	s_wait_dscnt 0x0
	v_fmac_f64_e32 v[114:115], v[94:95], v[88:89]
	s_wait_loadcnt 0x3
	v_fmac_f64_e32 v[114:115], v[96:97], v[90:91]
	ds_load_2addr_b64 v[88:91], v84 offset0:73 offset1:74
	s_wait_dscnt 0x0
	v_fmac_f64_e32 v[114:115], v[98:99], v[88:89]
	s_wait_loadcnt 0x2
	s_delay_alu instid0(VALU_DEP_1) | instskip(SKIP_4) | instid1(VALU_DEP_1)
	v_fmac_f64_e32 v[114:115], v[100:101], v[90:91]
	ds_load_2addr_b64 v[88:91], v84 offset0:75 offset1:76
	s_wait_dscnt 0x0
	v_fmac_f64_e32 v[114:115], v[102:103], v[88:89]
	s_wait_loadcnt 0x1
	v_fmac_f64_e32 v[114:115], v[108:109], v[90:91]
	ds_load_2addr_b64 v[88:91], v84 offset0:77 offset1:78
	s_wait_dscnt 0x0
	v_fmac_f64_e32 v[114:115], v[110:111], v[88:89]
	ds_load_b64 v[88:89], v84 offset:632
	s_wait_loadcnt 0x0
	v_fmac_f64_e32 v[114:115], v[0:1], v[90:91]
	s_wait_dscnt 0x0
	s_delay_alu instid0(VALU_DEP_1) | instskip(NEXT) | instid1(VALU_DEP_1)
	v_fmac_f64_e32 v[114:115], v[2:3], v[88:89]
	v_add_f64_e64 v[104:105], v[86:87], -v[114:115]
	scratch_store_b64 off, v[104:105], off
	s_cbranch_vccz .LBB39_328
; %bb.250:
	global_load_b32 v2, v84, s[16:17] offset:152
	s_wait_loadcnt 0x0
	v_cmp_ne_u32_e32 vcc_lo, 39, v2
	s_cbranch_vccz .LBB39_252
; %bb.251:
	v_lshlrev_b32_e32 v2, 3, v2
	s_wait_xcnt 0x0
	s_delay_alu instid0(VALU_DEP_1)
	v_mov_b32_e32 v84, v2
	scratch_load_b64 v[2:3], v84, off offset:-8
	s_wait_loadcnt 0x0
	scratch_store_b64 off, v[2:3], off offset:304
	scratch_store_b64 v84, v[0:1], off offset:-8
.LBB39_252:
	s_wait_xcnt 0x0
	v_mov_b32_e32 v0, 0
	global_load_b32 v1, v0, s[16:17] offset:148
	s_wait_loadcnt 0x0
	v_cmp_eq_u32_e32 vcc_lo, 38, v1
	s_cbranch_vccnz .LBB39_254
; %bb.253:
	v_lshlrev_b32_e32 v1, 3, v1
	scratch_load_b64 v[2:3], v1, off offset:-8
	scratch_load_b64 v[84:85], off, off offset:296
	s_wait_loadcnt 0x1
	scratch_store_b64 off, v[2:3], off offset:296
	s_wait_loadcnt 0x0
	scratch_store_b64 v1, v[84:85], off offset:-8
.LBB39_254:
	global_load_b32 v0, v0, s[16:17] offset:144
	s_wait_loadcnt 0x0
	v_cmp_eq_u32_e32 vcc_lo, 37, v0
	s_cbranch_vccnz .LBB39_256
; %bb.255:
	s_wait_xcnt 0x0
	v_lshlrev_b32_e32 v0, 3, v0
	s_delay_alu instid0(VALU_DEP_1)
	v_mov_b32_e32 v84, v0
	scratch_load_b64 v[0:1], v84, off offset:-8
	scratch_load_b64 v[2:3], off, off offset:288
	s_wait_loadcnt 0x1
	scratch_store_b64 off, v[0:1], off offset:288
	s_wait_loadcnt 0x0
	scratch_store_b64 v84, v[2:3], off offset:-8
.LBB39_256:
	s_wait_xcnt 0x0
	v_mov_b32_e32 v0, 0
	global_load_b32 v1, v0, s[16:17] offset:140
	s_wait_loadcnt 0x0
	v_cmp_eq_u32_e32 vcc_lo, 36, v1
	s_cbranch_vccnz .LBB39_258
; %bb.257:
	v_lshlrev_b32_e32 v1, 3, v1
	scratch_load_b64 v[2:3], v1, off offset:-8
	scratch_load_b64 v[84:85], off, off offset:280
	s_wait_loadcnt 0x1
	scratch_store_b64 off, v[2:3], off offset:280
	s_wait_loadcnt 0x0
	scratch_store_b64 v1, v[84:85], off offset:-8
.LBB39_258:
	global_load_b32 v0, v0, s[16:17] offset:136
	s_wait_loadcnt 0x0
	v_cmp_eq_u32_e32 vcc_lo, 35, v0
	s_cbranch_vccnz .LBB39_260
; %bb.259:
	s_wait_xcnt 0x0
	v_lshlrev_b32_e32 v0, 3, v0
	s_delay_alu instid0(VALU_DEP_1)
	v_mov_b32_e32 v84, v0
	scratch_load_b64 v[0:1], v84, off offset:-8
	scratch_load_b64 v[2:3], off, off offset:272
	s_wait_loadcnt 0x1
	scratch_store_b64 off, v[0:1], off offset:272
	s_wait_loadcnt 0x0
	scratch_store_b64 v84, v[2:3], off offset:-8
.LBB39_260:
	;; [unrolled: 31-line block ×18, first 2 shown]
	s_wait_xcnt 0x0
	v_mov_b32_e32 v0, 0
	global_load_b32 v1, v0, s[16:17] offset:4
	s_wait_loadcnt 0x0
	v_cmp_eq_u32_e32 vcc_lo, 2, v1
	s_cbranch_vccnz .LBB39_326
; %bb.325:
	v_lshlrev_b32_e32 v1, 3, v1
	scratch_load_b64 v[2:3], v1, off offset:-8
	scratch_load_b64 v[84:85], off, off offset:8
	s_wait_loadcnt 0x1
	scratch_store_b64 off, v[2:3], off offset:8
	s_wait_loadcnt 0x0
	scratch_store_b64 v1, v[84:85], off offset:-8
.LBB39_326:
	global_load_b32 v0, v0, s[16:17]
	scratch_load_b64 v[104:105], off, off
	s_wait_loadcnt 0x1
	v_cmp_eq_u32_e32 vcc_lo, 1, v0
	s_cbranch_vccnz .LBB39_328
; %bb.327:
	s_wait_xcnt 0x1
	v_lshlrev_b32_e32 v0, 3, v0
	s_delay_alu instid0(VALU_DEP_1)
	v_mov_b32_e32 v2, v0
	scratch_load_b64 v[0:1], v2, off offset:-8
	s_wait_loadcnt 0x0
	scratch_store_b64 off, v[0:1], off
	scratch_store_b64 v2, v[104:105], off offset:-8
	scratch_load_b64 v[104:105], off, off
.LBB39_328:
	v_lshl_add_u64 v[106:107], v[8:9], 3, s[2:3]
	v_lshl_add_u64 v[102:103], v[10:11], 3, s[2:3]
	;; [unrolled: 1-line block ×35, first 2 shown]
	s_clause 0x5
	scratch_load_b128 v[58:61], off, off offset:8
	scratch_load_b128 v[62:65], off, off offset:24
	;; [unrolled: 1-line block ×6, first 2 shown]
	s_wait_loadcnt 0x6
	global_store_b64 v[4:5], v[104:105], off
	s_wait_xcnt 0x8
	v_lshl_add_u64 v[0:1], v[30:31], 3, s[2:3]
	v_lshl_add_u64 v[30:31], v[56:57], 3, s[2:3]
	;; [unrolled: 1-line block ×3, first 2 shown]
	scratch_load_b128 v[108:111], off, off offset:104
	s_wait_loadcnt 0x6
	s_clause 0x1
	global_store_b64 v[6:7], v[58:59], off
	global_store_b64 v[106:107], v[60:61], off
	s_wait_loadcnt 0x5
	s_clause 0x1
	global_store_b64 v[102:103], v[62:63], off
	global_store_b64 v[100:101], v[64:65], off
	;; [unrolled: 4-line block ×6, first 2 shown]
	s_clause 0xc
	scratch_load_b128 v[4:7], off, off offset:120
	scratch_load_b128 v[58:61], off, off offset:136
	;; [unrolled: 1-line block ×12, first 2 shown]
	scratch_load_b64 v[82:83], off, off offset:312
	s_wait_loadcnt 0xd
	s_clause 0x1
	global_store_b64 v[0:1], v[108:109], off
	global_store_b64 v[2:3], v[110:111], off
	s_wait_loadcnt 0xc
	s_clause 0x1
	global_store_b64 v[8:9], v[4:5], off
	global_store_b64 v[10:11], v[6:7], off
	;; [unrolled: 4-line block ×13, first 2 shown]
	s_wait_loadcnt 0x0
	global_store_b64 v[56:57], v[82:83], off
	s_sendmsg sendmsg(MSG_DEALLOC_VGPRS)
	s_endpgm
	.section	.rodata,"a",@progbits
	.p2align	6, 0x0
	.amdhsa_kernel _ZN9rocsolver6v33100L18getri_kernel_smallILi40EdPdEEvT1_iilPiilS4_bb
		.amdhsa_group_segment_fixed_size 648
		.amdhsa_private_segment_fixed_size 336
		.amdhsa_kernarg_size 60
		.amdhsa_user_sgpr_count 2
		.amdhsa_user_sgpr_dispatch_ptr 0
		.amdhsa_user_sgpr_queue_ptr 0
		.amdhsa_user_sgpr_kernarg_segment_ptr 1
		.amdhsa_user_sgpr_dispatch_id 0
		.amdhsa_user_sgpr_kernarg_preload_length 0
		.amdhsa_user_sgpr_kernarg_preload_offset 0
		.amdhsa_user_sgpr_private_segment_size 0
		.amdhsa_wavefront_size32 1
		.amdhsa_uses_dynamic_stack 0
		.amdhsa_enable_private_segment 1
		.amdhsa_system_sgpr_workgroup_id_x 1
		.amdhsa_system_sgpr_workgroup_id_y 0
		.amdhsa_system_sgpr_workgroup_id_z 0
		.amdhsa_system_sgpr_workgroup_info 0
		.amdhsa_system_vgpr_workitem_id 0
		.amdhsa_next_free_vgpr 122
		.amdhsa_next_free_sgpr 21
		.amdhsa_named_barrier_count 0
		.amdhsa_reserve_vcc 1
		.amdhsa_float_round_mode_32 0
		.amdhsa_float_round_mode_16_64 0
		.amdhsa_float_denorm_mode_32 3
		.amdhsa_float_denorm_mode_16_64 3
		.amdhsa_fp16_overflow 0
		.amdhsa_memory_ordered 1
		.amdhsa_forward_progress 1
		.amdhsa_inst_pref_size 255
		.amdhsa_round_robin_scheduling 0
		.amdhsa_exception_fp_ieee_invalid_op 0
		.amdhsa_exception_fp_denorm_src 0
		.amdhsa_exception_fp_ieee_div_zero 0
		.amdhsa_exception_fp_ieee_overflow 0
		.amdhsa_exception_fp_ieee_underflow 0
		.amdhsa_exception_fp_ieee_inexact 0
		.amdhsa_exception_int_div_zero 0
	.end_amdhsa_kernel
	.section	.text._ZN9rocsolver6v33100L18getri_kernel_smallILi40EdPdEEvT1_iilPiilS4_bb,"axG",@progbits,_ZN9rocsolver6v33100L18getri_kernel_smallILi40EdPdEEvT1_iilPiilS4_bb,comdat
.Lfunc_end39:
	.size	_ZN9rocsolver6v33100L18getri_kernel_smallILi40EdPdEEvT1_iilPiilS4_bb, .Lfunc_end39-_ZN9rocsolver6v33100L18getri_kernel_smallILi40EdPdEEvT1_iilPiilS4_bb
                                        ; -- End function
	.set _ZN9rocsolver6v33100L18getri_kernel_smallILi40EdPdEEvT1_iilPiilS4_bb.num_vgpr, 122
	.set _ZN9rocsolver6v33100L18getri_kernel_smallILi40EdPdEEvT1_iilPiilS4_bb.num_agpr, 0
	.set _ZN9rocsolver6v33100L18getri_kernel_smallILi40EdPdEEvT1_iilPiilS4_bb.numbered_sgpr, 21
	.set _ZN9rocsolver6v33100L18getri_kernel_smallILi40EdPdEEvT1_iilPiilS4_bb.num_named_barrier, 0
	.set _ZN9rocsolver6v33100L18getri_kernel_smallILi40EdPdEEvT1_iilPiilS4_bb.private_seg_size, 336
	.set _ZN9rocsolver6v33100L18getri_kernel_smallILi40EdPdEEvT1_iilPiilS4_bb.uses_vcc, 1
	.set _ZN9rocsolver6v33100L18getri_kernel_smallILi40EdPdEEvT1_iilPiilS4_bb.uses_flat_scratch, 1
	.set _ZN9rocsolver6v33100L18getri_kernel_smallILi40EdPdEEvT1_iilPiilS4_bb.has_dyn_sized_stack, 0
	.set _ZN9rocsolver6v33100L18getri_kernel_smallILi40EdPdEEvT1_iilPiilS4_bb.has_recursion, 0
	.set _ZN9rocsolver6v33100L18getri_kernel_smallILi40EdPdEEvT1_iilPiilS4_bb.has_indirect_call, 0
	.section	.AMDGPU.csdata,"",@progbits
; Kernel info:
; codeLenInByte = 34344
; TotalNumSgprs: 23
; NumVgprs: 122
; ScratchSize: 336
; MemoryBound: 0
; FloatMode: 240
; IeeeMode: 1
; LDSByteSize: 648 bytes/workgroup (compile time only)
; SGPRBlocks: 0
; VGPRBlocks: 7
; NumSGPRsForWavesPerEU: 23
; NumVGPRsForWavesPerEU: 122
; NamedBarCnt: 0
; Occupancy: 8
; WaveLimiterHint : 1
; COMPUTE_PGM_RSRC2:SCRATCH_EN: 1
; COMPUTE_PGM_RSRC2:USER_SGPR: 2
; COMPUTE_PGM_RSRC2:TRAP_HANDLER: 0
; COMPUTE_PGM_RSRC2:TGID_X_EN: 1
; COMPUTE_PGM_RSRC2:TGID_Y_EN: 0
; COMPUTE_PGM_RSRC2:TGID_Z_EN: 0
; COMPUTE_PGM_RSRC2:TIDIG_COMP_CNT: 0
	.section	.text._ZN9rocsolver6v33100L18getri_kernel_smallILi41EdPdEEvT1_iilPiilS4_bb,"axG",@progbits,_ZN9rocsolver6v33100L18getri_kernel_smallILi41EdPdEEvT1_iilPiilS4_bb,comdat
	.globl	_ZN9rocsolver6v33100L18getri_kernel_smallILi41EdPdEEvT1_iilPiilS4_bb ; -- Begin function _ZN9rocsolver6v33100L18getri_kernel_smallILi41EdPdEEvT1_iilPiilS4_bb
	.p2align	8
	.type	_ZN9rocsolver6v33100L18getri_kernel_smallILi41EdPdEEvT1_iilPiilS4_bb,@function
_ZN9rocsolver6v33100L18getri_kernel_smallILi41EdPdEEvT1_iilPiilS4_bb: ; @_ZN9rocsolver6v33100L18getri_kernel_smallILi41EdPdEEvT1_iilPiilS4_bb
; %bb.0:
	s_mov_b32 s2, exec_lo
	v_cmpx_gt_u32_e32 41, v0
	s_cbranch_execz .LBB40_174
; %bb.1:
	s_clause 0x2
	s_load_b32 s2, s[0:1], 0x38
	s_load_b128 s[12:15], s[0:1], 0x10
	s_load_b128 s[4:7], s[0:1], 0x28
	s_getreg_b32 s9, hwreg(HW_REG_IB_STS2, 6, 4)
	s_wait_kmcnt 0x0
	s_bitcmp1_b32 s2, 8
	s_cselect_b32 s18, -1, 0
	s_bfe_u32 s3, ttmp6, 0x4000c
	s_and_b32 s8, ttmp6, 15
	s_add_co_i32 s3, s3, 1
	s_delay_alu instid0(SALU_CYCLE_1) | instskip(NEXT) | instid1(SALU_CYCLE_1)
	s_mul_i32 s3, ttmp9, s3
	s_add_co_i32 s8, s8, s3
	s_cmp_eq_u32 s9, 0
	s_cselect_b32 s16, ttmp9, s8
	s_bfe_u32 s2, s2, 0x10008
	s_ashr_i32 s17, s16, 31
	s_cmp_eq_u32 s2, 0
                                        ; implicit-def: $sgpr2_sgpr3
	s_cbranch_scc1 .LBB40_3
; %bb.2:
	s_load_b32 s2, s[0:1], 0x20
	s_mul_u64 s[4:5], s[4:5], s[16:17]
	s_delay_alu instid0(SALU_CYCLE_1) | instskip(NEXT) | instid1(SALU_CYCLE_1)
	s_lshl_b64 s[4:5], s[4:5], 2
	s_add_nc_u64 s[4:5], s[14:15], s[4:5]
	s_wait_kmcnt 0x0
	s_ashr_i32 s3, s2, 31
	s_delay_alu instid0(SALU_CYCLE_1) | instskip(NEXT) | instid1(SALU_CYCLE_1)
	s_lshl_b64 s[2:3], s[2:3], 2
	s_add_nc_u64 s[2:3], s[4:5], s[2:3]
.LBB40_3:
	s_clause 0x1
	s_load_b128 s[8:11], s[0:1], 0x0
	s_load_b32 s14, s[0:1], 0x38
	s_wait_xcnt 0x0
	s_mul_u64 s[0:1], s[12:13], s[16:17]
	v_lshlrev_b32_e32 v2, 3, v0
	s_lshl_b64 s[0:1], s[0:1], 3
	v_mov_b32_e32 v3, 0
	s_wait_kmcnt 0x0
	v_add3_u32 v8, s11, s11, v0
	s_ashr_i32 s5, s10, 31
	s_mov_b32 s4, s10
	s_add_nc_u64 s[0:1], s[8:9], s[0:1]
	s_lshl_b64 s[4:5], s[4:5], 3
	v_add_nc_u32_e32 v10, s11, v8
	s_add_nc_u64 s[4:5], s[0:1], s[4:5]
	s_ashr_i32 s1, s11, 31
	s_mov_b32 s0, s11
	s_bitcmp0_b32 s14, 0
	v_add_nc_u32_e32 v12, s11, v10
	v_add_nc_u64_e32 v[6:7], s[4:5], v[2:3]
	s_delay_alu instid0(VALU_DEP_2) | instskip(NEXT) | instid1(VALU_DEP_2)
	v_add_nc_u32_e32 v14, s11, v12
	v_lshl_add_u64 v[4:5], s[0:1], 3, v[6:7]
	s_mov_b32 s1, -1
	s_delay_alu instid0(VALU_DEP_2) | instskip(SKIP_4) | instid1(VALU_DEP_1)
	v_add_nc_u32_e32 v16, s11, v14
	s_clause 0x1
	global_load_b64 v[78:79], v0, s[4:5] scale_offset
	global_load_b64 v[80:81], v[4:5], off
	v_add_nc_u32_e32 v18, s11, v16
	v_add_nc_u32_e32 v20, s11, v18
	s_clause 0x3
	global_load_b64 v[82:83], v8, s[4:5] scale_offset
	global_load_b64 v[84:85], v10, s[4:5] scale_offset
	;; [unrolled: 1-line block ×4, first 2 shown]
	v_add_nc_u32_e32 v22, s11, v20
	s_delay_alu instid0(VALU_DEP_1) | instskip(NEXT) | instid1(VALU_DEP_1)
	v_add_nc_u32_e32 v24, s11, v22
	v_add_nc_u32_e32 v26, s11, v24
	s_delay_alu instid0(VALU_DEP_1)
	v_add_nc_u32_e32 v28, s11, v26
	s_clause 0x3
	global_load_b64 v[90:91], v16, s[4:5] scale_offset
	global_load_b64 v[92:93], v18, s[4:5] scale_offset
	;; [unrolled: 1-line block ×4, first 2 shown]
	v_add_nc_u32_e32 v30, s11, v28
	s_delay_alu instid0(VALU_DEP_1) | instskip(NEXT) | instid1(VALU_DEP_1)
	v_add_nc_u32_e32 v32, s11, v30
	v_add_nc_u32_e32 v34, s11, v32
	s_delay_alu instid0(VALU_DEP_1)
	v_add_nc_u32_e32 v36, s11, v34
	s_clause 0x3
	global_load_b64 v[98:99], v24, s[4:5] scale_offset
	global_load_b64 v[100:101], v26, s[4:5] scale_offset
	;; [unrolled: 1-line block ×4, first 2 shown]
	v_add_nc_u32_e32 v38, s11, v36
	s_delay_alu instid0(VALU_DEP_1)
	v_add_nc_u32_e32 v40, s11, v38
	s_clause 0x3
	global_load_b64 v[106:107], v32, s[4:5] scale_offset
	global_load_b64 v[108:109], v34, s[4:5] scale_offset
	;; [unrolled: 1-line block ×4, first 2 shown]
	v_add_nc_u32_e32 v42, s11, v40
	s_delay_alu instid0(VALU_DEP_1) | instskip(NEXT) | instid1(VALU_DEP_1)
	v_add_nc_u32_e32 v44, s11, v42
	v_add_nc_u32_e32 v46, s11, v44
	s_delay_alu instid0(VALU_DEP_1) | instskip(NEXT) | instid1(VALU_DEP_1)
	v_add_nc_u32_e32 v48, s11, v46
	v_add_nc_u32_e32 v50, s11, v48
	s_delay_alu instid0(VALU_DEP_1)
	v_add_nc_u32_e32 v52, s11, v50
	s_clause 0x3
	global_load_b64 v[114:115], v40, s[4:5] scale_offset
	global_load_b64 v[116:117], v42, s[4:5] scale_offset
	;; [unrolled: 1-line block ×4, first 2 shown]
	s_wait_loadcnt 0x14
	scratch_store_b128 off, v[78:81], off
	s_wait_loadcnt 0x12
	scratch_store_b128 off, v[82:85], off offset:16
	v_add_nc_u32_e32 v54, s11, v52
	s_delay_alu instid0(VALU_DEP_1) | instskip(NEXT) | instid1(VALU_DEP_1)
	v_add_nc_u32_e32 v56, s11, v54
	v_add_nc_u32_e32 v58, s11, v56
	s_delay_alu instid0(VALU_DEP_1)
	v_add_nc_u32_e32 v60, s11, v58
	s_clause 0x3
	global_load_b64 v[122:123], v48, s[4:5] scale_offset
	global_load_b64 v[124:125], v50, s[4:5] scale_offset
	;; [unrolled: 1-line block ×4, first 2 shown]
	s_wait_loadcnt 0x14
	scratch_store_b128 off, v[86:89], off offset:32
	s_wait_loadcnt 0x12
	scratch_store_b128 off, v[90:93], off offset:48
	v_add_nc_u32_e32 v62, s11, v60
	s_delay_alu instid0(VALU_DEP_1)
	v_add_nc_u32_e32 v64, s11, v62
	s_clause 0x3
	global_load_b64 v[86:87], v56, s[4:5] scale_offset
	global_load_b64 v[88:89], v58, s[4:5] scale_offset
	global_load_b64 v[90:91], v60, s[4:5] scale_offset
	global_load_b64 v[92:93], v62, s[4:5] scale_offset
	s_wait_loadcnt 0x14
	scratch_store_b128 off, v[94:97], off offset:64
	s_wait_loadcnt 0x12
	scratch_store_b128 off, v[98:101], off offset:80
	;; [unrolled: 2-line block ×3, first 2 shown]
	v_add_nc_u32_e32 v66, s11, v64
	s_delay_alu instid0(VALU_DEP_1) | instskip(NEXT) | instid1(VALU_DEP_1)
	v_add_nc_u32_e32 v68, s11, v66
	v_add_nc_u32_e32 v70, s11, v68
	s_delay_alu instid0(VALU_DEP_1) | instskip(NEXT) | instid1(VALU_DEP_1)
	v_add_nc_u32_e32 v72, s11, v70
	v_add_nc_u32_e32 v74, s11, v72
	s_delay_alu instid0(VALU_DEP_1)
	v_add_nc_u32_e32 v76, s11, v74
	s_clause 0x3
	global_load_b64 v[94:95], v64, s[4:5] scale_offset
	global_load_b64 v[96:97], v66, s[4:5] scale_offset
	;; [unrolled: 1-line block ×4, first 2 shown]
	s_wait_loadcnt 0x12
	scratch_store_b128 off, v[106:109], off offset:112
	s_wait_loadcnt 0x10
	scratch_store_b128 off, v[110:113], off offset:128
	v_add_nc_u32_e32 v78, s11, v76
	s_delay_alu instid0(VALU_DEP_1) | instskip(NEXT) | instid1(VALU_DEP_1)
	v_add_nc_u32_e32 v80, s11, v78
	v_add_nc_u32_e32 v82, s11, v80
	s_delay_alu instid0(VALU_DEP_1)
	v_add_nc_u32_e32 v84, s11, v82
	s_clause 0x3
	global_load_b64 v[102:103], v72, s[4:5] scale_offset
	global_load_b64 v[104:105], v74, s[4:5] scale_offset
	;; [unrolled: 1-line block ×4, first 2 shown]
	s_wait_loadcnt 0x12
	scratch_store_b128 off, v[114:117], off offset:144
	s_wait_loadcnt 0x10
	scratch_store_b128 off, v[118:121], off offset:160
	s_clause 0x2
	global_load_b64 v[110:111], v80, s[4:5] scale_offset
	global_load_b64 v[112:113], v82, s[4:5] scale_offset
	;; [unrolled: 1-line block ×3, first 2 shown]
	s_wait_loadcnt 0x11
	scratch_store_b128 off, v[122:125], off offset:176
	s_wait_loadcnt 0xf
	scratch_store_b128 off, v[126:129], off offset:192
	;; [unrolled: 2-line block ×9, first 2 shown]
	s_wait_loadcnt 0x0
	scratch_store_b64 off, v[114:115], off offset:320
	s_cbranch_scc1 .LBB40_172
; %bb.4:
	v_cmp_eq_u32_e64 s0, 0, v0
	s_wait_xcnt 0x0
	s_and_saveexec_b32 s1, s0
; %bb.5:
	v_mov_b32_e32 v1, 0
	ds_store_b32 v1, v1 offset:328
; %bb.6:
	s_or_b32 exec_lo, exec_lo, s1
	s_wait_storecnt_dscnt 0x0
	s_barrier_signal -1
	s_barrier_wait -1
	scratch_load_b64 v[86:87], v0, off scale_offset
	s_mov_b32 s8, exec_lo
	s_wait_loadcnt 0x0
	v_cmpx_eq_f64_e32 0, v[86:87]
	s_cbranch_execz .LBB40_10
; %bb.7:
	v_mov_b32_e32 v1, 0
	s_mov_b32 s9, 0
	ds_load_b32 v3, v1 offset:328
	s_wait_dscnt 0x0
	v_readfirstlane_b32 s1, v3
	v_add_nc_u32_e32 v3, 1, v0
	s_cmp_eq_u32 s1, 0
	s_delay_alu instid0(VALU_DEP_1) | instskip(SKIP_1) | instid1(SALU_CYCLE_1)
	v_cmp_gt_i32_e32 vcc_lo, s1, v3
	s_cselect_b32 s10, -1, 0
	s_or_b32 s10, s10, vcc_lo
	s_delay_alu instid0(SALU_CYCLE_1)
	s_and_b32 exec_lo, exec_lo, s10
	s_cbranch_execz .LBB40_10
; %bb.8:
	v_mov_b32_e32 v9, s1
.LBB40_9:                               ; =>This Inner Loop Header: Depth=1
	ds_cmpstore_rtn_b32 v9, v1, v3, v9 offset:328
	s_wait_dscnt 0x0
	v_cmp_ne_u32_e32 vcc_lo, 0, v9
	v_cmp_le_i32_e64 s1, v9, v3
	s_and_b32 s1, vcc_lo, s1
	s_delay_alu instid0(SALU_CYCLE_1) | instskip(NEXT) | instid1(SALU_CYCLE_1)
	s_and_b32 s1, exec_lo, s1
	s_or_b32 s9, s1, s9
	s_delay_alu instid0(SALU_CYCLE_1)
	s_and_not1_b32 exec_lo, exec_lo, s9
	s_cbranch_execnz .LBB40_9
.LBB40_10:
	s_or_b32 exec_lo, exec_lo, s8
	v_mov_b32_e32 v1, 0
	s_barrier_signal -1
	s_barrier_wait -1
	ds_load_b32 v3, v1 offset:328
	s_and_saveexec_b32 s1, s0
	s_cbranch_execz .LBB40_12
; %bb.11:
	s_lshl_b64 s[8:9], s[16:17], 2
	s_delay_alu instid0(SALU_CYCLE_1)
	s_add_nc_u64 s[8:9], s[6:7], s[8:9]
	s_wait_dscnt 0x0
	global_store_b32 v1, v3, s[8:9]
.LBB40_12:
	s_wait_xcnt 0x0
	s_or_b32 exec_lo, exec_lo, s1
	s_wait_dscnt 0x0
	v_cmp_ne_u32_e32 vcc_lo, 0, v3
	s_mov_b32 s1, 0
	s_cbranch_vccnz .LBB40_172
; %bb.13:
	v_lshl_add_u32 v3, v0, 3, 0
	v_add_nc_u32_e32 v1, 0x150, v2
	scratch_load_b64 v[86:87], v3, off
	s_wait_loadcnt 0x0
	v_div_scale_f64 v[88:89], null, v[86:87], v[86:87], 1.0
	v_div_scale_f64 v[94:95], vcc_lo, 1.0, v[86:87], 1.0
	s_delay_alu instid0(VALU_DEP_2) | instskip(SKIP_1) | instid1(TRANS32_DEP_1)
	v_rcp_f64_e32 v[90:91], v[88:89]
	v_nop
	v_fma_f64 v[92:93], -v[88:89], v[90:91], 1.0
	s_delay_alu instid0(VALU_DEP_1) | instskip(NEXT) | instid1(VALU_DEP_1)
	v_fmac_f64_e32 v[90:91], v[90:91], v[92:93]
	v_fma_f64 v[92:93], -v[88:89], v[90:91], 1.0
	s_delay_alu instid0(VALU_DEP_1) | instskip(NEXT) | instid1(VALU_DEP_1)
	v_fmac_f64_e32 v[90:91], v[90:91], v[92:93]
	v_mul_f64_e32 v[92:93], v[94:95], v[90:91]
	s_delay_alu instid0(VALU_DEP_1) | instskip(NEXT) | instid1(VALU_DEP_1)
	v_fma_f64 v[88:89], -v[88:89], v[92:93], v[94:95]
	v_div_fmas_f64 v[88:89], v[88:89], v[90:91], v[92:93]
	s_delay_alu instid0(VALU_DEP_1)
	v_div_fixup_f64 v[86:87], v[88:89], v[86:87], 1.0
	scratch_store_b64 v3, v[86:87], off
	scratch_load_b64 v[88:89], off, off offset:8
	s_wait_xcnt 0x1
	v_xor_b32_e32 v87, 0x80000000, v87
	s_wait_loadcnt 0x0
	ds_store_2addr_b64 v2, v[86:87], v[88:89] offset1:42
	s_wait_storecnt_dscnt 0x0
	s_barrier_signal -1
	s_barrier_wait -1
	s_wait_xcnt 0x0
	s_and_saveexec_b32 s1, s0
	s_cbranch_execz .LBB40_15
; %bb.14:
	scratch_load_b64 v[86:87], v3, off
	ds_load_b64 v[88:89], v1
	s_wait_loadcnt_dscnt 0x0
	v_fma_f64 v[86:87], v[86:87], v[88:89], 0
	v_mov_b32_e32 v9, 0
	ds_load_b64 v[90:91], v9 offset:8
	s_wait_dscnt 0x0
	v_mul_f64_e32 v[86:87], v[86:87], v[90:91]
	scratch_store_b64 off, v[86:87], off offset:8
.LBB40_15:
	s_wait_xcnt 0x0
	s_or_b32 exec_lo, exec_lo, s1
	s_wait_storecnt 0x0
	s_barrier_signal -1
	s_barrier_wait -1
	scratch_load_b64 v[86:87], off, off offset:16
	s_mov_b32 s1, exec_lo
	s_wait_loadcnt 0x0
	ds_store_b64 v1, v[86:87]
	s_wait_dscnt 0x0
	s_barrier_signal -1
	s_barrier_wait -1
	v_cmpx_gt_u32_e32 2, v0
	s_cbranch_execz .LBB40_19
; %bb.16:
	scratch_load_b64 v[86:87], v3, off
	ds_load_b64 v[88:89], v1
	s_wait_loadcnt_dscnt 0x0
	v_fma_f64 v[86:87], v[86:87], v[88:89], 0
	s_and_saveexec_b32 s8, s0
	s_cbranch_execz .LBB40_18
; %bb.17:
	scratch_load_b64 v[88:89], off, off offset:8
	v_mov_b32_e32 v3, 0
	ds_load_b64 v[90:91], v3 offset:344
	s_wait_loadcnt_dscnt 0x0
	v_fmac_f64_e32 v[86:87], v[88:89], v[90:91]
.LBB40_18:
	s_or_b32 exec_lo, exec_lo, s8
	v_mov_b32_e32 v3, 0
	ds_load_b64 v[88:89], v3 offset:16
	s_wait_dscnt 0x0
	v_mul_f64_e32 v[86:87], v[86:87], v[88:89]
	scratch_store_b64 off, v[86:87], off offset:16
.LBB40_19:
	s_wait_xcnt 0x0
	s_or_b32 exec_lo, exec_lo, s1
	s_wait_storecnt 0x0
	s_barrier_signal -1
	s_barrier_wait -1
	scratch_load_b64 v[86:87], off, off offset:24
	v_add_nc_u32_e32 v3, -1, v0
	s_mov_b32 s0, exec_lo
	s_wait_loadcnt 0x0
	ds_store_b64 v1, v[86:87]
	s_wait_dscnt 0x0
	s_barrier_signal -1
	s_barrier_wait -1
	v_cmpx_gt_u32_e32 3, v0
	s_cbranch_execz .LBB40_23
; %bb.20:
	v_mov_b64_e32 v[86:87], 0
	v_dual_add_nc_u32 v9, -1, v0 :: v_dual_mov_b32 v13, v2
	v_add_nc_u32_e32 v11, 0x150, v2
	s_mov_b32 s1, 0
.LBB40_21:                              ; =>This Inner Loop Header: Depth=1
	scratch_load_b64 v[88:89], v13, off
	ds_load_b64 v[90:91], v11
	v_dual_add_nc_u32 v9, 1, v9 :: v_dual_add_nc_u32 v11, 8, v11
	s_wait_xcnt 0x0
	v_add_nc_u32_e32 v13, 8, v13
	s_delay_alu instid0(VALU_DEP_2)
	v_cmp_lt_u32_e32 vcc_lo, 1, v9
	s_or_b32 s1, vcc_lo, s1
	s_wait_loadcnt_dscnt 0x0
	v_fmac_f64_e32 v[86:87], v[88:89], v[90:91]
	s_and_not1_b32 exec_lo, exec_lo, s1
	s_cbranch_execnz .LBB40_21
; %bb.22:
	s_or_b32 exec_lo, exec_lo, s1
	v_mov_b32_e32 v9, 0
	ds_load_b64 v[88:89], v9 offset:24
	s_wait_dscnt 0x0
	v_mul_f64_e32 v[86:87], v[86:87], v[88:89]
	scratch_store_b64 off, v[86:87], off offset:24
.LBB40_23:
	s_wait_xcnt 0x0
	s_or_b32 exec_lo, exec_lo, s0
	s_wait_storecnt 0x0
	s_barrier_signal -1
	s_barrier_wait -1
	scratch_load_b64 v[86:87], off, off offset:32
	s_mov_b32 s0, exec_lo
	s_wait_loadcnt 0x0
	ds_store_b64 v1, v[86:87]
	s_wait_dscnt 0x0
	s_barrier_signal -1
	s_barrier_wait -1
	v_cmpx_gt_u32_e32 4, v0
	s_cbranch_execz .LBB40_27
; %bb.24:
	v_mov_b64_e32 v[86:87], 0
	v_dual_add_nc_u32 v9, -1, v0 :: v_dual_mov_b32 v13, v2
	v_add_nc_u32_e32 v11, 0x150, v2
	s_mov_b32 s1, 0
.LBB40_25:                              ; =>This Inner Loop Header: Depth=1
	scratch_load_b64 v[88:89], v13, off
	ds_load_b64 v[90:91], v11
	v_dual_add_nc_u32 v9, 1, v9 :: v_dual_add_nc_u32 v11, 8, v11
	s_wait_xcnt 0x0
	v_add_nc_u32_e32 v13, 8, v13
	s_delay_alu instid0(VALU_DEP_2)
	v_cmp_lt_u32_e32 vcc_lo, 2, v9
	s_or_b32 s1, vcc_lo, s1
	s_wait_loadcnt_dscnt 0x0
	v_fmac_f64_e32 v[86:87], v[88:89], v[90:91]
	s_and_not1_b32 exec_lo, exec_lo, s1
	s_cbranch_execnz .LBB40_25
; %bb.26:
	s_or_b32 exec_lo, exec_lo, s1
	v_mov_b32_e32 v9, 0
	ds_load_b64 v[88:89], v9 offset:32
	s_wait_dscnt 0x0
	v_mul_f64_e32 v[86:87], v[86:87], v[88:89]
	scratch_store_b64 off, v[86:87], off offset:32
.LBB40_27:
	s_wait_xcnt 0x0
	s_or_b32 exec_lo, exec_lo, s0
	s_wait_storecnt 0x0
	s_barrier_signal -1
	s_barrier_wait -1
	scratch_load_b64 v[86:87], off, off offset:40
	;; [unrolled: 40-line block ×20, first 2 shown]
	s_mov_b32 s0, exec_lo
	s_wait_loadcnt 0x0
	ds_store_b64 v1, v[86:87]
	s_wait_dscnt 0x0
	s_barrier_signal -1
	s_barrier_wait -1
	v_cmpx_gt_u32_e32 23, v0
	s_cbranch_execz .LBB40_103
; %bb.100:
	v_mov_b64_e32 v[86:87], 0
	v_dual_add_nc_u32 v9, -1, v0 :: v_dual_mov_b32 v13, v2
	v_add_nc_u32_e32 v11, 0x150, v2
	s_mov_b32 s1, 0
.LBB40_101:                             ; =>This Inner Loop Header: Depth=1
	scratch_load_b64 v[88:89], v13, off
	ds_load_b64 v[90:91], v11
	v_dual_add_nc_u32 v9, 1, v9 :: v_dual_add_nc_u32 v11, 8, v11
	s_wait_xcnt 0x0
	v_add_nc_u32_e32 v13, 8, v13
	s_delay_alu instid0(VALU_DEP_2)
	v_cmp_lt_u32_e32 vcc_lo, 21, v9
	s_or_b32 s1, vcc_lo, s1
	s_wait_loadcnt_dscnt 0x0
	v_fmac_f64_e32 v[86:87], v[88:89], v[90:91]
	s_and_not1_b32 exec_lo, exec_lo, s1
	s_cbranch_execnz .LBB40_101
; %bb.102:
	s_or_b32 exec_lo, exec_lo, s1
	v_mov_b32_e32 v9, 0
	ds_load_b64 v[88:89], v9 offset:184
	s_wait_dscnt 0x0
	v_mul_f64_e32 v[86:87], v[86:87], v[88:89]
	scratch_store_b64 off, v[86:87], off offset:184
.LBB40_103:
	s_wait_xcnt 0x0
	s_or_b32 exec_lo, exec_lo, s0
	s_wait_storecnt 0x0
	s_barrier_signal -1
	s_barrier_wait -1
	scratch_load_b64 v[86:87], off, off offset:192
	s_mov_b32 s0, exec_lo
	s_wait_loadcnt 0x0
	ds_store_b64 v1, v[86:87]
	s_wait_dscnt 0x0
	s_barrier_signal -1
	s_barrier_wait -1
	v_cmpx_gt_u32_e32 24, v0
	s_cbranch_execz .LBB40_107
; %bb.104:
	v_mov_b64_e32 v[86:87], 0
	v_dual_add_nc_u32 v9, -1, v0 :: v_dual_mov_b32 v13, v2
	v_add_nc_u32_e32 v11, 0x150, v2
	s_mov_b32 s1, 0
.LBB40_105:                             ; =>This Inner Loop Header: Depth=1
	scratch_load_b64 v[88:89], v13, off
	ds_load_b64 v[90:91], v11
	v_dual_add_nc_u32 v9, 1, v9 :: v_dual_add_nc_u32 v11, 8, v11
	s_wait_xcnt 0x0
	v_add_nc_u32_e32 v13, 8, v13
	s_delay_alu instid0(VALU_DEP_2)
	v_cmp_lt_u32_e32 vcc_lo, 22, v9
	s_or_b32 s1, vcc_lo, s1
	s_wait_loadcnt_dscnt 0x0
	v_fmac_f64_e32 v[86:87], v[88:89], v[90:91]
	s_and_not1_b32 exec_lo, exec_lo, s1
	s_cbranch_execnz .LBB40_105
; %bb.106:
	s_or_b32 exec_lo, exec_lo, s1
	v_mov_b32_e32 v9, 0
	ds_load_b64 v[88:89], v9 offset:192
	s_wait_dscnt 0x0
	v_mul_f64_e32 v[86:87], v[86:87], v[88:89]
	scratch_store_b64 off, v[86:87], off offset:192
.LBB40_107:
	s_wait_xcnt 0x0
	s_or_b32 exec_lo, exec_lo, s0
	s_wait_storecnt 0x0
	s_barrier_signal -1
	s_barrier_wait -1
	scratch_load_b64 v[86:87], off, off offset:200
	;; [unrolled: 40-line block ×17, first 2 shown]
	s_mov_b32 s0, exec_lo
	s_wait_loadcnt 0x0
	ds_store_b64 v1, v[86:87]
	s_wait_dscnt 0x0
	s_barrier_signal -1
	s_barrier_wait -1
	v_cmpx_ne_u32_e32 40, v0
	s_cbranch_execz .LBB40_171
; %bb.168:
	v_mov_b64_e32 v[86:87], 0
	s_mov_b32 s1, 0
.LBB40_169:                             ; =>This Inner Loop Header: Depth=1
	scratch_load_b64 v[88:89], v2, off
	ds_load_b64 v[90:91], v1
	v_dual_add_nc_u32 v3, 1, v3 :: v_dual_add_nc_u32 v1, 8, v1
	s_wait_xcnt 0x0
	v_add_nc_u32_e32 v2, 8, v2
	s_delay_alu instid0(VALU_DEP_2)
	v_cmp_lt_u32_e32 vcc_lo, 38, v3
	s_or_b32 s1, vcc_lo, s1
	s_wait_loadcnt_dscnt 0x0
	v_fmac_f64_e32 v[86:87], v[88:89], v[90:91]
	s_and_not1_b32 exec_lo, exec_lo, s1
	s_cbranch_execnz .LBB40_169
; %bb.170:
	s_or_b32 exec_lo, exec_lo, s1
	v_mov_b32_e32 v1, 0
	ds_load_b64 v[2:3], v1 offset:320
	s_wait_dscnt 0x0
	v_mul_f64_e32 v[2:3], v[86:87], v[2:3]
	scratch_store_b64 off, v[2:3], off offset:320
.LBB40_171:
	s_wait_xcnt 0x0
	s_or_b32 exec_lo, exec_lo, s0
	s_mov_b32 s1, -1
	s_wait_storecnt 0x0
	s_barrier_signal -1
	s_barrier_wait -1
.LBB40_172:
	s_and_b32 vcc_lo, exec_lo, s1
	s_cbranch_vccz .LBB40_174
; %bb.173:
	v_mov_b32_e32 v1, 0
	s_lshl_b64 s[0:1], s[16:17], 2
	s_delay_alu instid0(SALU_CYCLE_1)
	s_add_nc_u64 s[0:1], s[6:7], s[0:1]
	global_load_b32 v1, v1, s[0:1]
	s_wait_loadcnt 0x0
	v_cmp_ne_u32_e32 vcc_lo, 0, v1
	s_cbranch_vccz .LBB40_175
.LBB40_174:
	s_sendmsg sendmsg(MSG_DEALLOC_VGPRS)
	s_endpgm
.LBB40_175:
	s_wait_xcnt 0x0
	v_lshl_add_u32 v1, v0, 3, 0x150
	s_mov_b32 s0, exec_lo
	v_cmpx_eq_u32_e32 40, v0
	s_cbranch_execz .LBB40_177
; %bb.176:
	scratch_load_b64 v[2:3], off, off offset:312
	v_mov_b64_e32 v[86:87], 0
	scratch_store_b64 off, v[86:87], off offset:312
	s_wait_loadcnt 0x0
	ds_store_b64 v1, v[2:3]
.LBB40_177:
	s_wait_xcnt 0x0
	s_or_b32 exec_lo, exec_lo, s0
	s_wait_storecnt_dscnt 0x0
	s_barrier_signal -1
	s_barrier_wait -1
	scratch_load_b128 v[86:89], off, off offset:312
	v_mov_b32_e32 v2, 0
	s_mov_b32 s0, exec_lo
	ds_load_b64 v[90:91], v2 offset:656
	s_wait_loadcnt_dscnt 0x0
	v_fma_f64 v[88:89], v[88:89], v[90:91], 0
	s_delay_alu instid0(VALU_DEP_1)
	v_add_f64_e64 v[86:87], v[86:87], -v[88:89]
	scratch_store_b64 off, v[86:87], off offset:312
	s_wait_xcnt 0x0
	v_cmpx_lt_u32_e32 38, v0
	s_cbranch_execz .LBB40_179
; %bb.178:
	scratch_load_b64 v[86:87], off, off offset:304
	v_mov_b64_e32 v[88:89], 0
	scratch_store_b64 off, v[88:89], off offset:304
	s_wait_loadcnt 0x0
	ds_store_b64 v1, v[86:87]
.LBB40_179:
	s_wait_xcnt 0x0
	s_or_b32 exec_lo, exec_lo, s0
	s_wait_storecnt_dscnt 0x0
	s_barrier_signal -1
	s_barrier_wait -1
	s_clause 0x1
	scratch_load_b128 v[86:89], off, off offset:304
	scratch_load_b64 v[94:95], off, off offset:320
	ds_load_2addr_b64 v[90:93], v2 offset0:81 offset1:82
	s_mov_b32 s0, exec_lo
	s_wait_loadcnt_dscnt 0x100
	v_fma_f64 v[2:3], v[88:89], v[90:91], 0
	s_wait_loadcnt 0x0
	s_delay_alu instid0(VALU_DEP_1) | instskip(NEXT) | instid1(VALU_DEP_1)
	v_fmac_f64_e32 v[2:3], v[94:95], v[92:93]
	v_add_f64_e64 v[2:3], v[86:87], -v[2:3]
	scratch_store_b64 off, v[2:3], off offset:304
	s_wait_xcnt 0x0
	v_cmpx_lt_u32_e32 37, v0
	s_cbranch_execz .LBB40_181
; %bb.180:
	scratch_load_b64 v[2:3], off, off offset:296
	v_mov_b64_e32 v[86:87], 0
	scratch_store_b64 off, v[86:87], off offset:296
	s_wait_loadcnt 0x0
	ds_store_b64 v1, v[2:3]
.LBB40_181:
	s_wait_xcnt 0x0
	s_or_b32 exec_lo, exec_lo, s0
	s_wait_storecnt_dscnt 0x0
	s_barrier_signal -1
	s_barrier_wait -1
	s_clause 0x1
	scratch_load_b128 v[86:89], off, off offset:296
	scratch_load_b128 v[90:93], off, off offset:312
	v_mov_b32_e32 v2, 0
	ds_load_b128 v[94:97], v2 offset:640
	ds_load_b64 v[98:99], v2 offset:656
	s_mov_b32 s0, exec_lo
	s_wait_loadcnt_dscnt 0x101
	v_fma_f64 v[88:89], v[88:89], v[94:95], 0
	s_wait_loadcnt 0x0
	s_delay_alu instid0(VALU_DEP_1) | instskip(SKIP_1) | instid1(VALU_DEP_1)
	v_fmac_f64_e32 v[88:89], v[90:91], v[96:97]
	s_wait_dscnt 0x0
	v_fmac_f64_e32 v[88:89], v[92:93], v[98:99]
	s_delay_alu instid0(VALU_DEP_1)
	v_add_f64_e64 v[86:87], v[86:87], -v[88:89]
	scratch_store_b64 off, v[86:87], off offset:296
	s_wait_xcnt 0x0
	v_cmpx_lt_u32_e32 36, v0
	s_cbranch_execz .LBB40_183
; %bb.182:
	scratch_load_b64 v[86:87], off, off offset:288
	v_mov_b64_e32 v[88:89], 0
	scratch_store_b64 off, v[88:89], off offset:288
	s_wait_loadcnt 0x0
	ds_store_b64 v1, v[86:87]
.LBB40_183:
	s_wait_xcnt 0x0
	s_or_b32 exec_lo, exec_lo, s0
	s_wait_storecnt_dscnt 0x0
	s_barrier_signal -1
	s_barrier_wait -1
	s_clause 0x2
	scratch_load_b128 v[86:89], off, off offset:288
	scratch_load_b128 v[90:93], off, off offset:304
	scratch_load_b64 v[102:103], off, off offset:320
	ds_load_2addr_b64 v[94:97], v2 offset0:79 offset1:80
	ds_load_2addr_b64 v[98:101], v2 offset0:81 offset1:82
	s_mov_b32 s0, exec_lo
	s_wait_loadcnt_dscnt 0x201
	v_fma_f64 v[2:3], v[88:89], v[94:95], 0
	s_wait_loadcnt 0x1
	s_delay_alu instid0(VALU_DEP_1) | instskip(SKIP_1) | instid1(VALU_DEP_1)
	v_fmac_f64_e32 v[2:3], v[90:91], v[96:97]
	s_wait_dscnt 0x0
	v_fmac_f64_e32 v[2:3], v[92:93], v[98:99]
	s_wait_loadcnt 0x0
	s_delay_alu instid0(VALU_DEP_1) | instskip(NEXT) | instid1(VALU_DEP_1)
	v_fmac_f64_e32 v[2:3], v[102:103], v[100:101]
	v_add_f64_e64 v[2:3], v[86:87], -v[2:3]
	scratch_store_b64 off, v[2:3], off offset:288
	s_wait_xcnt 0x0
	v_cmpx_lt_u32_e32 35, v0
	s_cbranch_execz .LBB40_185
; %bb.184:
	scratch_load_b64 v[2:3], off, off offset:280
	v_mov_b64_e32 v[86:87], 0
	scratch_store_b64 off, v[86:87], off offset:280
	s_wait_loadcnt 0x0
	ds_store_b64 v1, v[2:3]
.LBB40_185:
	s_wait_xcnt 0x0
	s_or_b32 exec_lo, exec_lo, s0
	s_wait_storecnt_dscnt 0x0
	s_barrier_signal -1
	s_barrier_wait -1
	s_clause 0x2
	scratch_load_b128 v[86:89], off, off offset:280
	scratch_load_b128 v[90:93], off, off offset:296
	;; [unrolled: 1-line block ×3, first 2 shown]
	v_mov_b32_e32 v2, 0
	ds_load_b128 v[98:101], v2 offset:624
	ds_load_b128 v[102:105], v2 offset:640
	s_mov_b32 s0, exec_lo
	s_wait_loadcnt_dscnt 0x201
	v_fma_f64 v[88:89], v[88:89], v[98:99], 0
	s_wait_loadcnt 0x1
	s_delay_alu instid0(VALU_DEP_1) | instskip(SKIP_4) | instid1(VALU_DEP_1)
	v_fmac_f64_e32 v[88:89], v[90:91], v[100:101]
	ds_load_b64 v[90:91], v2 offset:656
	s_wait_dscnt 0x1
	v_fmac_f64_e32 v[88:89], v[92:93], v[102:103]
	s_wait_loadcnt 0x0
	v_fmac_f64_e32 v[88:89], v[94:95], v[104:105]
	s_wait_dscnt 0x0
	s_delay_alu instid0(VALU_DEP_1) | instskip(NEXT) | instid1(VALU_DEP_1)
	v_fmac_f64_e32 v[88:89], v[96:97], v[90:91]
	v_add_f64_e64 v[86:87], v[86:87], -v[88:89]
	scratch_store_b64 off, v[86:87], off offset:280
	s_wait_xcnt 0x0
	v_cmpx_lt_u32_e32 34, v0
	s_cbranch_execz .LBB40_187
; %bb.186:
	scratch_load_b64 v[86:87], off, off offset:272
	v_mov_b64_e32 v[88:89], 0
	scratch_store_b64 off, v[88:89], off offset:272
	s_wait_loadcnt 0x0
	ds_store_b64 v1, v[86:87]
.LBB40_187:
	s_wait_xcnt 0x0
	s_or_b32 exec_lo, exec_lo, s0
	s_wait_storecnt_dscnt 0x0
	s_barrier_signal -1
	s_barrier_wait -1
	s_clause 0x3
	scratch_load_b128 v[86:89], off, off offset:272
	scratch_load_b128 v[90:93], off, off offset:288
	;; [unrolled: 1-line block ×3, first 2 shown]
	scratch_load_b64 v[106:107], off, off offset:320
	ds_load_2addr_b64 v[98:101], v2 offset0:77 offset1:78
	ds_load_2addr_b64 v[102:105], v2 offset0:79 offset1:80
	s_mov_b32 s0, exec_lo
	s_wait_loadcnt_dscnt 0x301
	v_fma_f64 v[98:99], v[88:89], v[98:99], 0
	s_wait_loadcnt 0x2
	s_delay_alu instid0(VALU_DEP_1) | instskip(SKIP_4) | instid1(VALU_DEP_1)
	v_fmac_f64_e32 v[98:99], v[90:91], v[100:101]
	ds_load_2addr_b64 v[88:91], v2 offset0:81 offset1:82
	s_wait_dscnt 0x1
	v_fmac_f64_e32 v[98:99], v[92:93], v[102:103]
	s_wait_loadcnt 0x1
	v_fmac_f64_e32 v[98:99], v[94:95], v[104:105]
	s_wait_dscnt 0x0
	s_delay_alu instid0(VALU_DEP_1) | instskip(SKIP_1) | instid1(VALU_DEP_1)
	v_fmac_f64_e32 v[98:99], v[96:97], v[88:89]
	s_wait_loadcnt 0x0
	v_fmac_f64_e32 v[98:99], v[106:107], v[90:91]
	s_delay_alu instid0(VALU_DEP_1)
	v_add_f64_e64 v[2:3], v[86:87], -v[98:99]
	scratch_store_b64 off, v[2:3], off offset:272
	s_wait_xcnt 0x0
	v_cmpx_lt_u32_e32 33, v0
	s_cbranch_execz .LBB40_189
; %bb.188:
	scratch_load_b64 v[2:3], off, off offset:264
	v_mov_b64_e32 v[86:87], 0
	scratch_store_b64 off, v[86:87], off offset:264
	s_wait_loadcnt 0x0
	ds_store_b64 v1, v[2:3]
.LBB40_189:
	s_wait_xcnt 0x0
	s_or_b32 exec_lo, exec_lo, s0
	s_wait_storecnt_dscnt 0x0
	s_barrier_signal -1
	s_barrier_wait -1
	s_clause 0x3
	scratch_load_b128 v[86:89], off, off offset:264
	scratch_load_b128 v[90:93], off, off offset:280
	scratch_load_b128 v[94:97], off, off offset:296
	scratch_load_b128 v[98:101], off, off offset:312
	v_mov_b32_e32 v2, 0
	ds_load_b128 v[102:105], v2 offset:608
	ds_load_b128 v[106:109], v2 offset:624
	s_mov_b32 s0, exec_lo
	s_wait_loadcnt_dscnt 0x301
	v_fma_f64 v[102:103], v[88:89], v[102:103], 0
	s_wait_loadcnt 0x2
	s_delay_alu instid0(VALU_DEP_1) | instskip(SKIP_1) | instid1(VALU_DEP_1)
	v_fmac_f64_e32 v[102:103], v[90:91], v[104:105]
	s_wait_dscnt 0x0
	v_fmac_f64_e32 v[102:103], v[92:93], v[106:107]
	ds_load_b128 v[88:91], v2 offset:640
	ds_load_b64 v[92:93], v2 offset:656
	s_wait_loadcnt 0x1
	v_fmac_f64_e32 v[102:103], v[94:95], v[108:109]
	s_wait_dscnt 0x1
	s_delay_alu instid0(VALU_DEP_1) | instskip(SKIP_1) | instid1(VALU_DEP_1)
	v_fmac_f64_e32 v[102:103], v[96:97], v[88:89]
	s_wait_loadcnt 0x0
	v_fmac_f64_e32 v[102:103], v[98:99], v[90:91]
	s_wait_dscnt 0x0
	s_delay_alu instid0(VALU_DEP_1) | instskip(NEXT) | instid1(VALU_DEP_1)
	v_fmac_f64_e32 v[102:103], v[100:101], v[92:93]
	v_add_f64_e64 v[86:87], v[86:87], -v[102:103]
	scratch_store_b64 off, v[86:87], off offset:264
	s_wait_xcnt 0x0
	v_cmpx_lt_u32_e32 32, v0
	s_cbranch_execz .LBB40_191
; %bb.190:
	scratch_load_b64 v[86:87], off, off offset:256
	v_mov_b64_e32 v[88:89], 0
	scratch_store_b64 off, v[88:89], off offset:256
	s_wait_loadcnt 0x0
	ds_store_b64 v1, v[86:87]
.LBB40_191:
	s_wait_xcnt 0x0
	s_or_b32 exec_lo, exec_lo, s0
	s_wait_storecnt_dscnt 0x0
	s_barrier_signal -1
	s_barrier_wait -1
	s_clause 0x4
	scratch_load_b128 v[86:89], off, off offset:256
	scratch_load_b128 v[90:93], off, off offset:272
	;; [unrolled: 1-line block ×4, first 2 shown]
	scratch_load_b64 v[110:111], off, off offset:320
	ds_load_2addr_b64 v[102:105], v2 offset0:75 offset1:76
	ds_load_2addr_b64 v[106:109], v2 offset0:77 offset1:78
	s_mov_b32 s0, exec_lo
	s_wait_loadcnt_dscnt 0x401
	v_fma_f64 v[102:103], v[88:89], v[102:103], 0
	s_wait_loadcnt 0x3
	s_delay_alu instid0(VALU_DEP_1) | instskip(SKIP_1) | instid1(VALU_DEP_1)
	v_fmac_f64_e32 v[102:103], v[90:91], v[104:105]
	s_wait_dscnt 0x0
	v_fmac_f64_e32 v[102:103], v[92:93], v[106:107]
	s_wait_loadcnt 0x2
	s_delay_alu instid0(VALU_DEP_1)
	v_fmac_f64_e32 v[102:103], v[94:95], v[108:109]
	ds_load_2addr_b64 v[88:91], v2 offset0:79 offset1:80
	ds_load_2addr_b64 v[92:95], v2 offset0:81 offset1:82
	s_wait_dscnt 0x1
	v_fmac_f64_e32 v[102:103], v[96:97], v[88:89]
	s_wait_loadcnt 0x1
	s_delay_alu instid0(VALU_DEP_1) | instskip(SKIP_1) | instid1(VALU_DEP_1)
	v_fmac_f64_e32 v[102:103], v[98:99], v[90:91]
	s_wait_dscnt 0x0
	v_fmac_f64_e32 v[102:103], v[100:101], v[92:93]
	s_wait_loadcnt 0x0
	s_delay_alu instid0(VALU_DEP_1) | instskip(NEXT) | instid1(VALU_DEP_1)
	v_fmac_f64_e32 v[102:103], v[110:111], v[94:95]
	v_add_f64_e64 v[2:3], v[86:87], -v[102:103]
	scratch_store_b64 off, v[2:3], off offset:256
	s_wait_xcnt 0x0
	v_cmpx_lt_u32_e32 31, v0
	s_cbranch_execz .LBB40_193
; %bb.192:
	scratch_load_b64 v[2:3], off, off offset:248
	v_mov_b64_e32 v[86:87], 0
	scratch_store_b64 off, v[86:87], off offset:248
	s_wait_loadcnt 0x0
	ds_store_b64 v1, v[2:3]
.LBB40_193:
	s_wait_xcnt 0x0
	s_or_b32 exec_lo, exec_lo, s0
	s_wait_storecnt_dscnt 0x0
	s_barrier_signal -1
	s_barrier_wait -1
	s_clause 0x4
	scratch_load_b128 v[86:89], off, off offset:248
	scratch_load_b128 v[90:93], off, off offset:264
	;; [unrolled: 1-line block ×5, first 2 shown]
	v_mov_b32_e32 v2, 0
	ds_load_b128 v[106:109], v2 offset:592
	ds_load_b128 v[110:113], v2 offset:608
	s_mov_b32 s0, exec_lo
	s_wait_loadcnt_dscnt 0x401
	v_fma_f64 v[106:107], v[88:89], v[106:107], 0
	s_wait_loadcnt 0x3
	s_delay_alu instid0(VALU_DEP_1) | instskip(SKIP_1) | instid1(VALU_DEP_1)
	v_fmac_f64_e32 v[106:107], v[90:91], v[108:109]
	s_wait_dscnt 0x0
	v_fmac_f64_e32 v[106:107], v[92:93], v[110:111]
	s_wait_loadcnt 0x2
	s_delay_alu instid0(VALU_DEP_1)
	v_fmac_f64_e32 v[106:107], v[94:95], v[112:113]
	ds_load_b128 v[88:91], v2 offset:624
	ds_load_b128 v[92:95], v2 offset:640
	s_wait_dscnt 0x1
	v_fmac_f64_e32 v[106:107], v[96:97], v[88:89]
	ds_load_b64 v[88:89], v2 offset:656
	s_wait_loadcnt 0x1
	v_fmac_f64_e32 v[106:107], v[98:99], v[90:91]
	s_wait_dscnt 0x1
	s_delay_alu instid0(VALU_DEP_1) | instskip(SKIP_1) | instid1(VALU_DEP_1)
	v_fmac_f64_e32 v[106:107], v[100:101], v[92:93]
	s_wait_loadcnt 0x0
	v_fmac_f64_e32 v[106:107], v[102:103], v[94:95]
	s_wait_dscnt 0x0
	s_delay_alu instid0(VALU_DEP_1) | instskip(NEXT) | instid1(VALU_DEP_1)
	v_fmac_f64_e32 v[106:107], v[104:105], v[88:89]
	v_add_f64_e64 v[86:87], v[86:87], -v[106:107]
	scratch_store_b64 off, v[86:87], off offset:248
	s_wait_xcnt 0x0
	v_cmpx_lt_u32_e32 30, v0
	s_cbranch_execz .LBB40_195
; %bb.194:
	scratch_load_b64 v[86:87], off, off offset:240
	v_mov_b64_e32 v[88:89], 0
	scratch_store_b64 off, v[88:89], off offset:240
	s_wait_loadcnt 0x0
	ds_store_b64 v1, v[86:87]
.LBB40_195:
	s_wait_xcnt 0x0
	s_or_b32 exec_lo, exec_lo, s0
	s_wait_storecnt_dscnt 0x0
	s_barrier_signal -1
	s_barrier_wait -1
	s_clause 0x5
	scratch_load_b128 v[86:89], off, off offset:240
	scratch_load_b128 v[90:93], off, off offset:256
	;; [unrolled: 1-line block ×5, first 2 shown]
	scratch_load_b64 v[114:115], off, off offset:320
	ds_load_2addr_b64 v[106:109], v2 offset0:73 offset1:74
	ds_load_2addr_b64 v[110:113], v2 offset0:75 offset1:76
	s_mov_b32 s0, exec_lo
	s_wait_loadcnt_dscnt 0x501
	v_fma_f64 v[106:107], v[88:89], v[106:107], 0
	s_wait_loadcnt 0x4
	s_delay_alu instid0(VALU_DEP_1) | instskip(SKIP_1) | instid1(VALU_DEP_1)
	v_fmac_f64_e32 v[106:107], v[90:91], v[108:109]
	s_wait_dscnt 0x0
	v_fmac_f64_e32 v[106:107], v[92:93], v[110:111]
	s_wait_loadcnt 0x3
	s_delay_alu instid0(VALU_DEP_1)
	v_fmac_f64_e32 v[106:107], v[94:95], v[112:113]
	ds_load_2addr_b64 v[88:91], v2 offset0:77 offset1:78
	ds_load_2addr_b64 v[92:95], v2 offset0:79 offset1:80
	s_wait_dscnt 0x1
	v_fmac_f64_e32 v[106:107], v[96:97], v[88:89]
	s_wait_loadcnt 0x2
	s_delay_alu instid0(VALU_DEP_1) | instskip(SKIP_4) | instid1(VALU_DEP_1)
	v_fmac_f64_e32 v[106:107], v[98:99], v[90:91]
	ds_load_2addr_b64 v[88:91], v2 offset0:81 offset1:82
	s_wait_dscnt 0x1
	v_fmac_f64_e32 v[106:107], v[100:101], v[92:93]
	s_wait_loadcnt 0x1
	v_fmac_f64_e32 v[106:107], v[102:103], v[94:95]
	s_wait_dscnt 0x0
	s_delay_alu instid0(VALU_DEP_1) | instskip(SKIP_1) | instid1(VALU_DEP_1)
	v_fmac_f64_e32 v[106:107], v[104:105], v[88:89]
	s_wait_loadcnt 0x0
	v_fmac_f64_e32 v[106:107], v[114:115], v[90:91]
	s_delay_alu instid0(VALU_DEP_1)
	v_add_f64_e64 v[2:3], v[86:87], -v[106:107]
	scratch_store_b64 off, v[2:3], off offset:240
	s_wait_xcnt 0x0
	v_cmpx_lt_u32_e32 29, v0
	s_cbranch_execz .LBB40_197
; %bb.196:
	scratch_load_b64 v[2:3], off, off offset:232
	v_mov_b64_e32 v[86:87], 0
	scratch_store_b64 off, v[86:87], off offset:232
	s_wait_loadcnt 0x0
	ds_store_b64 v1, v[2:3]
.LBB40_197:
	s_wait_xcnt 0x0
	s_or_b32 exec_lo, exec_lo, s0
	s_wait_storecnt_dscnt 0x0
	s_barrier_signal -1
	s_barrier_wait -1
	s_clause 0x5
	scratch_load_b128 v[86:89], off, off offset:232
	scratch_load_b128 v[90:93], off, off offset:248
	;; [unrolled: 1-line block ×6, first 2 shown]
	v_mov_b32_e32 v2, 0
	ds_load_b128 v[110:113], v2 offset:576
	ds_load_b128 v[114:117], v2 offset:592
	s_mov_b32 s0, exec_lo
	s_wait_loadcnt_dscnt 0x501
	v_fma_f64 v[110:111], v[88:89], v[110:111], 0
	s_wait_loadcnt 0x4
	s_delay_alu instid0(VALU_DEP_1) | instskip(SKIP_1) | instid1(VALU_DEP_1)
	v_fmac_f64_e32 v[110:111], v[90:91], v[112:113]
	s_wait_dscnt 0x0
	v_fmac_f64_e32 v[110:111], v[92:93], v[114:115]
	s_wait_loadcnt 0x3
	s_delay_alu instid0(VALU_DEP_1)
	v_fmac_f64_e32 v[110:111], v[94:95], v[116:117]
	ds_load_b128 v[88:91], v2 offset:608
	ds_load_b128 v[92:95], v2 offset:624
	s_wait_dscnt 0x1
	v_fmac_f64_e32 v[110:111], v[96:97], v[88:89]
	s_wait_loadcnt 0x2
	s_delay_alu instid0(VALU_DEP_1) | instskip(SKIP_1) | instid1(VALU_DEP_1)
	v_fmac_f64_e32 v[110:111], v[98:99], v[90:91]
	s_wait_dscnt 0x0
	v_fmac_f64_e32 v[110:111], v[100:101], v[92:93]
	ds_load_b128 v[88:91], v2 offset:640
	ds_load_b64 v[92:93], v2 offset:656
	s_wait_loadcnt 0x1
	v_fmac_f64_e32 v[110:111], v[102:103], v[94:95]
	s_wait_dscnt 0x1
	s_delay_alu instid0(VALU_DEP_1) | instskip(SKIP_1) | instid1(VALU_DEP_1)
	v_fmac_f64_e32 v[110:111], v[104:105], v[88:89]
	s_wait_loadcnt 0x0
	v_fmac_f64_e32 v[110:111], v[106:107], v[90:91]
	s_wait_dscnt 0x0
	s_delay_alu instid0(VALU_DEP_1) | instskip(NEXT) | instid1(VALU_DEP_1)
	v_fmac_f64_e32 v[110:111], v[108:109], v[92:93]
	v_add_f64_e64 v[86:87], v[86:87], -v[110:111]
	scratch_store_b64 off, v[86:87], off offset:232
	s_wait_xcnt 0x0
	v_cmpx_lt_u32_e32 28, v0
	s_cbranch_execz .LBB40_199
; %bb.198:
	scratch_load_b64 v[86:87], off, off offset:224
	v_mov_b64_e32 v[88:89], 0
	scratch_store_b64 off, v[88:89], off offset:224
	s_wait_loadcnt 0x0
	ds_store_b64 v1, v[86:87]
.LBB40_199:
	s_wait_xcnt 0x0
	s_or_b32 exec_lo, exec_lo, s0
	s_wait_storecnt_dscnt 0x0
	s_barrier_signal -1
	s_barrier_wait -1
	s_clause 0x5
	scratch_load_b128 v[86:89], off, off offset:224
	scratch_load_b128 v[90:93], off, off offset:240
	;; [unrolled: 1-line block ×6, first 2 shown]
	ds_load_2addr_b64 v[110:113], v2 offset0:71 offset1:72
	ds_load_2addr_b64 v[114:117], v2 offset0:73 offset1:74
	s_mov_b32 s0, exec_lo
	s_wait_loadcnt_dscnt 0x501
	v_fma_f64 v[110:111], v[88:89], v[110:111], 0
	s_wait_loadcnt 0x4
	s_delay_alu instid0(VALU_DEP_1) | instskip(SKIP_4) | instid1(VALU_DEP_1)
	v_fmac_f64_e32 v[110:111], v[90:91], v[112:113]
	scratch_load_b64 v[112:113], off, off offset:320
	s_wait_dscnt 0x0
	v_fmac_f64_e32 v[110:111], v[92:93], v[114:115]
	s_wait_loadcnt 0x4
	v_fmac_f64_e32 v[110:111], v[94:95], v[116:117]
	ds_load_2addr_b64 v[88:91], v2 offset0:75 offset1:76
	ds_load_2addr_b64 v[92:95], v2 offset0:77 offset1:78
	s_wait_dscnt 0x1
	v_fmac_f64_e32 v[110:111], v[96:97], v[88:89]
	s_wait_loadcnt 0x3
	s_delay_alu instid0(VALU_DEP_1) | instskip(SKIP_1) | instid1(VALU_DEP_1)
	v_fmac_f64_e32 v[110:111], v[98:99], v[90:91]
	s_wait_dscnt 0x0
	v_fmac_f64_e32 v[110:111], v[100:101], v[92:93]
	s_wait_loadcnt 0x2
	s_delay_alu instid0(VALU_DEP_1)
	v_fmac_f64_e32 v[110:111], v[102:103], v[94:95]
	ds_load_2addr_b64 v[88:91], v2 offset0:79 offset1:80
	ds_load_2addr_b64 v[92:95], v2 offset0:81 offset1:82
	s_wait_dscnt 0x1
	v_fmac_f64_e32 v[110:111], v[104:105], v[88:89]
	s_wait_loadcnt 0x1
	s_delay_alu instid0(VALU_DEP_1) | instskip(SKIP_1) | instid1(VALU_DEP_1)
	v_fmac_f64_e32 v[110:111], v[106:107], v[90:91]
	s_wait_dscnt 0x0
	v_fmac_f64_e32 v[110:111], v[108:109], v[92:93]
	s_wait_loadcnt 0x0
	s_delay_alu instid0(VALU_DEP_1) | instskip(NEXT) | instid1(VALU_DEP_1)
	v_fmac_f64_e32 v[110:111], v[112:113], v[94:95]
	v_add_f64_e64 v[2:3], v[86:87], -v[110:111]
	scratch_store_b64 off, v[2:3], off offset:224
	s_wait_xcnt 0x0
	v_cmpx_lt_u32_e32 27, v0
	s_cbranch_execz .LBB40_201
; %bb.200:
	scratch_load_b64 v[2:3], off, off offset:216
	v_mov_b64_e32 v[86:87], 0
	scratch_store_b64 off, v[86:87], off offset:216
	s_wait_loadcnt 0x0
	ds_store_b64 v1, v[2:3]
.LBB40_201:
	s_wait_xcnt 0x0
	s_or_b32 exec_lo, exec_lo, s0
	s_wait_storecnt_dscnt 0x0
	s_barrier_signal -1
	s_barrier_wait -1
	s_clause 0x5
	scratch_load_b128 v[86:89], off, off offset:216
	scratch_load_b128 v[90:93], off, off offset:232
	;; [unrolled: 1-line block ×6, first 2 shown]
	v_mov_b32_e32 v2, 0
	ds_load_b128 v[110:113], v2 offset:560
	ds_load_b128 v[114:117], v2 offset:576
	s_mov_b32 s0, exec_lo
	s_wait_loadcnt_dscnt 0x501
	v_fma_f64 v[118:119], v[88:89], v[110:111], 0
	s_wait_loadcnt 0x4
	s_delay_alu instid0(VALU_DEP_1) | instskip(SKIP_4) | instid1(VALU_DEP_1)
	v_fmac_f64_e32 v[118:119], v[90:91], v[112:113]
	scratch_load_b128 v[88:91], off, off offset:312
	s_wait_dscnt 0x0
	v_fmac_f64_e32 v[118:119], v[92:93], v[114:115]
	s_wait_loadcnt 0x4
	v_fmac_f64_e32 v[118:119], v[94:95], v[116:117]
	ds_load_b128 v[92:95], v2 offset:592
	ds_load_b128 v[110:113], v2 offset:608
	s_wait_dscnt 0x1
	v_fmac_f64_e32 v[118:119], v[96:97], v[92:93]
	s_wait_loadcnt 0x3
	s_delay_alu instid0(VALU_DEP_1)
	v_fmac_f64_e32 v[118:119], v[98:99], v[94:95]
	ds_load_b128 v[92:95], v2 offset:624
	ds_load_b128 v[96:99], v2 offset:640
	s_wait_dscnt 0x2
	v_fmac_f64_e32 v[118:119], v[100:101], v[110:111]
	s_wait_loadcnt 0x2
	s_delay_alu instid0(VALU_DEP_1) | instskip(SKIP_1) | instid1(VALU_DEP_1)
	v_fmac_f64_e32 v[118:119], v[102:103], v[112:113]
	s_wait_dscnt 0x1
	v_fmac_f64_e32 v[118:119], v[104:105], v[92:93]
	s_wait_loadcnt 0x1
	s_delay_alu instid0(VALU_DEP_1) | instskip(SKIP_1) | instid1(VALU_DEP_1)
	v_fmac_f64_e32 v[118:119], v[106:107], v[94:95]
	s_wait_dscnt 0x0
	v_fmac_f64_e32 v[118:119], v[108:109], v[96:97]
	s_wait_loadcnt 0x0
	s_delay_alu instid0(VALU_DEP_1) | instskip(SKIP_3) | instid1(VALU_DEP_1)
	v_fmac_f64_e32 v[118:119], v[88:89], v[98:99]
	ds_load_b64 v[88:89], v2 offset:656
	s_wait_dscnt 0x0
	v_fmac_f64_e32 v[118:119], v[90:91], v[88:89]
	v_add_f64_e64 v[86:87], v[86:87], -v[118:119]
	scratch_store_b64 off, v[86:87], off offset:216
	s_wait_xcnt 0x0
	v_cmpx_lt_u32_e32 26, v0
	s_cbranch_execz .LBB40_203
; %bb.202:
	scratch_load_b64 v[86:87], off, off offset:208
	v_mov_b64_e32 v[88:89], 0
	scratch_store_b64 off, v[88:89], off offset:208
	s_wait_loadcnt 0x0
	ds_store_b64 v1, v[86:87]
.LBB40_203:
	s_wait_xcnt 0x0
	s_or_b32 exec_lo, exec_lo, s0
	s_wait_storecnt_dscnt 0x0
	s_barrier_signal -1
	s_barrier_wait -1
	s_clause 0x5
	scratch_load_b128 v[86:89], off, off offset:208
	scratch_load_b128 v[90:93], off, off offset:224
	;; [unrolled: 1-line block ×6, first 2 shown]
	ds_load_2addr_b64 v[110:113], v2 offset0:69 offset1:70
	ds_load_2addr_b64 v[114:117], v2 offset0:71 offset1:72
	s_mov_b32 s0, exec_lo
	s_wait_loadcnt_dscnt 0x501
	v_fma_f64 v[118:119], v[88:89], v[110:111], 0
	s_wait_loadcnt 0x4
	s_delay_alu instid0(VALU_DEP_1)
	v_fmac_f64_e32 v[118:119], v[90:91], v[112:113]
	scratch_load_b128 v[88:91], off, off offset:304
	s_wait_dscnt 0x0
	v_fmac_f64_e32 v[118:119], v[92:93], v[114:115]
	scratch_load_b64 v[114:115], off, off offset:320
	s_wait_loadcnt 0x5
	v_fmac_f64_e32 v[118:119], v[94:95], v[116:117]
	ds_load_2addr_b64 v[92:95], v2 offset0:73 offset1:74
	ds_load_2addr_b64 v[110:113], v2 offset0:75 offset1:76
	s_wait_dscnt 0x1
	v_fmac_f64_e32 v[118:119], v[96:97], v[92:93]
	s_wait_loadcnt 0x4
	s_delay_alu instid0(VALU_DEP_1)
	v_fmac_f64_e32 v[118:119], v[98:99], v[94:95]
	ds_load_2addr_b64 v[92:95], v2 offset0:77 offset1:78
	ds_load_2addr_b64 v[96:99], v2 offset0:79 offset1:80
	s_wait_dscnt 0x2
	v_fmac_f64_e32 v[118:119], v[100:101], v[110:111]
	s_wait_loadcnt 0x3
	s_delay_alu instid0(VALU_DEP_1) | instskip(SKIP_1) | instid1(VALU_DEP_1)
	v_fmac_f64_e32 v[118:119], v[102:103], v[112:113]
	s_wait_dscnt 0x1
	v_fmac_f64_e32 v[118:119], v[104:105], v[92:93]
	s_wait_loadcnt 0x2
	s_delay_alu instid0(VALU_DEP_1) | instskip(SKIP_4) | instid1(VALU_DEP_1)
	v_fmac_f64_e32 v[118:119], v[106:107], v[94:95]
	ds_load_2addr_b64 v[92:95], v2 offset0:81 offset1:82
	s_wait_dscnt 0x1
	v_fmac_f64_e32 v[118:119], v[108:109], v[96:97]
	s_wait_loadcnt 0x1
	v_fmac_f64_e32 v[118:119], v[88:89], v[98:99]
	s_wait_dscnt 0x0
	s_delay_alu instid0(VALU_DEP_1) | instskip(SKIP_1) | instid1(VALU_DEP_1)
	v_fmac_f64_e32 v[118:119], v[90:91], v[92:93]
	s_wait_loadcnt 0x0
	v_fmac_f64_e32 v[118:119], v[114:115], v[94:95]
	s_delay_alu instid0(VALU_DEP_1)
	v_add_f64_e64 v[2:3], v[86:87], -v[118:119]
	scratch_store_b64 off, v[2:3], off offset:208
	s_wait_xcnt 0x0
	v_cmpx_lt_u32_e32 25, v0
	s_cbranch_execz .LBB40_205
; %bb.204:
	scratch_load_b64 v[2:3], off, off offset:200
	v_mov_b64_e32 v[86:87], 0
	scratch_store_b64 off, v[86:87], off offset:200
	s_wait_loadcnt 0x0
	ds_store_b64 v1, v[2:3]
.LBB40_205:
	s_wait_xcnt 0x0
	s_or_b32 exec_lo, exec_lo, s0
	s_wait_storecnt_dscnt 0x0
	s_barrier_signal -1
	s_barrier_wait -1
	s_clause 0x5
	scratch_load_b128 v[86:89], off, off offset:200
	scratch_load_b128 v[90:93], off, off offset:216
	;; [unrolled: 1-line block ×6, first 2 shown]
	v_mov_b32_e32 v2, 0
	ds_load_b128 v[110:113], v2 offset:544
	ds_load_b128 v[114:117], v2 offset:560
	s_mov_b32 s0, exec_lo
	s_wait_loadcnt_dscnt 0x501
	v_fma_f64 v[118:119], v[88:89], v[110:111], 0
	s_wait_loadcnt 0x4
	s_delay_alu instid0(VALU_DEP_1) | instskip(SKIP_4) | instid1(VALU_DEP_1)
	v_fmac_f64_e32 v[118:119], v[90:91], v[112:113]
	scratch_load_b128 v[88:91], off, off offset:296
	s_wait_dscnt 0x0
	v_fmac_f64_e32 v[118:119], v[92:93], v[114:115]
	s_wait_loadcnt 0x4
	v_fmac_f64_e32 v[118:119], v[94:95], v[116:117]
	scratch_load_b128 v[92:95], off, off offset:312
	ds_load_b128 v[110:113], v2 offset:576
	ds_load_b128 v[114:117], v2 offset:592
	s_wait_dscnt 0x1
	v_fmac_f64_e32 v[118:119], v[96:97], v[110:111]
	s_wait_loadcnt 0x4
	s_delay_alu instid0(VALU_DEP_1) | instskip(SKIP_1) | instid1(VALU_DEP_1)
	v_fmac_f64_e32 v[118:119], v[98:99], v[112:113]
	s_wait_dscnt 0x0
	v_fmac_f64_e32 v[118:119], v[100:101], v[114:115]
	s_wait_loadcnt 0x3
	s_delay_alu instid0(VALU_DEP_1)
	v_fmac_f64_e32 v[118:119], v[102:103], v[116:117]
	ds_load_b128 v[96:99], v2 offset:608
	ds_load_b128 v[100:103], v2 offset:624
	s_wait_dscnt 0x1
	v_fmac_f64_e32 v[118:119], v[104:105], v[96:97]
	s_wait_loadcnt 0x2
	s_delay_alu instid0(VALU_DEP_1) | instskip(SKIP_1) | instid1(VALU_DEP_1)
	v_fmac_f64_e32 v[118:119], v[106:107], v[98:99]
	s_wait_dscnt 0x0
	v_fmac_f64_e32 v[118:119], v[108:109], v[100:101]
	s_wait_loadcnt 0x1
	s_delay_alu instid0(VALU_DEP_1)
	v_fmac_f64_e32 v[118:119], v[88:89], v[102:103]
	ds_load_b128 v[96:99], v2 offset:640
	ds_load_b64 v[88:89], v2 offset:656
	s_wait_dscnt 0x1
	v_fmac_f64_e32 v[118:119], v[90:91], v[96:97]
	s_wait_loadcnt 0x0
	s_delay_alu instid0(VALU_DEP_1) | instskip(SKIP_1) | instid1(VALU_DEP_1)
	v_fmac_f64_e32 v[118:119], v[92:93], v[98:99]
	s_wait_dscnt 0x0
	v_fmac_f64_e32 v[118:119], v[94:95], v[88:89]
	s_delay_alu instid0(VALU_DEP_1)
	v_add_f64_e64 v[86:87], v[86:87], -v[118:119]
	scratch_store_b64 off, v[86:87], off offset:200
	s_wait_xcnt 0x0
	v_cmpx_lt_u32_e32 24, v0
	s_cbranch_execz .LBB40_207
; %bb.206:
	scratch_load_b64 v[86:87], off, off offset:192
	v_mov_b64_e32 v[88:89], 0
	scratch_store_b64 off, v[88:89], off offset:192
	s_wait_loadcnt 0x0
	ds_store_b64 v1, v[86:87]
.LBB40_207:
	s_wait_xcnt 0x0
	s_or_b32 exec_lo, exec_lo, s0
	s_wait_storecnt_dscnt 0x0
	s_barrier_signal -1
	s_barrier_wait -1
	s_clause 0x5
	scratch_load_b128 v[86:89], off, off offset:192
	scratch_load_b128 v[90:93], off, off offset:208
	;; [unrolled: 1-line block ×6, first 2 shown]
	ds_load_2addr_b64 v[110:113], v2 offset0:67 offset1:68
	ds_load_2addr_b64 v[114:117], v2 offset0:69 offset1:70
	s_mov_b32 s0, exec_lo
	s_wait_loadcnt_dscnt 0x501
	v_fma_f64 v[118:119], v[88:89], v[110:111], 0
	s_wait_loadcnt 0x4
	s_delay_alu instid0(VALU_DEP_1) | instskip(SKIP_4) | instid1(VALU_DEP_1)
	v_fmac_f64_e32 v[118:119], v[90:91], v[112:113]
	scratch_load_b128 v[88:91], off, off offset:288
	s_wait_dscnt 0x0
	v_fmac_f64_e32 v[118:119], v[92:93], v[114:115]
	s_wait_loadcnt 0x4
	v_fmac_f64_e32 v[118:119], v[94:95], v[116:117]
	scratch_load_b128 v[92:95], off, off offset:304
	ds_load_2addr_b64 v[110:113], v2 offset0:71 offset1:72
	ds_load_2addr_b64 v[114:117], v2 offset0:73 offset1:74
	s_wait_dscnt 0x1
	v_fmac_f64_e32 v[118:119], v[96:97], v[110:111]
	scratch_load_b64 v[110:111], off, off offset:320
	s_wait_loadcnt 0x5
	v_fmac_f64_e32 v[118:119], v[98:99], v[112:113]
	s_wait_dscnt 0x0
	s_delay_alu instid0(VALU_DEP_1) | instskip(SKIP_1) | instid1(VALU_DEP_1)
	v_fmac_f64_e32 v[118:119], v[100:101], v[114:115]
	s_wait_loadcnt 0x4
	v_fmac_f64_e32 v[118:119], v[102:103], v[116:117]
	ds_load_2addr_b64 v[96:99], v2 offset0:75 offset1:76
	ds_load_2addr_b64 v[100:103], v2 offset0:77 offset1:78
	s_wait_dscnt 0x1
	v_fmac_f64_e32 v[118:119], v[104:105], v[96:97]
	s_wait_loadcnt 0x3
	s_delay_alu instid0(VALU_DEP_1) | instskip(SKIP_1) | instid1(VALU_DEP_1)
	v_fmac_f64_e32 v[118:119], v[106:107], v[98:99]
	s_wait_dscnt 0x0
	v_fmac_f64_e32 v[118:119], v[108:109], v[100:101]
	s_wait_loadcnt 0x2
	s_delay_alu instid0(VALU_DEP_1)
	v_fmac_f64_e32 v[118:119], v[88:89], v[102:103]
	ds_load_2addr_b64 v[96:99], v2 offset0:79 offset1:80
	ds_load_2addr_b64 v[100:103], v2 offset0:81 offset1:82
	s_wait_dscnt 0x1
	v_fmac_f64_e32 v[118:119], v[90:91], v[96:97]
	s_wait_loadcnt 0x1
	s_delay_alu instid0(VALU_DEP_1) | instskip(SKIP_1) | instid1(VALU_DEP_1)
	v_fmac_f64_e32 v[118:119], v[92:93], v[98:99]
	s_wait_dscnt 0x0
	v_fmac_f64_e32 v[118:119], v[94:95], v[100:101]
	s_wait_loadcnt 0x0
	s_delay_alu instid0(VALU_DEP_1) | instskip(NEXT) | instid1(VALU_DEP_1)
	v_fmac_f64_e32 v[118:119], v[110:111], v[102:103]
	v_add_f64_e64 v[2:3], v[86:87], -v[118:119]
	scratch_store_b64 off, v[2:3], off offset:192
	s_wait_xcnt 0x0
	v_cmpx_lt_u32_e32 23, v0
	s_cbranch_execz .LBB40_209
; %bb.208:
	scratch_load_b64 v[2:3], off, off offset:184
	v_mov_b64_e32 v[86:87], 0
	scratch_store_b64 off, v[86:87], off offset:184
	s_wait_loadcnt 0x0
	ds_store_b64 v1, v[2:3]
.LBB40_209:
	s_wait_xcnt 0x0
	s_or_b32 exec_lo, exec_lo, s0
	s_wait_storecnt_dscnt 0x0
	s_barrier_signal -1
	s_barrier_wait -1
	s_clause 0x5
	scratch_load_b128 v[86:89], off, off offset:184
	scratch_load_b128 v[90:93], off, off offset:200
	;; [unrolled: 1-line block ×6, first 2 shown]
	v_mov_b32_e32 v2, 0
	ds_load_b128 v[110:113], v2 offset:528
	ds_load_b128 v[114:117], v2 offset:544
	s_mov_b32 s0, exec_lo
	s_wait_loadcnt_dscnt 0x501
	v_fma_f64 v[118:119], v[88:89], v[110:111], 0
	s_wait_loadcnt 0x4
	s_delay_alu instid0(VALU_DEP_1) | instskip(SKIP_4) | instid1(VALU_DEP_1)
	v_fmac_f64_e32 v[118:119], v[90:91], v[112:113]
	scratch_load_b128 v[88:91], off, off offset:280
	s_wait_dscnt 0x0
	v_fmac_f64_e32 v[118:119], v[92:93], v[114:115]
	s_wait_loadcnt 0x4
	v_fmac_f64_e32 v[118:119], v[94:95], v[116:117]
	scratch_load_b128 v[92:95], off, off offset:296
	ds_load_b128 v[110:113], v2 offset:560
	ds_load_b128 v[114:117], v2 offset:576
	s_wait_dscnt 0x1
	v_fmac_f64_e32 v[118:119], v[96:97], v[110:111]
	s_wait_loadcnt 0x4
	s_delay_alu instid0(VALU_DEP_1) | instskip(SKIP_4) | instid1(VALU_DEP_1)
	v_fmac_f64_e32 v[118:119], v[98:99], v[112:113]
	scratch_load_b128 v[96:99], off, off offset:312
	s_wait_dscnt 0x0
	v_fmac_f64_e32 v[118:119], v[100:101], v[114:115]
	s_wait_loadcnt 0x4
	v_fmac_f64_e32 v[118:119], v[102:103], v[116:117]
	ds_load_b128 v[100:103], v2 offset:592
	ds_load_b128 v[110:113], v2 offset:608
	s_wait_dscnt 0x1
	v_fmac_f64_e32 v[118:119], v[104:105], v[100:101]
	s_wait_loadcnt 0x3
	s_delay_alu instid0(VALU_DEP_1)
	v_fmac_f64_e32 v[118:119], v[106:107], v[102:103]
	ds_load_b128 v[100:103], v2 offset:624
	ds_load_b128 v[104:107], v2 offset:640
	s_wait_dscnt 0x2
	v_fmac_f64_e32 v[118:119], v[108:109], v[110:111]
	s_wait_loadcnt 0x2
	s_delay_alu instid0(VALU_DEP_1) | instskip(SKIP_4) | instid1(VALU_DEP_1)
	v_fmac_f64_e32 v[118:119], v[88:89], v[112:113]
	ds_load_b64 v[88:89], v2 offset:656
	s_wait_dscnt 0x2
	v_fmac_f64_e32 v[118:119], v[90:91], v[100:101]
	s_wait_loadcnt 0x1
	v_fmac_f64_e32 v[118:119], v[92:93], v[102:103]
	s_wait_dscnt 0x1
	s_delay_alu instid0(VALU_DEP_1) | instskip(SKIP_1) | instid1(VALU_DEP_1)
	v_fmac_f64_e32 v[118:119], v[94:95], v[104:105]
	s_wait_loadcnt 0x0
	v_fmac_f64_e32 v[118:119], v[96:97], v[106:107]
	s_wait_dscnt 0x0
	s_delay_alu instid0(VALU_DEP_1) | instskip(NEXT) | instid1(VALU_DEP_1)
	v_fmac_f64_e32 v[118:119], v[98:99], v[88:89]
	v_add_f64_e64 v[86:87], v[86:87], -v[118:119]
	scratch_store_b64 off, v[86:87], off offset:184
	s_wait_xcnt 0x0
	v_cmpx_lt_u32_e32 22, v0
	s_cbranch_execz .LBB40_211
; %bb.210:
	scratch_load_b64 v[86:87], off, off offset:176
	v_mov_b64_e32 v[88:89], 0
	scratch_store_b64 off, v[88:89], off offset:176
	s_wait_loadcnt 0x0
	ds_store_b64 v1, v[86:87]
.LBB40_211:
	s_wait_xcnt 0x0
	s_or_b32 exec_lo, exec_lo, s0
	s_wait_storecnt_dscnt 0x0
	s_barrier_signal -1
	s_barrier_wait -1
	s_clause 0x5
	scratch_load_b128 v[86:89], off, off offset:176
	scratch_load_b128 v[90:93], off, off offset:192
	;; [unrolled: 1-line block ×6, first 2 shown]
	ds_load_2addr_b64 v[110:113], v2 offset0:65 offset1:66
	ds_load_2addr_b64 v[114:117], v2 offset0:67 offset1:68
	s_mov_b32 s0, exec_lo
	s_wait_loadcnt_dscnt 0x501
	v_fma_f64 v[118:119], v[88:89], v[110:111], 0
	s_wait_loadcnt 0x4
	s_delay_alu instid0(VALU_DEP_1) | instskip(SKIP_4) | instid1(VALU_DEP_1)
	v_fmac_f64_e32 v[118:119], v[90:91], v[112:113]
	scratch_load_b128 v[88:91], off, off offset:272
	s_wait_dscnt 0x0
	v_fmac_f64_e32 v[118:119], v[92:93], v[114:115]
	s_wait_loadcnt 0x4
	v_fmac_f64_e32 v[118:119], v[94:95], v[116:117]
	scratch_load_b128 v[92:95], off, off offset:288
	ds_load_2addr_b64 v[110:113], v2 offset0:69 offset1:70
	ds_load_2addr_b64 v[114:117], v2 offset0:71 offset1:72
	s_wait_dscnt 0x1
	v_fmac_f64_e32 v[118:119], v[96:97], v[110:111]
	s_wait_loadcnt 0x4
	s_delay_alu instid0(VALU_DEP_1)
	v_fmac_f64_e32 v[118:119], v[98:99], v[112:113]
	scratch_load_b128 v[96:99], off, off offset:304
	s_wait_dscnt 0x0
	v_fmac_f64_e32 v[118:119], v[100:101], v[114:115]
	scratch_load_b64 v[114:115], off, off offset:320
	s_wait_loadcnt 0x5
	v_fmac_f64_e32 v[118:119], v[102:103], v[116:117]
	ds_load_2addr_b64 v[100:103], v2 offset0:73 offset1:74
	ds_load_2addr_b64 v[110:113], v2 offset0:75 offset1:76
	s_wait_dscnt 0x1
	v_fmac_f64_e32 v[118:119], v[104:105], v[100:101]
	s_wait_loadcnt 0x4
	s_delay_alu instid0(VALU_DEP_1)
	v_fmac_f64_e32 v[118:119], v[106:107], v[102:103]
	ds_load_2addr_b64 v[100:103], v2 offset0:77 offset1:78
	ds_load_2addr_b64 v[104:107], v2 offset0:79 offset1:80
	s_wait_dscnt 0x2
	v_fmac_f64_e32 v[118:119], v[108:109], v[110:111]
	s_wait_loadcnt 0x3
	s_delay_alu instid0(VALU_DEP_1) | instskip(SKIP_1) | instid1(VALU_DEP_1)
	v_fmac_f64_e32 v[118:119], v[88:89], v[112:113]
	s_wait_dscnt 0x1
	v_fmac_f64_e32 v[118:119], v[90:91], v[100:101]
	ds_load_2addr_b64 v[88:91], v2 offset0:81 offset1:82
	s_wait_loadcnt 0x2
	v_fmac_f64_e32 v[118:119], v[92:93], v[102:103]
	s_wait_dscnt 0x1
	s_delay_alu instid0(VALU_DEP_1) | instskip(SKIP_1) | instid1(VALU_DEP_1)
	v_fmac_f64_e32 v[118:119], v[94:95], v[104:105]
	s_wait_loadcnt 0x1
	v_fmac_f64_e32 v[118:119], v[96:97], v[106:107]
	s_wait_dscnt 0x0
	s_delay_alu instid0(VALU_DEP_1) | instskip(SKIP_1) | instid1(VALU_DEP_1)
	v_fmac_f64_e32 v[118:119], v[98:99], v[88:89]
	s_wait_loadcnt 0x0
	v_fmac_f64_e32 v[118:119], v[114:115], v[90:91]
	s_delay_alu instid0(VALU_DEP_1)
	v_add_f64_e64 v[2:3], v[86:87], -v[118:119]
	scratch_store_b64 off, v[2:3], off offset:176
	s_wait_xcnt 0x0
	v_cmpx_lt_u32_e32 21, v0
	s_cbranch_execz .LBB40_213
; %bb.212:
	scratch_load_b64 v[2:3], off, off offset:168
	v_mov_b64_e32 v[86:87], 0
	scratch_store_b64 off, v[86:87], off offset:168
	s_wait_loadcnt 0x0
	ds_store_b64 v1, v[2:3]
.LBB40_213:
	s_wait_xcnt 0x0
	s_or_b32 exec_lo, exec_lo, s0
	s_wait_storecnt_dscnt 0x0
	s_barrier_signal -1
	s_barrier_wait -1
	s_clause 0x5
	scratch_load_b128 v[86:89], off, off offset:168
	scratch_load_b128 v[90:93], off, off offset:184
	;; [unrolled: 1-line block ×6, first 2 shown]
	v_mov_b32_e32 v2, 0
	ds_load_b128 v[110:113], v2 offset:512
	ds_load_b128 v[114:117], v2 offset:528
	s_mov_b32 s0, exec_lo
	s_wait_loadcnt_dscnt 0x501
	v_fma_f64 v[118:119], v[88:89], v[110:111], 0
	s_wait_loadcnt 0x4
	s_delay_alu instid0(VALU_DEP_1) | instskip(SKIP_4) | instid1(VALU_DEP_1)
	v_fmac_f64_e32 v[118:119], v[90:91], v[112:113]
	scratch_load_b128 v[88:91], off, off offset:264
	s_wait_dscnt 0x0
	v_fmac_f64_e32 v[118:119], v[92:93], v[114:115]
	s_wait_loadcnt 0x4
	v_fmac_f64_e32 v[118:119], v[94:95], v[116:117]
	scratch_load_b128 v[92:95], off, off offset:280
	ds_load_b128 v[110:113], v2 offset:544
	ds_load_b128 v[114:117], v2 offset:560
	s_wait_dscnt 0x1
	v_fmac_f64_e32 v[118:119], v[96:97], v[110:111]
	s_wait_loadcnt 0x4
	s_delay_alu instid0(VALU_DEP_1) | instskip(SKIP_4) | instid1(VALU_DEP_1)
	v_fmac_f64_e32 v[118:119], v[98:99], v[112:113]
	scratch_load_b128 v[96:99], off, off offset:296
	s_wait_dscnt 0x0
	v_fmac_f64_e32 v[118:119], v[100:101], v[114:115]
	s_wait_loadcnt 0x4
	v_fmac_f64_e32 v[118:119], v[102:103], v[116:117]
	scratch_load_b128 v[100:103], off, off offset:312
	ds_load_b128 v[110:113], v2 offset:576
	ds_load_b128 v[114:117], v2 offset:592
	s_wait_dscnt 0x1
	v_fmac_f64_e32 v[118:119], v[104:105], v[110:111]
	s_wait_loadcnt 0x4
	s_delay_alu instid0(VALU_DEP_1) | instskip(SKIP_1) | instid1(VALU_DEP_1)
	v_fmac_f64_e32 v[118:119], v[106:107], v[112:113]
	s_wait_dscnt 0x0
	v_fmac_f64_e32 v[118:119], v[108:109], v[114:115]
	ds_load_b128 v[104:107], v2 offset:608
	ds_load_b128 v[108:111], v2 offset:624
	s_wait_loadcnt 0x3
	v_fmac_f64_e32 v[118:119], v[88:89], v[116:117]
	s_wait_dscnt 0x1
	s_delay_alu instid0(VALU_DEP_1) | instskip(SKIP_1) | instid1(VALU_DEP_1)
	v_fmac_f64_e32 v[118:119], v[90:91], v[104:105]
	s_wait_loadcnt 0x2
	v_fmac_f64_e32 v[118:119], v[92:93], v[106:107]
	ds_load_b128 v[88:91], v2 offset:640
	ds_load_b64 v[92:93], v2 offset:656
	s_wait_dscnt 0x2
	v_fmac_f64_e32 v[118:119], v[94:95], v[108:109]
	s_wait_loadcnt 0x1
	s_delay_alu instid0(VALU_DEP_1) | instskip(SKIP_1) | instid1(VALU_DEP_1)
	v_fmac_f64_e32 v[118:119], v[96:97], v[110:111]
	s_wait_dscnt 0x1
	v_fmac_f64_e32 v[118:119], v[98:99], v[88:89]
	s_wait_loadcnt 0x0
	s_delay_alu instid0(VALU_DEP_1) | instskip(SKIP_1) | instid1(VALU_DEP_1)
	v_fmac_f64_e32 v[118:119], v[100:101], v[90:91]
	s_wait_dscnt 0x0
	v_fmac_f64_e32 v[118:119], v[102:103], v[92:93]
	s_delay_alu instid0(VALU_DEP_1)
	v_add_f64_e64 v[86:87], v[86:87], -v[118:119]
	scratch_store_b64 off, v[86:87], off offset:168
	s_wait_xcnt 0x0
	v_cmpx_lt_u32_e32 20, v0
	s_cbranch_execz .LBB40_215
; %bb.214:
	scratch_load_b64 v[86:87], off, off offset:160
	v_mov_b64_e32 v[88:89], 0
	scratch_store_b64 off, v[88:89], off offset:160
	s_wait_loadcnt 0x0
	ds_store_b64 v1, v[86:87]
.LBB40_215:
	s_wait_xcnt 0x0
	s_or_b32 exec_lo, exec_lo, s0
	s_wait_storecnt_dscnt 0x0
	s_barrier_signal -1
	s_barrier_wait -1
	s_clause 0x5
	scratch_load_b128 v[86:89], off, off offset:160
	scratch_load_b128 v[90:93], off, off offset:176
	;; [unrolled: 1-line block ×6, first 2 shown]
	ds_load_2addr_b64 v[110:113], v2 offset0:63 offset1:64
	ds_load_2addr_b64 v[114:117], v2 offset0:65 offset1:66
	s_mov_b32 s0, exec_lo
	s_wait_loadcnt_dscnt 0x501
	v_fma_f64 v[118:119], v[88:89], v[110:111], 0
	s_wait_loadcnt 0x4
	s_delay_alu instid0(VALU_DEP_1) | instskip(SKIP_4) | instid1(VALU_DEP_1)
	v_fmac_f64_e32 v[118:119], v[90:91], v[112:113]
	scratch_load_b128 v[88:91], off, off offset:256
	s_wait_dscnt 0x0
	v_fmac_f64_e32 v[118:119], v[92:93], v[114:115]
	s_wait_loadcnt 0x4
	v_fmac_f64_e32 v[118:119], v[94:95], v[116:117]
	scratch_load_b128 v[92:95], off, off offset:272
	ds_load_2addr_b64 v[110:113], v2 offset0:67 offset1:68
	ds_load_2addr_b64 v[114:117], v2 offset0:69 offset1:70
	s_wait_dscnt 0x1
	v_fmac_f64_e32 v[118:119], v[96:97], v[110:111]
	s_wait_loadcnt 0x4
	s_delay_alu instid0(VALU_DEP_1) | instskip(SKIP_4) | instid1(VALU_DEP_1)
	v_fmac_f64_e32 v[118:119], v[98:99], v[112:113]
	scratch_load_b128 v[96:99], off, off offset:288
	s_wait_dscnt 0x0
	v_fmac_f64_e32 v[118:119], v[100:101], v[114:115]
	s_wait_loadcnt 0x4
	v_fmac_f64_e32 v[118:119], v[102:103], v[116:117]
	scratch_load_b128 v[100:103], off, off offset:304
	ds_load_2addr_b64 v[110:113], v2 offset0:71 offset1:72
	ds_load_2addr_b64 v[114:117], v2 offset0:73 offset1:74
	s_wait_dscnt 0x1
	v_fmac_f64_e32 v[118:119], v[104:105], v[110:111]
	s_wait_loadcnt 0x4
	s_delay_alu instid0(VALU_DEP_1)
	v_fmac_f64_e32 v[118:119], v[106:107], v[112:113]
	scratch_load_b64 v[112:113], off, off offset:320
	s_wait_dscnt 0x0
	v_fmac_f64_e32 v[118:119], v[108:109], v[114:115]
	ds_load_2addr_b64 v[104:107], v2 offset0:75 offset1:76
	ds_load_2addr_b64 v[108:111], v2 offset0:77 offset1:78
	s_wait_loadcnt 0x4
	v_fmac_f64_e32 v[118:119], v[88:89], v[116:117]
	s_wait_dscnt 0x1
	s_delay_alu instid0(VALU_DEP_1) | instskip(SKIP_1) | instid1(VALU_DEP_1)
	v_fmac_f64_e32 v[118:119], v[90:91], v[104:105]
	s_wait_loadcnt 0x3
	v_fmac_f64_e32 v[118:119], v[92:93], v[106:107]
	s_wait_dscnt 0x0
	s_delay_alu instid0(VALU_DEP_1)
	v_fmac_f64_e32 v[118:119], v[94:95], v[108:109]
	ds_load_2addr_b64 v[88:91], v2 offset0:79 offset1:80
	ds_load_2addr_b64 v[92:95], v2 offset0:81 offset1:82
	s_wait_loadcnt 0x2
	v_fmac_f64_e32 v[118:119], v[96:97], v[110:111]
	s_wait_dscnt 0x1
	s_delay_alu instid0(VALU_DEP_1) | instskip(SKIP_1) | instid1(VALU_DEP_1)
	v_fmac_f64_e32 v[118:119], v[98:99], v[88:89]
	s_wait_loadcnt 0x1
	v_fmac_f64_e32 v[118:119], v[100:101], v[90:91]
	s_wait_dscnt 0x0
	s_delay_alu instid0(VALU_DEP_1) | instskip(SKIP_1) | instid1(VALU_DEP_1)
	v_fmac_f64_e32 v[118:119], v[102:103], v[92:93]
	s_wait_loadcnt 0x0
	v_fmac_f64_e32 v[118:119], v[112:113], v[94:95]
	s_delay_alu instid0(VALU_DEP_1)
	v_add_f64_e64 v[2:3], v[86:87], -v[118:119]
	scratch_store_b64 off, v[2:3], off offset:160
	s_wait_xcnt 0x0
	v_cmpx_lt_u32_e32 19, v0
	s_cbranch_execz .LBB40_217
; %bb.216:
	scratch_load_b64 v[2:3], off, off offset:152
	v_mov_b64_e32 v[86:87], 0
	scratch_store_b64 off, v[86:87], off offset:152
	s_wait_loadcnt 0x0
	ds_store_b64 v1, v[2:3]
.LBB40_217:
	s_wait_xcnt 0x0
	s_or_b32 exec_lo, exec_lo, s0
	s_wait_storecnt_dscnt 0x0
	s_barrier_signal -1
	s_barrier_wait -1
	s_clause 0x5
	scratch_load_b128 v[86:89], off, off offset:152
	scratch_load_b128 v[90:93], off, off offset:168
	;; [unrolled: 1-line block ×6, first 2 shown]
	v_mov_b32_e32 v2, 0
	ds_load_b128 v[110:113], v2 offset:496
	ds_load_b128 v[114:117], v2 offset:512
	s_mov_b32 s0, exec_lo
	s_wait_loadcnt_dscnt 0x501
	v_fma_f64 v[118:119], v[88:89], v[110:111], 0
	s_wait_loadcnt 0x4
	s_delay_alu instid0(VALU_DEP_1) | instskip(SKIP_4) | instid1(VALU_DEP_1)
	v_fmac_f64_e32 v[118:119], v[90:91], v[112:113]
	scratch_load_b128 v[88:91], off, off offset:248
	s_wait_dscnt 0x0
	v_fmac_f64_e32 v[118:119], v[92:93], v[114:115]
	s_wait_loadcnt 0x4
	v_fmac_f64_e32 v[118:119], v[94:95], v[116:117]
	scratch_load_b128 v[92:95], off, off offset:264
	ds_load_b128 v[110:113], v2 offset:528
	ds_load_b128 v[114:117], v2 offset:544
	s_wait_dscnt 0x1
	v_fmac_f64_e32 v[118:119], v[96:97], v[110:111]
	s_wait_loadcnt 0x4
	s_delay_alu instid0(VALU_DEP_1) | instskip(SKIP_4) | instid1(VALU_DEP_1)
	v_fmac_f64_e32 v[118:119], v[98:99], v[112:113]
	scratch_load_b128 v[96:99], off, off offset:280
	s_wait_dscnt 0x0
	v_fmac_f64_e32 v[118:119], v[100:101], v[114:115]
	s_wait_loadcnt 0x4
	v_fmac_f64_e32 v[118:119], v[102:103], v[116:117]
	scratch_load_b128 v[100:103], off, off offset:296
	ds_load_b128 v[110:113], v2 offset:560
	ds_load_b128 v[114:117], v2 offset:576
	s_wait_dscnt 0x1
	v_fmac_f64_e32 v[118:119], v[104:105], v[110:111]
	s_wait_loadcnt 0x4
	s_delay_alu instid0(VALU_DEP_1)
	v_fmac_f64_e32 v[118:119], v[106:107], v[112:113]
	scratch_load_b128 v[104:107], off, off offset:312
	s_wait_dscnt 0x0
	v_fmac_f64_e32 v[118:119], v[108:109], v[114:115]
	ds_load_b128 v[108:111], v2 offset:592
	ds_load_b128 v[112:115], v2 offset:608
	s_wait_loadcnt 0x4
	v_fmac_f64_e32 v[118:119], v[88:89], v[116:117]
	s_wait_dscnt 0x1
	s_delay_alu instid0(VALU_DEP_1) | instskip(SKIP_1) | instid1(VALU_DEP_1)
	v_fmac_f64_e32 v[118:119], v[90:91], v[108:109]
	s_wait_loadcnt 0x3
	v_fmac_f64_e32 v[118:119], v[92:93], v[110:111]
	s_wait_dscnt 0x0
	s_delay_alu instid0(VALU_DEP_1)
	v_fmac_f64_e32 v[118:119], v[94:95], v[112:113]
	ds_load_b128 v[88:91], v2 offset:624
	ds_load_b128 v[92:95], v2 offset:640
	s_wait_loadcnt 0x2
	v_fmac_f64_e32 v[118:119], v[96:97], v[114:115]
	s_wait_dscnt 0x1
	s_delay_alu instid0(VALU_DEP_1) | instskip(SKIP_4) | instid1(VALU_DEP_1)
	v_fmac_f64_e32 v[118:119], v[98:99], v[88:89]
	ds_load_b64 v[88:89], v2 offset:656
	s_wait_loadcnt 0x1
	v_fmac_f64_e32 v[118:119], v[100:101], v[90:91]
	s_wait_dscnt 0x1
	v_fmac_f64_e32 v[118:119], v[102:103], v[92:93]
	s_wait_loadcnt 0x0
	s_delay_alu instid0(VALU_DEP_1) | instskip(SKIP_1) | instid1(VALU_DEP_1)
	v_fmac_f64_e32 v[118:119], v[104:105], v[94:95]
	s_wait_dscnt 0x0
	v_fmac_f64_e32 v[118:119], v[106:107], v[88:89]
	s_delay_alu instid0(VALU_DEP_1)
	v_add_f64_e64 v[86:87], v[86:87], -v[118:119]
	scratch_store_b64 off, v[86:87], off offset:152
	s_wait_xcnt 0x0
	v_cmpx_lt_u32_e32 18, v0
	s_cbranch_execz .LBB40_219
; %bb.218:
	scratch_load_b64 v[86:87], off, off offset:144
	v_mov_b64_e32 v[88:89], 0
	scratch_store_b64 off, v[88:89], off offset:144
	s_wait_loadcnt 0x0
	ds_store_b64 v1, v[86:87]
.LBB40_219:
	s_wait_xcnt 0x0
	s_or_b32 exec_lo, exec_lo, s0
	s_wait_storecnt_dscnt 0x0
	s_barrier_signal -1
	s_barrier_wait -1
	s_clause 0x5
	scratch_load_b128 v[86:89], off, off offset:144
	scratch_load_b128 v[90:93], off, off offset:160
	;; [unrolled: 1-line block ×6, first 2 shown]
	ds_load_2addr_b64 v[110:113], v2 offset0:61 offset1:62
	ds_load_2addr_b64 v[114:117], v2 offset0:63 offset1:64
	scratch_load_b128 v[118:121], off, off offset:240
	s_mov_b32 s0, exec_lo
	s_wait_loadcnt_dscnt 0x601
	v_fma_f64 v[122:123], v[88:89], v[110:111], 0
	s_wait_loadcnt 0x5
	s_delay_alu instid0(VALU_DEP_1) | instskip(SKIP_4) | instid1(VALU_DEP_1)
	v_fmac_f64_e32 v[122:123], v[90:91], v[112:113]
	scratch_load_b128 v[88:91], off, off offset:256
	s_wait_dscnt 0x0
	v_fmac_f64_e32 v[122:123], v[92:93], v[114:115]
	s_wait_loadcnt 0x5
	v_fmac_f64_e32 v[122:123], v[94:95], v[116:117]
	ds_load_2addr_b64 v[92:95], v2 offset0:65 offset1:66
	ds_load_2addr_b64 v[110:113], v2 offset0:67 offset1:68
	s_wait_dscnt 0x1
	v_fmac_f64_e32 v[122:123], v[96:97], v[92:93]
	s_wait_loadcnt 0x4
	s_delay_alu instid0(VALU_DEP_1)
	v_fmac_f64_e32 v[122:123], v[98:99], v[94:95]
	s_clause 0x1
	scratch_load_b128 v[92:95], off, off offset:272
	scratch_load_b128 v[96:99], off, off offset:288
	s_wait_dscnt 0x0
	v_fmac_f64_e32 v[122:123], v[100:101], v[110:111]
	s_wait_loadcnt 0x5
	s_delay_alu instid0(VALU_DEP_1)
	v_fmac_f64_e32 v[122:123], v[102:103], v[112:113]
	ds_load_2addr_b64 v[100:103], v2 offset0:69 offset1:70
	ds_load_2addr_b64 v[110:113], v2 offset0:71 offset1:72
	s_wait_dscnt 0x1
	v_fmac_f64_e32 v[122:123], v[104:105], v[100:101]
	s_wait_loadcnt 0x4
	s_delay_alu instid0(VALU_DEP_1) | instskip(SKIP_4) | instid1(VALU_DEP_1)
	v_fmac_f64_e32 v[122:123], v[106:107], v[102:103]
	scratch_load_b128 v[100:103], off, off offset:304
	s_wait_dscnt 0x0
	v_fmac_f64_e32 v[122:123], v[108:109], v[110:111]
	s_wait_loadcnt 0x4
	v_fmac_f64_e32 v[122:123], v[118:119], v[112:113]
	scratch_load_b64 v[112:113], off, off offset:320
	ds_load_2addr_b64 v[104:107], v2 offset0:73 offset1:74
	ds_load_2addr_b64 v[108:111], v2 offset0:75 offset1:76
	s_wait_dscnt 0x1
	v_fmac_f64_e32 v[122:123], v[120:121], v[104:105]
	s_wait_loadcnt 0x4
	s_delay_alu instid0(VALU_DEP_1) | instskip(SKIP_1) | instid1(VALU_DEP_1)
	v_fmac_f64_e32 v[122:123], v[88:89], v[106:107]
	s_wait_dscnt 0x0
	v_fmac_f64_e32 v[122:123], v[90:91], v[108:109]
	ds_load_2addr_b64 v[88:91], v2 offset0:77 offset1:78
	ds_load_2addr_b64 v[104:107], v2 offset0:79 offset1:80
	s_wait_loadcnt 0x3
	v_fmac_f64_e32 v[122:123], v[92:93], v[110:111]
	s_wait_dscnt 0x1
	s_delay_alu instid0(VALU_DEP_1) | instskip(SKIP_1) | instid1(VALU_DEP_1)
	v_fmac_f64_e32 v[122:123], v[94:95], v[88:89]
	s_wait_loadcnt 0x2
	v_fmac_f64_e32 v[122:123], v[96:97], v[90:91]
	ds_load_2addr_b64 v[88:91], v2 offset0:81 offset1:82
	s_wait_dscnt 0x1
	v_fmac_f64_e32 v[122:123], v[98:99], v[104:105]
	s_wait_loadcnt 0x1
	s_delay_alu instid0(VALU_DEP_1) | instskip(SKIP_1) | instid1(VALU_DEP_1)
	v_fmac_f64_e32 v[122:123], v[100:101], v[106:107]
	s_wait_dscnt 0x0
	v_fmac_f64_e32 v[122:123], v[102:103], v[88:89]
	s_wait_loadcnt 0x0
	s_delay_alu instid0(VALU_DEP_1) | instskip(NEXT) | instid1(VALU_DEP_1)
	v_fmac_f64_e32 v[122:123], v[112:113], v[90:91]
	v_add_f64_e64 v[2:3], v[86:87], -v[122:123]
	scratch_store_b64 off, v[2:3], off offset:144
	s_wait_xcnt 0x0
	v_cmpx_lt_u32_e32 17, v0
	s_cbranch_execz .LBB40_221
; %bb.220:
	scratch_load_b64 v[2:3], off, off offset:136
	v_mov_b64_e32 v[86:87], 0
	scratch_store_b64 off, v[86:87], off offset:136
	s_wait_loadcnt 0x0
	ds_store_b64 v1, v[2:3]
.LBB40_221:
	s_wait_xcnt 0x0
	s_or_b32 exec_lo, exec_lo, s0
	s_wait_storecnt_dscnt 0x0
	s_barrier_signal -1
	s_barrier_wait -1
	s_clause 0x5
	scratch_load_b128 v[86:89], off, off offset:136
	scratch_load_b128 v[90:93], off, off offset:152
	;; [unrolled: 1-line block ×6, first 2 shown]
	v_mov_b32_e32 v2, 0
	ds_load_b128 v[110:113], v2 offset:480
	ds_load_b128 v[114:117], v2 offset:496
	scratch_load_b128 v[118:121], off, off offset:232
	s_mov_b32 s0, exec_lo
	s_wait_loadcnt_dscnt 0x601
	v_fma_f64 v[122:123], v[88:89], v[110:111], 0
	s_wait_loadcnt 0x5
	s_delay_alu instid0(VALU_DEP_1) | instskip(SKIP_4) | instid1(VALU_DEP_1)
	v_fmac_f64_e32 v[122:123], v[90:91], v[112:113]
	scratch_load_b128 v[88:91], off, off offset:248
	s_wait_dscnt 0x0
	v_fmac_f64_e32 v[122:123], v[92:93], v[114:115]
	s_wait_loadcnt 0x5
	v_fmac_f64_e32 v[122:123], v[94:95], v[116:117]
	ds_load_b128 v[92:95], v2 offset:512
	ds_load_b128 v[110:113], v2 offset:528
	s_wait_dscnt 0x1
	v_fmac_f64_e32 v[122:123], v[96:97], v[92:93]
	s_wait_loadcnt 0x4
	s_delay_alu instid0(VALU_DEP_1)
	v_fmac_f64_e32 v[122:123], v[98:99], v[94:95]
	s_clause 0x1
	scratch_load_b128 v[92:95], off, off offset:264
	scratch_load_b128 v[96:99], off, off offset:280
	s_wait_dscnt 0x0
	v_fmac_f64_e32 v[122:123], v[100:101], v[110:111]
	s_wait_loadcnt 0x5
	s_delay_alu instid0(VALU_DEP_1)
	v_fmac_f64_e32 v[122:123], v[102:103], v[112:113]
	ds_load_b128 v[100:103], v2 offset:544
	ds_load_b128 v[110:113], v2 offset:560
	s_wait_dscnt 0x1
	v_fmac_f64_e32 v[122:123], v[104:105], v[100:101]
	s_wait_loadcnt 0x4
	s_delay_alu instid0(VALU_DEP_1)
	v_fmac_f64_e32 v[122:123], v[106:107], v[102:103]
	s_clause 0x1
	scratch_load_b128 v[100:103], off, off offset:296
	scratch_load_b128 v[104:107], off, off offset:312
	s_wait_dscnt 0x0
	v_fmac_f64_e32 v[122:123], v[108:109], v[110:111]
	s_wait_loadcnt 0x5
	s_delay_alu instid0(VALU_DEP_1)
	v_fmac_f64_e32 v[122:123], v[118:119], v[112:113]
	ds_load_b128 v[108:111], v2 offset:576
	ds_load_b128 v[112:115], v2 offset:592
	s_wait_dscnt 0x1
	v_fmac_f64_e32 v[122:123], v[120:121], v[108:109]
	s_wait_loadcnt 0x4
	s_delay_alu instid0(VALU_DEP_1) | instskip(SKIP_1) | instid1(VALU_DEP_1)
	v_fmac_f64_e32 v[122:123], v[88:89], v[110:111]
	s_wait_dscnt 0x0
	v_fmac_f64_e32 v[122:123], v[90:91], v[112:113]
	ds_load_b128 v[88:91], v2 offset:608
	ds_load_b128 v[108:111], v2 offset:624
	s_wait_loadcnt 0x3
	v_fmac_f64_e32 v[122:123], v[92:93], v[114:115]
	s_wait_dscnt 0x1
	s_delay_alu instid0(VALU_DEP_1) | instskip(SKIP_1) | instid1(VALU_DEP_1)
	v_fmac_f64_e32 v[122:123], v[94:95], v[88:89]
	s_wait_loadcnt 0x2
	v_fmac_f64_e32 v[122:123], v[96:97], v[90:91]
	ds_load_b128 v[88:91], v2 offset:640
	ds_load_b64 v[92:93], v2 offset:656
	s_wait_dscnt 0x2
	v_fmac_f64_e32 v[122:123], v[98:99], v[108:109]
	s_wait_loadcnt 0x1
	s_delay_alu instid0(VALU_DEP_1) | instskip(SKIP_1) | instid1(VALU_DEP_1)
	v_fmac_f64_e32 v[122:123], v[100:101], v[110:111]
	s_wait_dscnt 0x1
	v_fmac_f64_e32 v[122:123], v[102:103], v[88:89]
	s_wait_loadcnt 0x0
	s_delay_alu instid0(VALU_DEP_1) | instskip(SKIP_1) | instid1(VALU_DEP_1)
	v_fmac_f64_e32 v[122:123], v[104:105], v[90:91]
	s_wait_dscnt 0x0
	v_fmac_f64_e32 v[122:123], v[106:107], v[92:93]
	s_delay_alu instid0(VALU_DEP_1)
	v_add_f64_e64 v[86:87], v[86:87], -v[122:123]
	scratch_store_b64 off, v[86:87], off offset:136
	s_wait_xcnt 0x0
	v_cmpx_lt_u32_e32 16, v0
	s_cbranch_execz .LBB40_223
; %bb.222:
	scratch_load_b64 v[86:87], off, off offset:128
	v_mov_b64_e32 v[88:89], 0
	scratch_store_b64 off, v[88:89], off offset:128
	s_wait_loadcnt 0x0
	ds_store_b64 v1, v[86:87]
.LBB40_223:
	s_wait_xcnt 0x0
	s_or_b32 exec_lo, exec_lo, s0
	s_wait_storecnt_dscnt 0x0
	s_barrier_signal -1
	s_barrier_wait -1
	s_clause 0x5
	scratch_load_b128 v[86:89], off, off offset:128
	scratch_load_b128 v[90:93], off, off offset:144
	;; [unrolled: 1-line block ×6, first 2 shown]
	ds_load_2addr_b64 v[110:113], v2 offset0:59 offset1:60
	ds_load_2addr_b64 v[114:117], v2 offset0:61 offset1:62
	scratch_load_b128 v[118:121], off, off offset:224
	s_mov_b32 s0, exec_lo
	s_wait_loadcnt_dscnt 0x601
	v_fma_f64 v[122:123], v[88:89], v[110:111], 0
	s_wait_loadcnt 0x5
	s_delay_alu instid0(VALU_DEP_1) | instskip(SKIP_4) | instid1(VALU_DEP_1)
	v_fmac_f64_e32 v[122:123], v[90:91], v[112:113]
	scratch_load_b128 v[88:91], off, off offset:240
	s_wait_dscnt 0x0
	v_fmac_f64_e32 v[122:123], v[92:93], v[114:115]
	s_wait_loadcnt 0x5
	v_fmac_f64_e32 v[122:123], v[94:95], v[116:117]
	ds_load_2addr_b64 v[92:95], v2 offset0:63 offset1:64
	ds_load_2addr_b64 v[110:113], v2 offset0:65 offset1:66
	s_wait_dscnt 0x1
	v_fmac_f64_e32 v[122:123], v[96:97], v[92:93]
	s_wait_loadcnt 0x4
	s_delay_alu instid0(VALU_DEP_1)
	v_fmac_f64_e32 v[122:123], v[98:99], v[94:95]
	s_clause 0x1
	scratch_load_b128 v[92:95], off, off offset:256
	scratch_load_b128 v[96:99], off, off offset:272
	s_wait_dscnt 0x0
	v_fmac_f64_e32 v[122:123], v[100:101], v[110:111]
	s_wait_loadcnt 0x5
	s_delay_alu instid0(VALU_DEP_1)
	v_fmac_f64_e32 v[122:123], v[102:103], v[112:113]
	ds_load_2addr_b64 v[100:103], v2 offset0:67 offset1:68
	ds_load_2addr_b64 v[110:113], v2 offset0:69 offset1:70
	s_wait_dscnt 0x1
	v_fmac_f64_e32 v[122:123], v[104:105], v[100:101]
	s_wait_loadcnt 0x4
	s_delay_alu instid0(VALU_DEP_1)
	v_fmac_f64_e32 v[122:123], v[106:107], v[102:103]
	s_clause 0x1
	scratch_load_b128 v[100:103], off, off offset:288
	scratch_load_b128 v[104:107], off, off offset:304
	s_wait_dscnt 0x0
	v_fmac_f64_e32 v[122:123], v[108:109], v[110:111]
	s_wait_loadcnt 0x5
	s_delay_alu instid0(VALU_DEP_1)
	v_fmac_f64_e32 v[122:123], v[118:119], v[112:113]
	ds_load_2addr_b64 v[108:111], v2 offset0:71 offset1:72
	ds_load_2addr_b64 v[112:115], v2 offset0:73 offset1:74
	scratch_load_b64 v[116:117], off, off offset:320
	s_wait_dscnt 0x1
	v_fmac_f64_e32 v[122:123], v[120:121], v[108:109]
	s_wait_loadcnt 0x5
	s_delay_alu instid0(VALU_DEP_1) | instskip(SKIP_1) | instid1(VALU_DEP_1)
	v_fmac_f64_e32 v[122:123], v[88:89], v[110:111]
	s_wait_dscnt 0x0
	v_fmac_f64_e32 v[122:123], v[90:91], v[112:113]
	ds_load_2addr_b64 v[88:91], v2 offset0:75 offset1:76
	ds_load_2addr_b64 v[108:111], v2 offset0:77 offset1:78
	s_wait_loadcnt 0x4
	v_fmac_f64_e32 v[122:123], v[92:93], v[114:115]
	s_wait_dscnt 0x1
	s_delay_alu instid0(VALU_DEP_1) | instskip(SKIP_1) | instid1(VALU_DEP_1)
	v_fmac_f64_e32 v[122:123], v[94:95], v[88:89]
	s_wait_loadcnt 0x3
	v_fmac_f64_e32 v[122:123], v[96:97], v[90:91]
	ds_load_2addr_b64 v[88:91], v2 offset0:79 offset1:80
	ds_load_2addr_b64 v[92:95], v2 offset0:81 offset1:82
	s_wait_dscnt 0x2
	v_fmac_f64_e32 v[122:123], v[98:99], v[108:109]
	s_wait_loadcnt 0x2
	s_delay_alu instid0(VALU_DEP_1) | instskip(SKIP_1) | instid1(VALU_DEP_1)
	v_fmac_f64_e32 v[122:123], v[100:101], v[110:111]
	s_wait_dscnt 0x1
	v_fmac_f64_e32 v[122:123], v[102:103], v[88:89]
	s_wait_loadcnt 0x1
	s_delay_alu instid0(VALU_DEP_1) | instskip(SKIP_1) | instid1(VALU_DEP_1)
	v_fmac_f64_e32 v[122:123], v[104:105], v[90:91]
	s_wait_dscnt 0x0
	v_fmac_f64_e32 v[122:123], v[106:107], v[92:93]
	s_wait_loadcnt 0x0
	s_delay_alu instid0(VALU_DEP_1) | instskip(NEXT) | instid1(VALU_DEP_1)
	v_fmac_f64_e32 v[122:123], v[116:117], v[94:95]
	v_add_f64_e64 v[2:3], v[86:87], -v[122:123]
	scratch_store_b64 off, v[2:3], off offset:128
	s_wait_xcnt 0x0
	v_cmpx_lt_u32_e32 15, v0
	s_cbranch_execz .LBB40_225
; %bb.224:
	scratch_load_b64 v[2:3], off, off offset:120
	v_mov_b64_e32 v[86:87], 0
	scratch_store_b64 off, v[86:87], off offset:120
	s_wait_loadcnt 0x0
	ds_store_b64 v1, v[2:3]
.LBB40_225:
	s_wait_xcnt 0x0
	s_or_b32 exec_lo, exec_lo, s0
	s_wait_storecnt_dscnt 0x0
	s_barrier_signal -1
	s_barrier_wait -1
	s_clause 0x5
	scratch_load_b128 v[86:89], off, off offset:120
	scratch_load_b128 v[90:93], off, off offset:136
	;; [unrolled: 1-line block ×6, first 2 shown]
	v_mov_b32_e32 v2, 0
	ds_load_b128 v[110:113], v2 offset:464
	ds_load_b128 v[114:117], v2 offset:480
	scratch_load_b128 v[118:121], off, off offset:216
	s_mov_b32 s0, exec_lo
	s_wait_loadcnt_dscnt 0x601
	v_fma_f64 v[122:123], v[88:89], v[110:111], 0
	s_wait_loadcnt 0x5
	s_delay_alu instid0(VALU_DEP_1) | instskip(SKIP_4) | instid1(VALU_DEP_1)
	v_fmac_f64_e32 v[122:123], v[90:91], v[112:113]
	scratch_load_b128 v[88:91], off, off offset:232
	s_wait_dscnt 0x0
	v_fmac_f64_e32 v[122:123], v[92:93], v[114:115]
	s_wait_loadcnt 0x5
	v_fmac_f64_e32 v[122:123], v[94:95], v[116:117]
	ds_load_b128 v[92:95], v2 offset:496
	ds_load_b128 v[110:113], v2 offset:512
	s_wait_dscnt 0x1
	v_fmac_f64_e32 v[122:123], v[96:97], v[92:93]
	s_wait_loadcnt 0x4
	s_delay_alu instid0(VALU_DEP_1)
	v_fmac_f64_e32 v[122:123], v[98:99], v[94:95]
	s_clause 0x1
	scratch_load_b128 v[92:95], off, off offset:248
	scratch_load_b128 v[96:99], off, off offset:264
	s_wait_dscnt 0x0
	v_fmac_f64_e32 v[122:123], v[100:101], v[110:111]
	s_wait_loadcnt 0x5
	s_delay_alu instid0(VALU_DEP_1)
	v_fmac_f64_e32 v[122:123], v[102:103], v[112:113]
	ds_load_b128 v[100:103], v2 offset:528
	ds_load_b128 v[110:113], v2 offset:544
	s_wait_dscnt 0x1
	v_fmac_f64_e32 v[122:123], v[104:105], v[100:101]
	s_wait_loadcnt 0x4
	s_delay_alu instid0(VALU_DEP_1)
	v_fmac_f64_e32 v[122:123], v[106:107], v[102:103]
	s_clause 0x1
	scratch_load_b128 v[100:103], off, off offset:280
	scratch_load_b128 v[104:107], off, off offset:296
	s_wait_dscnt 0x0
	v_fmac_f64_e32 v[122:123], v[108:109], v[110:111]
	s_wait_loadcnt 0x5
	s_delay_alu instid0(VALU_DEP_1)
	v_fmac_f64_e32 v[122:123], v[118:119], v[112:113]
	ds_load_b128 v[108:111], v2 offset:560
	ds_load_b128 v[112:115], v2 offset:576
	s_wait_dscnt 0x1
	v_fmac_f64_e32 v[122:123], v[120:121], v[108:109]
	s_wait_loadcnt 0x4
	s_delay_alu instid0(VALU_DEP_1) | instskip(SKIP_4) | instid1(VALU_DEP_1)
	v_fmac_f64_e32 v[122:123], v[88:89], v[110:111]
	scratch_load_b128 v[108:111], off, off offset:312
	s_wait_dscnt 0x0
	v_fmac_f64_e32 v[122:123], v[90:91], v[112:113]
	s_wait_loadcnt 0x4
	v_fmac_f64_e32 v[122:123], v[92:93], v[114:115]
	ds_load_b128 v[88:91], v2 offset:592
	ds_load_b128 v[112:115], v2 offset:608
	s_wait_dscnt 0x1
	v_fmac_f64_e32 v[122:123], v[94:95], v[88:89]
	s_wait_loadcnt 0x3
	s_delay_alu instid0(VALU_DEP_1)
	v_fmac_f64_e32 v[122:123], v[96:97], v[90:91]
	ds_load_b128 v[88:91], v2 offset:624
	ds_load_b128 v[92:95], v2 offset:640
	s_wait_dscnt 0x2
	v_fmac_f64_e32 v[122:123], v[98:99], v[112:113]
	s_wait_loadcnt 0x2
	s_delay_alu instid0(VALU_DEP_1) | instskip(SKIP_1) | instid1(VALU_DEP_1)
	v_fmac_f64_e32 v[122:123], v[100:101], v[114:115]
	s_wait_dscnt 0x1
	v_fmac_f64_e32 v[122:123], v[102:103], v[88:89]
	ds_load_b64 v[88:89], v2 offset:656
	s_wait_loadcnt 0x1
	v_fmac_f64_e32 v[122:123], v[104:105], v[90:91]
	s_wait_dscnt 0x1
	s_delay_alu instid0(VALU_DEP_1) | instskip(SKIP_1) | instid1(VALU_DEP_1)
	v_fmac_f64_e32 v[122:123], v[106:107], v[92:93]
	s_wait_loadcnt 0x0
	v_fmac_f64_e32 v[122:123], v[108:109], v[94:95]
	s_wait_dscnt 0x0
	s_delay_alu instid0(VALU_DEP_1) | instskip(NEXT) | instid1(VALU_DEP_1)
	v_fmac_f64_e32 v[122:123], v[110:111], v[88:89]
	v_add_f64_e64 v[86:87], v[86:87], -v[122:123]
	scratch_store_b64 off, v[86:87], off offset:120
	s_wait_xcnt 0x0
	v_cmpx_lt_u32_e32 14, v0
	s_cbranch_execz .LBB40_227
; %bb.226:
	scratch_load_b64 v[86:87], off, off offset:112
	v_mov_b64_e32 v[88:89], 0
	scratch_store_b64 off, v[88:89], off offset:112
	s_wait_loadcnt 0x0
	ds_store_b64 v1, v[86:87]
.LBB40_227:
	s_wait_xcnt 0x0
	s_or_b32 exec_lo, exec_lo, s0
	s_wait_storecnt_dscnt 0x0
	s_barrier_signal -1
	s_barrier_wait -1
	s_clause 0x5
	scratch_load_b128 v[86:89], off, off offset:112
	scratch_load_b128 v[90:93], off, off offset:128
	;; [unrolled: 1-line block ×6, first 2 shown]
	ds_load_2addr_b64 v[110:113], v2 offset0:57 offset1:58
	ds_load_2addr_b64 v[114:117], v2 offset0:59 offset1:60
	scratch_load_b128 v[118:121], off, off offset:208
	s_mov_b32 s0, exec_lo
	s_wait_loadcnt_dscnt 0x601
	v_fma_f64 v[122:123], v[88:89], v[110:111], 0
	s_wait_loadcnt 0x5
	s_delay_alu instid0(VALU_DEP_1) | instskip(SKIP_4) | instid1(VALU_DEP_1)
	v_fmac_f64_e32 v[122:123], v[90:91], v[112:113]
	scratch_load_b128 v[88:91], off, off offset:224
	s_wait_dscnt 0x0
	v_fmac_f64_e32 v[122:123], v[92:93], v[114:115]
	s_wait_loadcnt 0x5
	v_fmac_f64_e32 v[122:123], v[94:95], v[116:117]
	ds_load_2addr_b64 v[92:95], v2 offset0:61 offset1:62
	ds_load_2addr_b64 v[110:113], v2 offset0:63 offset1:64
	scratch_load_b128 v[114:117], off, off offset:240
	s_wait_dscnt 0x1
	v_fmac_f64_e32 v[122:123], v[96:97], v[92:93]
	s_wait_loadcnt 0x5
	s_delay_alu instid0(VALU_DEP_1) | instskip(SKIP_4) | instid1(VALU_DEP_1)
	v_fmac_f64_e32 v[122:123], v[98:99], v[94:95]
	scratch_load_b128 v[92:95], off, off offset:256
	s_wait_dscnt 0x0
	v_fmac_f64_e32 v[122:123], v[100:101], v[110:111]
	s_wait_loadcnt 0x5
	v_fmac_f64_e32 v[122:123], v[102:103], v[112:113]
	ds_load_2addr_b64 v[96:99], v2 offset0:65 offset1:66
	ds_load_2addr_b64 v[100:103], v2 offset0:67 offset1:68
	s_wait_dscnt 0x1
	v_fmac_f64_e32 v[122:123], v[104:105], v[96:97]
	s_wait_loadcnt 0x4
	s_delay_alu instid0(VALU_DEP_1) | instskip(SKIP_4) | instid1(VALU_DEP_1)
	v_fmac_f64_e32 v[122:123], v[106:107], v[98:99]
	scratch_load_b128 v[96:99], off, off offset:272
	s_wait_dscnt 0x0
	v_fmac_f64_e32 v[122:123], v[108:109], v[100:101]
	s_wait_loadcnt 0x4
	v_fmac_f64_e32 v[122:123], v[118:119], v[102:103]
	scratch_load_b128 v[100:103], off, off offset:288
	ds_load_2addr_b64 v[104:107], v2 offset0:69 offset1:70
	ds_load_2addr_b64 v[108:111], v2 offset0:71 offset1:72
	scratch_load_b64 v[112:113], off, off offset:320
	s_wait_dscnt 0x1
	v_fmac_f64_e32 v[122:123], v[120:121], v[104:105]
	s_wait_loadcnt 0x5
	s_delay_alu instid0(VALU_DEP_1) | instskip(SKIP_4) | instid1(VALU_DEP_1)
	v_fmac_f64_e32 v[122:123], v[88:89], v[106:107]
	scratch_load_b128 v[104:107], off, off offset:304
	s_wait_dscnt 0x0
	v_fmac_f64_e32 v[122:123], v[90:91], v[108:109]
	s_wait_loadcnt 0x5
	v_fmac_f64_e32 v[122:123], v[114:115], v[110:111]
	ds_load_2addr_b64 v[88:91], v2 offset0:73 offset1:74
	ds_load_2addr_b64 v[108:111], v2 offset0:75 offset1:76
	s_wait_dscnt 0x1
	v_fmac_f64_e32 v[122:123], v[116:117], v[88:89]
	s_wait_loadcnt 0x4
	s_delay_alu instid0(VALU_DEP_1) | instskip(SKIP_1) | instid1(VALU_DEP_1)
	v_fmac_f64_e32 v[122:123], v[92:93], v[90:91]
	s_wait_dscnt 0x0
	v_fmac_f64_e32 v[122:123], v[94:95], v[108:109]
	ds_load_2addr_b64 v[88:91], v2 offset0:77 offset1:78
	ds_load_2addr_b64 v[92:95], v2 offset0:79 offset1:80
	s_wait_loadcnt 0x3
	v_fmac_f64_e32 v[122:123], v[96:97], v[110:111]
	s_wait_dscnt 0x1
	s_delay_alu instid0(VALU_DEP_1) | instskip(SKIP_1) | instid1(VALU_DEP_1)
	v_fmac_f64_e32 v[122:123], v[98:99], v[88:89]
	s_wait_loadcnt 0x2
	v_fmac_f64_e32 v[122:123], v[100:101], v[90:91]
	ds_load_2addr_b64 v[88:91], v2 offset0:81 offset1:82
	s_wait_dscnt 0x1
	v_fmac_f64_e32 v[122:123], v[102:103], v[92:93]
	s_wait_loadcnt 0x0
	s_delay_alu instid0(VALU_DEP_1) | instskip(SKIP_1) | instid1(VALU_DEP_1)
	v_fmac_f64_e32 v[122:123], v[104:105], v[94:95]
	s_wait_dscnt 0x0
	v_fmac_f64_e32 v[122:123], v[106:107], v[88:89]
	s_delay_alu instid0(VALU_DEP_1) | instskip(NEXT) | instid1(VALU_DEP_1)
	v_fmac_f64_e32 v[122:123], v[112:113], v[90:91]
	v_add_f64_e64 v[2:3], v[86:87], -v[122:123]
	scratch_store_b64 off, v[2:3], off offset:112
	s_wait_xcnt 0x0
	v_cmpx_lt_u32_e32 13, v0
	s_cbranch_execz .LBB40_229
; %bb.228:
	scratch_load_b64 v[2:3], off, off offset:104
	v_mov_b64_e32 v[86:87], 0
	scratch_store_b64 off, v[86:87], off offset:104
	s_wait_loadcnt 0x0
	ds_store_b64 v1, v[2:3]
.LBB40_229:
	s_wait_xcnt 0x0
	s_or_b32 exec_lo, exec_lo, s0
	s_wait_storecnt_dscnt 0x0
	s_barrier_signal -1
	s_barrier_wait -1
	s_clause 0x5
	scratch_load_b128 v[86:89], off, off offset:104
	scratch_load_b128 v[90:93], off, off offset:120
	;; [unrolled: 1-line block ×6, first 2 shown]
	v_mov_b32_e32 v2, 0
	ds_load_b128 v[110:113], v2 offset:448
	ds_load_b128 v[114:117], v2 offset:464
	scratch_load_b128 v[118:121], off, off offset:200
	s_mov_b32 s0, exec_lo
	s_wait_loadcnt_dscnt 0x601
	v_fma_f64 v[122:123], v[88:89], v[110:111], 0
	s_wait_loadcnt 0x5
	s_delay_alu instid0(VALU_DEP_1) | instskip(SKIP_4) | instid1(VALU_DEP_1)
	v_fmac_f64_e32 v[122:123], v[90:91], v[112:113]
	scratch_load_b128 v[88:91], off, off offset:216
	s_wait_dscnt 0x0
	v_fmac_f64_e32 v[122:123], v[92:93], v[114:115]
	s_wait_loadcnt 0x5
	v_fmac_f64_e32 v[122:123], v[94:95], v[116:117]
	ds_load_b128 v[92:95], v2 offset:480
	ds_load_b128 v[110:113], v2 offset:496
	scratch_load_b128 v[114:117], off, off offset:232
	s_wait_dscnt 0x1
	v_fmac_f64_e32 v[122:123], v[96:97], v[92:93]
	s_wait_loadcnt 0x5
	s_delay_alu instid0(VALU_DEP_1) | instskip(SKIP_4) | instid1(VALU_DEP_1)
	v_fmac_f64_e32 v[122:123], v[98:99], v[94:95]
	scratch_load_b128 v[92:95], off, off offset:248
	s_wait_dscnt 0x0
	v_fmac_f64_e32 v[122:123], v[100:101], v[110:111]
	s_wait_loadcnt 0x5
	v_fmac_f64_e32 v[122:123], v[102:103], v[112:113]
	ds_load_b128 v[96:99], v2 offset:512
	ds_load_b128 v[100:103], v2 offset:528
	s_wait_dscnt 0x1
	v_fmac_f64_e32 v[122:123], v[104:105], v[96:97]
	s_wait_loadcnt 0x4
	s_delay_alu instid0(VALU_DEP_1) | instskip(SKIP_4) | instid1(VALU_DEP_1)
	v_fmac_f64_e32 v[122:123], v[106:107], v[98:99]
	scratch_load_b128 v[96:99], off, off offset:264
	s_wait_dscnt 0x0
	v_fmac_f64_e32 v[122:123], v[108:109], v[100:101]
	s_wait_loadcnt 0x4
	v_fmac_f64_e32 v[122:123], v[118:119], v[102:103]
	scratch_load_b128 v[100:103], off, off offset:280
	ds_load_b128 v[104:107], v2 offset:544
	ds_load_b128 v[108:111], v2 offset:560
	s_wait_dscnt 0x1
	v_fmac_f64_e32 v[122:123], v[120:121], v[104:105]
	s_wait_loadcnt 0x4
	s_delay_alu instid0(VALU_DEP_1)
	v_fmac_f64_e32 v[122:123], v[88:89], v[106:107]
	scratch_load_b128 v[104:107], off, off offset:296
	s_wait_dscnt 0x0
	v_fmac_f64_e32 v[122:123], v[90:91], v[108:109]
	scratch_load_b128 v[88:91], off, off offset:312
	s_wait_loadcnt 0x5
	v_fmac_f64_e32 v[122:123], v[114:115], v[110:111]
	ds_load_b128 v[108:111], v2 offset:576
	ds_load_b128 v[112:115], v2 offset:592
	s_wait_dscnt 0x1
	v_fmac_f64_e32 v[122:123], v[116:117], v[108:109]
	s_wait_loadcnt 0x4
	s_delay_alu instid0(VALU_DEP_1) | instskip(SKIP_1) | instid1(VALU_DEP_1)
	v_fmac_f64_e32 v[122:123], v[92:93], v[110:111]
	s_wait_dscnt 0x0
	v_fmac_f64_e32 v[122:123], v[94:95], v[112:113]
	ds_load_b128 v[92:95], v2 offset:608
	ds_load_b128 v[108:111], v2 offset:624
	s_wait_loadcnt 0x3
	v_fmac_f64_e32 v[122:123], v[96:97], v[114:115]
	s_wait_dscnt 0x1
	s_delay_alu instid0(VALU_DEP_1) | instskip(SKIP_1) | instid1(VALU_DEP_1)
	v_fmac_f64_e32 v[122:123], v[98:99], v[92:93]
	s_wait_loadcnt 0x2
	v_fmac_f64_e32 v[122:123], v[100:101], v[94:95]
	ds_load_b128 v[92:95], v2 offset:640
	ds_load_b64 v[96:97], v2 offset:656
	s_wait_dscnt 0x2
	v_fmac_f64_e32 v[122:123], v[102:103], v[108:109]
	s_wait_loadcnt 0x1
	s_delay_alu instid0(VALU_DEP_1) | instskip(SKIP_1) | instid1(VALU_DEP_1)
	v_fmac_f64_e32 v[122:123], v[104:105], v[110:111]
	s_wait_dscnt 0x1
	v_fmac_f64_e32 v[122:123], v[106:107], v[92:93]
	s_wait_loadcnt 0x0
	s_delay_alu instid0(VALU_DEP_1) | instskip(SKIP_1) | instid1(VALU_DEP_1)
	v_fmac_f64_e32 v[122:123], v[88:89], v[94:95]
	s_wait_dscnt 0x0
	v_fmac_f64_e32 v[122:123], v[90:91], v[96:97]
	s_delay_alu instid0(VALU_DEP_1)
	v_add_f64_e64 v[86:87], v[86:87], -v[122:123]
	scratch_store_b64 off, v[86:87], off offset:104
	s_wait_xcnt 0x0
	v_cmpx_lt_u32_e32 12, v0
	s_cbranch_execz .LBB40_231
; %bb.230:
	scratch_load_b64 v[86:87], off, off offset:96
	v_mov_b64_e32 v[88:89], 0
	scratch_store_b64 off, v[88:89], off offset:96
	s_wait_loadcnt 0x0
	ds_store_b64 v1, v[86:87]
.LBB40_231:
	s_wait_xcnt 0x0
	s_or_b32 exec_lo, exec_lo, s0
	s_wait_storecnt_dscnt 0x0
	s_barrier_signal -1
	s_barrier_wait -1
	s_clause 0x5
	scratch_load_b128 v[86:89], off, off offset:96
	scratch_load_b128 v[90:93], off, off offset:112
	;; [unrolled: 1-line block ×6, first 2 shown]
	ds_load_2addr_b64 v[110:113], v2 offset0:55 offset1:56
	ds_load_2addr_b64 v[114:117], v2 offset0:57 offset1:58
	scratch_load_b128 v[118:121], off, off offset:192
	s_mov_b32 s0, exec_lo
	s_wait_loadcnt_dscnt 0x601
	v_fma_f64 v[122:123], v[88:89], v[110:111], 0
	s_wait_loadcnt 0x5
	s_delay_alu instid0(VALU_DEP_1) | instskip(SKIP_4) | instid1(VALU_DEP_1)
	v_fmac_f64_e32 v[122:123], v[90:91], v[112:113]
	scratch_load_b128 v[88:91], off, off offset:208
	s_wait_dscnt 0x0
	v_fmac_f64_e32 v[122:123], v[92:93], v[114:115]
	s_wait_loadcnt 0x5
	v_fmac_f64_e32 v[122:123], v[94:95], v[116:117]
	ds_load_2addr_b64 v[92:95], v2 offset0:59 offset1:60
	ds_load_2addr_b64 v[110:113], v2 offset0:61 offset1:62
	scratch_load_b128 v[114:117], off, off offset:224
	s_wait_dscnt 0x1
	v_fmac_f64_e32 v[122:123], v[96:97], v[92:93]
	s_wait_loadcnt 0x5
	s_delay_alu instid0(VALU_DEP_1) | instskip(SKIP_4) | instid1(VALU_DEP_1)
	v_fmac_f64_e32 v[122:123], v[98:99], v[94:95]
	scratch_load_b128 v[92:95], off, off offset:240
	s_wait_dscnt 0x0
	v_fmac_f64_e32 v[122:123], v[100:101], v[110:111]
	s_wait_loadcnt 0x5
	v_fmac_f64_e32 v[122:123], v[102:103], v[112:113]
	ds_load_2addr_b64 v[96:99], v2 offset0:63 offset1:64
	ds_load_2addr_b64 v[100:103], v2 offset0:65 offset1:66
	s_wait_dscnt 0x1
	v_fmac_f64_e32 v[122:123], v[104:105], v[96:97]
	s_wait_loadcnt 0x4
	s_delay_alu instid0(VALU_DEP_1) | instskip(SKIP_4) | instid1(VALU_DEP_1)
	v_fmac_f64_e32 v[122:123], v[106:107], v[98:99]
	scratch_load_b128 v[96:99], off, off offset:256
	s_wait_dscnt 0x0
	v_fmac_f64_e32 v[122:123], v[108:109], v[100:101]
	s_wait_loadcnt 0x4
	v_fmac_f64_e32 v[122:123], v[118:119], v[102:103]
	scratch_load_b128 v[100:103], off, off offset:272
	ds_load_2addr_b64 v[104:107], v2 offset0:67 offset1:68
	ds_load_2addr_b64 v[108:111], v2 offset0:69 offset1:70
	s_wait_dscnt 0x1
	v_fmac_f64_e32 v[122:123], v[120:121], v[104:105]
	s_wait_loadcnt 0x4
	s_delay_alu instid0(VALU_DEP_1)
	v_fmac_f64_e32 v[122:123], v[88:89], v[106:107]
	scratch_load_b128 v[104:107], off, off offset:288
	s_wait_dscnt 0x0
	v_fmac_f64_e32 v[122:123], v[90:91], v[108:109]
	scratch_load_b128 v[88:91], off, off offset:304
	s_wait_loadcnt 0x5
	v_fmac_f64_e32 v[122:123], v[114:115], v[110:111]
	ds_load_2addr_b64 v[108:111], v2 offset0:71 offset1:72
	ds_load_2addr_b64 v[112:115], v2 offset0:73 offset1:74
	s_wait_dscnt 0x1
	v_fmac_f64_e32 v[122:123], v[116:117], v[108:109]
	scratch_load_b64 v[116:117], off, off offset:320
	s_wait_loadcnt 0x5
	v_fmac_f64_e32 v[122:123], v[92:93], v[110:111]
	s_wait_dscnt 0x0
	s_delay_alu instid0(VALU_DEP_1)
	v_fmac_f64_e32 v[122:123], v[94:95], v[112:113]
	ds_load_2addr_b64 v[92:95], v2 offset0:75 offset1:76
	ds_load_2addr_b64 v[108:111], v2 offset0:77 offset1:78
	s_wait_loadcnt 0x4
	v_fmac_f64_e32 v[122:123], v[96:97], v[114:115]
	s_wait_dscnt 0x1
	s_delay_alu instid0(VALU_DEP_1) | instskip(SKIP_1) | instid1(VALU_DEP_1)
	v_fmac_f64_e32 v[122:123], v[98:99], v[92:93]
	s_wait_loadcnt 0x3
	v_fmac_f64_e32 v[122:123], v[100:101], v[94:95]
	ds_load_2addr_b64 v[92:95], v2 offset0:79 offset1:80
	ds_load_2addr_b64 v[96:99], v2 offset0:81 offset1:82
	s_wait_dscnt 0x2
	v_fmac_f64_e32 v[122:123], v[102:103], v[108:109]
	s_wait_loadcnt 0x2
	s_delay_alu instid0(VALU_DEP_1) | instskip(SKIP_1) | instid1(VALU_DEP_1)
	v_fmac_f64_e32 v[122:123], v[104:105], v[110:111]
	s_wait_dscnt 0x1
	v_fmac_f64_e32 v[122:123], v[106:107], v[92:93]
	s_wait_loadcnt 0x1
	s_delay_alu instid0(VALU_DEP_1) | instskip(SKIP_1) | instid1(VALU_DEP_1)
	v_fmac_f64_e32 v[122:123], v[88:89], v[94:95]
	s_wait_dscnt 0x0
	v_fmac_f64_e32 v[122:123], v[90:91], v[96:97]
	s_wait_loadcnt 0x0
	s_delay_alu instid0(VALU_DEP_1) | instskip(NEXT) | instid1(VALU_DEP_1)
	v_fmac_f64_e32 v[122:123], v[116:117], v[98:99]
	v_add_f64_e64 v[2:3], v[86:87], -v[122:123]
	scratch_store_b64 off, v[2:3], off offset:96
	s_wait_xcnt 0x0
	v_cmpx_lt_u32_e32 11, v0
	s_cbranch_execz .LBB40_233
; %bb.232:
	scratch_load_b64 v[2:3], off, off offset:88
	v_mov_b64_e32 v[86:87], 0
	scratch_store_b64 off, v[86:87], off offset:88
	s_wait_loadcnt 0x0
	ds_store_b64 v1, v[2:3]
.LBB40_233:
	s_wait_xcnt 0x0
	s_or_b32 exec_lo, exec_lo, s0
	s_wait_storecnt_dscnt 0x0
	s_barrier_signal -1
	s_barrier_wait -1
	s_clause 0x5
	scratch_load_b128 v[86:89], off, off offset:88
	scratch_load_b128 v[90:93], off, off offset:104
	;; [unrolled: 1-line block ×6, first 2 shown]
	v_mov_b32_e32 v2, 0
	ds_load_b128 v[110:113], v2 offset:432
	ds_load_b128 v[114:117], v2 offset:448
	scratch_load_b128 v[118:121], off, off offset:184
	s_mov_b32 s0, exec_lo
	s_wait_loadcnt_dscnt 0x601
	v_fma_f64 v[122:123], v[88:89], v[110:111], 0
	s_wait_loadcnt 0x5
	s_delay_alu instid0(VALU_DEP_1) | instskip(SKIP_4) | instid1(VALU_DEP_1)
	v_fmac_f64_e32 v[122:123], v[90:91], v[112:113]
	scratch_load_b128 v[88:91], off, off offset:200
	s_wait_dscnt 0x0
	v_fmac_f64_e32 v[122:123], v[92:93], v[114:115]
	s_wait_loadcnt 0x5
	v_fmac_f64_e32 v[122:123], v[94:95], v[116:117]
	ds_load_b128 v[92:95], v2 offset:464
	ds_load_b128 v[110:113], v2 offset:480
	scratch_load_b128 v[114:117], off, off offset:216
	s_wait_dscnt 0x1
	v_fmac_f64_e32 v[122:123], v[96:97], v[92:93]
	s_wait_loadcnt 0x5
	s_delay_alu instid0(VALU_DEP_1) | instskip(SKIP_4) | instid1(VALU_DEP_1)
	v_fmac_f64_e32 v[122:123], v[98:99], v[94:95]
	scratch_load_b128 v[92:95], off, off offset:232
	s_wait_dscnt 0x0
	v_fmac_f64_e32 v[122:123], v[100:101], v[110:111]
	s_wait_loadcnt 0x5
	v_fmac_f64_e32 v[122:123], v[102:103], v[112:113]
	ds_load_b128 v[96:99], v2 offset:496
	ds_load_b128 v[100:103], v2 offset:512
	s_wait_dscnt 0x1
	v_fmac_f64_e32 v[122:123], v[104:105], v[96:97]
	s_wait_loadcnt 0x4
	s_delay_alu instid0(VALU_DEP_1) | instskip(SKIP_4) | instid1(VALU_DEP_1)
	v_fmac_f64_e32 v[122:123], v[106:107], v[98:99]
	scratch_load_b128 v[96:99], off, off offset:248
	s_wait_dscnt 0x0
	v_fmac_f64_e32 v[122:123], v[108:109], v[100:101]
	s_wait_loadcnt 0x4
	v_fmac_f64_e32 v[122:123], v[118:119], v[102:103]
	scratch_load_b128 v[100:103], off, off offset:264
	ds_load_b128 v[104:107], v2 offset:528
	ds_load_b128 v[108:111], v2 offset:544
	s_wait_dscnt 0x1
	v_fmac_f64_e32 v[122:123], v[120:121], v[104:105]
	s_wait_loadcnt 0x4
	s_delay_alu instid0(VALU_DEP_1)
	v_fmac_f64_e32 v[122:123], v[88:89], v[106:107]
	scratch_load_b128 v[104:107], off, off offset:280
	s_wait_dscnt 0x0
	v_fmac_f64_e32 v[122:123], v[90:91], v[108:109]
	scratch_load_b128 v[88:91], off, off offset:296
	s_wait_loadcnt 0x5
	v_fmac_f64_e32 v[122:123], v[114:115], v[110:111]
	ds_load_b128 v[108:111], v2 offset:560
	ds_load_b128 v[112:115], v2 offset:576
	s_wait_dscnt 0x1
	v_fmac_f64_e32 v[122:123], v[116:117], v[108:109]
	s_wait_loadcnt 0x4
	s_delay_alu instid0(VALU_DEP_1) | instskip(SKIP_4) | instid1(VALU_DEP_1)
	v_fmac_f64_e32 v[122:123], v[92:93], v[110:111]
	scratch_load_b128 v[108:111], off, off offset:312
	s_wait_dscnt 0x0
	v_fmac_f64_e32 v[122:123], v[94:95], v[112:113]
	s_wait_loadcnt 0x4
	v_fmac_f64_e32 v[122:123], v[96:97], v[114:115]
	ds_load_b128 v[92:95], v2 offset:592
	ds_load_b128 v[112:115], v2 offset:608
	s_wait_dscnt 0x1
	v_fmac_f64_e32 v[122:123], v[98:99], v[92:93]
	s_wait_loadcnt 0x3
	s_delay_alu instid0(VALU_DEP_1)
	v_fmac_f64_e32 v[122:123], v[100:101], v[94:95]
	ds_load_b128 v[92:95], v2 offset:624
	ds_load_b128 v[96:99], v2 offset:640
	s_wait_dscnt 0x2
	v_fmac_f64_e32 v[122:123], v[102:103], v[112:113]
	s_wait_loadcnt 0x2
	s_delay_alu instid0(VALU_DEP_1) | instskip(SKIP_1) | instid1(VALU_DEP_1)
	v_fmac_f64_e32 v[122:123], v[104:105], v[114:115]
	s_wait_dscnt 0x1
	v_fmac_f64_e32 v[122:123], v[106:107], v[92:93]
	s_wait_loadcnt 0x1
	s_delay_alu instid0(VALU_DEP_1) | instskip(SKIP_4) | instid1(VALU_DEP_1)
	v_fmac_f64_e32 v[122:123], v[88:89], v[94:95]
	ds_load_b64 v[88:89], v2 offset:656
	s_wait_dscnt 0x1
	v_fmac_f64_e32 v[122:123], v[90:91], v[96:97]
	s_wait_loadcnt 0x0
	v_fmac_f64_e32 v[122:123], v[108:109], v[98:99]
	s_wait_dscnt 0x0
	s_delay_alu instid0(VALU_DEP_1) | instskip(NEXT) | instid1(VALU_DEP_1)
	v_fmac_f64_e32 v[122:123], v[110:111], v[88:89]
	v_add_f64_e64 v[86:87], v[86:87], -v[122:123]
	scratch_store_b64 off, v[86:87], off offset:88
	s_wait_xcnt 0x0
	v_cmpx_lt_u32_e32 10, v0
	s_cbranch_execz .LBB40_235
; %bb.234:
	scratch_load_b64 v[86:87], off, off offset:80
	v_mov_b64_e32 v[88:89], 0
	scratch_store_b64 off, v[88:89], off offset:80
	s_wait_loadcnt 0x0
	ds_store_b64 v1, v[86:87]
.LBB40_235:
	s_wait_xcnt 0x0
	s_or_b32 exec_lo, exec_lo, s0
	s_wait_storecnt_dscnt 0x0
	s_barrier_signal -1
	s_barrier_wait -1
	s_clause 0x5
	scratch_load_b128 v[86:89], off, off offset:80
	scratch_load_b128 v[90:93], off, off offset:96
	;; [unrolled: 1-line block ×6, first 2 shown]
	ds_load_2addr_b64 v[110:113], v2 offset0:53 offset1:54
	ds_load_2addr_b64 v[114:117], v2 offset0:55 offset1:56
	scratch_load_b128 v[118:121], off, off offset:176
	s_mov_b32 s0, exec_lo
	s_wait_loadcnt_dscnt 0x601
	v_fma_f64 v[122:123], v[88:89], v[110:111], 0
	s_wait_loadcnt 0x5
	s_delay_alu instid0(VALU_DEP_1) | instskip(SKIP_4) | instid1(VALU_DEP_1)
	v_fmac_f64_e32 v[122:123], v[90:91], v[112:113]
	scratch_load_b128 v[88:91], off, off offset:192
	s_wait_dscnt 0x0
	v_fmac_f64_e32 v[122:123], v[92:93], v[114:115]
	s_wait_loadcnt 0x5
	v_fmac_f64_e32 v[122:123], v[94:95], v[116:117]
	ds_load_2addr_b64 v[92:95], v2 offset0:57 offset1:58
	ds_load_2addr_b64 v[110:113], v2 offset0:59 offset1:60
	scratch_load_b128 v[114:117], off, off offset:208
	s_wait_dscnt 0x1
	v_fmac_f64_e32 v[122:123], v[96:97], v[92:93]
	s_wait_loadcnt 0x5
	s_delay_alu instid0(VALU_DEP_1) | instskip(SKIP_4) | instid1(VALU_DEP_1)
	v_fmac_f64_e32 v[122:123], v[98:99], v[94:95]
	scratch_load_b128 v[92:95], off, off offset:224
	s_wait_dscnt 0x0
	v_fmac_f64_e32 v[122:123], v[100:101], v[110:111]
	s_wait_loadcnt 0x5
	v_fmac_f64_e32 v[122:123], v[102:103], v[112:113]
	ds_load_2addr_b64 v[96:99], v2 offset0:61 offset1:62
	ds_load_2addr_b64 v[100:103], v2 offset0:63 offset1:64
	scratch_load_b128 v[110:113], off, off offset:240
	s_wait_dscnt 0x1
	v_fmac_f64_e32 v[122:123], v[104:105], v[96:97]
	s_wait_loadcnt 0x5
	s_delay_alu instid0(VALU_DEP_1) | instskip(SKIP_4) | instid1(VALU_DEP_1)
	v_fmac_f64_e32 v[122:123], v[106:107], v[98:99]
	scratch_load_b128 v[96:99], off, off offset:256
	s_wait_dscnt 0x0
	v_fmac_f64_e32 v[122:123], v[108:109], v[100:101]
	s_wait_loadcnt 0x5
	v_fmac_f64_e32 v[122:123], v[118:119], v[102:103]
	ds_load_2addr_b64 v[100:103], v2 offset0:65 offset1:66
	ds_load_2addr_b64 v[104:107], v2 offset0:67 offset1:68
	s_wait_dscnt 0x1
	v_fmac_f64_e32 v[122:123], v[120:121], v[100:101]
	s_wait_loadcnt 0x4
	s_delay_alu instid0(VALU_DEP_1)
	v_fmac_f64_e32 v[122:123], v[88:89], v[102:103]
	scratch_load_b128 v[100:103], off, off offset:272
	s_wait_dscnt 0x0
	v_fmac_f64_e32 v[122:123], v[90:91], v[104:105]
	scratch_load_b128 v[88:91], off, off offset:288
	s_wait_loadcnt 0x5
	v_fmac_f64_e32 v[122:123], v[114:115], v[106:107]
	ds_load_2addr_b64 v[104:107], v2 offset0:69 offset1:70
	ds_load_2addr_b64 v[118:121], v2 offset0:71 offset1:72
	scratch_load_b64 v[114:115], off, off offset:320
	s_wait_dscnt 0x1
	v_fmac_f64_e32 v[122:123], v[116:117], v[104:105]
	s_wait_loadcnt 0x5
	s_delay_alu instid0(VALU_DEP_1) | instskip(SKIP_4) | instid1(VALU_DEP_1)
	v_fmac_f64_e32 v[122:123], v[92:93], v[106:107]
	scratch_load_b128 v[104:107], off, off offset:304
	s_wait_dscnt 0x0
	v_fmac_f64_e32 v[122:123], v[94:95], v[118:119]
	s_wait_loadcnt 0x5
	v_fmac_f64_e32 v[122:123], v[110:111], v[120:121]
	ds_load_2addr_b64 v[92:95], v2 offset0:73 offset1:74
	ds_load_2addr_b64 v[108:111], v2 offset0:75 offset1:76
	s_wait_dscnt 0x1
	v_fmac_f64_e32 v[122:123], v[112:113], v[92:93]
	s_wait_loadcnt 0x4
	s_delay_alu instid0(VALU_DEP_1) | instskip(SKIP_1) | instid1(VALU_DEP_1)
	v_fmac_f64_e32 v[122:123], v[96:97], v[94:95]
	s_wait_dscnt 0x0
	v_fmac_f64_e32 v[122:123], v[98:99], v[108:109]
	ds_load_2addr_b64 v[92:95], v2 offset0:77 offset1:78
	ds_load_2addr_b64 v[96:99], v2 offset0:79 offset1:80
	s_wait_loadcnt 0x3
	v_fmac_f64_e32 v[122:123], v[100:101], v[110:111]
	s_wait_dscnt 0x1
	s_delay_alu instid0(VALU_DEP_1) | instskip(SKIP_1) | instid1(VALU_DEP_1)
	v_fmac_f64_e32 v[122:123], v[102:103], v[92:93]
	s_wait_loadcnt 0x2
	v_fmac_f64_e32 v[122:123], v[88:89], v[94:95]
	s_wait_dscnt 0x0
	s_delay_alu instid0(VALU_DEP_1) | instskip(SKIP_4) | instid1(VALU_DEP_1)
	v_fmac_f64_e32 v[122:123], v[90:91], v[96:97]
	ds_load_2addr_b64 v[88:91], v2 offset0:81 offset1:82
	s_wait_loadcnt 0x0
	v_fmac_f64_e32 v[122:123], v[104:105], v[98:99]
	s_wait_dscnt 0x0
	v_fmac_f64_e32 v[122:123], v[106:107], v[88:89]
	s_delay_alu instid0(VALU_DEP_1) | instskip(NEXT) | instid1(VALU_DEP_1)
	v_fmac_f64_e32 v[122:123], v[114:115], v[90:91]
	v_add_f64_e64 v[2:3], v[86:87], -v[122:123]
	scratch_store_b64 off, v[2:3], off offset:80
	s_wait_xcnt 0x0
	v_cmpx_lt_u32_e32 9, v0
	s_cbranch_execz .LBB40_237
; %bb.236:
	scratch_load_b64 v[2:3], off, off offset:72
	v_mov_b64_e32 v[86:87], 0
	scratch_store_b64 off, v[86:87], off offset:72
	s_wait_loadcnt 0x0
	ds_store_b64 v1, v[2:3]
.LBB40_237:
	s_wait_xcnt 0x0
	s_or_b32 exec_lo, exec_lo, s0
	s_wait_storecnt_dscnt 0x0
	s_barrier_signal -1
	s_barrier_wait -1
	s_clause 0x5
	scratch_load_b128 v[86:89], off, off offset:72
	scratch_load_b128 v[90:93], off, off offset:88
	;; [unrolled: 1-line block ×6, first 2 shown]
	v_mov_b32_e32 v2, 0
	ds_load_b128 v[110:113], v2 offset:416
	ds_load_b128 v[114:117], v2 offset:432
	scratch_load_b128 v[118:121], off, off offset:168
	s_mov_b32 s0, exec_lo
	s_wait_loadcnt_dscnt 0x601
	v_fma_f64 v[122:123], v[88:89], v[110:111], 0
	s_wait_loadcnt 0x5
	s_delay_alu instid0(VALU_DEP_1) | instskip(SKIP_4) | instid1(VALU_DEP_1)
	v_fmac_f64_e32 v[122:123], v[90:91], v[112:113]
	scratch_load_b128 v[88:91], off, off offset:184
	s_wait_dscnt 0x0
	v_fmac_f64_e32 v[122:123], v[92:93], v[114:115]
	s_wait_loadcnt 0x5
	v_fmac_f64_e32 v[122:123], v[94:95], v[116:117]
	ds_load_b128 v[92:95], v2 offset:448
	ds_load_b128 v[110:113], v2 offset:464
	scratch_load_b128 v[114:117], off, off offset:200
	s_wait_dscnt 0x1
	v_fmac_f64_e32 v[122:123], v[96:97], v[92:93]
	s_wait_loadcnt 0x5
	s_delay_alu instid0(VALU_DEP_1) | instskip(SKIP_4) | instid1(VALU_DEP_1)
	v_fmac_f64_e32 v[122:123], v[98:99], v[94:95]
	scratch_load_b128 v[92:95], off, off offset:216
	s_wait_dscnt 0x0
	v_fmac_f64_e32 v[122:123], v[100:101], v[110:111]
	s_wait_loadcnt 0x5
	v_fmac_f64_e32 v[122:123], v[102:103], v[112:113]
	ds_load_b128 v[96:99], v2 offset:480
	ds_load_b128 v[100:103], v2 offset:496
	scratch_load_b128 v[110:113], off, off offset:232
	s_wait_dscnt 0x1
	v_fmac_f64_e32 v[122:123], v[104:105], v[96:97]
	s_wait_loadcnt 0x5
	s_delay_alu instid0(VALU_DEP_1) | instskip(SKIP_4) | instid1(VALU_DEP_1)
	v_fmac_f64_e32 v[122:123], v[106:107], v[98:99]
	scratch_load_b128 v[96:99], off, off offset:248
	s_wait_dscnt 0x0
	v_fmac_f64_e32 v[122:123], v[108:109], v[100:101]
	s_wait_loadcnt 0x5
	v_fmac_f64_e32 v[122:123], v[118:119], v[102:103]
	ds_load_b128 v[100:103], v2 offset:512
	ds_load_b128 v[104:107], v2 offset:528
	s_wait_dscnt 0x1
	v_fmac_f64_e32 v[122:123], v[120:121], v[100:101]
	s_wait_loadcnt 0x4
	s_delay_alu instid0(VALU_DEP_1)
	v_fmac_f64_e32 v[122:123], v[88:89], v[102:103]
	scratch_load_b128 v[100:103], off, off offset:264
	s_wait_dscnt 0x0
	v_fmac_f64_e32 v[122:123], v[90:91], v[104:105]
	scratch_load_b128 v[88:91], off, off offset:280
	s_wait_loadcnt 0x5
	v_fmac_f64_e32 v[122:123], v[114:115], v[106:107]
	ds_load_b128 v[104:107], v2 offset:544
	ds_load_b128 v[118:121], v2 offset:560
	s_wait_dscnt 0x1
	v_fmac_f64_e32 v[122:123], v[116:117], v[104:105]
	s_wait_loadcnt 0x4
	s_delay_alu instid0(VALU_DEP_1)
	v_fmac_f64_e32 v[122:123], v[92:93], v[106:107]
	scratch_load_b128 v[104:107], off, off offset:296
	s_wait_dscnt 0x0
	v_fmac_f64_e32 v[122:123], v[94:95], v[118:119]
	scratch_load_b128 v[92:95], off, off offset:312
	s_wait_loadcnt 0x5
	v_fmac_f64_e32 v[122:123], v[110:111], v[120:121]
	ds_load_b128 v[108:111], v2 offset:576
	ds_load_b128 v[114:117], v2 offset:592
	s_wait_dscnt 0x1
	v_fmac_f64_e32 v[122:123], v[112:113], v[108:109]
	s_wait_loadcnt 0x4
	s_delay_alu instid0(VALU_DEP_1) | instskip(SKIP_1) | instid1(VALU_DEP_1)
	v_fmac_f64_e32 v[122:123], v[96:97], v[110:111]
	s_wait_dscnt 0x0
	v_fmac_f64_e32 v[122:123], v[98:99], v[114:115]
	ds_load_b128 v[96:99], v2 offset:608
	ds_load_b128 v[108:111], v2 offset:624
	s_wait_loadcnt 0x3
	v_fmac_f64_e32 v[122:123], v[100:101], v[116:117]
	s_wait_dscnt 0x1
	s_delay_alu instid0(VALU_DEP_1) | instskip(SKIP_1) | instid1(VALU_DEP_1)
	v_fmac_f64_e32 v[122:123], v[102:103], v[96:97]
	s_wait_loadcnt 0x2
	v_fmac_f64_e32 v[122:123], v[88:89], v[98:99]
	s_wait_dscnt 0x0
	s_delay_alu instid0(VALU_DEP_1)
	v_fmac_f64_e32 v[122:123], v[90:91], v[108:109]
	ds_load_b128 v[88:91], v2 offset:640
	ds_load_b64 v[96:97], v2 offset:656
	s_wait_loadcnt 0x1
	v_fmac_f64_e32 v[122:123], v[104:105], v[110:111]
	s_wait_dscnt 0x1
	s_delay_alu instid0(VALU_DEP_1) | instskip(SKIP_1) | instid1(VALU_DEP_1)
	v_fmac_f64_e32 v[122:123], v[106:107], v[88:89]
	s_wait_loadcnt 0x0
	v_fmac_f64_e32 v[122:123], v[92:93], v[90:91]
	s_wait_dscnt 0x0
	s_delay_alu instid0(VALU_DEP_1) | instskip(NEXT) | instid1(VALU_DEP_1)
	v_fmac_f64_e32 v[122:123], v[94:95], v[96:97]
	v_add_f64_e64 v[86:87], v[86:87], -v[122:123]
	scratch_store_b64 off, v[86:87], off offset:72
	s_wait_xcnt 0x0
	v_cmpx_lt_u32_e32 8, v0
	s_cbranch_execz .LBB40_239
; %bb.238:
	scratch_load_b64 v[86:87], off, off offset:64
	v_mov_b64_e32 v[88:89], 0
	scratch_store_b64 off, v[88:89], off offset:64
	s_wait_loadcnt 0x0
	ds_store_b64 v1, v[86:87]
.LBB40_239:
	s_wait_xcnt 0x0
	s_or_b32 exec_lo, exec_lo, s0
	s_wait_storecnt_dscnt 0x0
	s_barrier_signal -1
	s_barrier_wait -1
	s_clause 0x5
	scratch_load_b128 v[86:89], off, off offset:64
	scratch_load_b128 v[90:93], off, off offset:80
	;; [unrolled: 1-line block ×6, first 2 shown]
	ds_load_2addr_b64 v[110:113], v2 offset0:51 offset1:52
	ds_load_2addr_b64 v[114:117], v2 offset0:53 offset1:54
	scratch_load_b128 v[118:121], off, off offset:160
	s_mov_b32 s0, exec_lo
	s_wait_loadcnt_dscnt 0x601
	v_fma_f64 v[122:123], v[88:89], v[110:111], 0
	s_wait_loadcnt 0x5
	s_delay_alu instid0(VALU_DEP_1) | instskip(SKIP_4) | instid1(VALU_DEP_1)
	v_fmac_f64_e32 v[122:123], v[90:91], v[112:113]
	scratch_load_b128 v[88:91], off, off offset:176
	s_wait_dscnt 0x0
	v_fmac_f64_e32 v[122:123], v[92:93], v[114:115]
	s_wait_loadcnt 0x5
	v_fmac_f64_e32 v[122:123], v[94:95], v[116:117]
	ds_load_2addr_b64 v[92:95], v2 offset0:55 offset1:56
	ds_load_2addr_b64 v[110:113], v2 offset0:57 offset1:58
	scratch_load_b128 v[114:117], off, off offset:192
	s_wait_dscnt 0x1
	v_fmac_f64_e32 v[122:123], v[96:97], v[92:93]
	s_wait_loadcnt 0x5
	s_delay_alu instid0(VALU_DEP_1) | instskip(SKIP_4) | instid1(VALU_DEP_1)
	v_fmac_f64_e32 v[122:123], v[98:99], v[94:95]
	scratch_load_b128 v[92:95], off, off offset:208
	s_wait_dscnt 0x0
	v_fmac_f64_e32 v[122:123], v[100:101], v[110:111]
	s_wait_loadcnt 0x5
	v_fmac_f64_e32 v[122:123], v[102:103], v[112:113]
	ds_load_2addr_b64 v[96:99], v2 offset0:59 offset1:60
	ds_load_2addr_b64 v[100:103], v2 offset0:61 offset1:62
	scratch_load_b128 v[110:113], off, off offset:224
	s_wait_dscnt 0x1
	v_fmac_f64_e32 v[122:123], v[104:105], v[96:97]
	s_wait_loadcnt 0x5
	s_delay_alu instid0(VALU_DEP_1) | instskip(SKIP_4) | instid1(VALU_DEP_1)
	v_fmac_f64_e32 v[122:123], v[106:107], v[98:99]
	scratch_load_b128 v[96:99], off, off offset:240
	s_wait_dscnt 0x0
	v_fmac_f64_e32 v[122:123], v[108:109], v[100:101]
	s_wait_loadcnt 0x5
	v_fmac_f64_e32 v[122:123], v[118:119], v[102:103]
	ds_load_2addr_b64 v[100:103], v2 offset0:63 offset1:64
	ds_load_2addr_b64 v[104:107], v2 offset0:65 offset1:66
	s_wait_dscnt 0x1
	v_fmac_f64_e32 v[122:123], v[120:121], v[100:101]
	s_wait_loadcnt 0x4
	s_delay_alu instid0(VALU_DEP_1)
	v_fmac_f64_e32 v[122:123], v[88:89], v[102:103]
	scratch_load_b128 v[100:103], off, off offset:256
	s_wait_dscnt 0x0
	v_fmac_f64_e32 v[122:123], v[90:91], v[104:105]
	scratch_load_b128 v[88:91], off, off offset:272
	s_wait_loadcnt 0x5
	v_fmac_f64_e32 v[122:123], v[114:115], v[106:107]
	ds_load_2addr_b64 v[104:107], v2 offset0:67 offset1:68
	ds_load_2addr_b64 v[118:121], v2 offset0:69 offset1:70
	s_wait_dscnt 0x1
	v_fmac_f64_e32 v[122:123], v[116:117], v[104:105]
	s_wait_loadcnt 0x4
	s_delay_alu instid0(VALU_DEP_1)
	v_fmac_f64_e32 v[122:123], v[92:93], v[106:107]
	scratch_load_b128 v[104:107], off, off offset:288
	s_wait_dscnt 0x0
	v_fmac_f64_e32 v[122:123], v[94:95], v[118:119]
	scratch_load_b128 v[92:95], off, off offset:304
	s_wait_loadcnt 0x5
	v_fmac_f64_e32 v[122:123], v[110:111], v[120:121]
	ds_load_2addr_b64 v[108:111], v2 offset0:71 offset1:72
	ds_load_2addr_b64 v[114:117], v2 offset0:73 offset1:74
	s_wait_dscnt 0x1
	v_fmac_f64_e32 v[122:123], v[112:113], v[108:109]
	scratch_load_b64 v[112:113], off, off offset:320
	s_wait_loadcnt 0x5
	v_fmac_f64_e32 v[122:123], v[96:97], v[110:111]
	s_wait_dscnt 0x0
	s_delay_alu instid0(VALU_DEP_1)
	v_fmac_f64_e32 v[122:123], v[98:99], v[114:115]
	ds_load_2addr_b64 v[96:99], v2 offset0:75 offset1:76
	ds_load_2addr_b64 v[108:111], v2 offset0:77 offset1:78
	s_wait_loadcnt 0x4
	v_fmac_f64_e32 v[122:123], v[100:101], v[116:117]
	s_wait_dscnt 0x1
	s_delay_alu instid0(VALU_DEP_1) | instskip(SKIP_1) | instid1(VALU_DEP_1)
	v_fmac_f64_e32 v[122:123], v[102:103], v[96:97]
	s_wait_loadcnt 0x3
	v_fmac_f64_e32 v[122:123], v[88:89], v[98:99]
	s_wait_dscnt 0x0
	s_delay_alu instid0(VALU_DEP_1)
	v_fmac_f64_e32 v[122:123], v[90:91], v[108:109]
	ds_load_2addr_b64 v[88:91], v2 offset0:79 offset1:80
	ds_load_2addr_b64 v[96:99], v2 offset0:81 offset1:82
	s_wait_loadcnt 0x2
	v_fmac_f64_e32 v[122:123], v[104:105], v[110:111]
	s_wait_dscnt 0x1
	s_delay_alu instid0(VALU_DEP_1) | instskip(SKIP_1) | instid1(VALU_DEP_1)
	v_fmac_f64_e32 v[122:123], v[106:107], v[88:89]
	s_wait_loadcnt 0x1
	v_fmac_f64_e32 v[122:123], v[92:93], v[90:91]
	s_wait_dscnt 0x0
	s_delay_alu instid0(VALU_DEP_1) | instskip(SKIP_1) | instid1(VALU_DEP_1)
	v_fmac_f64_e32 v[122:123], v[94:95], v[96:97]
	s_wait_loadcnt 0x0
	v_fmac_f64_e32 v[122:123], v[112:113], v[98:99]
	s_delay_alu instid0(VALU_DEP_1)
	v_add_f64_e64 v[2:3], v[86:87], -v[122:123]
	scratch_store_b64 off, v[2:3], off offset:64
	s_wait_xcnt 0x0
	v_cmpx_lt_u32_e32 7, v0
	s_cbranch_execz .LBB40_241
; %bb.240:
	scratch_load_b64 v[2:3], off, off offset:56
	v_mov_b64_e32 v[86:87], 0
	scratch_store_b64 off, v[86:87], off offset:56
	s_wait_loadcnt 0x0
	ds_store_b64 v1, v[2:3]
.LBB40_241:
	s_wait_xcnt 0x0
	s_or_b32 exec_lo, exec_lo, s0
	s_wait_storecnt_dscnt 0x0
	s_barrier_signal -1
	s_barrier_wait -1
	s_clause 0x5
	scratch_load_b128 v[86:89], off, off offset:56
	scratch_load_b128 v[90:93], off, off offset:72
	scratch_load_b128 v[94:97], off, off offset:88
	scratch_load_b128 v[98:101], off, off offset:104
	scratch_load_b128 v[102:105], off, off offset:120
	scratch_load_b128 v[106:109], off, off offset:136
	v_mov_b32_e32 v2, 0
	ds_load_b128 v[110:113], v2 offset:400
	ds_load_b128 v[114:117], v2 offset:416
	scratch_load_b128 v[118:121], off, off offset:152
	s_mov_b32 s0, exec_lo
	s_wait_loadcnt_dscnt 0x601
	v_fma_f64 v[122:123], v[88:89], v[110:111], 0
	s_wait_loadcnt 0x5
	s_delay_alu instid0(VALU_DEP_1) | instskip(SKIP_4) | instid1(VALU_DEP_1)
	v_fmac_f64_e32 v[122:123], v[90:91], v[112:113]
	scratch_load_b128 v[88:91], off, off offset:168
	s_wait_dscnt 0x0
	v_fmac_f64_e32 v[122:123], v[92:93], v[114:115]
	s_wait_loadcnt 0x5
	v_fmac_f64_e32 v[122:123], v[94:95], v[116:117]
	ds_load_b128 v[92:95], v2 offset:432
	ds_load_b128 v[110:113], v2 offset:448
	scratch_load_b128 v[114:117], off, off offset:184
	s_wait_dscnt 0x1
	v_fmac_f64_e32 v[122:123], v[96:97], v[92:93]
	s_wait_loadcnt 0x5
	s_delay_alu instid0(VALU_DEP_1) | instskip(SKIP_4) | instid1(VALU_DEP_1)
	v_fmac_f64_e32 v[122:123], v[98:99], v[94:95]
	scratch_load_b128 v[92:95], off, off offset:200
	s_wait_dscnt 0x0
	v_fmac_f64_e32 v[122:123], v[100:101], v[110:111]
	s_wait_loadcnt 0x5
	v_fmac_f64_e32 v[122:123], v[102:103], v[112:113]
	ds_load_b128 v[96:99], v2 offset:464
	ds_load_b128 v[100:103], v2 offset:480
	scratch_load_b128 v[110:113], off, off offset:216
	s_wait_dscnt 0x1
	v_fmac_f64_e32 v[122:123], v[104:105], v[96:97]
	s_wait_loadcnt 0x5
	s_delay_alu instid0(VALU_DEP_1) | instskip(SKIP_4) | instid1(VALU_DEP_1)
	v_fmac_f64_e32 v[122:123], v[106:107], v[98:99]
	scratch_load_b128 v[96:99], off, off offset:232
	s_wait_dscnt 0x0
	v_fmac_f64_e32 v[122:123], v[108:109], v[100:101]
	s_wait_loadcnt 0x5
	v_fmac_f64_e32 v[122:123], v[118:119], v[102:103]
	ds_load_b128 v[100:103], v2 offset:496
	ds_load_b128 v[104:107], v2 offset:512
	s_wait_dscnt 0x1
	v_fmac_f64_e32 v[122:123], v[120:121], v[100:101]
	s_wait_loadcnt 0x4
	s_delay_alu instid0(VALU_DEP_1)
	v_fmac_f64_e32 v[122:123], v[88:89], v[102:103]
	scratch_load_b128 v[100:103], off, off offset:248
	s_wait_dscnt 0x0
	v_fmac_f64_e32 v[122:123], v[90:91], v[104:105]
	scratch_load_b128 v[88:91], off, off offset:264
	s_wait_loadcnt 0x5
	v_fmac_f64_e32 v[122:123], v[114:115], v[106:107]
	ds_load_b128 v[104:107], v2 offset:528
	ds_load_b128 v[118:121], v2 offset:544
	s_wait_dscnt 0x1
	v_fmac_f64_e32 v[122:123], v[116:117], v[104:105]
	s_wait_loadcnt 0x4
	s_delay_alu instid0(VALU_DEP_1)
	v_fmac_f64_e32 v[122:123], v[92:93], v[106:107]
	scratch_load_b128 v[104:107], off, off offset:280
	s_wait_dscnt 0x0
	v_fmac_f64_e32 v[122:123], v[94:95], v[118:119]
	scratch_load_b128 v[92:95], off, off offset:296
	s_wait_loadcnt 0x5
	v_fmac_f64_e32 v[122:123], v[110:111], v[120:121]
	ds_load_b128 v[108:111], v2 offset:560
	ds_load_b128 v[114:117], v2 offset:576
	s_wait_dscnt 0x1
	v_fmac_f64_e32 v[122:123], v[112:113], v[108:109]
	s_wait_loadcnt 0x4
	s_delay_alu instid0(VALU_DEP_1)
	v_fmac_f64_e32 v[122:123], v[96:97], v[110:111]
	scratch_load_b128 v[108:111], off, off offset:312
	s_wait_dscnt 0x0
	v_fmac_f64_e32 v[122:123], v[98:99], v[114:115]
	ds_load_b128 v[96:99], v2 offset:592
	ds_load_b128 v[112:115], v2 offset:608
	s_wait_loadcnt 0x4
	v_fmac_f64_e32 v[122:123], v[100:101], v[116:117]
	s_wait_dscnt 0x1
	s_delay_alu instid0(VALU_DEP_1) | instskip(SKIP_1) | instid1(VALU_DEP_1)
	v_fmac_f64_e32 v[122:123], v[102:103], v[96:97]
	s_wait_loadcnt 0x3
	v_fmac_f64_e32 v[122:123], v[88:89], v[98:99]
	s_wait_dscnt 0x0
	s_delay_alu instid0(VALU_DEP_1)
	v_fmac_f64_e32 v[122:123], v[90:91], v[112:113]
	ds_load_b128 v[88:91], v2 offset:624
	ds_load_b128 v[96:99], v2 offset:640
	s_wait_loadcnt 0x2
	v_fmac_f64_e32 v[122:123], v[104:105], v[114:115]
	s_wait_dscnt 0x1
	s_delay_alu instid0(VALU_DEP_1) | instskip(SKIP_4) | instid1(VALU_DEP_1)
	v_fmac_f64_e32 v[122:123], v[106:107], v[88:89]
	ds_load_b64 v[88:89], v2 offset:656
	s_wait_loadcnt 0x1
	v_fmac_f64_e32 v[122:123], v[92:93], v[90:91]
	s_wait_dscnt 0x1
	v_fmac_f64_e32 v[122:123], v[94:95], v[96:97]
	s_wait_loadcnt 0x0
	s_delay_alu instid0(VALU_DEP_1) | instskip(SKIP_1) | instid1(VALU_DEP_1)
	v_fmac_f64_e32 v[122:123], v[108:109], v[98:99]
	s_wait_dscnt 0x0
	v_fmac_f64_e32 v[122:123], v[110:111], v[88:89]
	s_delay_alu instid0(VALU_DEP_1)
	v_add_f64_e64 v[86:87], v[86:87], -v[122:123]
	scratch_store_b64 off, v[86:87], off offset:56
	s_wait_xcnt 0x0
	v_cmpx_lt_u32_e32 6, v0
	s_cbranch_execz .LBB40_243
; %bb.242:
	scratch_load_b64 v[86:87], off, off offset:48
	v_mov_b64_e32 v[88:89], 0
	scratch_store_b64 off, v[88:89], off offset:48
	s_wait_loadcnt 0x0
	ds_store_b64 v1, v[86:87]
.LBB40_243:
	s_wait_xcnt 0x0
	s_or_b32 exec_lo, exec_lo, s0
	s_wait_storecnt_dscnt 0x0
	s_barrier_signal -1
	s_barrier_wait -1
	s_clause 0x5
	scratch_load_b128 v[86:89], off, off offset:48
	scratch_load_b128 v[90:93], off, off offset:64
	;; [unrolled: 1-line block ×6, first 2 shown]
	ds_load_2addr_b64 v[110:113], v2 offset0:49 offset1:50
	ds_load_2addr_b64 v[114:117], v2 offset0:51 offset1:52
	scratch_load_b128 v[118:121], off, off offset:144
	s_mov_b32 s0, exec_lo
	s_wait_loadcnt_dscnt 0x601
	v_fma_f64 v[122:123], v[88:89], v[110:111], 0
	s_wait_loadcnt 0x5
	s_delay_alu instid0(VALU_DEP_1) | instskip(SKIP_4) | instid1(VALU_DEP_1)
	v_fmac_f64_e32 v[122:123], v[90:91], v[112:113]
	scratch_load_b128 v[88:91], off, off offset:160
	s_wait_dscnt 0x0
	v_fmac_f64_e32 v[122:123], v[92:93], v[114:115]
	s_wait_loadcnt 0x5
	v_fmac_f64_e32 v[122:123], v[94:95], v[116:117]
	ds_load_2addr_b64 v[92:95], v2 offset0:53 offset1:54
	ds_load_2addr_b64 v[110:113], v2 offset0:55 offset1:56
	scratch_load_b128 v[114:117], off, off offset:176
	s_wait_dscnt 0x1
	v_fmac_f64_e32 v[122:123], v[96:97], v[92:93]
	s_wait_loadcnt 0x5
	s_delay_alu instid0(VALU_DEP_1) | instskip(SKIP_4) | instid1(VALU_DEP_1)
	v_fmac_f64_e32 v[122:123], v[98:99], v[94:95]
	scratch_load_b128 v[92:95], off, off offset:192
	s_wait_dscnt 0x0
	v_fmac_f64_e32 v[122:123], v[100:101], v[110:111]
	s_wait_loadcnt 0x5
	v_fmac_f64_e32 v[122:123], v[102:103], v[112:113]
	ds_load_2addr_b64 v[96:99], v2 offset0:57 offset1:58
	ds_load_2addr_b64 v[100:103], v2 offset0:59 offset1:60
	scratch_load_b128 v[110:113], off, off offset:208
	s_wait_dscnt 0x1
	v_fmac_f64_e32 v[122:123], v[104:105], v[96:97]
	s_wait_loadcnt 0x5
	s_delay_alu instid0(VALU_DEP_1) | instskip(SKIP_4) | instid1(VALU_DEP_1)
	v_fmac_f64_e32 v[122:123], v[106:107], v[98:99]
	scratch_load_b128 v[96:99], off, off offset:224
	s_wait_dscnt 0x0
	v_fmac_f64_e32 v[122:123], v[108:109], v[100:101]
	s_wait_loadcnt 0x5
	v_fmac_f64_e32 v[122:123], v[118:119], v[102:103]
	ds_load_2addr_b64 v[100:103], v2 offset0:61 offset1:62
	ds_load_2addr_b64 v[104:107], v2 offset0:63 offset1:64
	s_wait_dscnt 0x1
	v_fmac_f64_e32 v[122:123], v[120:121], v[100:101]
	scratch_load_b128 v[118:121], off, off offset:240
	s_wait_loadcnt 0x5
	v_fmac_f64_e32 v[122:123], v[88:89], v[102:103]
	s_wait_dscnt 0x0
	s_delay_alu instid0(VALU_DEP_1)
	v_fmac_f64_e32 v[122:123], v[90:91], v[104:105]
	scratch_load_b128 v[88:91], off, off offset:256
	s_wait_loadcnt 0x5
	v_fmac_f64_e32 v[122:123], v[114:115], v[106:107]
	ds_load_2addr_b64 v[100:103], v2 offset0:65 offset1:66
	ds_load_2addr_b64 v[104:107], v2 offset0:67 offset1:68
	s_wait_dscnt 0x1
	v_fmac_f64_e32 v[122:123], v[116:117], v[100:101]
	s_wait_loadcnt 0x4
	s_delay_alu instid0(VALU_DEP_1)
	v_fmac_f64_e32 v[122:123], v[92:93], v[102:103]
	scratch_load_b128 v[100:103], off, off offset:272
	s_wait_dscnt 0x0
	v_fmac_f64_e32 v[122:123], v[94:95], v[104:105]
	scratch_load_b128 v[92:95], off, off offset:288
	s_wait_loadcnt 0x5
	v_fmac_f64_e32 v[122:123], v[110:111], v[106:107]
	ds_load_2addr_b64 v[104:107], v2 offset0:69 offset1:70
	ds_load_2addr_b64 v[108:111], v2 offset0:71 offset1:72
	s_wait_dscnt 0x1
	v_fmac_f64_e32 v[122:123], v[112:113], v[104:105]
	scratch_load_b64 v[112:113], off, off offset:320
	s_wait_loadcnt 0x5
	v_fmac_f64_e32 v[122:123], v[96:97], v[106:107]
	scratch_load_b128 v[104:107], off, off offset:304
	s_wait_dscnt 0x0
	v_fmac_f64_e32 v[122:123], v[98:99], v[108:109]
	s_wait_loadcnt 0x5
	s_delay_alu instid0(VALU_DEP_1)
	v_fmac_f64_e32 v[122:123], v[118:119], v[110:111]
	ds_load_2addr_b64 v[96:99], v2 offset0:73 offset1:74
	ds_load_2addr_b64 v[108:111], v2 offset0:75 offset1:76
	s_wait_dscnt 0x1
	v_fmac_f64_e32 v[122:123], v[120:121], v[96:97]
	s_wait_loadcnt 0x4
	s_delay_alu instid0(VALU_DEP_1) | instskip(SKIP_1) | instid1(VALU_DEP_1)
	v_fmac_f64_e32 v[122:123], v[88:89], v[98:99]
	s_wait_dscnt 0x0
	v_fmac_f64_e32 v[122:123], v[90:91], v[108:109]
	ds_load_2addr_b64 v[88:91], v2 offset0:77 offset1:78
	ds_load_2addr_b64 v[96:99], v2 offset0:79 offset1:80
	s_wait_loadcnt 0x3
	v_fmac_f64_e32 v[122:123], v[100:101], v[110:111]
	s_wait_dscnt 0x1
	s_delay_alu instid0(VALU_DEP_1) | instskip(SKIP_1) | instid1(VALU_DEP_1)
	v_fmac_f64_e32 v[122:123], v[102:103], v[88:89]
	s_wait_loadcnt 0x2
	v_fmac_f64_e32 v[122:123], v[92:93], v[90:91]
	ds_load_2addr_b64 v[88:91], v2 offset0:81 offset1:82
	s_wait_dscnt 0x1
	v_fmac_f64_e32 v[122:123], v[94:95], v[96:97]
	s_wait_loadcnt 0x0
	s_delay_alu instid0(VALU_DEP_1) | instskip(SKIP_1) | instid1(VALU_DEP_1)
	v_fmac_f64_e32 v[122:123], v[104:105], v[98:99]
	s_wait_dscnt 0x0
	v_fmac_f64_e32 v[122:123], v[106:107], v[88:89]
	s_delay_alu instid0(VALU_DEP_1) | instskip(NEXT) | instid1(VALU_DEP_1)
	v_fmac_f64_e32 v[122:123], v[112:113], v[90:91]
	v_add_f64_e64 v[2:3], v[86:87], -v[122:123]
	scratch_store_b64 off, v[2:3], off offset:48
	s_wait_xcnt 0x0
	v_cmpx_lt_u32_e32 5, v0
	s_cbranch_execz .LBB40_245
; %bb.244:
	scratch_load_b64 v[2:3], off, off offset:40
	v_mov_b64_e32 v[86:87], 0
	scratch_store_b64 off, v[86:87], off offset:40
	s_wait_loadcnt 0x0
	ds_store_b64 v1, v[2:3]
.LBB40_245:
	s_wait_xcnt 0x0
	s_or_b32 exec_lo, exec_lo, s0
	s_wait_storecnt_dscnt 0x0
	s_barrier_signal -1
	s_barrier_wait -1
	s_clause 0x5
	scratch_load_b128 v[86:89], off, off offset:40
	scratch_load_b128 v[90:93], off, off offset:56
	;; [unrolled: 1-line block ×6, first 2 shown]
	v_mov_b32_e32 v2, 0
	ds_load_b128 v[110:113], v2 offset:384
	ds_load_b128 v[114:117], v2 offset:400
	scratch_load_b128 v[118:121], off, off offset:136
	s_mov_b32 s0, exec_lo
	s_wait_loadcnt_dscnt 0x601
	v_fma_f64 v[122:123], v[88:89], v[110:111], 0
	s_wait_loadcnt 0x5
	s_delay_alu instid0(VALU_DEP_1) | instskip(SKIP_4) | instid1(VALU_DEP_1)
	v_fmac_f64_e32 v[122:123], v[90:91], v[112:113]
	scratch_load_b128 v[88:91], off, off offset:152
	s_wait_dscnt 0x0
	v_fmac_f64_e32 v[122:123], v[92:93], v[114:115]
	s_wait_loadcnt 0x5
	v_fmac_f64_e32 v[122:123], v[94:95], v[116:117]
	ds_load_b128 v[92:95], v2 offset:416
	ds_load_b128 v[110:113], v2 offset:432
	scratch_load_b128 v[114:117], off, off offset:168
	s_wait_dscnt 0x1
	v_fmac_f64_e32 v[122:123], v[96:97], v[92:93]
	s_wait_loadcnt 0x5
	s_delay_alu instid0(VALU_DEP_1) | instskip(SKIP_4) | instid1(VALU_DEP_1)
	v_fmac_f64_e32 v[122:123], v[98:99], v[94:95]
	scratch_load_b128 v[92:95], off, off offset:184
	s_wait_dscnt 0x0
	v_fmac_f64_e32 v[122:123], v[100:101], v[110:111]
	s_wait_loadcnt 0x5
	v_fmac_f64_e32 v[122:123], v[102:103], v[112:113]
	ds_load_b128 v[96:99], v2 offset:448
	ds_load_b128 v[100:103], v2 offset:464
	scratch_load_b128 v[110:113], off, off offset:200
	s_wait_dscnt 0x1
	v_fmac_f64_e32 v[122:123], v[104:105], v[96:97]
	s_wait_loadcnt 0x5
	s_delay_alu instid0(VALU_DEP_1) | instskip(SKIP_4) | instid1(VALU_DEP_1)
	v_fmac_f64_e32 v[122:123], v[106:107], v[98:99]
	scratch_load_b128 v[96:99], off, off offset:216
	s_wait_dscnt 0x0
	v_fmac_f64_e32 v[122:123], v[108:109], v[100:101]
	s_wait_loadcnt 0x5
	v_fmac_f64_e32 v[122:123], v[118:119], v[102:103]
	ds_load_b128 v[100:103], v2 offset:480
	ds_load_b128 v[104:107], v2 offset:496
	s_wait_dscnt 0x1
	v_fmac_f64_e32 v[122:123], v[120:121], v[100:101]
	scratch_load_b128 v[118:121], off, off offset:232
	s_wait_loadcnt 0x5
	v_fmac_f64_e32 v[122:123], v[88:89], v[102:103]
	s_wait_dscnt 0x0
	s_delay_alu instid0(VALU_DEP_1)
	v_fmac_f64_e32 v[122:123], v[90:91], v[104:105]
	scratch_load_b128 v[88:91], off, off offset:248
	s_wait_loadcnt 0x5
	v_fmac_f64_e32 v[122:123], v[114:115], v[106:107]
	ds_load_b128 v[100:103], v2 offset:512
	ds_load_b128 v[104:107], v2 offset:528
	s_wait_dscnt 0x1
	v_fmac_f64_e32 v[122:123], v[116:117], v[100:101]
	s_wait_loadcnt 0x4
	s_delay_alu instid0(VALU_DEP_1)
	v_fmac_f64_e32 v[122:123], v[92:93], v[102:103]
	scratch_load_b128 v[100:103], off, off offset:264
	s_wait_dscnt 0x0
	v_fmac_f64_e32 v[122:123], v[94:95], v[104:105]
	scratch_load_b128 v[92:95], off, off offset:280
	s_wait_loadcnt 0x5
	v_fmac_f64_e32 v[122:123], v[110:111], v[106:107]
	ds_load_b128 v[104:107], v2 offset:544
	ds_load_b128 v[108:111], v2 offset:560
	s_wait_dscnt 0x1
	v_fmac_f64_e32 v[122:123], v[112:113], v[104:105]
	s_wait_loadcnt 0x4
	s_delay_alu instid0(VALU_DEP_1)
	v_fmac_f64_e32 v[122:123], v[96:97], v[106:107]
	scratch_load_b128 v[104:107], off, off offset:296
	s_wait_dscnt 0x0
	v_fmac_f64_e32 v[122:123], v[98:99], v[108:109]
	scratch_load_b128 v[96:99], off, off offset:312
	s_wait_loadcnt 0x5
	v_fmac_f64_e32 v[122:123], v[118:119], v[110:111]
	ds_load_b128 v[108:111], v2 offset:576
	ds_load_b128 v[112:115], v2 offset:592
	s_wait_dscnt 0x1
	v_fmac_f64_e32 v[122:123], v[120:121], v[108:109]
	s_wait_loadcnt 0x4
	s_delay_alu instid0(VALU_DEP_1) | instskip(SKIP_1) | instid1(VALU_DEP_1)
	v_fmac_f64_e32 v[122:123], v[88:89], v[110:111]
	s_wait_dscnt 0x0
	v_fmac_f64_e32 v[122:123], v[90:91], v[112:113]
	ds_load_b128 v[88:91], v2 offset:608
	ds_load_b128 v[108:111], v2 offset:624
	s_wait_loadcnt 0x3
	v_fmac_f64_e32 v[122:123], v[100:101], v[114:115]
	s_wait_dscnt 0x1
	s_delay_alu instid0(VALU_DEP_1) | instskip(SKIP_1) | instid1(VALU_DEP_1)
	v_fmac_f64_e32 v[122:123], v[102:103], v[88:89]
	s_wait_loadcnt 0x2
	v_fmac_f64_e32 v[122:123], v[92:93], v[90:91]
	ds_load_b128 v[88:91], v2 offset:640
	ds_load_b64 v[92:93], v2 offset:656
	s_wait_dscnt 0x2
	v_fmac_f64_e32 v[122:123], v[94:95], v[108:109]
	s_wait_loadcnt 0x1
	s_delay_alu instid0(VALU_DEP_1) | instskip(SKIP_1) | instid1(VALU_DEP_1)
	v_fmac_f64_e32 v[122:123], v[104:105], v[110:111]
	s_wait_dscnt 0x1
	v_fmac_f64_e32 v[122:123], v[106:107], v[88:89]
	s_wait_loadcnt 0x0
	s_delay_alu instid0(VALU_DEP_1) | instskip(SKIP_1) | instid1(VALU_DEP_1)
	v_fmac_f64_e32 v[122:123], v[96:97], v[90:91]
	s_wait_dscnt 0x0
	v_fmac_f64_e32 v[122:123], v[98:99], v[92:93]
	s_delay_alu instid0(VALU_DEP_1)
	v_add_f64_e64 v[86:87], v[86:87], -v[122:123]
	scratch_store_b64 off, v[86:87], off offset:40
	s_wait_xcnt 0x0
	v_cmpx_lt_u32_e32 4, v0
	s_cbranch_execz .LBB40_247
; %bb.246:
	scratch_load_b64 v[86:87], off, off offset:32
	v_mov_b64_e32 v[88:89], 0
	scratch_store_b64 off, v[88:89], off offset:32
	s_wait_loadcnt 0x0
	ds_store_b64 v1, v[86:87]
.LBB40_247:
	s_wait_xcnt 0x0
	s_or_b32 exec_lo, exec_lo, s0
	s_wait_storecnt_dscnt 0x0
	s_barrier_signal -1
	s_barrier_wait -1
	s_clause 0x5
	scratch_load_b128 v[86:89], off, off offset:32
	scratch_load_b128 v[90:93], off, off offset:48
	;; [unrolled: 1-line block ×6, first 2 shown]
	ds_load_2addr_b64 v[110:113], v2 offset0:47 offset1:48
	ds_load_2addr_b64 v[114:117], v2 offset0:49 offset1:50
	scratch_load_b128 v[118:121], off, off offset:128
	s_mov_b32 s0, exec_lo
	s_wait_loadcnt_dscnt 0x601
	v_fma_f64 v[122:123], v[88:89], v[110:111], 0
	s_wait_loadcnt 0x5
	s_delay_alu instid0(VALU_DEP_1) | instskip(SKIP_4) | instid1(VALU_DEP_1)
	v_fmac_f64_e32 v[122:123], v[90:91], v[112:113]
	scratch_load_b128 v[88:91], off, off offset:144
	s_wait_dscnt 0x0
	v_fmac_f64_e32 v[122:123], v[92:93], v[114:115]
	s_wait_loadcnt 0x5
	v_fmac_f64_e32 v[122:123], v[94:95], v[116:117]
	ds_load_2addr_b64 v[92:95], v2 offset0:51 offset1:52
	ds_load_2addr_b64 v[110:113], v2 offset0:53 offset1:54
	scratch_load_b128 v[114:117], off, off offset:160
	s_wait_dscnt 0x1
	v_fmac_f64_e32 v[122:123], v[96:97], v[92:93]
	s_wait_loadcnt 0x5
	s_delay_alu instid0(VALU_DEP_1) | instskip(SKIP_4) | instid1(VALU_DEP_1)
	v_fmac_f64_e32 v[122:123], v[98:99], v[94:95]
	scratch_load_b128 v[92:95], off, off offset:176
	s_wait_dscnt 0x0
	v_fmac_f64_e32 v[122:123], v[100:101], v[110:111]
	s_wait_loadcnt 0x5
	v_fmac_f64_e32 v[122:123], v[102:103], v[112:113]
	ds_load_2addr_b64 v[96:99], v2 offset0:55 offset1:56
	ds_load_2addr_b64 v[100:103], v2 offset0:57 offset1:58
	scratch_load_b128 v[110:113], off, off offset:192
	s_wait_dscnt 0x1
	v_fmac_f64_e32 v[122:123], v[104:105], v[96:97]
	s_wait_loadcnt 0x5
	s_delay_alu instid0(VALU_DEP_1) | instskip(SKIP_4) | instid1(VALU_DEP_1)
	v_fmac_f64_e32 v[122:123], v[106:107], v[98:99]
	scratch_load_b128 v[96:99], off, off offset:208
	s_wait_dscnt 0x0
	v_fmac_f64_e32 v[122:123], v[108:109], v[100:101]
	s_wait_loadcnt 0x5
	v_fmac_f64_e32 v[122:123], v[118:119], v[102:103]
	ds_load_2addr_b64 v[100:103], v2 offset0:59 offset1:60
	ds_load_2addr_b64 v[104:107], v2 offset0:61 offset1:62
	s_wait_dscnt 0x1
	v_fmac_f64_e32 v[122:123], v[120:121], v[100:101]
	scratch_load_b128 v[118:121], off, off offset:224
	s_wait_loadcnt 0x5
	v_fmac_f64_e32 v[122:123], v[88:89], v[102:103]
	s_wait_dscnt 0x0
	s_delay_alu instid0(VALU_DEP_1)
	v_fmac_f64_e32 v[122:123], v[90:91], v[104:105]
	scratch_load_b128 v[88:91], off, off offset:240
	s_wait_loadcnt 0x5
	v_fmac_f64_e32 v[122:123], v[114:115], v[106:107]
	ds_load_2addr_b64 v[100:103], v2 offset0:63 offset1:64
	ds_load_2addr_b64 v[104:107], v2 offset0:65 offset1:66
	s_wait_dscnt 0x1
	v_fmac_f64_e32 v[122:123], v[116:117], v[100:101]
	s_wait_loadcnt 0x4
	s_delay_alu instid0(VALU_DEP_1)
	v_fmac_f64_e32 v[122:123], v[92:93], v[102:103]
	scratch_load_b128 v[100:103], off, off offset:256
	s_wait_dscnt 0x0
	v_fmac_f64_e32 v[122:123], v[94:95], v[104:105]
	scratch_load_b128 v[92:95], off, off offset:272
	s_wait_loadcnt 0x5
	v_fmac_f64_e32 v[122:123], v[110:111], v[106:107]
	ds_load_2addr_b64 v[104:107], v2 offset0:67 offset1:68
	ds_load_2addr_b64 v[108:111], v2 offset0:69 offset1:70
	s_wait_dscnt 0x1
	v_fmac_f64_e32 v[122:123], v[112:113], v[104:105]
	s_wait_loadcnt 0x4
	s_delay_alu instid0(VALU_DEP_1)
	v_fmac_f64_e32 v[122:123], v[96:97], v[106:107]
	scratch_load_b128 v[104:107], off, off offset:288
	s_wait_dscnt 0x0
	v_fmac_f64_e32 v[122:123], v[98:99], v[108:109]
	scratch_load_b128 v[96:99], off, off offset:304
	s_wait_loadcnt 0x5
	v_fmac_f64_e32 v[122:123], v[118:119], v[110:111]
	ds_load_2addr_b64 v[108:111], v2 offset0:71 offset1:72
	ds_load_2addr_b64 v[112:115], v2 offset0:73 offset1:74
	scratch_load_b64 v[116:117], off, off offset:320
	s_wait_dscnt 0x1
	v_fmac_f64_e32 v[122:123], v[120:121], v[108:109]
	s_wait_loadcnt 0x5
	s_delay_alu instid0(VALU_DEP_1) | instskip(SKIP_1) | instid1(VALU_DEP_1)
	v_fmac_f64_e32 v[122:123], v[88:89], v[110:111]
	s_wait_dscnt 0x0
	v_fmac_f64_e32 v[122:123], v[90:91], v[112:113]
	ds_load_2addr_b64 v[88:91], v2 offset0:75 offset1:76
	ds_load_2addr_b64 v[108:111], v2 offset0:77 offset1:78
	s_wait_loadcnt 0x4
	v_fmac_f64_e32 v[122:123], v[100:101], v[114:115]
	s_wait_dscnt 0x1
	s_delay_alu instid0(VALU_DEP_1) | instskip(SKIP_1) | instid1(VALU_DEP_1)
	v_fmac_f64_e32 v[122:123], v[102:103], v[88:89]
	s_wait_loadcnt 0x3
	v_fmac_f64_e32 v[122:123], v[92:93], v[90:91]
	s_wait_dscnt 0x0
	s_delay_alu instid0(VALU_DEP_1)
	v_fmac_f64_e32 v[122:123], v[94:95], v[108:109]
	ds_load_2addr_b64 v[88:91], v2 offset0:79 offset1:80
	ds_load_2addr_b64 v[92:95], v2 offset0:81 offset1:82
	s_wait_loadcnt 0x2
	v_fmac_f64_e32 v[122:123], v[104:105], v[110:111]
	s_wait_dscnt 0x1
	s_delay_alu instid0(VALU_DEP_1) | instskip(SKIP_1) | instid1(VALU_DEP_1)
	v_fmac_f64_e32 v[122:123], v[106:107], v[88:89]
	s_wait_loadcnt 0x1
	v_fmac_f64_e32 v[122:123], v[96:97], v[90:91]
	s_wait_dscnt 0x0
	s_delay_alu instid0(VALU_DEP_1) | instskip(SKIP_1) | instid1(VALU_DEP_1)
	v_fmac_f64_e32 v[122:123], v[98:99], v[92:93]
	s_wait_loadcnt 0x0
	v_fmac_f64_e32 v[122:123], v[116:117], v[94:95]
	s_delay_alu instid0(VALU_DEP_1)
	v_add_f64_e64 v[2:3], v[86:87], -v[122:123]
	scratch_store_b64 off, v[2:3], off offset:32
	s_wait_xcnt 0x0
	v_cmpx_lt_u32_e32 3, v0
	s_cbranch_execz .LBB40_249
; %bb.248:
	scratch_load_b64 v[2:3], off, off offset:24
	v_mov_b64_e32 v[86:87], 0
	scratch_store_b64 off, v[86:87], off offset:24
	s_wait_loadcnt 0x0
	ds_store_b64 v1, v[2:3]
.LBB40_249:
	s_wait_xcnt 0x0
	s_or_b32 exec_lo, exec_lo, s0
	s_wait_storecnt_dscnt 0x0
	s_barrier_signal -1
	s_barrier_wait -1
	s_clause 0x5
	scratch_load_b128 v[86:89], off, off offset:24
	scratch_load_b128 v[90:93], off, off offset:40
	;; [unrolled: 1-line block ×6, first 2 shown]
	v_mov_b32_e32 v2, 0
	ds_load_b128 v[110:113], v2 offset:368
	ds_load_b128 v[114:117], v2 offset:384
	scratch_load_b128 v[118:121], off, off offset:120
	s_mov_b32 s0, exec_lo
	s_wait_loadcnt_dscnt 0x601
	v_fma_f64 v[122:123], v[88:89], v[110:111], 0
	s_wait_loadcnt 0x5
	s_delay_alu instid0(VALU_DEP_1) | instskip(SKIP_4) | instid1(VALU_DEP_1)
	v_fmac_f64_e32 v[122:123], v[90:91], v[112:113]
	scratch_load_b128 v[88:91], off, off offset:136
	s_wait_dscnt 0x0
	v_fmac_f64_e32 v[122:123], v[92:93], v[114:115]
	s_wait_loadcnt 0x5
	v_fmac_f64_e32 v[122:123], v[94:95], v[116:117]
	ds_load_b128 v[92:95], v2 offset:400
	ds_load_b128 v[110:113], v2 offset:416
	scratch_load_b128 v[114:117], off, off offset:152
	s_wait_dscnt 0x1
	v_fmac_f64_e32 v[122:123], v[96:97], v[92:93]
	s_wait_loadcnt 0x5
	s_delay_alu instid0(VALU_DEP_1) | instskip(SKIP_4) | instid1(VALU_DEP_1)
	v_fmac_f64_e32 v[122:123], v[98:99], v[94:95]
	scratch_load_b128 v[92:95], off, off offset:168
	s_wait_dscnt 0x0
	v_fmac_f64_e32 v[122:123], v[100:101], v[110:111]
	s_wait_loadcnt 0x5
	v_fmac_f64_e32 v[122:123], v[102:103], v[112:113]
	ds_load_b128 v[96:99], v2 offset:432
	ds_load_b128 v[100:103], v2 offset:448
	scratch_load_b128 v[110:113], off, off offset:184
	s_wait_dscnt 0x1
	v_fmac_f64_e32 v[122:123], v[104:105], v[96:97]
	s_wait_loadcnt 0x5
	s_delay_alu instid0(VALU_DEP_1) | instskip(SKIP_4) | instid1(VALU_DEP_1)
	v_fmac_f64_e32 v[122:123], v[106:107], v[98:99]
	scratch_load_b128 v[96:99], off, off offset:200
	s_wait_dscnt 0x0
	v_fmac_f64_e32 v[122:123], v[108:109], v[100:101]
	s_wait_loadcnt 0x5
	v_fmac_f64_e32 v[122:123], v[118:119], v[102:103]
	ds_load_b128 v[100:103], v2 offset:464
	ds_load_b128 v[104:107], v2 offset:480
	s_wait_dscnt 0x1
	v_fmac_f64_e32 v[122:123], v[120:121], v[100:101]
	scratch_load_b128 v[118:121], off, off offset:216
	s_wait_loadcnt 0x5
	v_fmac_f64_e32 v[122:123], v[88:89], v[102:103]
	s_wait_dscnt 0x0
	s_delay_alu instid0(VALU_DEP_1)
	v_fmac_f64_e32 v[122:123], v[90:91], v[104:105]
	scratch_load_b128 v[88:91], off, off offset:232
	s_wait_loadcnt 0x5
	v_fmac_f64_e32 v[122:123], v[114:115], v[106:107]
	ds_load_b128 v[100:103], v2 offset:496
	ds_load_b128 v[104:107], v2 offset:512
	s_wait_dscnt 0x1
	v_fmac_f64_e32 v[122:123], v[116:117], v[100:101]
	s_wait_loadcnt 0x4
	s_delay_alu instid0(VALU_DEP_1)
	v_fmac_f64_e32 v[122:123], v[92:93], v[102:103]
	scratch_load_b128 v[100:103], off, off offset:248
	s_wait_dscnt 0x0
	v_fmac_f64_e32 v[122:123], v[94:95], v[104:105]
	scratch_load_b128 v[92:95], off, off offset:264
	s_wait_loadcnt 0x5
	v_fmac_f64_e32 v[122:123], v[110:111], v[106:107]
	ds_load_b128 v[104:107], v2 offset:528
	ds_load_b128 v[108:111], v2 offset:544
	s_wait_dscnt 0x1
	v_fmac_f64_e32 v[122:123], v[112:113], v[104:105]
	s_wait_loadcnt 0x4
	s_delay_alu instid0(VALU_DEP_1)
	v_fmac_f64_e32 v[122:123], v[96:97], v[106:107]
	scratch_load_b128 v[104:107], off, off offset:280
	s_wait_dscnt 0x0
	v_fmac_f64_e32 v[122:123], v[98:99], v[108:109]
	scratch_load_b128 v[96:99], off, off offset:296
	s_wait_loadcnt 0x5
	v_fmac_f64_e32 v[122:123], v[118:119], v[110:111]
	ds_load_b128 v[108:111], v2 offset:560
	ds_load_b128 v[112:115], v2 offset:576
	s_wait_dscnt 0x1
	v_fmac_f64_e32 v[122:123], v[120:121], v[108:109]
	s_wait_loadcnt 0x4
	s_delay_alu instid0(VALU_DEP_1) | instskip(SKIP_4) | instid1(VALU_DEP_1)
	v_fmac_f64_e32 v[122:123], v[88:89], v[110:111]
	scratch_load_b128 v[108:111], off, off offset:312
	s_wait_dscnt 0x0
	v_fmac_f64_e32 v[122:123], v[90:91], v[112:113]
	s_wait_loadcnt 0x4
	v_fmac_f64_e32 v[122:123], v[100:101], v[114:115]
	ds_load_b128 v[88:91], v2 offset:592
	ds_load_b128 v[112:115], v2 offset:608
	s_wait_dscnt 0x1
	v_fmac_f64_e32 v[122:123], v[102:103], v[88:89]
	s_wait_loadcnt 0x3
	s_delay_alu instid0(VALU_DEP_1) | instskip(SKIP_1) | instid1(VALU_DEP_1)
	v_fmac_f64_e32 v[122:123], v[92:93], v[90:91]
	s_wait_dscnt 0x0
	v_fmac_f64_e32 v[122:123], v[94:95], v[112:113]
	ds_load_b128 v[88:91], v2 offset:624
	ds_load_b128 v[92:95], v2 offset:640
	s_wait_loadcnt 0x2
	v_fmac_f64_e32 v[122:123], v[104:105], v[114:115]
	s_wait_dscnt 0x1
	s_delay_alu instid0(VALU_DEP_1) | instskip(SKIP_4) | instid1(VALU_DEP_1)
	v_fmac_f64_e32 v[122:123], v[106:107], v[88:89]
	ds_load_b64 v[88:89], v2 offset:656
	s_wait_loadcnt 0x1
	v_fmac_f64_e32 v[122:123], v[96:97], v[90:91]
	s_wait_dscnt 0x1
	v_fmac_f64_e32 v[122:123], v[98:99], v[92:93]
	s_wait_loadcnt 0x0
	s_delay_alu instid0(VALU_DEP_1) | instskip(SKIP_1) | instid1(VALU_DEP_1)
	v_fmac_f64_e32 v[122:123], v[108:109], v[94:95]
	s_wait_dscnt 0x0
	v_fmac_f64_e32 v[122:123], v[110:111], v[88:89]
	s_delay_alu instid0(VALU_DEP_1)
	v_add_f64_e64 v[86:87], v[86:87], -v[122:123]
	scratch_store_b64 off, v[86:87], off offset:24
	s_wait_xcnt 0x0
	v_cmpx_lt_u32_e32 2, v0
	s_cbranch_execz .LBB40_251
; %bb.250:
	scratch_load_b64 v[86:87], off, off offset:16
	v_mov_b64_e32 v[88:89], 0
	scratch_store_b64 off, v[88:89], off offset:16
	s_wait_loadcnt 0x0
	ds_store_b64 v1, v[86:87]
.LBB40_251:
	s_wait_xcnt 0x0
	s_or_b32 exec_lo, exec_lo, s0
	s_wait_storecnt_dscnt 0x0
	s_barrier_signal -1
	s_barrier_wait -1
	s_clause 0x5
	scratch_load_b128 v[86:89], off, off offset:16
	scratch_load_b128 v[90:93], off, off offset:32
	;; [unrolled: 1-line block ×6, first 2 shown]
	ds_load_2addr_b64 v[110:113], v2 offset0:45 offset1:46
	ds_load_2addr_b64 v[114:117], v2 offset0:47 offset1:48
	scratch_load_b128 v[118:121], off, off offset:112
	s_mov_b32 s0, exec_lo
	s_wait_loadcnt_dscnt 0x601
	v_fma_f64 v[122:123], v[88:89], v[110:111], 0
	s_wait_loadcnt 0x5
	s_delay_alu instid0(VALU_DEP_1) | instskip(SKIP_4) | instid1(VALU_DEP_1)
	v_fmac_f64_e32 v[122:123], v[90:91], v[112:113]
	scratch_load_b128 v[88:91], off, off offset:128
	s_wait_dscnt 0x0
	v_fmac_f64_e32 v[122:123], v[92:93], v[114:115]
	s_wait_loadcnt 0x5
	v_fmac_f64_e32 v[122:123], v[94:95], v[116:117]
	ds_load_2addr_b64 v[92:95], v2 offset0:49 offset1:50
	ds_load_2addr_b64 v[110:113], v2 offset0:51 offset1:52
	scratch_load_b128 v[114:117], off, off offset:144
	s_wait_dscnt 0x1
	v_fmac_f64_e32 v[122:123], v[96:97], v[92:93]
	s_wait_loadcnt 0x5
	s_delay_alu instid0(VALU_DEP_1) | instskip(SKIP_4) | instid1(VALU_DEP_1)
	v_fmac_f64_e32 v[122:123], v[98:99], v[94:95]
	scratch_load_b128 v[92:95], off, off offset:160
	s_wait_dscnt 0x0
	v_fmac_f64_e32 v[122:123], v[100:101], v[110:111]
	s_wait_loadcnt 0x5
	v_fmac_f64_e32 v[122:123], v[102:103], v[112:113]
	ds_load_2addr_b64 v[96:99], v2 offset0:53 offset1:54
	ds_load_2addr_b64 v[100:103], v2 offset0:55 offset1:56
	scratch_load_b128 v[110:113], off, off offset:176
	s_wait_dscnt 0x1
	v_fmac_f64_e32 v[122:123], v[104:105], v[96:97]
	s_wait_loadcnt 0x5
	s_delay_alu instid0(VALU_DEP_1) | instskip(SKIP_4) | instid1(VALU_DEP_1)
	v_fmac_f64_e32 v[122:123], v[106:107], v[98:99]
	scratch_load_b128 v[96:99], off, off offset:192
	s_wait_dscnt 0x0
	v_fmac_f64_e32 v[122:123], v[108:109], v[100:101]
	s_wait_loadcnt 0x5
	v_fmac_f64_e32 v[122:123], v[118:119], v[102:103]
	ds_load_2addr_b64 v[100:103], v2 offset0:57 offset1:58
	ds_load_2addr_b64 v[104:107], v2 offset0:59 offset1:60
	s_wait_dscnt 0x1
	v_fmac_f64_e32 v[122:123], v[120:121], v[100:101]
	scratch_load_b128 v[118:121], off, off offset:208
	s_wait_loadcnt 0x5
	v_fmac_f64_e32 v[122:123], v[88:89], v[102:103]
	s_wait_dscnt 0x0
	s_delay_alu instid0(VALU_DEP_1)
	v_fmac_f64_e32 v[122:123], v[90:91], v[104:105]
	scratch_load_b128 v[88:91], off, off offset:224
	s_wait_loadcnt 0x5
	v_fmac_f64_e32 v[122:123], v[114:115], v[106:107]
	ds_load_2addr_b64 v[100:103], v2 offset0:61 offset1:62
	ds_load_2addr_b64 v[104:107], v2 offset0:63 offset1:64
	s_wait_dscnt 0x1
	v_fmac_f64_e32 v[122:123], v[116:117], v[100:101]
	scratch_load_b128 v[114:117], off, off offset:240
	s_wait_loadcnt 0x5
	v_fmac_f64_e32 v[122:123], v[92:93], v[102:103]
	s_wait_dscnt 0x0
	s_delay_alu instid0(VALU_DEP_1)
	v_fmac_f64_e32 v[122:123], v[94:95], v[104:105]
	scratch_load_b128 v[92:95], off, off offset:256
	s_wait_loadcnt 0x5
	v_fmac_f64_e32 v[122:123], v[110:111], v[106:107]
	ds_load_2addr_b64 v[100:103], v2 offset0:65 offset1:66
	ds_load_2addr_b64 v[104:107], v2 offset0:67 offset1:68
	s_wait_dscnt 0x1
	v_fmac_f64_e32 v[122:123], v[112:113], v[100:101]
	s_wait_loadcnt 0x4
	s_delay_alu instid0(VALU_DEP_1)
	v_fmac_f64_e32 v[122:123], v[96:97], v[102:103]
	scratch_load_b128 v[100:103], off, off offset:272
	s_wait_dscnt 0x0
	v_fmac_f64_e32 v[122:123], v[98:99], v[104:105]
	scratch_load_b128 v[96:99], off, off offset:288
	s_wait_loadcnt 0x5
	v_fmac_f64_e32 v[122:123], v[118:119], v[106:107]
	ds_load_2addr_b64 v[104:107], v2 offset0:69 offset1:70
	ds_load_2addr_b64 v[108:111], v2 offset0:71 offset1:72
	scratch_load_b64 v[112:113], off, off offset:320
	s_wait_dscnt 0x1
	v_fmac_f64_e32 v[122:123], v[120:121], v[104:105]
	s_wait_loadcnt 0x5
	s_delay_alu instid0(VALU_DEP_1) | instskip(SKIP_4) | instid1(VALU_DEP_1)
	v_fmac_f64_e32 v[122:123], v[88:89], v[106:107]
	scratch_load_b128 v[104:107], off, off offset:304
	s_wait_dscnt 0x0
	v_fmac_f64_e32 v[122:123], v[90:91], v[108:109]
	s_wait_loadcnt 0x5
	v_fmac_f64_e32 v[122:123], v[114:115], v[110:111]
	ds_load_2addr_b64 v[88:91], v2 offset0:73 offset1:74
	ds_load_2addr_b64 v[108:111], v2 offset0:75 offset1:76
	s_wait_dscnt 0x1
	v_fmac_f64_e32 v[122:123], v[116:117], v[88:89]
	s_wait_loadcnt 0x4
	s_delay_alu instid0(VALU_DEP_1) | instskip(SKIP_1) | instid1(VALU_DEP_1)
	v_fmac_f64_e32 v[122:123], v[92:93], v[90:91]
	s_wait_dscnt 0x0
	v_fmac_f64_e32 v[122:123], v[94:95], v[108:109]
	ds_load_2addr_b64 v[88:91], v2 offset0:77 offset1:78
	ds_load_2addr_b64 v[92:95], v2 offset0:79 offset1:80
	s_wait_loadcnt 0x3
	v_fmac_f64_e32 v[122:123], v[100:101], v[110:111]
	s_wait_dscnt 0x1
	s_delay_alu instid0(VALU_DEP_1) | instskip(SKIP_1) | instid1(VALU_DEP_1)
	v_fmac_f64_e32 v[122:123], v[102:103], v[88:89]
	s_wait_loadcnt 0x2
	v_fmac_f64_e32 v[122:123], v[96:97], v[90:91]
	ds_load_2addr_b64 v[88:91], v2 offset0:81 offset1:82
	s_wait_dscnt 0x1
	v_fmac_f64_e32 v[122:123], v[98:99], v[92:93]
	s_wait_loadcnt 0x0
	s_delay_alu instid0(VALU_DEP_1) | instskip(SKIP_1) | instid1(VALU_DEP_1)
	v_fmac_f64_e32 v[122:123], v[104:105], v[94:95]
	s_wait_dscnt 0x0
	v_fmac_f64_e32 v[122:123], v[106:107], v[88:89]
	s_delay_alu instid0(VALU_DEP_1) | instskip(NEXT) | instid1(VALU_DEP_1)
	v_fmac_f64_e32 v[122:123], v[112:113], v[90:91]
	v_add_f64_e64 v[2:3], v[86:87], -v[122:123]
	scratch_store_b64 off, v[2:3], off offset:16
	s_wait_xcnt 0x0
	v_cmpx_lt_u32_e32 1, v0
	s_cbranch_execz .LBB40_253
; %bb.252:
	scratch_load_b64 v[2:3], off, off offset:8
	v_mov_b64_e32 v[86:87], 0
	scratch_store_b64 off, v[86:87], off offset:8
	s_wait_loadcnt 0x0
	ds_store_b64 v1, v[2:3]
.LBB40_253:
	s_wait_xcnt 0x0
	s_or_b32 exec_lo, exec_lo, s0
	s_wait_storecnt_dscnt 0x0
	s_barrier_signal -1
	s_barrier_wait -1
	s_clause 0x5
	scratch_load_b128 v[88:91], off, off offset:8
	scratch_load_b128 v[92:95], off, off offset:24
	;; [unrolled: 1-line block ×6, first 2 shown]
	v_dual_mov_b32 v86, 0 :: v_dual_ashrrev_i32 v9, 31, v8
	ds_load_b128 v[112:115], v86 offset:352
	ds_load_b128 v[116:119], v86 offset:368
	scratch_load_b128 v[120:123], off, off offset:104
	v_dual_ashrrev_i32 v11, 31, v10 :: v_dual_ashrrev_i32 v13, 31, v12
	v_dual_ashrrev_i32 v15, 31, v14 :: v_dual_ashrrev_i32 v17, 31, v16
	v_dual_ashrrev_i32 v19, 31, v18 :: v_dual_ashrrev_i32 v21, 31, v20
	v_dual_ashrrev_i32 v23, 31, v22 :: v_dual_ashrrev_i32 v25, 31, v24
	v_dual_ashrrev_i32 v27, 31, v26 :: v_dual_ashrrev_i32 v29, 31, v28
	v_dual_ashrrev_i32 v31, 31, v30 :: v_dual_ashrrev_i32 v33, 31, v32
	v_dual_ashrrev_i32 v35, 31, v34 :: v_dual_ashrrev_i32 v41, 31, v40
	v_dual_ashrrev_i32 v39, 31, v38 :: v_dual_ashrrev_i32 v45, 31, v44
	v_dual_ashrrev_i32 v43, 31, v42 :: v_dual_ashrrev_i32 v49, 31, v48
	v_dual_ashrrev_i32 v47, 31, v46 :: v_dual_ashrrev_i32 v53, 31, v52
	v_dual_ashrrev_i32 v51, 31, v50 :: v_dual_ashrrev_i32 v57, 31, v56
	v_dual_ashrrev_i32 v55, 31, v54 :: v_dual_ashrrev_i32 v61, 31, v60
	v_dual_ashrrev_i32 v59, 31, v58 :: v_dual_ashrrev_i32 v65, 31, v64
	v_dual_ashrrev_i32 v63, 31, v62 :: v_dual_ashrrev_i32 v69, 31, v68
	v_dual_ashrrev_i32 v67, 31, v66 :: v_dual_ashrrev_i32 v73, 31, v72
	v_dual_ashrrev_i32 v71, 31, v70 :: v_dual_ashrrev_i32 v77, 31, v76
	v_dual_ashrrev_i32 v75, 31, v74 :: v_dual_ashrrev_i32 v81, 31, v80
	v_dual_ashrrev_i32 v79, 31, v78 :: v_dual_ashrrev_i32 v85, 31, v84
	v_ashrrev_i32_e32 v83, 31, v82
	s_mov_b32 s0, exec_lo
	v_ashrrev_i32_e32 v37, 31, v36
	s_wait_loadcnt_dscnt 0x601
	v_fma_f64 v[2:3], v[90:91], v[112:113], 0
	s_wait_loadcnt 0x5
	s_delay_alu instid0(VALU_DEP_1) | instskip(SKIP_4) | instid1(VALU_DEP_1)
	v_fmac_f64_e32 v[2:3], v[92:93], v[114:115]
	scratch_load_b128 v[90:93], off, off offset:120
	s_wait_dscnt 0x0
	v_fmac_f64_e32 v[2:3], v[94:95], v[116:117]
	s_wait_loadcnt 0x5
	v_fmac_f64_e32 v[2:3], v[96:97], v[118:119]
	ds_load_b128 v[94:97], v86 offset:384
	ds_load_b128 v[112:115], v86 offset:400
	scratch_load_b128 v[116:119], off, off offset:136
	s_wait_dscnt 0x1
	v_fmac_f64_e32 v[2:3], v[98:99], v[94:95]
	s_wait_loadcnt 0x5
	s_delay_alu instid0(VALU_DEP_1) | instskip(SKIP_4) | instid1(VALU_DEP_1)
	v_fmac_f64_e32 v[2:3], v[100:101], v[96:97]
	scratch_load_b128 v[94:97], off, off offset:152
	s_wait_dscnt 0x0
	v_fmac_f64_e32 v[2:3], v[102:103], v[112:113]
	s_wait_loadcnt 0x5
	v_fmac_f64_e32 v[2:3], v[104:105], v[114:115]
	ds_load_b128 v[98:101], v86 offset:416
	ds_load_b128 v[102:105], v86 offset:432
	scratch_load_b128 v[112:115], off, off offset:168
	s_wait_dscnt 0x1
	v_fmac_f64_e32 v[2:3], v[106:107], v[98:99]
	s_wait_loadcnt 0x5
	s_delay_alu instid0(VALU_DEP_1) | instskip(SKIP_4) | instid1(VALU_DEP_1)
	v_fmac_f64_e32 v[2:3], v[108:109], v[100:101]
	scratch_load_b128 v[98:101], off, off offset:184
	s_wait_dscnt 0x0
	v_fmac_f64_e32 v[2:3], v[110:111], v[102:103]
	s_wait_loadcnt 0x5
	v_fmac_f64_e32 v[2:3], v[120:121], v[104:105]
	ds_load_b128 v[102:105], v86 offset:448
	ds_load_b128 v[106:109], v86 offset:464
	s_wait_dscnt 0x1
	v_fmac_f64_e32 v[2:3], v[122:123], v[102:103]
	scratch_load_b128 v[120:123], off, off offset:200
	s_wait_loadcnt 0x5
	v_fmac_f64_e32 v[2:3], v[90:91], v[104:105]
	s_wait_dscnt 0x0
	s_delay_alu instid0(VALU_DEP_1)
	v_fmac_f64_e32 v[2:3], v[92:93], v[106:107]
	scratch_load_b128 v[90:93], off, off offset:216
	s_wait_loadcnt 0x5
	v_fmac_f64_e32 v[2:3], v[116:117], v[108:109]
	ds_load_b128 v[102:105], v86 offset:480
	ds_load_b128 v[106:109], v86 offset:496
	s_wait_dscnt 0x1
	v_fmac_f64_e32 v[2:3], v[118:119], v[102:103]
	scratch_load_b128 v[116:119], off, off offset:232
	s_wait_loadcnt 0x5
	v_fmac_f64_e32 v[2:3], v[94:95], v[104:105]
	s_wait_dscnt 0x0
	s_delay_alu instid0(VALU_DEP_1)
	v_fmac_f64_e32 v[2:3], v[96:97], v[106:107]
	scratch_load_b128 v[94:97], off, off offset:248
	s_wait_loadcnt 0x5
	v_fmac_f64_e32 v[2:3], v[112:113], v[108:109]
	ds_load_b128 v[102:105], v86 offset:512
	ds_load_b128 v[106:109], v86 offset:528
	s_wait_dscnt 0x1
	v_fmac_f64_e32 v[2:3], v[114:115], v[102:103]
	s_wait_loadcnt 0x4
	s_delay_alu instid0(VALU_DEP_1)
	v_fmac_f64_e32 v[2:3], v[98:99], v[104:105]
	scratch_load_b128 v[102:105], off, off offset:264
	s_wait_dscnt 0x0
	v_fmac_f64_e32 v[2:3], v[100:101], v[106:107]
	scratch_load_b128 v[98:101], off, off offset:280
	s_wait_loadcnt 0x5
	v_fmac_f64_e32 v[2:3], v[120:121], v[108:109]
	ds_load_b128 v[106:109], v86 offset:544
	ds_load_b128 v[110:113], v86 offset:560
	s_wait_dscnt 0x1
	v_fmac_f64_e32 v[2:3], v[122:123], v[106:107]
	s_wait_loadcnt 0x4
	s_delay_alu instid0(VALU_DEP_1)
	v_fmac_f64_e32 v[2:3], v[90:91], v[108:109]
	scratch_load_b128 v[106:109], off, off offset:296
	s_wait_dscnt 0x0
	v_fmac_f64_e32 v[2:3], v[92:93], v[110:111]
	scratch_load_b128 v[90:93], off, off offset:312
	s_wait_loadcnt 0x5
	v_fmac_f64_e32 v[2:3], v[116:117], v[112:113]
	ds_load_b128 v[110:113], v86 offset:576
	ds_load_b128 v[114:117], v86 offset:592
	s_wait_dscnt 0x1
	v_fmac_f64_e32 v[2:3], v[118:119], v[110:111]
	s_wait_loadcnt 0x4
	s_delay_alu instid0(VALU_DEP_1) | instskip(SKIP_1) | instid1(VALU_DEP_1)
	v_fmac_f64_e32 v[2:3], v[94:95], v[112:113]
	s_wait_dscnt 0x0
	v_fmac_f64_e32 v[2:3], v[96:97], v[114:115]
	ds_load_b128 v[94:97], v86 offset:608
	ds_load_b128 v[110:113], v86 offset:624
	s_wait_loadcnt 0x3
	v_fmac_f64_e32 v[2:3], v[102:103], v[116:117]
	s_wait_dscnt 0x1
	s_delay_alu instid0(VALU_DEP_1) | instskip(SKIP_1) | instid1(VALU_DEP_1)
	v_fmac_f64_e32 v[2:3], v[104:105], v[94:95]
	s_wait_loadcnt 0x2
	v_fmac_f64_e32 v[2:3], v[98:99], v[96:97]
	ds_load_b128 v[94:97], v86 offset:640
	s_wait_dscnt 0x1
	v_fmac_f64_e32 v[2:3], v[100:101], v[110:111]
	s_wait_loadcnt 0x1
	s_delay_alu instid0(VALU_DEP_1) | instskip(SKIP_1) | instid1(VALU_DEP_1)
	v_fmac_f64_e32 v[2:3], v[106:107], v[112:113]
	s_wait_dscnt 0x0
	v_fmac_f64_e32 v[2:3], v[108:109], v[94:95]
	s_wait_loadcnt 0x0
	s_delay_alu instid0(VALU_DEP_1) | instskip(SKIP_3) | instid1(VALU_DEP_1)
	v_fmac_f64_e32 v[2:3], v[90:91], v[96:97]
	ds_load_b64 v[90:91], v86 offset:656
	s_wait_dscnt 0x0
	v_fmac_f64_e32 v[2:3], v[92:93], v[90:91]
	v_add_f64_e64 v[2:3], v[88:89], -v[2:3]
	scratch_store_b64 off, v[2:3], off offset:8
	s_wait_xcnt 0x0
	v_cmpx_ne_u32_e32 0, v0
	s_cbranch_execz .LBB40_255
; %bb.254:
	scratch_load_b64 v[2:3], off, off
	v_mov_b64_e32 v[88:89], 0
	scratch_store_b64 off, v[88:89], off
	s_wait_loadcnt 0x0
	ds_store_b64 v1, v[2:3]
.LBB40_255:
	s_wait_xcnt 0x0
	s_or_b32 exec_lo, exec_lo, s0
	s_wait_storecnt_dscnt 0x0
	s_barrier_signal -1
	s_barrier_wait -1
	s_clause 0x5
	scratch_load_b128 v[88:91], off, off
	scratch_load_b128 v[0:3], off, off offset:16
	scratch_load_b128 v[92:95], off, off offset:32
	;; [unrolled: 1-line block ×5, first 2 shown]
	ds_load_2addr_b64 v[108:111], v86 offset0:43 offset1:44
	scratch_load_b128 v[112:115], off, off offset:96
	s_and_b32 vcc_lo, exec_lo, s18
	s_wait_loadcnt_dscnt 0x600
	v_fma_f64 v[116:117], v[90:91], v[108:109], 0
	s_wait_loadcnt 0x5
	s_delay_alu instid0(VALU_DEP_1)
	v_fmac_f64_e32 v[116:117], v[0:1], v[110:111]
	ds_load_2addr_b64 v[108:111], v86 offset0:45 offset1:46
	s_wait_dscnt 0x0
	v_fmac_f64_e32 v[116:117], v[2:3], v[108:109]
	scratch_load_b128 v[0:3], off, off offset:112
	s_wait_loadcnt 0x5
	v_fmac_f64_e32 v[116:117], v[92:93], v[110:111]
	ds_load_2addr_b64 v[90:93], v86 offset0:47 offset1:48
	scratch_load_b128 v[108:111], off, off offset:128
	s_wait_dscnt 0x0
	v_fmac_f64_e32 v[116:117], v[94:95], v[90:91]
	s_wait_loadcnt 0x5
	s_delay_alu instid0(VALU_DEP_1)
	v_fmac_f64_e32 v[116:117], v[96:97], v[92:93]
	ds_load_2addr_b64 v[90:93], v86 offset0:49 offset1:50
	scratch_load_b128 v[94:97], off, off offset:144
	s_wait_dscnt 0x0
	v_fmac_f64_e32 v[116:117], v[98:99], v[90:91]
	s_wait_loadcnt 0x5
	s_delay_alu instid0(VALU_DEP_1)
	;; [unrolled: 7-line block ×4, first 2 shown]
	v_fmac_f64_e32 v[116:117], v[112:113], v[92:93]
	ds_load_2addr_b64 v[90:93], v86 offset0:55 offset1:56
	s_wait_dscnt 0x0
	v_fmac_f64_e32 v[116:117], v[114:115], v[90:91]
	scratch_load_b128 v[112:115], off, off offset:192
	s_wait_loadcnt 0x5
	v_fmac_f64_e32 v[116:117], v[0:1], v[92:93]
	ds_load_2addr_b64 v[90:93], v86 offset0:57 offset1:58
	s_wait_dscnt 0x0
	v_fmac_f64_e32 v[116:117], v[2:3], v[90:91]
	scratch_load_b128 v[0:3], off, off offset:208
	s_wait_loadcnt 0x5
	v_fmac_f64_e32 v[116:117], v[108:109], v[92:93]
	ds_load_2addr_b64 v[90:93], v86 offset0:59 offset1:60
	scratch_load_b128 v[106:109], off, off offset:224
	s_wait_dscnt 0x0
	v_fmac_f64_e32 v[116:117], v[110:111], v[90:91]
	s_wait_loadcnt 0x5
	s_delay_alu instid0(VALU_DEP_1)
	v_fmac_f64_e32 v[116:117], v[94:95], v[92:93]
	ds_load_2addr_b64 v[90:93], v86 offset0:61 offset1:62
	s_wait_dscnt 0x0
	v_fmac_f64_e32 v[116:117], v[96:97], v[90:91]
	scratch_load_b128 v[94:97], off, off offset:240
	s_wait_loadcnt 0x5
	v_fmac_f64_e32 v[116:117], v[98:99], v[92:93]
	ds_load_2addr_b64 v[90:93], v86 offset0:63 offset1:64
	s_wait_dscnt 0x0
	v_fmac_f64_e32 v[116:117], v[100:101], v[90:91]
	scratch_load_b128 v[98:101], off, off offset:256
	s_wait_loadcnt 0x5
	;; [unrolled: 6-line block ×3, first 2 shown]
	v_fmac_f64_e32 v[116:117], v[112:113], v[92:93]
	ds_load_2addr_b64 v[90:93], v86 offset0:67 offset1:68
	scratch_load_b128 v[110:113], off, off offset:288
	s_wait_dscnt 0x0
	v_fmac_f64_e32 v[116:117], v[114:115], v[90:91]
	s_wait_loadcnt 0x5
	s_delay_alu instid0(VALU_DEP_1)
	v_fmac_f64_e32 v[116:117], v[0:1], v[92:93]
	ds_load_2addr_b64 v[90:93], v86 offset0:69 offset1:70
	s_wait_dscnt 0x0
	v_fmac_f64_e32 v[116:117], v[2:3], v[90:91]
	scratch_load_b128 v[0:3], off, off offset:304
	s_wait_loadcnt 0x5
	v_fmac_f64_e32 v[116:117], v[106:107], v[92:93]
	ds_load_2addr_b64 v[90:93], v86 offset0:71 offset1:72
	scratch_load_b64 v[106:107], off, off offset:320
	s_wait_dscnt 0x0
	v_fmac_f64_e32 v[116:117], v[108:109], v[90:91]
	s_wait_loadcnt 0x5
	s_delay_alu instid0(VALU_DEP_1) | instskip(SKIP_4) | instid1(VALU_DEP_1)
	v_fmac_f64_e32 v[116:117], v[94:95], v[92:93]
	ds_load_2addr_b64 v[90:93], v86 offset0:73 offset1:74
	s_wait_dscnt 0x0
	v_fmac_f64_e32 v[116:117], v[96:97], v[90:91]
	s_wait_loadcnt 0x4
	v_fmac_f64_e32 v[116:117], v[98:99], v[92:93]
	ds_load_2addr_b64 v[90:93], v86 offset0:75 offset1:76
	s_wait_dscnt 0x0
	v_fmac_f64_e32 v[116:117], v[100:101], v[90:91]
	s_wait_loadcnt 0x3
	s_delay_alu instid0(VALU_DEP_1) | instskip(SKIP_4) | instid1(VALU_DEP_1)
	v_fmac_f64_e32 v[116:117], v[102:103], v[92:93]
	ds_load_2addr_b64 v[90:93], v86 offset0:77 offset1:78
	s_wait_dscnt 0x0
	v_fmac_f64_e32 v[116:117], v[104:105], v[90:91]
	s_wait_loadcnt 0x2
	v_fmac_f64_e32 v[116:117], v[110:111], v[92:93]
	ds_load_2addr_b64 v[90:93], v86 offset0:79 offset1:80
	s_wait_dscnt 0x0
	v_fmac_f64_e32 v[116:117], v[112:113], v[90:91]
	s_wait_loadcnt 0x1
	s_delay_alu instid0(VALU_DEP_1) | instskip(SKIP_4) | instid1(VALU_DEP_1)
	v_fmac_f64_e32 v[116:117], v[0:1], v[92:93]
	ds_load_2addr_b64 v[90:93], v86 offset0:81 offset1:82
	s_wait_dscnt 0x0
	v_fmac_f64_e32 v[116:117], v[2:3], v[90:91]
	s_wait_loadcnt 0x0
	v_fmac_f64_e32 v[116:117], v[106:107], v[92:93]
	s_delay_alu instid0(VALU_DEP_1)
	v_add_f64_e64 v[102:103], v[88:89], -v[116:117]
	scratch_store_b64 off, v[102:103], off
	s_cbranch_vccz .LBB40_336
; %bb.256:
	v_mov_b32_e32 v0, 0
	global_load_b32 v1, v0, s[2:3] offset:156
	s_wait_loadcnt 0x0
	v_cmp_ne_u32_e32 vcc_lo, 40, v1
	s_cbranch_vccz .LBB40_258
; %bb.257:
	v_lshlrev_b32_e32 v1, 3, v1
	scratch_load_b64 v[86:87], v1, off offset:-8
	s_wait_loadcnt 0x0
	scratch_store_b64 off, v[86:87], off offset:312
	scratch_store_b64 v1, v[2:3], off offset:-8
.LBB40_258:
	global_load_b32 v0, v0, s[2:3] offset:152
	s_wait_loadcnt 0x0
	v_cmp_eq_u32_e32 vcc_lo, 39, v0
	s_cbranch_vccnz .LBB40_260
; %bb.259:
	s_wait_xcnt 0x0
	v_lshlrev_b32_e32 v0, 3, v0
	s_delay_alu instid0(VALU_DEP_1)
	v_mov_b32_e32 v86, v0
	scratch_load_b64 v[0:1], v86, off offset:-8
	scratch_load_b64 v[2:3], off, off offset:304
	s_wait_loadcnt 0x1
	scratch_store_b64 off, v[0:1], off offset:304
	s_wait_loadcnt 0x0
	scratch_store_b64 v86, v[2:3], off offset:-8
.LBB40_260:
	s_wait_xcnt 0x0
	v_mov_b32_e32 v0, 0
	global_load_b32 v1, v0, s[2:3] offset:148
	s_wait_loadcnt 0x0
	v_cmp_eq_u32_e32 vcc_lo, 38, v1
	s_cbranch_vccnz .LBB40_262
; %bb.261:
	v_lshlrev_b32_e32 v1, 3, v1
	scratch_load_b64 v[2:3], v1, off offset:-8
	scratch_load_b64 v[86:87], off, off offset:296
	s_wait_loadcnt 0x1
	scratch_store_b64 off, v[2:3], off offset:296
	s_wait_loadcnt 0x0
	scratch_store_b64 v1, v[86:87], off offset:-8
.LBB40_262:
	global_load_b32 v0, v0, s[2:3] offset:144
	s_wait_loadcnt 0x0
	v_cmp_eq_u32_e32 vcc_lo, 37, v0
	s_cbranch_vccnz .LBB40_264
; %bb.263:
	s_wait_xcnt 0x0
	v_lshlrev_b32_e32 v0, 3, v0
	s_delay_alu instid0(VALU_DEP_1)
	v_mov_b32_e32 v86, v0
	scratch_load_b64 v[0:1], v86, off offset:-8
	scratch_load_b64 v[2:3], off, off offset:288
	s_wait_loadcnt 0x1
	scratch_store_b64 off, v[0:1], off offset:288
	s_wait_loadcnt 0x0
	scratch_store_b64 v86, v[2:3], off offset:-8
.LBB40_264:
	s_wait_xcnt 0x0
	v_mov_b32_e32 v0, 0
	global_load_b32 v1, v0, s[2:3] offset:140
	s_wait_loadcnt 0x0
	v_cmp_eq_u32_e32 vcc_lo, 36, v1
	s_cbranch_vccnz .LBB40_266
; %bb.265:
	v_lshlrev_b32_e32 v1, 3, v1
	scratch_load_b64 v[2:3], v1, off offset:-8
	scratch_load_b64 v[86:87], off, off offset:280
	s_wait_loadcnt 0x1
	scratch_store_b64 off, v[2:3], off offset:280
	s_wait_loadcnt 0x0
	scratch_store_b64 v1, v[86:87], off offset:-8
.LBB40_266:
	;; [unrolled: 31-line block ×19, first 2 shown]
	global_load_b32 v0, v0, s[2:3]
	scratch_load_b64 v[102:103], off, off
	s_wait_loadcnt 0x1
	v_cmp_eq_u32_e32 vcc_lo, 1, v0
	s_cbranch_vccnz .LBB40_336
; %bb.335:
	s_wait_xcnt 0x1
	v_lshlrev_b32_e32 v0, 3, v0
	s_delay_alu instid0(VALU_DEP_1)
	v_mov_b32_e32 v2, v0
	scratch_load_b64 v[0:1], v2, off offset:-8
	s_wait_loadcnt 0x0
	scratch_store_b64 off, v[0:1], off
	scratch_store_b64 v2, v[102:103], off offset:-8
	scratch_load_b64 v[102:103], off, off
.LBB40_336:
	v_lshl_add_u64 v[104:105], v[8:9], 3, s[4:5]
	v_lshl_add_u64 v[98:99], v[10:11], 3, s[4:5]
	;; [unrolled: 1-line block ×37, first 2 shown]
	s_wait_xcnt 0x1
	v_lshl_add_u64 v[0:1], v[82:83], 3, s[4:5]
	s_clause 0x8
	scratch_load_b128 v[64:67], off, off offset:8
	scratch_load_b128 v[68:71], off, off offset:24
	;; [unrolled: 1-line block ×9, first 2 shown]
	s_wait_loadcnt 0x9
	global_store_b64 v[6:7], v[102:103], off
	s_clause 0x1
	scratch_load_b128 v[122:125], off, off offset:152
	scratch_load_b128 v[126:129], off, off offset:168
	v_lshl_add_u64 v[2:3], v[84:85], 3, s[4:5]
	s_wait_loadcnt 0xa
	s_clause 0x1
	global_store_b64 v[4:5], v[64:65], off
	global_store_b64 v[104:105], v[66:67], off
	s_clause 0x1
	scratch_load_b128 v[4:7], off, off offset:184
	scratch_load_b128 v[64:67], off, off offset:200
	s_wait_loadcnt 0xb
	s_clause 0x1
	global_store_b64 v[98:99], v[68:69], off
	global_store_b64 v[100:101], v[70:71], off
	s_clause 0x1
	scratch_load_b128 v[68:71], off, off offset:216
	scratch_load_b128 v[98:101], off, off offset:232
	;; [unrolled: 7-line block ×4, first 2 shown]
	s_wait_loadcnt 0xe
	s_clause 0x1
	global_store_b64 v[86:87], v[80:81], off
	global_store_b64 v[88:89], v[82:83], off
	scratch_load_b128 v[80:83], off, off offset:312
	s_wait_loadcnt 0xe
	s_clause 0x1
	global_store_b64 v[8:9], v[106:107], off
	global_store_b64 v[10:11], v[108:109], off
	s_wait_loadcnt 0xd
	s_clause 0x1
	global_store_b64 v[12:13], v[110:111], off
	global_store_b64 v[14:15], v[112:113], off
	;; [unrolled: 4-line block ×15, first 2 shown]
	s_sendmsg sendmsg(MSG_DEALLOC_VGPRS)
	s_endpgm
	.section	.rodata,"a",@progbits
	.p2align	6, 0x0
	.amdhsa_kernel _ZN9rocsolver6v33100L18getri_kernel_smallILi41EdPdEEvT1_iilPiilS4_bb
		.amdhsa_group_segment_fixed_size 664
		.amdhsa_private_segment_fixed_size 336
		.amdhsa_kernarg_size 60
		.amdhsa_user_sgpr_count 2
		.amdhsa_user_sgpr_dispatch_ptr 0
		.amdhsa_user_sgpr_queue_ptr 0
		.amdhsa_user_sgpr_kernarg_segment_ptr 1
		.amdhsa_user_sgpr_dispatch_id 0
		.amdhsa_user_sgpr_kernarg_preload_length 0
		.amdhsa_user_sgpr_kernarg_preload_offset 0
		.amdhsa_user_sgpr_private_segment_size 0
		.amdhsa_wavefront_size32 1
		.amdhsa_uses_dynamic_stack 0
		.amdhsa_enable_private_segment 1
		.amdhsa_system_sgpr_workgroup_id_x 1
		.amdhsa_system_sgpr_workgroup_id_y 0
		.amdhsa_system_sgpr_workgroup_id_z 0
		.amdhsa_system_sgpr_workgroup_info 0
		.amdhsa_system_vgpr_workitem_id 0
		.amdhsa_next_free_vgpr 130
		.amdhsa_next_free_sgpr 19
		.amdhsa_named_barrier_count 0
		.amdhsa_reserve_vcc 1
		.amdhsa_float_round_mode_32 0
		.amdhsa_float_round_mode_16_64 0
		.amdhsa_float_denorm_mode_32 3
		.amdhsa_float_denorm_mode_16_64 3
		.amdhsa_fp16_overflow 0
		.amdhsa_memory_ordered 1
		.amdhsa_forward_progress 1
		.amdhsa_inst_pref_size 255
		.amdhsa_round_robin_scheduling 0
		.amdhsa_exception_fp_ieee_invalid_op 0
		.amdhsa_exception_fp_denorm_src 0
		.amdhsa_exception_fp_ieee_div_zero 0
		.amdhsa_exception_fp_ieee_overflow 0
		.amdhsa_exception_fp_ieee_underflow 0
		.amdhsa_exception_fp_ieee_inexact 0
		.amdhsa_exception_int_div_zero 0
	.end_amdhsa_kernel
	.section	.text._ZN9rocsolver6v33100L18getri_kernel_smallILi41EdPdEEvT1_iilPiilS4_bb,"axG",@progbits,_ZN9rocsolver6v33100L18getri_kernel_smallILi41EdPdEEvT1_iilPiilS4_bb,comdat
.Lfunc_end40:
	.size	_ZN9rocsolver6v33100L18getri_kernel_smallILi41EdPdEEvT1_iilPiilS4_bb, .Lfunc_end40-_ZN9rocsolver6v33100L18getri_kernel_smallILi41EdPdEEvT1_iilPiilS4_bb
                                        ; -- End function
	.set _ZN9rocsolver6v33100L18getri_kernel_smallILi41EdPdEEvT1_iilPiilS4_bb.num_vgpr, 130
	.set _ZN9rocsolver6v33100L18getri_kernel_smallILi41EdPdEEvT1_iilPiilS4_bb.num_agpr, 0
	.set _ZN9rocsolver6v33100L18getri_kernel_smallILi41EdPdEEvT1_iilPiilS4_bb.numbered_sgpr, 19
	.set _ZN9rocsolver6v33100L18getri_kernel_smallILi41EdPdEEvT1_iilPiilS4_bb.num_named_barrier, 0
	.set _ZN9rocsolver6v33100L18getri_kernel_smallILi41EdPdEEvT1_iilPiilS4_bb.private_seg_size, 336
	.set _ZN9rocsolver6v33100L18getri_kernel_smallILi41EdPdEEvT1_iilPiilS4_bb.uses_vcc, 1
	.set _ZN9rocsolver6v33100L18getri_kernel_smallILi41EdPdEEvT1_iilPiilS4_bb.uses_flat_scratch, 1
	.set _ZN9rocsolver6v33100L18getri_kernel_smallILi41EdPdEEvT1_iilPiilS4_bb.has_dyn_sized_stack, 0
	.set _ZN9rocsolver6v33100L18getri_kernel_smallILi41EdPdEEvT1_iilPiilS4_bb.has_recursion, 0
	.set _ZN9rocsolver6v33100L18getri_kernel_smallILi41EdPdEEvT1_iilPiilS4_bb.has_indirect_call, 0
	.section	.AMDGPU.csdata,"",@progbits
; Kernel info:
; codeLenInByte = 35572
; TotalNumSgprs: 21
; NumVgprs: 130
; ScratchSize: 336
; MemoryBound: 0
; FloatMode: 240
; IeeeMode: 1
; LDSByteSize: 664 bytes/workgroup (compile time only)
; SGPRBlocks: 0
; VGPRBlocks: 8
; NumSGPRsForWavesPerEU: 21
; NumVGPRsForWavesPerEU: 130
; NamedBarCnt: 0
; Occupancy: 7
; WaveLimiterHint : 1
; COMPUTE_PGM_RSRC2:SCRATCH_EN: 1
; COMPUTE_PGM_RSRC2:USER_SGPR: 2
; COMPUTE_PGM_RSRC2:TRAP_HANDLER: 0
; COMPUTE_PGM_RSRC2:TGID_X_EN: 1
; COMPUTE_PGM_RSRC2:TGID_Y_EN: 0
; COMPUTE_PGM_RSRC2:TGID_Z_EN: 0
; COMPUTE_PGM_RSRC2:TIDIG_COMP_CNT: 0
	.section	.text._ZN9rocsolver6v33100L18getri_kernel_smallILi42EdPdEEvT1_iilPiilS4_bb,"axG",@progbits,_ZN9rocsolver6v33100L18getri_kernel_smallILi42EdPdEEvT1_iilPiilS4_bb,comdat
	.globl	_ZN9rocsolver6v33100L18getri_kernel_smallILi42EdPdEEvT1_iilPiilS4_bb ; -- Begin function _ZN9rocsolver6v33100L18getri_kernel_smallILi42EdPdEEvT1_iilPiilS4_bb
	.p2align	8
	.type	_ZN9rocsolver6v33100L18getri_kernel_smallILi42EdPdEEvT1_iilPiilS4_bb,@function
_ZN9rocsolver6v33100L18getri_kernel_smallILi42EdPdEEvT1_iilPiilS4_bb: ; @_ZN9rocsolver6v33100L18getri_kernel_smallILi42EdPdEEvT1_iilPiilS4_bb
; %bb.0:
	s_mov_b32 s2, exec_lo
	v_cmpx_gt_u32_e32 42, v0
	s_cbranch_execz .LBB41_178
; %bb.1:
	s_clause 0x2
	s_load_b32 s2, s[0:1], 0x38
	s_load_b128 s[12:15], s[0:1], 0x10
	s_load_b128 s[4:7], s[0:1], 0x28
	s_getreg_b32 s9, hwreg(HW_REG_IB_STS2, 6, 4)
	s_wait_kmcnt 0x0
	s_bitcmp1_b32 s2, 8
	s_cselect_b32 s18, -1, 0
	s_bfe_u32 s3, ttmp6, 0x4000c
	s_and_b32 s8, ttmp6, 15
	s_add_co_i32 s3, s3, 1
	s_delay_alu instid0(SALU_CYCLE_1) | instskip(NEXT) | instid1(SALU_CYCLE_1)
	s_mul_i32 s3, ttmp9, s3
	s_add_co_i32 s8, s8, s3
	s_cmp_eq_u32 s9, 0
	s_cselect_b32 s16, ttmp9, s8
	s_bfe_u32 s2, s2, 0x10008
	s_ashr_i32 s17, s16, 31
	s_cmp_eq_u32 s2, 0
                                        ; implicit-def: $sgpr2_sgpr3
	s_cbranch_scc1 .LBB41_3
; %bb.2:
	s_load_b32 s2, s[0:1], 0x20
	s_mul_u64 s[4:5], s[4:5], s[16:17]
	s_delay_alu instid0(SALU_CYCLE_1) | instskip(NEXT) | instid1(SALU_CYCLE_1)
	s_lshl_b64 s[4:5], s[4:5], 2
	s_add_nc_u64 s[4:5], s[14:15], s[4:5]
	s_wait_kmcnt 0x0
	s_ashr_i32 s3, s2, 31
	s_delay_alu instid0(SALU_CYCLE_1) | instskip(NEXT) | instid1(SALU_CYCLE_1)
	s_lshl_b64 s[2:3], s[2:3], 2
	s_add_nc_u64 s[2:3], s[4:5], s[2:3]
.LBB41_3:
	s_clause 0x1
	s_load_b128 s[8:11], s[0:1], 0x0
	s_load_b32 s14, s[0:1], 0x38
	s_wait_xcnt 0x0
	s_mul_u64 s[0:1], s[12:13], s[16:17]
	v_lshlrev_b32_e32 v2, 3, v0
	s_lshl_b64 s[0:1], s[0:1], 3
	v_mov_b32_e32 v3, 0
	s_wait_kmcnt 0x0
	v_add3_u32 v8, s11, s11, v0
	s_ashr_i32 s5, s10, 31
	s_mov_b32 s4, s10
	s_add_nc_u64 s[0:1], s[8:9], s[0:1]
	s_lshl_b64 s[4:5], s[4:5], 3
	v_add_nc_u32_e32 v10, s11, v8
	s_add_nc_u64 s[4:5], s[0:1], s[4:5]
	s_ashr_i32 s1, s11, 31
	s_mov_b32 s0, s11
	s_bitcmp0_b32 s14, 0
	v_add_nc_u32_e32 v12, s11, v10
	v_add_nc_u64_e32 v[4:5], s[4:5], v[2:3]
	s_delay_alu instid0(VALU_DEP_2) | instskip(NEXT) | instid1(VALU_DEP_2)
	v_add_nc_u32_e32 v14, s11, v12
	v_lshl_add_u64 v[6:7], s[0:1], 3, v[4:5]
	s_mov_b32 s1, -1
	s_delay_alu instid0(VALU_DEP_2) | instskip(SKIP_4) | instid1(VALU_DEP_1)
	v_add_nc_u32_e32 v16, s11, v14
	s_clause 0x1
	global_load_b64 v[76:77], v0, s[4:5] scale_offset
	global_load_b64 v[78:79], v[6:7], off
	v_add_nc_u32_e32 v18, s11, v16
	v_add_nc_u32_e32 v20, s11, v18
	s_clause 0x3
	global_load_b64 v[80:81], v8, s[4:5] scale_offset
	global_load_b64 v[82:83], v10, s[4:5] scale_offset
	;; [unrolled: 1-line block ×4, first 2 shown]
	v_add_nc_u32_e32 v22, s11, v20
	s_delay_alu instid0(VALU_DEP_1) | instskip(NEXT) | instid1(VALU_DEP_1)
	v_add_nc_u32_e32 v24, s11, v22
	v_add_nc_u32_e32 v26, s11, v24
	s_delay_alu instid0(VALU_DEP_1)
	v_add_nc_u32_e32 v28, s11, v26
	s_clause 0x3
	global_load_b64 v[88:89], v16, s[4:5] scale_offset
	global_load_b64 v[90:91], v18, s[4:5] scale_offset
	;; [unrolled: 1-line block ×4, first 2 shown]
	v_add_nc_u32_e32 v30, s11, v28
	s_delay_alu instid0(VALU_DEP_1) | instskip(NEXT) | instid1(VALU_DEP_1)
	v_add_nc_u32_e32 v32, s11, v30
	v_add_nc_u32_e32 v34, s11, v32
	s_delay_alu instid0(VALU_DEP_1)
	v_add_nc_u32_e32 v36, s11, v34
	s_clause 0x3
	global_load_b64 v[96:97], v24, s[4:5] scale_offset
	global_load_b64 v[98:99], v26, s[4:5] scale_offset
	;; [unrolled: 1-line block ×4, first 2 shown]
	v_add_nc_u32_e32 v38, s11, v36
	s_delay_alu instid0(VALU_DEP_1)
	v_add_nc_u32_e32 v40, s11, v38
	s_clause 0x3
	global_load_b64 v[104:105], v32, s[4:5] scale_offset
	global_load_b64 v[106:107], v34, s[4:5] scale_offset
	;; [unrolled: 1-line block ×4, first 2 shown]
	v_add_nc_u32_e32 v42, s11, v40
	s_delay_alu instid0(VALU_DEP_1) | instskip(NEXT) | instid1(VALU_DEP_1)
	v_add_nc_u32_e32 v44, s11, v42
	v_add_nc_u32_e32 v46, s11, v44
	s_delay_alu instid0(VALU_DEP_1) | instskip(SKIP_4) | instid1(VALU_DEP_1)
	v_add_nc_u32_e32 v48, s11, v46
	s_clause 0x1
	global_load_b64 v[112:113], v40, s[4:5] scale_offset
	global_load_b64 v[114:115], v42, s[4:5] scale_offset
	v_add_nc_u32_e32 v50, s11, v48
	v_add_nc_u32_e32 v52, s11, v50
	s_clause 0x3
	global_load_b64 v[116:117], v44, s[4:5] scale_offset
	global_load_b64 v[118:119], v46, s[4:5] scale_offset
	;; [unrolled: 1-line block ×4, first 2 shown]
	v_add_nc_u32_e32 v54, s11, v52
	s_delay_alu instid0(VALU_DEP_1) | instskip(NEXT) | instid1(VALU_DEP_1)
	v_add_nc_u32_e32 v56, s11, v54
	v_add_nc_u32_e32 v58, s11, v56
	s_delay_alu instid0(VALU_DEP_1) | instskip(NEXT) | instid1(VALU_DEP_1)
	v_add_nc_u32_e32 v60, s11, v58
	v_add_nc_u32_e32 v62, s11, v60
	s_delay_alu instid0(VALU_DEP_1) | instskip(NEXT) | instid1(VALU_DEP_1)
	v_add_nc_u32_e32 v64, s11, v62
	v_add_nc_u32_e32 v66, s11, v64
	s_delay_alu instid0(VALU_DEP_1) | instskip(NEXT) | instid1(VALU_DEP_1)
	v_add_nc_u32_e32 v68, s11, v66
	v_add_nc_u32_e32 v70, s11, v68
	s_delay_alu instid0(VALU_DEP_1) | instskip(NEXT) | instid1(VALU_DEP_1)
	v_add_nc_u32_e32 v72, s11, v70
	v_add_nc_u32_e32 v74, s11, v72
	s_wait_loadcnt 0x16
	scratch_store_b128 off, v[76:79], off
	s_wait_xcnt 0x0
	v_add_nc_u32_e32 v76, s11, v74
	s_delay_alu instid0(VALU_DEP_1)
	v_add_nc_u32_e32 v78, s11, v76
	s_wait_loadcnt 0x14
	scratch_store_b128 off, v[80:83], off offset:16
	s_clause 0x1
	global_load_b64 v[124:125], v52, s[4:5] scale_offset
	global_load_b64 v[126:127], v54, s[4:5] scale_offset
	s_wait_loadcnt 0x14
	scratch_store_b128 off, v[84:87], off offset:32
	s_wait_loadcnt 0x12
	scratch_store_b128 off, v[88:91], off offset:48
	;; [unrolled: 2-line block ×3, first 2 shown]
	s_clause 0x3
	global_load_b64 v[88:89], v56, s[4:5] scale_offset
	global_load_b64 v[90:91], v58, s[4:5] scale_offset
	;; [unrolled: 1-line block ×4, first 2 shown]
	s_wait_loadcnt 0x12
	scratch_store_b128 off, v[96:99], off offset:80
	s_wait_loadcnt 0x10
	scratch_store_b128 off, v[100:103], off offset:96
	v_add_nc_u32_e32 v80, s11, v78
	s_clause 0x3
	global_load_b64 v[96:97], v64, s[4:5] scale_offset
	global_load_b64 v[98:99], v66, s[4:5] scale_offset
	;; [unrolled: 1-line block ×4, first 2 shown]
	v_add_nc_u32_e32 v82, s11, v80
	s_wait_loadcnt 0x12
	scratch_store_b128 off, v[104:107], off offset:112
	s_wait_loadcnt 0x10
	scratch_store_b128 off, v[108:111], off offset:128
	;; [unrolled: 2-line block ×3, first 2 shown]
	v_add_nc_u32_e32 v84, s11, v82
	s_clause 0x3
	global_load_b64 v[104:105], v72, s[4:5] scale_offset
	global_load_b64 v[106:107], v74, s[4:5] scale_offset
	global_load_b64 v[108:109], v76, s[4:5] scale_offset
	global_load_b64 v[110:111], v78, s[4:5] scale_offset
	v_add_nc_u32_e32 v86, s11, v84
	s_wait_loadcnt 0x10
	scratch_store_b128 off, v[116:119], off offset:160
	s_clause 0x1
	global_load_b64 v[112:113], v80, s[4:5] scale_offset
	global_load_b64 v[114:115], v82, s[4:5] scale_offset
	s_wait_loadcnt 0x10
	scratch_store_b128 off, v[120:123], off offset:176
	s_clause 0x1
	global_load_b64 v[116:117], v84, s[4:5] scale_offset
	global_load_b64 v[118:119], v86, s[4:5] scale_offset
	s_wait_loadcnt 0x10
	scratch_store_b128 off, v[124:127], off offset:192
	s_wait_loadcnt 0xe
	scratch_store_b128 off, v[88:91], off offset:208
	;; [unrolled: 2-line block ×9, first 2 shown]
	s_cbranch_scc1 .LBB41_176
; %bb.4:
	v_cmp_eq_u32_e64 s0, 0, v0
	s_wait_xcnt 0x0
	s_and_saveexec_b32 s1, s0
; %bb.5:
	v_mov_b32_e32 v1, 0
	ds_store_b32 v1, v1 offset:672
; %bb.6:
	s_or_b32 exec_lo, exec_lo, s1
	s_wait_storecnt_dscnt 0x0
	s_barrier_signal -1
	s_barrier_wait -1
	scratch_load_b64 v[88:89], v0, off scale_offset
	s_mov_b32 s8, exec_lo
	s_wait_loadcnt 0x0
	v_cmpx_eq_f64_e32 0, v[88:89]
	s_cbranch_execz .LBB41_10
; %bb.7:
	v_mov_b32_e32 v1, 0
	s_mov_b32 s9, 0
	ds_load_b32 v3, v1 offset:672
	s_wait_dscnt 0x0
	v_readfirstlane_b32 s1, v3
	v_add_nc_u32_e32 v3, 1, v0
	s_cmp_eq_u32 s1, 0
	s_delay_alu instid0(VALU_DEP_1) | instskip(SKIP_1) | instid1(SALU_CYCLE_1)
	v_cmp_gt_i32_e32 vcc_lo, s1, v3
	s_cselect_b32 s10, -1, 0
	s_or_b32 s10, s10, vcc_lo
	s_delay_alu instid0(SALU_CYCLE_1)
	s_and_b32 exec_lo, exec_lo, s10
	s_cbranch_execz .LBB41_10
; %bb.8:
	v_mov_b32_e32 v9, s1
.LBB41_9:                               ; =>This Inner Loop Header: Depth=1
	ds_cmpstore_rtn_b32 v9, v1, v3, v9 offset:672
	s_wait_dscnt 0x0
	v_cmp_ne_u32_e32 vcc_lo, 0, v9
	v_cmp_le_i32_e64 s1, v9, v3
	s_and_b32 s1, vcc_lo, s1
	s_delay_alu instid0(SALU_CYCLE_1) | instskip(NEXT) | instid1(SALU_CYCLE_1)
	s_and_b32 s1, exec_lo, s1
	s_or_b32 s9, s1, s9
	s_delay_alu instid0(SALU_CYCLE_1)
	s_and_not1_b32 exec_lo, exec_lo, s9
	s_cbranch_execnz .LBB41_9
.LBB41_10:
	s_or_b32 exec_lo, exec_lo, s8
	v_mov_b32_e32 v1, 0
	s_barrier_signal -1
	s_barrier_wait -1
	ds_load_b32 v3, v1 offset:672
	s_and_saveexec_b32 s1, s0
	s_cbranch_execz .LBB41_12
; %bb.11:
	s_lshl_b64 s[8:9], s[16:17], 2
	s_delay_alu instid0(SALU_CYCLE_1)
	s_add_nc_u64 s[8:9], s[6:7], s[8:9]
	s_wait_dscnt 0x0
	global_store_b32 v1, v3, s[8:9]
.LBB41_12:
	s_wait_xcnt 0x0
	s_or_b32 exec_lo, exec_lo, s1
	s_wait_dscnt 0x0
	v_cmp_ne_u32_e32 vcc_lo, 0, v3
	s_mov_b32 s1, 0
	s_cbranch_vccnz .LBB41_176
; %bb.13:
	v_lshl_add_u32 v3, v0, 3, 0
	v_add_nc_u32_e32 v1, 0x150, v2
	scratch_load_b64 v[88:89], v3, off
	s_wait_loadcnt 0x0
	v_div_scale_f64 v[90:91], null, v[88:89], v[88:89], 1.0
	v_div_scale_f64 v[96:97], vcc_lo, 1.0, v[88:89], 1.0
	s_delay_alu instid0(VALU_DEP_2) | instskip(SKIP_1) | instid1(TRANS32_DEP_1)
	v_rcp_f64_e32 v[92:93], v[90:91]
	v_nop
	v_fma_f64 v[94:95], -v[90:91], v[92:93], 1.0
	s_delay_alu instid0(VALU_DEP_1) | instskip(NEXT) | instid1(VALU_DEP_1)
	v_fmac_f64_e32 v[92:93], v[92:93], v[94:95]
	v_fma_f64 v[94:95], -v[90:91], v[92:93], 1.0
	s_delay_alu instid0(VALU_DEP_1) | instskip(NEXT) | instid1(VALU_DEP_1)
	v_fmac_f64_e32 v[92:93], v[92:93], v[94:95]
	v_mul_f64_e32 v[94:95], v[96:97], v[92:93]
	s_delay_alu instid0(VALU_DEP_1) | instskip(NEXT) | instid1(VALU_DEP_1)
	v_fma_f64 v[90:91], -v[90:91], v[94:95], v[96:97]
	v_div_fmas_f64 v[90:91], v[90:91], v[92:93], v[94:95]
	s_delay_alu instid0(VALU_DEP_1)
	v_div_fixup_f64 v[88:89], v[90:91], v[88:89], 1.0
	scratch_store_b64 v3, v[88:89], off
	scratch_load_b64 v[90:91], off, off offset:8
	s_wait_xcnt 0x1
	v_xor_b32_e32 v89, 0x80000000, v89
	s_wait_loadcnt 0x0
	ds_store_2addr_b64 v2, v[88:89], v[90:91] offset1:42
	s_wait_storecnt_dscnt 0x0
	s_barrier_signal -1
	s_barrier_wait -1
	s_wait_xcnt 0x0
	s_and_saveexec_b32 s1, s0
	s_cbranch_execz .LBB41_15
; %bb.14:
	scratch_load_b64 v[88:89], v3, off
	ds_load_b64 v[90:91], v1
	s_wait_loadcnt_dscnt 0x0
	v_fma_f64 v[88:89], v[88:89], v[90:91], 0
	v_mov_b32_e32 v9, 0
	ds_load_b64 v[92:93], v9 offset:8
	s_wait_dscnt 0x0
	v_mul_f64_e32 v[88:89], v[88:89], v[92:93]
	scratch_store_b64 off, v[88:89], off offset:8
.LBB41_15:
	s_wait_xcnt 0x0
	s_or_b32 exec_lo, exec_lo, s1
	s_wait_storecnt 0x0
	s_barrier_signal -1
	s_barrier_wait -1
	scratch_load_b64 v[88:89], off, off offset:16
	s_mov_b32 s1, exec_lo
	s_wait_loadcnt 0x0
	ds_store_b64 v1, v[88:89]
	s_wait_dscnt 0x0
	s_barrier_signal -1
	s_barrier_wait -1
	v_cmpx_gt_u32_e32 2, v0
	s_cbranch_execz .LBB41_19
; %bb.16:
	scratch_load_b64 v[88:89], v3, off
	ds_load_b64 v[90:91], v1
	s_wait_loadcnt_dscnt 0x0
	v_fma_f64 v[88:89], v[88:89], v[90:91], 0
	s_and_saveexec_b32 s8, s0
	s_cbranch_execz .LBB41_18
; %bb.17:
	scratch_load_b64 v[90:91], off, off offset:8
	v_mov_b32_e32 v3, 0
	ds_load_b64 v[92:93], v3 offset:344
	s_wait_loadcnt_dscnt 0x0
	v_fmac_f64_e32 v[88:89], v[90:91], v[92:93]
.LBB41_18:
	s_or_b32 exec_lo, exec_lo, s8
	v_mov_b32_e32 v3, 0
	ds_load_b64 v[90:91], v3 offset:16
	s_wait_dscnt 0x0
	v_mul_f64_e32 v[88:89], v[88:89], v[90:91]
	scratch_store_b64 off, v[88:89], off offset:16
.LBB41_19:
	s_wait_xcnt 0x0
	s_or_b32 exec_lo, exec_lo, s1
	s_wait_storecnt 0x0
	s_barrier_signal -1
	s_barrier_wait -1
	scratch_load_b64 v[88:89], off, off offset:24
	v_add_nc_u32_e32 v3, -1, v0
	s_mov_b32 s0, exec_lo
	s_wait_loadcnt 0x0
	ds_store_b64 v1, v[88:89]
	s_wait_dscnt 0x0
	s_barrier_signal -1
	s_barrier_wait -1
	v_cmpx_gt_u32_e32 3, v0
	s_cbranch_execz .LBB41_23
; %bb.20:
	v_mov_b64_e32 v[88:89], 0
	v_dual_add_nc_u32 v9, -1, v0 :: v_dual_mov_b32 v13, v2
	v_add_nc_u32_e32 v11, 0x150, v2
	s_mov_b32 s1, 0
.LBB41_21:                              ; =>This Inner Loop Header: Depth=1
	scratch_load_b64 v[90:91], v13, off
	ds_load_b64 v[92:93], v11
	v_dual_add_nc_u32 v9, 1, v9 :: v_dual_add_nc_u32 v11, 8, v11
	s_wait_xcnt 0x0
	v_add_nc_u32_e32 v13, 8, v13
	s_delay_alu instid0(VALU_DEP_2)
	v_cmp_lt_u32_e32 vcc_lo, 1, v9
	s_or_b32 s1, vcc_lo, s1
	s_wait_loadcnt_dscnt 0x0
	v_fmac_f64_e32 v[88:89], v[90:91], v[92:93]
	s_and_not1_b32 exec_lo, exec_lo, s1
	s_cbranch_execnz .LBB41_21
; %bb.22:
	s_or_b32 exec_lo, exec_lo, s1
	v_mov_b32_e32 v9, 0
	ds_load_b64 v[90:91], v9 offset:24
	s_wait_dscnt 0x0
	v_mul_f64_e32 v[88:89], v[88:89], v[90:91]
	scratch_store_b64 off, v[88:89], off offset:24
.LBB41_23:
	s_wait_xcnt 0x0
	s_or_b32 exec_lo, exec_lo, s0
	s_wait_storecnt 0x0
	s_barrier_signal -1
	s_barrier_wait -1
	scratch_load_b64 v[88:89], off, off offset:32
	s_mov_b32 s0, exec_lo
	s_wait_loadcnt 0x0
	ds_store_b64 v1, v[88:89]
	s_wait_dscnt 0x0
	s_barrier_signal -1
	s_barrier_wait -1
	v_cmpx_gt_u32_e32 4, v0
	s_cbranch_execz .LBB41_27
; %bb.24:
	v_mov_b64_e32 v[88:89], 0
	v_dual_add_nc_u32 v9, -1, v0 :: v_dual_mov_b32 v13, v2
	v_add_nc_u32_e32 v11, 0x150, v2
	s_mov_b32 s1, 0
.LBB41_25:                              ; =>This Inner Loop Header: Depth=1
	scratch_load_b64 v[90:91], v13, off
	ds_load_b64 v[92:93], v11
	v_dual_add_nc_u32 v9, 1, v9 :: v_dual_add_nc_u32 v11, 8, v11
	s_wait_xcnt 0x0
	v_add_nc_u32_e32 v13, 8, v13
	s_delay_alu instid0(VALU_DEP_2)
	v_cmp_lt_u32_e32 vcc_lo, 2, v9
	s_or_b32 s1, vcc_lo, s1
	s_wait_loadcnt_dscnt 0x0
	v_fmac_f64_e32 v[88:89], v[90:91], v[92:93]
	s_and_not1_b32 exec_lo, exec_lo, s1
	s_cbranch_execnz .LBB41_25
; %bb.26:
	s_or_b32 exec_lo, exec_lo, s1
	v_mov_b32_e32 v9, 0
	ds_load_b64 v[90:91], v9 offset:32
	s_wait_dscnt 0x0
	v_mul_f64_e32 v[88:89], v[88:89], v[90:91]
	scratch_store_b64 off, v[88:89], off offset:32
.LBB41_27:
	s_wait_xcnt 0x0
	s_or_b32 exec_lo, exec_lo, s0
	s_wait_storecnt 0x0
	s_barrier_signal -1
	s_barrier_wait -1
	scratch_load_b64 v[88:89], off, off offset:40
	;; [unrolled: 40-line block ×20, first 2 shown]
	s_mov_b32 s0, exec_lo
	s_wait_loadcnt 0x0
	ds_store_b64 v1, v[88:89]
	s_wait_dscnt 0x0
	s_barrier_signal -1
	s_barrier_wait -1
	v_cmpx_gt_u32_e32 23, v0
	s_cbranch_execz .LBB41_103
; %bb.100:
	v_mov_b64_e32 v[88:89], 0
	v_dual_add_nc_u32 v9, -1, v0 :: v_dual_mov_b32 v13, v2
	v_add_nc_u32_e32 v11, 0x150, v2
	s_mov_b32 s1, 0
.LBB41_101:                             ; =>This Inner Loop Header: Depth=1
	scratch_load_b64 v[90:91], v13, off
	ds_load_b64 v[92:93], v11
	v_dual_add_nc_u32 v9, 1, v9 :: v_dual_add_nc_u32 v11, 8, v11
	s_wait_xcnt 0x0
	v_add_nc_u32_e32 v13, 8, v13
	s_delay_alu instid0(VALU_DEP_2)
	v_cmp_lt_u32_e32 vcc_lo, 21, v9
	s_or_b32 s1, vcc_lo, s1
	s_wait_loadcnt_dscnt 0x0
	v_fmac_f64_e32 v[88:89], v[90:91], v[92:93]
	s_and_not1_b32 exec_lo, exec_lo, s1
	s_cbranch_execnz .LBB41_101
; %bb.102:
	s_or_b32 exec_lo, exec_lo, s1
	v_mov_b32_e32 v9, 0
	ds_load_b64 v[90:91], v9 offset:184
	s_wait_dscnt 0x0
	v_mul_f64_e32 v[88:89], v[88:89], v[90:91]
	scratch_store_b64 off, v[88:89], off offset:184
.LBB41_103:
	s_wait_xcnt 0x0
	s_or_b32 exec_lo, exec_lo, s0
	s_wait_storecnt 0x0
	s_barrier_signal -1
	s_barrier_wait -1
	scratch_load_b64 v[88:89], off, off offset:192
	s_mov_b32 s0, exec_lo
	s_wait_loadcnt 0x0
	ds_store_b64 v1, v[88:89]
	s_wait_dscnt 0x0
	s_barrier_signal -1
	s_barrier_wait -1
	v_cmpx_gt_u32_e32 24, v0
	s_cbranch_execz .LBB41_107
; %bb.104:
	v_mov_b64_e32 v[88:89], 0
	v_dual_add_nc_u32 v9, -1, v0 :: v_dual_mov_b32 v13, v2
	v_add_nc_u32_e32 v11, 0x150, v2
	s_mov_b32 s1, 0
.LBB41_105:                             ; =>This Inner Loop Header: Depth=1
	scratch_load_b64 v[90:91], v13, off
	ds_load_b64 v[92:93], v11
	v_dual_add_nc_u32 v9, 1, v9 :: v_dual_add_nc_u32 v11, 8, v11
	s_wait_xcnt 0x0
	v_add_nc_u32_e32 v13, 8, v13
	s_delay_alu instid0(VALU_DEP_2)
	v_cmp_lt_u32_e32 vcc_lo, 22, v9
	s_or_b32 s1, vcc_lo, s1
	s_wait_loadcnt_dscnt 0x0
	v_fmac_f64_e32 v[88:89], v[90:91], v[92:93]
	s_and_not1_b32 exec_lo, exec_lo, s1
	s_cbranch_execnz .LBB41_105
; %bb.106:
	s_or_b32 exec_lo, exec_lo, s1
	v_mov_b32_e32 v9, 0
	ds_load_b64 v[90:91], v9 offset:192
	s_wait_dscnt 0x0
	v_mul_f64_e32 v[88:89], v[88:89], v[90:91]
	scratch_store_b64 off, v[88:89], off offset:192
.LBB41_107:
	s_wait_xcnt 0x0
	s_or_b32 exec_lo, exec_lo, s0
	s_wait_storecnt 0x0
	s_barrier_signal -1
	s_barrier_wait -1
	scratch_load_b64 v[88:89], off, off offset:200
	;; [unrolled: 40-line block ×18, first 2 shown]
	s_mov_b32 s0, exec_lo
	s_wait_loadcnt 0x0
	ds_store_b64 v1, v[88:89]
	s_wait_dscnt 0x0
	s_barrier_signal -1
	s_barrier_wait -1
	v_cmpx_ne_u32_e32 41, v0
	s_cbranch_execz .LBB41_175
; %bb.172:
	v_mov_b64_e32 v[88:89], 0
	s_mov_b32 s1, 0
.LBB41_173:                             ; =>This Inner Loop Header: Depth=1
	scratch_load_b64 v[90:91], v2, off
	ds_load_b64 v[92:93], v1
	v_dual_add_nc_u32 v3, 1, v3 :: v_dual_add_nc_u32 v1, 8, v1
	s_wait_xcnt 0x0
	v_add_nc_u32_e32 v2, 8, v2
	s_delay_alu instid0(VALU_DEP_2)
	v_cmp_lt_u32_e32 vcc_lo, 39, v3
	s_or_b32 s1, vcc_lo, s1
	s_wait_loadcnt_dscnt 0x0
	v_fmac_f64_e32 v[88:89], v[90:91], v[92:93]
	s_and_not1_b32 exec_lo, exec_lo, s1
	s_cbranch_execnz .LBB41_173
; %bb.174:
	s_or_b32 exec_lo, exec_lo, s1
	v_mov_b32_e32 v1, 0
	ds_load_b64 v[2:3], v1 offset:328
	s_wait_dscnt 0x0
	v_mul_f64_e32 v[2:3], v[88:89], v[2:3]
	scratch_store_b64 off, v[2:3], off offset:328
.LBB41_175:
	s_wait_xcnt 0x0
	s_or_b32 exec_lo, exec_lo, s0
	s_mov_b32 s1, -1
	s_wait_storecnt 0x0
	s_barrier_signal -1
	s_barrier_wait -1
.LBB41_176:
	s_and_b32 vcc_lo, exec_lo, s1
	s_cbranch_vccz .LBB41_178
; %bb.177:
	v_mov_b32_e32 v1, 0
	s_lshl_b64 s[0:1], s[16:17], 2
	s_delay_alu instid0(SALU_CYCLE_1)
	s_add_nc_u64 s[0:1], s[6:7], s[0:1]
	global_load_b32 v1, v1, s[0:1]
	s_wait_loadcnt 0x0
	v_cmp_ne_u32_e32 vcc_lo, 0, v1
	s_cbranch_vccz .LBB41_179
.LBB41_178:
	s_sendmsg sendmsg(MSG_DEALLOC_VGPRS)
	s_endpgm
.LBB41_179:
	s_wait_xcnt 0x0
	v_lshl_add_u32 v1, v0, 3, 0x150
	s_mov_b32 s0, exec_lo
	v_cmpx_eq_u32_e32 41, v0
	s_cbranch_execz .LBB41_181
; %bb.180:
	scratch_load_b64 v[2:3], off, off offset:320
	v_mov_b64_e32 v[88:89], 0
	scratch_store_b64 off, v[88:89], off offset:320
	s_wait_loadcnt 0x0
	ds_store_b64 v1, v[2:3]
.LBB41_181:
	s_wait_xcnt 0x0
	s_or_b32 exec_lo, exec_lo, s0
	s_wait_storecnt_dscnt 0x0
	s_barrier_signal -1
	s_barrier_wait -1
	scratch_load_b128 v[88:91], off, off offset:320
	v_mov_b32_e32 v2, 0
	s_mov_b32 s0, exec_lo
	ds_load_b64 v[92:93], v2 offset:664
	s_wait_loadcnt_dscnt 0x0
	v_fma_f64 v[90:91], v[90:91], v[92:93], 0
	s_delay_alu instid0(VALU_DEP_1)
	v_add_f64_e64 v[88:89], v[88:89], -v[90:91]
	scratch_store_b64 off, v[88:89], off offset:320
	s_wait_xcnt 0x0
	v_cmpx_lt_u32_e32 39, v0
	s_cbranch_execz .LBB41_183
; %bb.182:
	scratch_load_b64 v[88:89], off, off offset:312
	v_mov_b64_e32 v[90:91], 0
	scratch_store_b64 off, v[90:91], off offset:312
	s_wait_loadcnt 0x0
	ds_store_b64 v1, v[88:89]
.LBB41_183:
	s_wait_xcnt 0x0
	s_or_b32 exec_lo, exec_lo, s0
	s_wait_storecnt_dscnt 0x0
	s_barrier_signal -1
	s_barrier_wait -1
	s_clause 0x1
	scratch_load_b128 v[88:91], off, off offset:312
	scratch_load_b64 v[96:97], off, off offset:328
	ds_load_b128 v[92:95], v2 offset:656
	s_mov_b32 s0, exec_lo
	s_wait_loadcnt_dscnt 0x100
	v_fma_f64 v[2:3], v[90:91], v[92:93], 0
	s_wait_loadcnt 0x0
	s_delay_alu instid0(VALU_DEP_1) | instskip(NEXT) | instid1(VALU_DEP_1)
	v_fmac_f64_e32 v[2:3], v[96:97], v[94:95]
	v_add_f64_e64 v[2:3], v[88:89], -v[2:3]
	scratch_store_b64 off, v[2:3], off offset:312
	s_wait_xcnt 0x0
	v_cmpx_lt_u32_e32 38, v0
	s_cbranch_execz .LBB41_185
; %bb.184:
	scratch_load_b64 v[2:3], off, off offset:304
	v_mov_b64_e32 v[88:89], 0
	scratch_store_b64 off, v[88:89], off offset:304
	s_wait_loadcnt 0x0
	ds_store_b64 v1, v[2:3]
.LBB41_185:
	s_wait_xcnt 0x0
	s_or_b32 exec_lo, exec_lo, s0
	s_wait_storecnt_dscnt 0x0
	s_barrier_signal -1
	s_barrier_wait -1
	s_clause 0x1
	scratch_load_b128 v[88:91], off, off offset:304
	scratch_load_b128 v[92:95], off, off offset:320
	v_mov_b32_e32 v2, 0
	ds_load_2addr_b64 v[96:99], v2 offset0:81 offset1:82
	ds_load_b64 v[100:101], v2 offset:664
	s_mov_b32 s0, exec_lo
	s_wait_loadcnt_dscnt 0x101
	v_fma_f64 v[90:91], v[90:91], v[96:97], 0
	s_wait_loadcnt 0x0
	s_delay_alu instid0(VALU_DEP_1) | instskip(SKIP_1) | instid1(VALU_DEP_1)
	v_fmac_f64_e32 v[90:91], v[92:93], v[98:99]
	s_wait_dscnt 0x0
	v_fmac_f64_e32 v[90:91], v[94:95], v[100:101]
	s_delay_alu instid0(VALU_DEP_1)
	v_add_f64_e64 v[88:89], v[88:89], -v[90:91]
	scratch_store_b64 off, v[88:89], off offset:304
	s_wait_xcnt 0x0
	v_cmpx_lt_u32_e32 37, v0
	s_cbranch_execz .LBB41_187
; %bb.186:
	scratch_load_b64 v[88:89], off, off offset:296
	v_mov_b64_e32 v[90:91], 0
	scratch_store_b64 off, v[90:91], off offset:296
	s_wait_loadcnt 0x0
	ds_store_b64 v1, v[88:89]
.LBB41_187:
	s_wait_xcnt 0x0
	s_or_b32 exec_lo, exec_lo, s0
	s_wait_storecnt_dscnt 0x0
	s_barrier_signal -1
	s_barrier_wait -1
	s_clause 0x2
	scratch_load_b128 v[88:91], off, off offset:296
	scratch_load_b128 v[92:95], off, off offset:312
	scratch_load_b64 v[104:105], off, off offset:328
	ds_load_b128 v[96:99], v2 offset:640
	ds_load_b128 v[100:103], v2 offset:656
	s_mov_b32 s0, exec_lo
	s_wait_loadcnt_dscnt 0x201
	v_fma_f64 v[2:3], v[90:91], v[96:97], 0
	s_wait_loadcnt 0x1
	s_delay_alu instid0(VALU_DEP_1) | instskip(SKIP_1) | instid1(VALU_DEP_1)
	v_fmac_f64_e32 v[2:3], v[92:93], v[98:99]
	s_wait_dscnt 0x0
	v_fmac_f64_e32 v[2:3], v[94:95], v[100:101]
	s_wait_loadcnt 0x0
	s_delay_alu instid0(VALU_DEP_1) | instskip(NEXT) | instid1(VALU_DEP_1)
	v_fmac_f64_e32 v[2:3], v[104:105], v[102:103]
	v_add_f64_e64 v[2:3], v[88:89], -v[2:3]
	scratch_store_b64 off, v[2:3], off offset:296
	s_wait_xcnt 0x0
	v_cmpx_lt_u32_e32 36, v0
	s_cbranch_execz .LBB41_189
; %bb.188:
	scratch_load_b64 v[2:3], off, off offset:288
	v_mov_b64_e32 v[88:89], 0
	scratch_store_b64 off, v[88:89], off offset:288
	s_wait_loadcnt 0x0
	ds_store_b64 v1, v[2:3]
.LBB41_189:
	s_wait_xcnt 0x0
	s_or_b32 exec_lo, exec_lo, s0
	s_wait_storecnt_dscnt 0x0
	s_barrier_signal -1
	s_barrier_wait -1
	s_clause 0x2
	scratch_load_b128 v[88:91], off, off offset:288
	scratch_load_b128 v[92:95], off, off offset:304
	;; [unrolled: 1-line block ×3, first 2 shown]
	v_mov_b32_e32 v2, 0
	ds_load_2addr_b64 v[100:103], v2 offset0:79 offset1:80
	ds_load_2addr_b64 v[104:107], v2 offset0:81 offset1:82
	s_mov_b32 s0, exec_lo
	s_wait_loadcnt_dscnt 0x201
	v_fma_f64 v[90:91], v[90:91], v[100:101], 0
	s_wait_loadcnt 0x1
	s_delay_alu instid0(VALU_DEP_1) | instskip(SKIP_4) | instid1(VALU_DEP_1)
	v_fmac_f64_e32 v[90:91], v[92:93], v[102:103]
	ds_load_b64 v[92:93], v2 offset:664
	s_wait_dscnt 0x1
	v_fmac_f64_e32 v[90:91], v[94:95], v[104:105]
	s_wait_loadcnt 0x0
	v_fmac_f64_e32 v[90:91], v[96:97], v[106:107]
	s_wait_dscnt 0x0
	s_delay_alu instid0(VALU_DEP_1) | instskip(NEXT) | instid1(VALU_DEP_1)
	v_fmac_f64_e32 v[90:91], v[98:99], v[92:93]
	v_add_f64_e64 v[88:89], v[88:89], -v[90:91]
	scratch_store_b64 off, v[88:89], off offset:288
	s_wait_xcnt 0x0
	v_cmpx_lt_u32_e32 35, v0
	s_cbranch_execz .LBB41_191
; %bb.190:
	scratch_load_b64 v[88:89], off, off offset:280
	v_mov_b64_e32 v[90:91], 0
	scratch_store_b64 off, v[90:91], off offset:280
	s_wait_loadcnt 0x0
	ds_store_b64 v1, v[88:89]
.LBB41_191:
	s_wait_xcnt 0x0
	s_or_b32 exec_lo, exec_lo, s0
	s_wait_storecnt_dscnt 0x0
	s_barrier_signal -1
	s_barrier_wait -1
	s_clause 0x3
	scratch_load_b128 v[88:91], off, off offset:280
	scratch_load_b128 v[92:95], off, off offset:296
	;; [unrolled: 1-line block ×3, first 2 shown]
	scratch_load_b64 v[108:109], off, off offset:328
	ds_load_b128 v[100:103], v2 offset:624
	ds_load_b128 v[104:107], v2 offset:640
	s_mov_b32 s0, exec_lo
	s_wait_loadcnt_dscnt 0x301
	v_fma_f64 v[100:101], v[90:91], v[100:101], 0
	s_wait_loadcnt 0x2
	s_delay_alu instid0(VALU_DEP_1) | instskip(SKIP_4) | instid1(VALU_DEP_1)
	v_fmac_f64_e32 v[100:101], v[92:93], v[102:103]
	ds_load_b128 v[90:93], v2 offset:656
	s_wait_dscnt 0x1
	v_fmac_f64_e32 v[100:101], v[94:95], v[104:105]
	s_wait_loadcnt 0x1
	v_fmac_f64_e32 v[100:101], v[96:97], v[106:107]
	s_wait_dscnt 0x0
	s_delay_alu instid0(VALU_DEP_1) | instskip(SKIP_1) | instid1(VALU_DEP_1)
	v_fmac_f64_e32 v[100:101], v[98:99], v[90:91]
	s_wait_loadcnt 0x0
	v_fmac_f64_e32 v[100:101], v[108:109], v[92:93]
	s_delay_alu instid0(VALU_DEP_1)
	v_add_f64_e64 v[2:3], v[88:89], -v[100:101]
	scratch_store_b64 off, v[2:3], off offset:280
	s_wait_xcnt 0x0
	v_cmpx_lt_u32_e32 34, v0
	s_cbranch_execz .LBB41_193
; %bb.192:
	scratch_load_b64 v[2:3], off, off offset:272
	v_mov_b64_e32 v[88:89], 0
	scratch_store_b64 off, v[88:89], off offset:272
	s_wait_loadcnt 0x0
	ds_store_b64 v1, v[2:3]
.LBB41_193:
	s_wait_xcnt 0x0
	s_or_b32 exec_lo, exec_lo, s0
	s_wait_storecnt_dscnt 0x0
	s_barrier_signal -1
	s_barrier_wait -1
	s_clause 0x3
	scratch_load_b128 v[88:91], off, off offset:272
	scratch_load_b128 v[92:95], off, off offset:288
	;; [unrolled: 1-line block ×4, first 2 shown]
	v_mov_b32_e32 v2, 0
	ds_load_2addr_b64 v[104:107], v2 offset0:77 offset1:78
	ds_load_2addr_b64 v[108:111], v2 offset0:79 offset1:80
	s_mov_b32 s0, exec_lo
	s_wait_loadcnt_dscnt 0x301
	v_fma_f64 v[104:105], v[90:91], v[104:105], 0
	s_wait_loadcnt 0x2
	s_delay_alu instid0(VALU_DEP_1) | instskip(SKIP_1) | instid1(VALU_DEP_1)
	v_fmac_f64_e32 v[104:105], v[92:93], v[106:107]
	s_wait_dscnt 0x0
	v_fmac_f64_e32 v[104:105], v[94:95], v[108:109]
	ds_load_2addr_b64 v[90:93], v2 offset0:81 offset1:82
	ds_load_b64 v[94:95], v2 offset:664
	s_wait_loadcnt 0x1
	v_fmac_f64_e32 v[104:105], v[96:97], v[110:111]
	s_wait_dscnt 0x1
	s_delay_alu instid0(VALU_DEP_1) | instskip(SKIP_1) | instid1(VALU_DEP_1)
	v_fmac_f64_e32 v[104:105], v[98:99], v[90:91]
	s_wait_loadcnt 0x0
	v_fmac_f64_e32 v[104:105], v[100:101], v[92:93]
	s_wait_dscnt 0x0
	s_delay_alu instid0(VALU_DEP_1) | instskip(NEXT) | instid1(VALU_DEP_1)
	v_fmac_f64_e32 v[104:105], v[102:103], v[94:95]
	v_add_f64_e64 v[88:89], v[88:89], -v[104:105]
	scratch_store_b64 off, v[88:89], off offset:272
	s_wait_xcnt 0x0
	v_cmpx_lt_u32_e32 33, v0
	s_cbranch_execz .LBB41_195
; %bb.194:
	scratch_load_b64 v[88:89], off, off offset:264
	v_mov_b64_e32 v[90:91], 0
	scratch_store_b64 off, v[90:91], off offset:264
	s_wait_loadcnt 0x0
	ds_store_b64 v1, v[88:89]
.LBB41_195:
	s_wait_xcnt 0x0
	s_or_b32 exec_lo, exec_lo, s0
	s_wait_storecnt_dscnt 0x0
	s_barrier_signal -1
	s_barrier_wait -1
	s_clause 0x4
	scratch_load_b128 v[88:91], off, off offset:264
	scratch_load_b128 v[92:95], off, off offset:280
	;; [unrolled: 1-line block ×4, first 2 shown]
	scratch_load_b64 v[112:113], off, off offset:328
	ds_load_b128 v[104:107], v2 offset:608
	ds_load_b128 v[108:111], v2 offset:624
	s_mov_b32 s0, exec_lo
	s_wait_loadcnt_dscnt 0x401
	v_fma_f64 v[104:105], v[90:91], v[104:105], 0
	s_wait_loadcnt 0x3
	s_delay_alu instid0(VALU_DEP_1) | instskip(SKIP_1) | instid1(VALU_DEP_1)
	v_fmac_f64_e32 v[104:105], v[92:93], v[106:107]
	s_wait_dscnt 0x0
	v_fmac_f64_e32 v[104:105], v[94:95], v[108:109]
	s_wait_loadcnt 0x2
	s_delay_alu instid0(VALU_DEP_1)
	v_fmac_f64_e32 v[104:105], v[96:97], v[110:111]
	ds_load_b128 v[90:93], v2 offset:640
	ds_load_b128 v[94:97], v2 offset:656
	s_wait_dscnt 0x1
	v_fmac_f64_e32 v[104:105], v[98:99], v[90:91]
	s_wait_loadcnt 0x1
	s_delay_alu instid0(VALU_DEP_1) | instskip(SKIP_1) | instid1(VALU_DEP_1)
	v_fmac_f64_e32 v[104:105], v[100:101], v[92:93]
	s_wait_dscnt 0x0
	v_fmac_f64_e32 v[104:105], v[102:103], v[94:95]
	s_wait_loadcnt 0x0
	s_delay_alu instid0(VALU_DEP_1) | instskip(NEXT) | instid1(VALU_DEP_1)
	v_fmac_f64_e32 v[104:105], v[112:113], v[96:97]
	v_add_f64_e64 v[2:3], v[88:89], -v[104:105]
	scratch_store_b64 off, v[2:3], off offset:264
	s_wait_xcnt 0x0
	v_cmpx_lt_u32_e32 32, v0
	s_cbranch_execz .LBB41_197
; %bb.196:
	scratch_load_b64 v[2:3], off, off offset:256
	v_mov_b64_e32 v[88:89], 0
	scratch_store_b64 off, v[88:89], off offset:256
	s_wait_loadcnt 0x0
	ds_store_b64 v1, v[2:3]
.LBB41_197:
	s_wait_xcnt 0x0
	s_or_b32 exec_lo, exec_lo, s0
	s_wait_storecnt_dscnt 0x0
	s_barrier_signal -1
	s_barrier_wait -1
	s_clause 0x4
	scratch_load_b128 v[88:91], off, off offset:256
	scratch_load_b128 v[92:95], off, off offset:272
	;; [unrolled: 1-line block ×5, first 2 shown]
	v_mov_b32_e32 v2, 0
	ds_load_2addr_b64 v[108:111], v2 offset0:75 offset1:76
	ds_load_2addr_b64 v[112:115], v2 offset0:77 offset1:78
	s_mov_b32 s0, exec_lo
	s_wait_loadcnt_dscnt 0x401
	v_fma_f64 v[108:109], v[90:91], v[108:109], 0
	s_wait_loadcnt 0x3
	s_delay_alu instid0(VALU_DEP_1) | instskip(SKIP_1) | instid1(VALU_DEP_1)
	v_fmac_f64_e32 v[108:109], v[92:93], v[110:111]
	s_wait_dscnt 0x0
	v_fmac_f64_e32 v[108:109], v[94:95], v[112:113]
	s_wait_loadcnt 0x2
	s_delay_alu instid0(VALU_DEP_1)
	v_fmac_f64_e32 v[108:109], v[96:97], v[114:115]
	ds_load_2addr_b64 v[90:93], v2 offset0:79 offset1:80
	ds_load_2addr_b64 v[94:97], v2 offset0:81 offset1:82
	s_wait_dscnt 0x1
	v_fmac_f64_e32 v[108:109], v[98:99], v[90:91]
	ds_load_b64 v[90:91], v2 offset:664
	s_wait_loadcnt 0x1
	v_fmac_f64_e32 v[108:109], v[100:101], v[92:93]
	s_wait_dscnt 0x1
	s_delay_alu instid0(VALU_DEP_1) | instskip(SKIP_1) | instid1(VALU_DEP_1)
	v_fmac_f64_e32 v[108:109], v[102:103], v[94:95]
	s_wait_loadcnt 0x0
	v_fmac_f64_e32 v[108:109], v[104:105], v[96:97]
	s_wait_dscnt 0x0
	s_delay_alu instid0(VALU_DEP_1) | instskip(NEXT) | instid1(VALU_DEP_1)
	v_fmac_f64_e32 v[108:109], v[106:107], v[90:91]
	v_add_f64_e64 v[88:89], v[88:89], -v[108:109]
	scratch_store_b64 off, v[88:89], off offset:256
	s_wait_xcnt 0x0
	v_cmpx_lt_u32_e32 31, v0
	s_cbranch_execz .LBB41_199
; %bb.198:
	scratch_load_b64 v[88:89], off, off offset:248
	v_mov_b64_e32 v[90:91], 0
	scratch_store_b64 off, v[90:91], off offset:248
	s_wait_loadcnt 0x0
	ds_store_b64 v1, v[88:89]
.LBB41_199:
	s_wait_xcnt 0x0
	s_or_b32 exec_lo, exec_lo, s0
	s_wait_storecnt_dscnt 0x0
	s_barrier_signal -1
	s_barrier_wait -1
	s_clause 0x5
	scratch_load_b128 v[88:91], off, off offset:248
	scratch_load_b128 v[92:95], off, off offset:264
	;; [unrolled: 1-line block ×5, first 2 shown]
	scratch_load_b64 v[116:117], off, off offset:328
	ds_load_b128 v[108:111], v2 offset:592
	ds_load_b128 v[112:115], v2 offset:608
	s_mov_b32 s0, exec_lo
	s_wait_loadcnt_dscnt 0x501
	v_fma_f64 v[108:109], v[90:91], v[108:109], 0
	s_wait_loadcnt 0x4
	s_delay_alu instid0(VALU_DEP_1) | instskip(SKIP_1) | instid1(VALU_DEP_1)
	v_fmac_f64_e32 v[108:109], v[92:93], v[110:111]
	s_wait_dscnt 0x0
	v_fmac_f64_e32 v[108:109], v[94:95], v[112:113]
	s_wait_loadcnt 0x3
	s_delay_alu instid0(VALU_DEP_1)
	v_fmac_f64_e32 v[108:109], v[96:97], v[114:115]
	ds_load_b128 v[90:93], v2 offset:624
	ds_load_b128 v[94:97], v2 offset:640
	s_wait_dscnt 0x1
	v_fmac_f64_e32 v[108:109], v[98:99], v[90:91]
	s_wait_loadcnt 0x2
	s_delay_alu instid0(VALU_DEP_1) | instskip(SKIP_4) | instid1(VALU_DEP_1)
	v_fmac_f64_e32 v[108:109], v[100:101], v[92:93]
	ds_load_b128 v[90:93], v2 offset:656
	s_wait_dscnt 0x1
	v_fmac_f64_e32 v[108:109], v[102:103], v[94:95]
	s_wait_loadcnt 0x1
	v_fmac_f64_e32 v[108:109], v[104:105], v[96:97]
	s_wait_dscnt 0x0
	s_delay_alu instid0(VALU_DEP_1) | instskip(SKIP_1) | instid1(VALU_DEP_1)
	v_fmac_f64_e32 v[108:109], v[106:107], v[90:91]
	s_wait_loadcnt 0x0
	v_fmac_f64_e32 v[108:109], v[116:117], v[92:93]
	s_delay_alu instid0(VALU_DEP_1)
	v_add_f64_e64 v[2:3], v[88:89], -v[108:109]
	scratch_store_b64 off, v[2:3], off offset:248
	s_wait_xcnt 0x0
	v_cmpx_lt_u32_e32 30, v0
	s_cbranch_execz .LBB41_201
; %bb.200:
	scratch_load_b64 v[2:3], off, off offset:240
	v_mov_b64_e32 v[88:89], 0
	scratch_store_b64 off, v[88:89], off offset:240
	s_wait_loadcnt 0x0
	ds_store_b64 v1, v[2:3]
.LBB41_201:
	s_wait_xcnt 0x0
	s_or_b32 exec_lo, exec_lo, s0
	s_wait_storecnt_dscnt 0x0
	s_barrier_signal -1
	s_barrier_wait -1
	s_clause 0x5
	scratch_load_b128 v[88:91], off, off offset:240
	scratch_load_b128 v[92:95], off, off offset:256
	;; [unrolled: 1-line block ×6, first 2 shown]
	v_mov_b32_e32 v2, 0
	ds_load_2addr_b64 v[112:115], v2 offset0:73 offset1:74
	ds_load_2addr_b64 v[116:119], v2 offset0:75 offset1:76
	s_mov_b32 s0, exec_lo
	s_wait_loadcnt_dscnt 0x501
	v_fma_f64 v[112:113], v[90:91], v[112:113], 0
	s_wait_loadcnt 0x4
	s_delay_alu instid0(VALU_DEP_1) | instskip(SKIP_1) | instid1(VALU_DEP_1)
	v_fmac_f64_e32 v[112:113], v[92:93], v[114:115]
	s_wait_dscnt 0x0
	v_fmac_f64_e32 v[112:113], v[94:95], v[116:117]
	s_wait_loadcnt 0x3
	s_delay_alu instid0(VALU_DEP_1)
	v_fmac_f64_e32 v[112:113], v[96:97], v[118:119]
	ds_load_2addr_b64 v[90:93], v2 offset0:77 offset1:78
	ds_load_2addr_b64 v[94:97], v2 offset0:79 offset1:80
	s_wait_dscnt 0x1
	v_fmac_f64_e32 v[112:113], v[98:99], v[90:91]
	s_wait_loadcnt 0x2
	s_delay_alu instid0(VALU_DEP_1) | instskip(SKIP_1) | instid1(VALU_DEP_1)
	v_fmac_f64_e32 v[112:113], v[100:101], v[92:93]
	s_wait_dscnt 0x0
	v_fmac_f64_e32 v[112:113], v[102:103], v[94:95]
	ds_load_2addr_b64 v[90:93], v2 offset0:81 offset1:82
	ds_load_b64 v[94:95], v2 offset:664
	s_wait_loadcnt 0x1
	v_fmac_f64_e32 v[112:113], v[104:105], v[96:97]
	s_wait_dscnt 0x1
	s_delay_alu instid0(VALU_DEP_1) | instskip(SKIP_1) | instid1(VALU_DEP_1)
	v_fmac_f64_e32 v[112:113], v[106:107], v[90:91]
	s_wait_loadcnt 0x0
	v_fmac_f64_e32 v[112:113], v[108:109], v[92:93]
	s_wait_dscnt 0x0
	s_delay_alu instid0(VALU_DEP_1) | instskip(NEXT) | instid1(VALU_DEP_1)
	v_fmac_f64_e32 v[112:113], v[110:111], v[94:95]
	v_add_f64_e64 v[88:89], v[88:89], -v[112:113]
	scratch_store_b64 off, v[88:89], off offset:240
	s_wait_xcnt 0x0
	v_cmpx_lt_u32_e32 29, v0
	s_cbranch_execz .LBB41_203
; %bb.202:
	scratch_load_b64 v[88:89], off, off offset:232
	v_mov_b64_e32 v[90:91], 0
	scratch_store_b64 off, v[90:91], off offset:232
	s_wait_loadcnt 0x0
	ds_store_b64 v1, v[88:89]
.LBB41_203:
	s_wait_xcnt 0x0
	s_or_b32 exec_lo, exec_lo, s0
	s_wait_storecnt_dscnt 0x0
	s_barrier_signal -1
	s_barrier_wait -1
	s_clause 0x5
	scratch_load_b128 v[88:91], off, off offset:232
	scratch_load_b128 v[92:95], off, off offset:248
	;; [unrolled: 1-line block ×6, first 2 shown]
	ds_load_b128 v[112:115], v2 offset:576
	ds_load_b128 v[116:119], v2 offset:592
	s_mov_b32 s0, exec_lo
	s_wait_loadcnt_dscnt 0x501
	v_fma_f64 v[112:113], v[90:91], v[112:113], 0
	s_wait_loadcnt 0x4
	s_delay_alu instid0(VALU_DEP_1) | instskip(SKIP_4) | instid1(VALU_DEP_1)
	v_fmac_f64_e32 v[112:113], v[92:93], v[114:115]
	scratch_load_b64 v[114:115], off, off offset:328
	s_wait_dscnt 0x0
	v_fmac_f64_e32 v[112:113], v[94:95], v[116:117]
	s_wait_loadcnt 0x4
	v_fmac_f64_e32 v[112:113], v[96:97], v[118:119]
	ds_load_b128 v[90:93], v2 offset:608
	ds_load_b128 v[94:97], v2 offset:624
	s_wait_dscnt 0x1
	v_fmac_f64_e32 v[112:113], v[98:99], v[90:91]
	s_wait_loadcnt 0x3
	s_delay_alu instid0(VALU_DEP_1) | instskip(SKIP_1) | instid1(VALU_DEP_1)
	v_fmac_f64_e32 v[112:113], v[100:101], v[92:93]
	s_wait_dscnt 0x0
	v_fmac_f64_e32 v[112:113], v[102:103], v[94:95]
	s_wait_loadcnt 0x2
	s_delay_alu instid0(VALU_DEP_1)
	v_fmac_f64_e32 v[112:113], v[104:105], v[96:97]
	ds_load_b128 v[90:93], v2 offset:640
	ds_load_b128 v[94:97], v2 offset:656
	s_wait_dscnt 0x1
	v_fmac_f64_e32 v[112:113], v[106:107], v[90:91]
	s_wait_loadcnt 0x1
	s_delay_alu instid0(VALU_DEP_1) | instskip(SKIP_1) | instid1(VALU_DEP_1)
	v_fmac_f64_e32 v[112:113], v[108:109], v[92:93]
	s_wait_dscnt 0x0
	v_fmac_f64_e32 v[112:113], v[110:111], v[94:95]
	s_wait_loadcnt 0x0
	s_delay_alu instid0(VALU_DEP_1) | instskip(NEXT) | instid1(VALU_DEP_1)
	v_fmac_f64_e32 v[112:113], v[114:115], v[96:97]
	v_add_f64_e64 v[2:3], v[88:89], -v[112:113]
	scratch_store_b64 off, v[2:3], off offset:232
	s_wait_xcnt 0x0
	v_cmpx_lt_u32_e32 28, v0
	s_cbranch_execz .LBB41_205
; %bb.204:
	scratch_load_b64 v[2:3], off, off offset:224
	v_mov_b64_e32 v[88:89], 0
	scratch_store_b64 off, v[88:89], off offset:224
	s_wait_loadcnt 0x0
	ds_store_b64 v1, v[2:3]
.LBB41_205:
	s_wait_xcnt 0x0
	s_or_b32 exec_lo, exec_lo, s0
	s_wait_storecnt_dscnt 0x0
	s_barrier_signal -1
	s_barrier_wait -1
	s_clause 0x5
	scratch_load_b128 v[88:91], off, off offset:224
	scratch_load_b128 v[92:95], off, off offset:240
	scratch_load_b128 v[96:99], off, off offset:256
	scratch_load_b128 v[100:103], off, off offset:272
	scratch_load_b128 v[104:107], off, off offset:288
	scratch_load_b128 v[108:111], off, off offset:304
	v_mov_b32_e32 v2, 0
	ds_load_2addr_b64 v[112:115], v2 offset0:71 offset1:72
	ds_load_2addr_b64 v[116:119], v2 offset0:73 offset1:74
	s_mov_b32 s0, exec_lo
	s_wait_loadcnt_dscnt 0x501
	v_fma_f64 v[120:121], v[90:91], v[112:113], 0
	s_wait_loadcnt 0x4
	s_delay_alu instid0(VALU_DEP_1) | instskip(SKIP_4) | instid1(VALU_DEP_1)
	v_fmac_f64_e32 v[120:121], v[92:93], v[114:115]
	scratch_load_b128 v[90:93], off, off offset:320
	s_wait_dscnt 0x0
	v_fmac_f64_e32 v[120:121], v[94:95], v[116:117]
	s_wait_loadcnt 0x4
	v_fmac_f64_e32 v[120:121], v[96:97], v[118:119]
	ds_load_2addr_b64 v[94:97], v2 offset0:75 offset1:76
	ds_load_2addr_b64 v[112:115], v2 offset0:77 offset1:78
	s_wait_dscnt 0x1
	v_fmac_f64_e32 v[120:121], v[98:99], v[94:95]
	s_wait_loadcnt 0x3
	s_delay_alu instid0(VALU_DEP_1)
	v_fmac_f64_e32 v[120:121], v[100:101], v[96:97]
	ds_load_2addr_b64 v[94:97], v2 offset0:79 offset1:80
	ds_load_2addr_b64 v[98:101], v2 offset0:81 offset1:82
	s_wait_dscnt 0x2
	v_fmac_f64_e32 v[120:121], v[102:103], v[112:113]
	s_wait_loadcnt 0x2
	s_delay_alu instid0(VALU_DEP_1) | instskip(SKIP_1) | instid1(VALU_DEP_1)
	v_fmac_f64_e32 v[120:121], v[104:105], v[114:115]
	s_wait_dscnt 0x1
	v_fmac_f64_e32 v[120:121], v[106:107], v[94:95]
	s_wait_loadcnt 0x1
	s_delay_alu instid0(VALU_DEP_1) | instskip(SKIP_1) | instid1(VALU_DEP_1)
	v_fmac_f64_e32 v[120:121], v[108:109], v[96:97]
	s_wait_dscnt 0x0
	v_fmac_f64_e32 v[120:121], v[110:111], v[98:99]
	s_wait_loadcnt 0x0
	s_delay_alu instid0(VALU_DEP_1) | instskip(SKIP_3) | instid1(VALU_DEP_1)
	v_fmac_f64_e32 v[120:121], v[90:91], v[100:101]
	ds_load_b64 v[90:91], v2 offset:664
	s_wait_dscnt 0x0
	v_fmac_f64_e32 v[120:121], v[92:93], v[90:91]
	v_add_f64_e64 v[88:89], v[88:89], -v[120:121]
	scratch_store_b64 off, v[88:89], off offset:224
	s_wait_xcnt 0x0
	v_cmpx_lt_u32_e32 27, v0
	s_cbranch_execz .LBB41_207
; %bb.206:
	scratch_load_b64 v[88:89], off, off offset:216
	v_mov_b64_e32 v[90:91], 0
	scratch_store_b64 off, v[90:91], off offset:216
	s_wait_loadcnt 0x0
	ds_store_b64 v1, v[88:89]
.LBB41_207:
	s_wait_xcnt 0x0
	s_or_b32 exec_lo, exec_lo, s0
	s_wait_storecnt_dscnt 0x0
	s_barrier_signal -1
	s_barrier_wait -1
	s_clause 0x5
	scratch_load_b128 v[88:91], off, off offset:216
	scratch_load_b128 v[92:95], off, off offset:232
	;; [unrolled: 1-line block ×6, first 2 shown]
	ds_load_b128 v[112:115], v2 offset:560
	ds_load_b128 v[116:119], v2 offset:576
	s_mov_b32 s0, exec_lo
	s_wait_loadcnt_dscnt 0x501
	v_fma_f64 v[120:121], v[90:91], v[112:113], 0
	s_wait_loadcnt 0x4
	s_delay_alu instid0(VALU_DEP_1)
	v_fmac_f64_e32 v[120:121], v[92:93], v[114:115]
	scratch_load_b128 v[90:93], off, off offset:312
	s_wait_dscnt 0x0
	v_fmac_f64_e32 v[120:121], v[94:95], v[116:117]
	scratch_load_b64 v[116:117], off, off offset:328
	s_wait_loadcnt 0x5
	v_fmac_f64_e32 v[120:121], v[96:97], v[118:119]
	ds_load_b128 v[94:97], v2 offset:592
	ds_load_b128 v[112:115], v2 offset:608
	s_wait_dscnt 0x1
	v_fmac_f64_e32 v[120:121], v[98:99], v[94:95]
	s_wait_loadcnt 0x4
	s_delay_alu instid0(VALU_DEP_1)
	v_fmac_f64_e32 v[120:121], v[100:101], v[96:97]
	ds_load_b128 v[94:97], v2 offset:624
	ds_load_b128 v[98:101], v2 offset:640
	s_wait_dscnt 0x2
	v_fmac_f64_e32 v[120:121], v[102:103], v[112:113]
	s_wait_loadcnt 0x3
	s_delay_alu instid0(VALU_DEP_1) | instskip(SKIP_1) | instid1(VALU_DEP_1)
	v_fmac_f64_e32 v[120:121], v[104:105], v[114:115]
	s_wait_dscnt 0x1
	v_fmac_f64_e32 v[120:121], v[106:107], v[94:95]
	s_wait_loadcnt 0x2
	s_delay_alu instid0(VALU_DEP_1) | instskip(SKIP_4) | instid1(VALU_DEP_1)
	v_fmac_f64_e32 v[120:121], v[108:109], v[96:97]
	ds_load_b128 v[94:97], v2 offset:656
	s_wait_dscnt 0x1
	v_fmac_f64_e32 v[120:121], v[110:111], v[98:99]
	s_wait_loadcnt 0x1
	v_fmac_f64_e32 v[120:121], v[90:91], v[100:101]
	s_wait_dscnt 0x0
	s_delay_alu instid0(VALU_DEP_1) | instskip(SKIP_1) | instid1(VALU_DEP_1)
	v_fmac_f64_e32 v[120:121], v[92:93], v[94:95]
	s_wait_loadcnt 0x0
	v_fmac_f64_e32 v[120:121], v[116:117], v[96:97]
	s_delay_alu instid0(VALU_DEP_1)
	v_add_f64_e64 v[2:3], v[88:89], -v[120:121]
	scratch_store_b64 off, v[2:3], off offset:216
	s_wait_xcnt 0x0
	v_cmpx_lt_u32_e32 26, v0
	s_cbranch_execz .LBB41_209
; %bb.208:
	scratch_load_b64 v[2:3], off, off offset:208
	v_mov_b64_e32 v[88:89], 0
	scratch_store_b64 off, v[88:89], off offset:208
	s_wait_loadcnt 0x0
	ds_store_b64 v1, v[2:3]
.LBB41_209:
	s_wait_xcnt 0x0
	s_or_b32 exec_lo, exec_lo, s0
	s_wait_storecnt_dscnt 0x0
	s_barrier_signal -1
	s_barrier_wait -1
	s_clause 0x5
	scratch_load_b128 v[88:91], off, off offset:208
	scratch_load_b128 v[92:95], off, off offset:224
	;; [unrolled: 1-line block ×6, first 2 shown]
	v_mov_b32_e32 v2, 0
	ds_load_2addr_b64 v[112:115], v2 offset0:69 offset1:70
	ds_load_2addr_b64 v[116:119], v2 offset0:71 offset1:72
	s_mov_b32 s0, exec_lo
	s_wait_loadcnt_dscnt 0x501
	v_fma_f64 v[120:121], v[90:91], v[112:113], 0
	s_wait_loadcnt 0x4
	s_delay_alu instid0(VALU_DEP_1) | instskip(SKIP_4) | instid1(VALU_DEP_1)
	v_fmac_f64_e32 v[120:121], v[92:93], v[114:115]
	scratch_load_b128 v[90:93], off, off offset:304
	s_wait_dscnt 0x0
	v_fmac_f64_e32 v[120:121], v[94:95], v[116:117]
	s_wait_loadcnt 0x4
	v_fmac_f64_e32 v[120:121], v[96:97], v[118:119]
	scratch_load_b128 v[94:97], off, off offset:320
	ds_load_2addr_b64 v[112:115], v2 offset0:73 offset1:74
	ds_load_2addr_b64 v[116:119], v2 offset0:75 offset1:76
	s_wait_dscnt 0x1
	v_fmac_f64_e32 v[120:121], v[98:99], v[112:113]
	s_wait_loadcnt 0x4
	s_delay_alu instid0(VALU_DEP_1) | instskip(SKIP_1) | instid1(VALU_DEP_1)
	v_fmac_f64_e32 v[120:121], v[100:101], v[114:115]
	s_wait_dscnt 0x0
	v_fmac_f64_e32 v[120:121], v[102:103], v[116:117]
	s_wait_loadcnt 0x3
	s_delay_alu instid0(VALU_DEP_1)
	v_fmac_f64_e32 v[120:121], v[104:105], v[118:119]
	ds_load_2addr_b64 v[98:101], v2 offset0:77 offset1:78
	ds_load_2addr_b64 v[102:105], v2 offset0:79 offset1:80
	s_wait_dscnt 0x1
	v_fmac_f64_e32 v[120:121], v[106:107], v[98:99]
	s_wait_loadcnt 0x2
	s_delay_alu instid0(VALU_DEP_1) | instskip(SKIP_1) | instid1(VALU_DEP_1)
	v_fmac_f64_e32 v[120:121], v[108:109], v[100:101]
	s_wait_dscnt 0x0
	v_fmac_f64_e32 v[120:121], v[110:111], v[102:103]
	s_wait_loadcnt 0x1
	s_delay_alu instid0(VALU_DEP_1)
	v_fmac_f64_e32 v[120:121], v[90:91], v[104:105]
	ds_load_2addr_b64 v[98:101], v2 offset0:81 offset1:82
	ds_load_b64 v[90:91], v2 offset:664
	s_wait_dscnt 0x1
	v_fmac_f64_e32 v[120:121], v[92:93], v[98:99]
	s_wait_loadcnt 0x0
	s_delay_alu instid0(VALU_DEP_1) | instskip(SKIP_1) | instid1(VALU_DEP_1)
	v_fmac_f64_e32 v[120:121], v[94:95], v[100:101]
	s_wait_dscnt 0x0
	v_fmac_f64_e32 v[120:121], v[96:97], v[90:91]
	s_delay_alu instid0(VALU_DEP_1)
	v_add_f64_e64 v[88:89], v[88:89], -v[120:121]
	scratch_store_b64 off, v[88:89], off offset:208
	s_wait_xcnt 0x0
	v_cmpx_lt_u32_e32 25, v0
	s_cbranch_execz .LBB41_211
; %bb.210:
	scratch_load_b64 v[88:89], off, off offset:200
	v_mov_b64_e32 v[90:91], 0
	scratch_store_b64 off, v[90:91], off offset:200
	s_wait_loadcnt 0x0
	ds_store_b64 v1, v[88:89]
.LBB41_211:
	s_wait_xcnt 0x0
	s_or_b32 exec_lo, exec_lo, s0
	s_wait_storecnt_dscnt 0x0
	s_barrier_signal -1
	s_barrier_wait -1
	s_clause 0x5
	scratch_load_b128 v[88:91], off, off offset:200
	scratch_load_b128 v[92:95], off, off offset:216
	;; [unrolled: 1-line block ×6, first 2 shown]
	ds_load_b128 v[112:115], v2 offset:544
	ds_load_b128 v[116:119], v2 offset:560
	s_mov_b32 s0, exec_lo
	s_wait_loadcnt_dscnt 0x501
	v_fma_f64 v[120:121], v[90:91], v[112:113], 0
	s_wait_loadcnt 0x4
	s_delay_alu instid0(VALU_DEP_1) | instskip(SKIP_4) | instid1(VALU_DEP_1)
	v_fmac_f64_e32 v[120:121], v[92:93], v[114:115]
	scratch_load_b128 v[90:93], off, off offset:296
	s_wait_dscnt 0x0
	v_fmac_f64_e32 v[120:121], v[94:95], v[116:117]
	s_wait_loadcnt 0x4
	v_fmac_f64_e32 v[120:121], v[96:97], v[118:119]
	scratch_load_b128 v[94:97], off, off offset:312
	ds_load_b128 v[112:115], v2 offset:576
	ds_load_b128 v[116:119], v2 offset:592
	s_wait_dscnt 0x1
	v_fmac_f64_e32 v[120:121], v[98:99], v[112:113]
	scratch_load_b64 v[112:113], off, off offset:328
	s_wait_loadcnt 0x5
	v_fmac_f64_e32 v[120:121], v[100:101], v[114:115]
	s_wait_dscnt 0x0
	s_delay_alu instid0(VALU_DEP_1) | instskip(SKIP_1) | instid1(VALU_DEP_1)
	v_fmac_f64_e32 v[120:121], v[102:103], v[116:117]
	s_wait_loadcnt 0x4
	v_fmac_f64_e32 v[120:121], v[104:105], v[118:119]
	ds_load_b128 v[98:101], v2 offset:608
	ds_load_b128 v[102:105], v2 offset:624
	s_wait_dscnt 0x1
	v_fmac_f64_e32 v[120:121], v[106:107], v[98:99]
	s_wait_loadcnt 0x3
	s_delay_alu instid0(VALU_DEP_1) | instskip(SKIP_1) | instid1(VALU_DEP_1)
	v_fmac_f64_e32 v[120:121], v[108:109], v[100:101]
	s_wait_dscnt 0x0
	v_fmac_f64_e32 v[120:121], v[110:111], v[102:103]
	s_wait_loadcnt 0x2
	s_delay_alu instid0(VALU_DEP_1)
	v_fmac_f64_e32 v[120:121], v[90:91], v[104:105]
	ds_load_b128 v[98:101], v2 offset:640
	ds_load_b128 v[102:105], v2 offset:656
	s_wait_dscnt 0x1
	v_fmac_f64_e32 v[120:121], v[92:93], v[98:99]
	s_wait_loadcnt 0x1
	s_delay_alu instid0(VALU_DEP_1) | instskip(SKIP_1) | instid1(VALU_DEP_1)
	v_fmac_f64_e32 v[120:121], v[94:95], v[100:101]
	s_wait_dscnt 0x0
	v_fmac_f64_e32 v[120:121], v[96:97], v[102:103]
	s_wait_loadcnt 0x0
	s_delay_alu instid0(VALU_DEP_1) | instskip(NEXT) | instid1(VALU_DEP_1)
	v_fmac_f64_e32 v[120:121], v[112:113], v[104:105]
	v_add_f64_e64 v[2:3], v[88:89], -v[120:121]
	scratch_store_b64 off, v[2:3], off offset:200
	s_wait_xcnt 0x0
	v_cmpx_lt_u32_e32 24, v0
	s_cbranch_execz .LBB41_213
; %bb.212:
	scratch_load_b64 v[2:3], off, off offset:192
	v_mov_b64_e32 v[88:89], 0
	scratch_store_b64 off, v[88:89], off offset:192
	s_wait_loadcnt 0x0
	ds_store_b64 v1, v[2:3]
.LBB41_213:
	s_wait_xcnt 0x0
	s_or_b32 exec_lo, exec_lo, s0
	s_wait_storecnt_dscnt 0x0
	s_barrier_signal -1
	s_barrier_wait -1
	s_clause 0x5
	scratch_load_b128 v[88:91], off, off offset:192
	scratch_load_b128 v[92:95], off, off offset:208
	;; [unrolled: 1-line block ×6, first 2 shown]
	v_mov_b32_e32 v2, 0
	ds_load_2addr_b64 v[112:115], v2 offset0:67 offset1:68
	ds_load_2addr_b64 v[116:119], v2 offset0:69 offset1:70
	s_mov_b32 s0, exec_lo
	s_wait_loadcnt_dscnt 0x501
	v_fma_f64 v[120:121], v[90:91], v[112:113], 0
	s_wait_loadcnt 0x4
	s_delay_alu instid0(VALU_DEP_1) | instskip(SKIP_4) | instid1(VALU_DEP_1)
	v_fmac_f64_e32 v[120:121], v[92:93], v[114:115]
	scratch_load_b128 v[90:93], off, off offset:288
	s_wait_dscnt 0x0
	v_fmac_f64_e32 v[120:121], v[94:95], v[116:117]
	s_wait_loadcnt 0x4
	v_fmac_f64_e32 v[120:121], v[96:97], v[118:119]
	scratch_load_b128 v[94:97], off, off offset:304
	ds_load_2addr_b64 v[112:115], v2 offset0:71 offset1:72
	ds_load_2addr_b64 v[116:119], v2 offset0:73 offset1:74
	s_wait_dscnt 0x1
	v_fmac_f64_e32 v[120:121], v[98:99], v[112:113]
	s_wait_loadcnt 0x4
	s_delay_alu instid0(VALU_DEP_1) | instskip(SKIP_4) | instid1(VALU_DEP_1)
	v_fmac_f64_e32 v[120:121], v[100:101], v[114:115]
	scratch_load_b128 v[98:101], off, off offset:320
	s_wait_dscnt 0x0
	v_fmac_f64_e32 v[120:121], v[102:103], v[116:117]
	s_wait_loadcnt 0x4
	v_fmac_f64_e32 v[120:121], v[104:105], v[118:119]
	ds_load_2addr_b64 v[102:105], v2 offset0:75 offset1:76
	ds_load_2addr_b64 v[112:115], v2 offset0:77 offset1:78
	s_wait_dscnt 0x1
	v_fmac_f64_e32 v[120:121], v[106:107], v[102:103]
	s_wait_loadcnt 0x3
	s_delay_alu instid0(VALU_DEP_1)
	v_fmac_f64_e32 v[120:121], v[108:109], v[104:105]
	ds_load_2addr_b64 v[102:105], v2 offset0:79 offset1:80
	ds_load_2addr_b64 v[106:109], v2 offset0:81 offset1:82
	s_wait_dscnt 0x2
	v_fmac_f64_e32 v[120:121], v[110:111], v[112:113]
	s_wait_loadcnt 0x2
	s_delay_alu instid0(VALU_DEP_1) | instskip(SKIP_4) | instid1(VALU_DEP_1)
	v_fmac_f64_e32 v[120:121], v[90:91], v[114:115]
	ds_load_b64 v[90:91], v2 offset:664
	s_wait_dscnt 0x2
	v_fmac_f64_e32 v[120:121], v[92:93], v[102:103]
	s_wait_loadcnt 0x1
	v_fmac_f64_e32 v[120:121], v[94:95], v[104:105]
	s_wait_dscnt 0x1
	s_delay_alu instid0(VALU_DEP_1) | instskip(SKIP_1) | instid1(VALU_DEP_1)
	v_fmac_f64_e32 v[120:121], v[96:97], v[106:107]
	s_wait_loadcnt 0x0
	v_fmac_f64_e32 v[120:121], v[98:99], v[108:109]
	s_wait_dscnt 0x0
	s_delay_alu instid0(VALU_DEP_1) | instskip(NEXT) | instid1(VALU_DEP_1)
	v_fmac_f64_e32 v[120:121], v[100:101], v[90:91]
	v_add_f64_e64 v[88:89], v[88:89], -v[120:121]
	scratch_store_b64 off, v[88:89], off offset:192
	s_wait_xcnt 0x0
	v_cmpx_lt_u32_e32 23, v0
	s_cbranch_execz .LBB41_215
; %bb.214:
	scratch_load_b64 v[88:89], off, off offset:184
	v_mov_b64_e32 v[90:91], 0
	scratch_store_b64 off, v[90:91], off offset:184
	s_wait_loadcnt 0x0
	ds_store_b64 v1, v[88:89]
.LBB41_215:
	s_wait_xcnt 0x0
	s_or_b32 exec_lo, exec_lo, s0
	s_wait_storecnt_dscnt 0x0
	s_barrier_signal -1
	s_barrier_wait -1
	s_clause 0x5
	scratch_load_b128 v[88:91], off, off offset:184
	scratch_load_b128 v[92:95], off, off offset:200
	;; [unrolled: 1-line block ×6, first 2 shown]
	ds_load_b128 v[112:115], v2 offset:528
	ds_load_b128 v[116:119], v2 offset:544
	s_mov_b32 s0, exec_lo
	s_wait_loadcnt_dscnt 0x501
	v_fma_f64 v[120:121], v[90:91], v[112:113], 0
	s_wait_loadcnt 0x4
	s_delay_alu instid0(VALU_DEP_1) | instskip(SKIP_4) | instid1(VALU_DEP_1)
	v_fmac_f64_e32 v[120:121], v[92:93], v[114:115]
	scratch_load_b128 v[90:93], off, off offset:280
	s_wait_dscnt 0x0
	v_fmac_f64_e32 v[120:121], v[94:95], v[116:117]
	s_wait_loadcnt 0x4
	v_fmac_f64_e32 v[120:121], v[96:97], v[118:119]
	scratch_load_b128 v[94:97], off, off offset:296
	ds_load_b128 v[112:115], v2 offset:560
	ds_load_b128 v[116:119], v2 offset:576
	s_wait_dscnt 0x1
	v_fmac_f64_e32 v[120:121], v[98:99], v[112:113]
	s_wait_loadcnt 0x4
	s_delay_alu instid0(VALU_DEP_1)
	v_fmac_f64_e32 v[120:121], v[100:101], v[114:115]
	scratch_load_b128 v[98:101], off, off offset:312
	s_wait_dscnt 0x0
	v_fmac_f64_e32 v[120:121], v[102:103], v[116:117]
	scratch_load_b64 v[116:117], off, off offset:328
	s_wait_loadcnt 0x5
	v_fmac_f64_e32 v[120:121], v[104:105], v[118:119]
	ds_load_b128 v[102:105], v2 offset:592
	ds_load_b128 v[112:115], v2 offset:608
	s_wait_dscnt 0x1
	v_fmac_f64_e32 v[120:121], v[106:107], v[102:103]
	s_wait_loadcnt 0x4
	s_delay_alu instid0(VALU_DEP_1)
	v_fmac_f64_e32 v[120:121], v[108:109], v[104:105]
	ds_load_b128 v[102:105], v2 offset:624
	ds_load_b128 v[106:109], v2 offset:640
	s_wait_dscnt 0x2
	v_fmac_f64_e32 v[120:121], v[110:111], v[112:113]
	s_wait_loadcnt 0x3
	s_delay_alu instid0(VALU_DEP_1) | instskip(SKIP_1) | instid1(VALU_DEP_1)
	v_fmac_f64_e32 v[120:121], v[90:91], v[114:115]
	s_wait_dscnt 0x1
	v_fmac_f64_e32 v[120:121], v[92:93], v[102:103]
	ds_load_b128 v[90:93], v2 offset:656
	s_wait_loadcnt 0x2
	v_fmac_f64_e32 v[120:121], v[94:95], v[104:105]
	s_wait_dscnt 0x1
	s_delay_alu instid0(VALU_DEP_1) | instskip(SKIP_1) | instid1(VALU_DEP_1)
	v_fmac_f64_e32 v[120:121], v[96:97], v[106:107]
	s_wait_loadcnt 0x1
	v_fmac_f64_e32 v[120:121], v[98:99], v[108:109]
	s_wait_dscnt 0x0
	s_delay_alu instid0(VALU_DEP_1) | instskip(SKIP_1) | instid1(VALU_DEP_1)
	v_fmac_f64_e32 v[120:121], v[100:101], v[90:91]
	s_wait_loadcnt 0x0
	v_fmac_f64_e32 v[120:121], v[116:117], v[92:93]
	s_delay_alu instid0(VALU_DEP_1)
	v_add_f64_e64 v[2:3], v[88:89], -v[120:121]
	scratch_store_b64 off, v[2:3], off offset:184
	s_wait_xcnt 0x0
	v_cmpx_lt_u32_e32 22, v0
	s_cbranch_execz .LBB41_217
; %bb.216:
	scratch_load_b64 v[2:3], off, off offset:176
	v_mov_b64_e32 v[88:89], 0
	scratch_store_b64 off, v[88:89], off offset:176
	s_wait_loadcnt 0x0
	ds_store_b64 v1, v[2:3]
.LBB41_217:
	s_wait_xcnt 0x0
	s_or_b32 exec_lo, exec_lo, s0
	s_wait_storecnt_dscnt 0x0
	s_barrier_signal -1
	s_barrier_wait -1
	s_clause 0x5
	scratch_load_b128 v[88:91], off, off offset:176
	scratch_load_b128 v[92:95], off, off offset:192
	;; [unrolled: 1-line block ×6, first 2 shown]
	v_mov_b32_e32 v2, 0
	ds_load_2addr_b64 v[112:115], v2 offset0:65 offset1:66
	ds_load_2addr_b64 v[116:119], v2 offset0:67 offset1:68
	s_mov_b32 s0, exec_lo
	s_wait_loadcnt_dscnt 0x501
	v_fma_f64 v[120:121], v[90:91], v[112:113], 0
	s_wait_loadcnt 0x4
	s_delay_alu instid0(VALU_DEP_1) | instskip(SKIP_4) | instid1(VALU_DEP_1)
	v_fmac_f64_e32 v[120:121], v[92:93], v[114:115]
	scratch_load_b128 v[90:93], off, off offset:272
	s_wait_dscnt 0x0
	v_fmac_f64_e32 v[120:121], v[94:95], v[116:117]
	s_wait_loadcnt 0x4
	v_fmac_f64_e32 v[120:121], v[96:97], v[118:119]
	scratch_load_b128 v[94:97], off, off offset:288
	ds_load_2addr_b64 v[112:115], v2 offset0:69 offset1:70
	ds_load_2addr_b64 v[116:119], v2 offset0:71 offset1:72
	s_wait_dscnt 0x1
	v_fmac_f64_e32 v[120:121], v[98:99], v[112:113]
	s_wait_loadcnt 0x4
	s_delay_alu instid0(VALU_DEP_1) | instskip(SKIP_4) | instid1(VALU_DEP_1)
	v_fmac_f64_e32 v[120:121], v[100:101], v[114:115]
	scratch_load_b128 v[98:101], off, off offset:304
	s_wait_dscnt 0x0
	v_fmac_f64_e32 v[120:121], v[102:103], v[116:117]
	s_wait_loadcnt 0x4
	v_fmac_f64_e32 v[120:121], v[104:105], v[118:119]
	scratch_load_b128 v[102:105], off, off offset:320
	ds_load_2addr_b64 v[112:115], v2 offset0:73 offset1:74
	ds_load_2addr_b64 v[116:119], v2 offset0:75 offset1:76
	s_wait_dscnt 0x1
	v_fmac_f64_e32 v[120:121], v[106:107], v[112:113]
	s_wait_loadcnt 0x4
	s_delay_alu instid0(VALU_DEP_1) | instskip(SKIP_1) | instid1(VALU_DEP_1)
	v_fmac_f64_e32 v[120:121], v[108:109], v[114:115]
	s_wait_dscnt 0x0
	v_fmac_f64_e32 v[120:121], v[110:111], v[116:117]
	ds_load_2addr_b64 v[106:109], v2 offset0:77 offset1:78
	ds_load_2addr_b64 v[110:113], v2 offset0:79 offset1:80
	s_wait_loadcnt 0x3
	v_fmac_f64_e32 v[120:121], v[90:91], v[118:119]
	s_wait_dscnt 0x1
	s_delay_alu instid0(VALU_DEP_1) | instskip(SKIP_1) | instid1(VALU_DEP_1)
	v_fmac_f64_e32 v[120:121], v[92:93], v[106:107]
	s_wait_loadcnt 0x2
	v_fmac_f64_e32 v[120:121], v[94:95], v[108:109]
	ds_load_2addr_b64 v[90:93], v2 offset0:81 offset1:82
	ds_load_b64 v[94:95], v2 offset:664
	s_wait_dscnt 0x2
	v_fmac_f64_e32 v[120:121], v[96:97], v[110:111]
	s_wait_loadcnt 0x1
	s_delay_alu instid0(VALU_DEP_1) | instskip(SKIP_1) | instid1(VALU_DEP_1)
	v_fmac_f64_e32 v[120:121], v[98:99], v[112:113]
	s_wait_dscnt 0x1
	v_fmac_f64_e32 v[120:121], v[100:101], v[90:91]
	s_wait_loadcnt 0x0
	s_delay_alu instid0(VALU_DEP_1) | instskip(SKIP_1) | instid1(VALU_DEP_1)
	v_fmac_f64_e32 v[120:121], v[102:103], v[92:93]
	s_wait_dscnt 0x0
	v_fmac_f64_e32 v[120:121], v[104:105], v[94:95]
	s_delay_alu instid0(VALU_DEP_1)
	v_add_f64_e64 v[88:89], v[88:89], -v[120:121]
	scratch_store_b64 off, v[88:89], off offset:176
	s_wait_xcnt 0x0
	v_cmpx_lt_u32_e32 21, v0
	s_cbranch_execz .LBB41_219
; %bb.218:
	scratch_load_b64 v[88:89], off, off offset:168
	v_mov_b64_e32 v[90:91], 0
	scratch_store_b64 off, v[90:91], off offset:168
	s_wait_loadcnt 0x0
	ds_store_b64 v1, v[88:89]
.LBB41_219:
	s_wait_xcnt 0x0
	s_or_b32 exec_lo, exec_lo, s0
	s_wait_storecnt_dscnt 0x0
	s_barrier_signal -1
	s_barrier_wait -1
	s_clause 0x5
	scratch_load_b128 v[88:91], off, off offset:168
	scratch_load_b128 v[92:95], off, off offset:184
	;; [unrolled: 1-line block ×6, first 2 shown]
	ds_load_b128 v[112:115], v2 offset:512
	ds_load_b128 v[116:119], v2 offset:528
	s_mov_b32 s0, exec_lo
	s_wait_loadcnt_dscnt 0x501
	v_fma_f64 v[120:121], v[90:91], v[112:113], 0
	s_wait_loadcnt 0x4
	s_delay_alu instid0(VALU_DEP_1) | instskip(SKIP_4) | instid1(VALU_DEP_1)
	v_fmac_f64_e32 v[120:121], v[92:93], v[114:115]
	scratch_load_b128 v[90:93], off, off offset:264
	s_wait_dscnt 0x0
	v_fmac_f64_e32 v[120:121], v[94:95], v[116:117]
	s_wait_loadcnt 0x4
	v_fmac_f64_e32 v[120:121], v[96:97], v[118:119]
	scratch_load_b128 v[94:97], off, off offset:280
	ds_load_b128 v[112:115], v2 offset:544
	ds_load_b128 v[116:119], v2 offset:560
	s_wait_dscnt 0x1
	v_fmac_f64_e32 v[120:121], v[98:99], v[112:113]
	s_wait_loadcnt 0x4
	s_delay_alu instid0(VALU_DEP_1) | instskip(SKIP_4) | instid1(VALU_DEP_1)
	v_fmac_f64_e32 v[120:121], v[100:101], v[114:115]
	scratch_load_b128 v[98:101], off, off offset:296
	s_wait_dscnt 0x0
	v_fmac_f64_e32 v[120:121], v[102:103], v[116:117]
	s_wait_loadcnt 0x4
	v_fmac_f64_e32 v[120:121], v[104:105], v[118:119]
	scratch_load_b128 v[102:105], off, off offset:312
	ds_load_b128 v[112:115], v2 offset:576
	ds_load_b128 v[116:119], v2 offset:592
	s_wait_dscnt 0x1
	v_fmac_f64_e32 v[120:121], v[106:107], v[112:113]
	s_wait_loadcnt 0x4
	s_delay_alu instid0(VALU_DEP_1)
	v_fmac_f64_e32 v[120:121], v[108:109], v[114:115]
	scratch_load_b64 v[114:115], off, off offset:328
	s_wait_dscnt 0x0
	v_fmac_f64_e32 v[120:121], v[110:111], v[116:117]
	ds_load_b128 v[106:109], v2 offset:608
	ds_load_b128 v[110:113], v2 offset:624
	s_wait_loadcnt 0x4
	v_fmac_f64_e32 v[120:121], v[90:91], v[118:119]
	s_wait_dscnt 0x1
	s_delay_alu instid0(VALU_DEP_1) | instskip(SKIP_1) | instid1(VALU_DEP_1)
	v_fmac_f64_e32 v[120:121], v[92:93], v[106:107]
	s_wait_loadcnt 0x3
	v_fmac_f64_e32 v[120:121], v[94:95], v[108:109]
	s_wait_dscnt 0x0
	s_delay_alu instid0(VALU_DEP_1)
	v_fmac_f64_e32 v[120:121], v[96:97], v[110:111]
	ds_load_b128 v[90:93], v2 offset:640
	ds_load_b128 v[94:97], v2 offset:656
	s_wait_loadcnt 0x2
	v_fmac_f64_e32 v[120:121], v[98:99], v[112:113]
	s_wait_dscnt 0x1
	s_delay_alu instid0(VALU_DEP_1) | instskip(SKIP_1) | instid1(VALU_DEP_1)
	v_fmac_f64_e32 v[120:121], v[100:101], v[90:91]
	s_wait_loadcnt 0x1
	v_fmac_f64_e32 v[120:121], v[102:103], v[92:93]
	s_wait_dscnt 0x0
	s_delay_alu instid0(VALU_DEP_1) | instskip(SKIP_1) | instid1(VALU_DEP_1)
	v_fmac_f64_e32 v[120:121], v[104:105], v[94:95]
	s_wait_loadcnt 0x0
	v_fmac_f64_e32 v[120:121], v[114:115], v[96:97]
	s_delay_alu instid0(VALU_DEP_1)
	v_add_f64_e64 v[2:3], v[88:89], -v[120:121]
	scratch_store_b64 off, v[2:3], off offset:168
	s_wait_xcnt 0x0
	v_cmpx_lt_u32_e32 20, v0
	s_cbranch_execz .LBB41_221
; %bb.220:
	scratch_load_b64 v[2:3], off, off offset:160
	v_mov_b64_e32 v[88:89], 0
	scratch_store_b64 off, v[88:89], off offset:160
	s_wait_loadcnt 0x0
	ds_store_b64 v1, v[2:3]
.LBB41_221:
	s_wait_xcnt 0x0
	s_or_b32 exec_lo, exec_lo, s0
	s_wait_storecnt_dscnt 0x0
	s_barrier_signal -1
	s_barrier_wait -1
	s_clause 0x5
	scratch_load_b128 v[88:91], off, off offset:160
	scratch_load_b128 v[92:95], off, off offset:176
	;; [unrolled: 1-line block ×6, first 2 shown]
	v_mov_b32_e32 v2, 0
	ds_load_2addr_b64 v[112:115], v2 offset0:63 offset1:64
	ds_load_2addr_b64 v[116:119], v2 offset0:65 offset1:66
	s_mov_b32 s0, exec_lo
	s_wait_loadcnt_dscnt 0x501
	v_fma_f64 v[120:121], v[90:91], v[112:113], 0
	s_wait_loadcnt 0x4
	s_delay_alu instid0(VALU_DEP_1) | instskip(SKIP_4) | instid1(VALU_DEP_1)
	v_fmac_f64_e32 v[120:121], v[92:93], v[114:115]
	scratch_load_b128 v[90:93], off, off offset:256
	s_wait_dscnt 0x0
	v_fmac_f64_e32 v[120:121], v[94:95], v[116:117]
	s_wait_loadcnt 0x4
	v_fmac_f64_e32 v[120:121], v[96:97], v[118:119]
	scratch_load_b128 v[94:97], off, off offset:272
	ds_load_2addr_b64 v[112:115], v2 offset0:67 offset1:68
	ds_load_2addr_b64 v[116:119], v2 offset0:69 offset1:70
	s_wait_dscnt 0x1
	v_fmac_f64_e32 v[120:121], v[98:99], v[112:113]
	s_wait_loadcnt 0x4
	s_delay_alu instid0(VALU_DEP_1) | instskip(SKIP_4) | instid1(VALU_DEP_1)
	v_fmac_f64_e32 v[120:121], v[100:101], v[114:115]
	scratch_load_b128 v[98:101], off, off offset:288
	s_wait_dscnt 0x0
	v_fmac_f64_e32 v[120:121], v[102:103], v[116:117]
	s_wait_loadcnt 0x4
	v_fmac_f64_e32 v[120:121], v[104:105], v[118:119]
	scratch_load_b128 v[102:105], off, off offset:304
	ds_load_2addr_b64 v[112:115], v2 offset0:71 offset1:72
	ds_load_2addr_b64 v[116:119], v2 offset0:73 offset1:74
	s_wait_dscnt 0x1
	v_fmac_f64_e32 v[120:121], v[106:107], v[112:113]
	s_wait_loadcnt 0x4
	s_delay_alu instid0(VALU_DEP_1)
	v_fmac_f64_e32 v[120:121], v[108:109], v[114:115]
	scratch_load_b128 v[106:109], off, off offset:320
	s_wait_dscnt 0x0
	v_fmac_f64_e32 v[120:121], v[110:111], v[116:117]
	ds_load_2addr_b64 v[110:113], v2 offset0:75 offset1:76
	ds_load_2addr_b64 v[114:117], v2 offset0:77 offset1:78
	s_wait_loadcnt 0x4
	v_fmac_f64_e32 v[120:121], v[90:91], v[118:119]
	s_wait_dscnt 0x1
	s_delay_alu instid0(VALU_DEP_1) | instskip(SKIP_1) | instid1(VALU_DEP_1)
	v_fmac_f64_e32 v[120:121], v[92:93], v[110:111]
	s_wait_loadcnt 0x3
	v_fmac_f64_e32 v[120:121], v[94:95], v[112:113]
	s_wait_dscnt 0x0
	s_delay_alu instid0(VALU_DEP_1)
	v_fmac_f64_e32 v[120:121], v[96:97], v[114:115]
	ds_load_2addr_b64 v[90:93], v2 offset0:79 offset1:80
	ds_load_2addr_b64 v[94:97], v2 offset0:81 offset1:82
	s_wait_loadcnt 0x2
	v_fmac_f64_e32 v[120:121], v[98:99], v[116:117]
	s_wait_dscnt 0x1
	s_delay_alu instid0(VALU_DEP_1) | instskip(SKIP_4) | instid1(VALU_DEP_1)
	v_fmac_f64_e32 v[120:121], v[100:101], v[90:91]
	ds_load_b64 v[90:91], v2 offset:664
	s_wait_loadcnt 0x1
	v_fmac_f64_e32 v[120:121], v[102:103], v[92:93]
	s_wait_dscnt 0x1
	v_fmac_f64_e32 v[120:121], v[104:105], v[94:95]
	s_wait_loadcnt 0x0
	s_delay_alu instid0(VALU_DEP_1) | instskip(SKIP_1) | instid1(VALU_DEP_1)
	v_fmac_f64_e32 v[120:121], v[106:107], v[96:97]
	s_wait_dscnt 0x0
	v_fmac_f64_e32 v[120:121], v[108:109], v[90:91]
	s_delay_alu instid0(VALU_DEP_1)
	v_add_f64_e64 v[88:89], v[88:89], -v[120:121]
	scratch_store_b64 off, v[88:89], off offset:160
	s_wait_xcnt 0x0
	v_cmpx_lt_u32_e32 19, v0
	s_cbranch_execz .LBB41_223
; %bb.222:
	scratch_load_b64 v[88:89], off, off offset:152
	v_mov_b64_e32 v[90:91], 0
	scratch_store_b64 off, v[90:91], off offset:152
	s_wait_loadcnt 0x0
	ds_store_b64 v1, v[88:89]
.LBB41_223:
	s_wait_xcnt 0x0
	s_or_b32 exec_lo, exec_lo, s0
	s_wait_storecnt_dscnt 0x0
	s_barrier_signal -1
	s_barrier_wait -1
	s_clause 0x5
	scratch_load_b128 v[88:91], off, off offset:152
	scratch_load_b128 v[92:95], off, off offset:168
	;; [unrolled: 1-line block ×6, first 2 shown]
	ds_load_b128 v[112:115], v2 offset:496
	ds_load_b128 v[116:119], v2 offset:512
	scratch_load_b128 v[120:123], off, off offset:248
	s_mov_b32 s0, exec_lo
	s_wait_loadcnt_dscnt 0x601
	v_fma_f64 v[124:125], v[90:91], v[112:113], 0
	s_wait_loadcnt 0x5
	s_delay_alu instid0(VALU_DEP_1) | instskip(SKIP_4) | instid1(VALU_DEP_1)
	v_fmac_f64_e32 v[124:125], v[92:93], v[114:115]
	scratch_load_b128 v[90:93], off, off offset:264
	s_wait_dscnt 0x0
	v_fmac_f64_e32 v[124:125], v[94:95], v[116:117]
	s_wait_loadcnt 0x5
	v_fmac_f64_e32 v[124:125], v[96:97], v[118:119]
	ds_load_b128 v[94:97], v2 offset:528
	ds_load_b128 v[112:115], v2 offset:544
	s_wait_dscnt 0x1
	v_fmac_f64_e32 v[124:125], v[98:99], v[94:95]
	s_wait_loadcnt 0x4
	s_delay_alu instid0(VALU_DEP_1)
	v_fmac_f64_e32 v[124:125], v[100:101], v[96:97]
	s_clause 0x1
	scratch_load_b128 v[94:97], off, off offset:280
	scratch_load_b128 v[98:101], off, off offset:296
	s_wait_dscnt 0x0
	v_fmac_f64_e32 v[124:125], v[102:103], v[112:113]
	s_wait_loadcnt 0x5
	s_delay_alu instid0(VALU_DEP_1)
	v_fmac_f64_e32 v[124:125], v[104:105], v[114:115]
	ds_load_b128 v[102:105], v2 offset:560
	ds_load_b128 v[112:115], v2 offset:576
	s_wait_dscnt 0x1
	v_fmac_f64_e32 v[124:125], v[106:107], v[102:103]
	s_wait_loadcnt 0x4
	s_delay_alu instid0(VALU_DEP_1) | instskip(SKIP_4) | instid1(VALU_DEP_1)
	v_fmac_f64_e32 v[124:125], v[108:109], v[104:105]
	scratch_load_b128 v[102:105], off, off offset:312
	s_wait_dscnt 0x0
	v_fmac_f64_e32 v[124:125], v[110:111], v[112:113]
	s_wait_loadcnt 0x4
	v_fmac_f64_e32 v[124:125], v[120:121], v[114:115]
	scratch_load_b64 v[114:115], off, off offset:328
	ds_load_b128 v[106:109], v2 offset:592
	ds_load_b128 v[110:113], v2 offset:608
	s_wait_dscnt 0x1
	v_fmac_f64_e32 v[124:125], v[122:123], v[106:107]
	s_wait_loadcnt 0x4
	s_delay_alu instid0(VALU_DEP_1) | instskip(SKIP_1) | instid1(VALU_DEP_1)
	v_fmac_f64_e32 v[124:125], v[90:91], v[108:109]
	s_wait_dscnt 0x0
	v_fmac_f64_e32 v[124:125], v[92:93], v[110:111]
	ds_load_b128 v[90:93], v2 offset:624
	ds_load_b128 v[106:109], v2 offset:640
	s_wait_loadcnt 0x3
	v_fmac_f64_e32 v[124:125], v[94:95], v[112:113]
	s_wait_dscnt 0x1
	s_delay_alu instid0(VALU_DEP_1) | instskip(SKIP_1) | instid1(VALU_DEP_1)
	v_fmac_f64_e32 v[124:125], v[96:97], v[90:91]
	s_wait_loadcnt 0x2
	v_fmac_f64_e32 v[124:125], v[98:99], v[92:93]
	ds_load_b128 v[90:93], v2 offset:656
	s_wait_dscnt 0x1
	v_fmac_f64_e32 v[124:125], v[100:101], v[106:107]
	s_wait_loadcnt 0x1
	s_delay_alu instid0(VALU_DEP_1) | instskip(SKIP_1) | instid1(VALU_DEP_1)
	v_fmac_f64_e32 v[124:125], v[102:103], v[108:109]
	s_wait_dscnt 0x0
	v_fmac_f64_e32 v[124:125], v[104:105], v[90:91]
	s_wait_loadcnt 0x0
	s_delay_alu instid0(VALU_DEP_1) | instskip(NEXT) | instid1(VALU_DEP_1)
	v_fmac_f64_e32 v[124:125], v[114:115], v[92:93]
	v_add_f64_e64 v[2:3], v[88:89], -v[124:125]
	scratch_store_b64 off, v[2:3], off offset:152
	s_wait_xcnt 0x0
	v_cmpx_lt_u32_e32 18, v0
	s_cbranch_execz .LBB41_225
; %bb.224:
	scratch_load_b64 v[2:3], off, off offset:144
	v_mov_b64_e32 v[88:89], 0
	scratch_store_b64 off, v[88:89], off offset:144
	s_wait_loadcnt 0x0
	ds_store_b64 v1, v[2:3]
.LBB41_225:
	s_wait_xcnt 0x0
	s_or_b32 exec_lo, exec_lo, s0
	s_wait_storecnt_dscnt 0x0
	s_barrier_signal -1
	s_barrier_wait -1
	s_clause 0x5
	scratch_load_b128 v[88:91], off, off offset:144
	scratch_load_b128 v[92:95], off, off offset:160
	scratch_load_b128 v[96:99], off, off offset:176
	scratch_load_b128 v[100:103], off, off offset:192
	scratch_load_b128 v[104:107], off, off offset:208
	scratch_load_b128 v[108:111], off, off offset:224
	v_mov_b32_e32 v2, 0
	ds_load_2addr_b64 v[112:115], v2 offset0:61 offset1:62
	ds_load_2addr_b64 v[116:119], v2 offset0:63 offset1:64
	scratch_load_b128 v[120:123], off, off offset:240
	s_mov_b32 s0, exec_lo
	s_wait_loadcnt_dscnt 0x601
	v_fma_f64 v[124:125], v[90:91], v[112:113], 0
	s_wait_loadcnt 0x5
	s_delay_alu instid0(VALU_DEP_1) | instskip(SKIP_4) | instid1(VALU_DEP_1)
	v_fmac_f64_e32 v[124:125], v[92:93], v[114:115]
	scratch_load_b128 v[90:93], off, off offset:256
	s_wait_dscnt 0x0
	v_fmac_f64_e32 v[124:125], v[94:95], v[116:117]
	s_wait_loadcnt 0x5
	v_fmac_f64_e32 v[124:125], v[96:97], v[118:119]
	ds_load_2addr_b64 v[94:97], v2 offset0:65 offset1:66
	ds_load_2addr_b64 v[112:115], v2 offset0:67 offset1:68
	s_wait_dscnt 0x1
	v_fmac_f64_e32 v[124:125], v[98:99], v[94:95]
	s_wait_loadcnt 0x4
	s_delay_alu instid0(VALU_DEP_1)
	v_fmac_f64_e32 v[124:125], v[100:101], v[96:97]
	s_clause 0x1
	scratch_load_b128 v[94:97], off, off offset:272
	scratch_load_b128 v[98:101], off, off offset:288
	s_wait_dscnt 0x0
	v_fmac_f64_e32 v[124:125], v[102:103], v[112:113]
	s_wait_loadcnt 0x5
	s_delay_alu instid0(VALU_DEP_1)
	v_fmac_f64_e32 v[124:125], v[104:105], v[114:115]
	ds_load_2addr_b64 v[102:105], v2 offset0:69 offset1:70
	ds_load_2addr_b64 v[112:115], v2 offset0:71 offset1:72
	s_wait_dscnt 0x1
	v_fmac_f64_e32 v[124:125], v[106:107], v[102:103]
	s_wait_loadcnt 0x4
	s_delay_alu instid0(VALU_DEP_1)
	v_fmac_f64_e32 v[124:125], v[108:109], v[104:105]
	s_clause 0x1
	scratch_load_b128 v[102:105], off, off offset:304
	scratch_load_b128 v[106:109], off, off offset:320
	s_wait_dscnt 0x0
	v_fmac_f64_e32 v[124:125], v[110:111], v[112:113]
	s_wait_loadcnt 0x5
	s_delay_alu instid0(VALU_DEP_1)
	v_fmac_f64_e32 v[124:125], v[120:121], v[114:115]
	ds_load_2addr_b64 v[110:113], v2 offset0:73 offset1:74
	ds_load_2addr_b64 v[114:117], v2 offset0:75 offset1:76
	s_wait_dscnt 0x1
	v_fmac_f64_e32 v[124:125], v[122:123], v[110:111]
	s_wait_loadcnt 0x4
	s_delay_alu instid0(VALU_DEP_1) | instskip(SKIP_1) | instid1(VALU_DEP_1)
	v_fmac_f64_e32 v[124:125], v[90:91], v[112:113]
	s_wait_dscnt 0x0
	v_fmac_f64_e32 v[124:125], v[92:93], v[114:115]
	ds_load_2addr_b64 v[90:93], v2 offset0:77 offset1:78
	ds_load_2addr_b64 v[110:113], v2 offset0:79 offset1:80
	s_wait_loadcnt 0x3
	v_fmac_f64_e32 v[124:125], v[94:95], v[116:117]
	s_wait_dscnt 0x1
	s_delay_alu instid0(VALU_DEP_1) | instskip(SKIP_1) | instid1(VALU_DEP_1)
	v_fmac_f64_e32 v[124:125], v[96:97], v[90:91]
	s_wait_loadcnt 0x2
	v_fmac_f64_e32 v[124:125], v[98:99], v[92:93]
	ds_load_2addr_b64 v[90:93], v2 offset0:81 offset1:82
	ds_load_b64 v[94:95], v2 offset:664
	s_wait_dscnt 0x2
	v_fmac_f64_e32 v[124:125], v[100:101], v[110:111]
	s_wait_loadcnt 0x1
	s_delay_alu instid0(VALU_DEP_1) | instskip(SKIP_1) | instid1(VALU_DEP_1)
	v_fmac_f64_e32 v[124:125], v[102:103], v[112:113]
	s_wait_dscnt 0x1
	v_fmac_f64_e32 v[124:125], v[104:105], v[90:91]
	s_wait_loadcnt 0x0
	s_delay_alu instid0(VALU_DEP_1) | instskip(SKIP_1) | instid1(VALU_DEP_1)
	v_fmac_f64_e32 v[124:125], v[106:107], v[92:93]
	s_wait_dscnt 0x0
	v_fmac_f64_e32 v[124:125], v[108:109], v[94:95]
	s_delay_alu instid0(VALU_DEP_1)
	v_add_f64_e64 v[88:89], v[88:89], -v[124:125]
	scratch_store_b64 off, v[88:89], off offset:144
	s_wait_xcnt 0x0
	v_cmpx_lt_u32_e32 17, v0
	s_cbranch_execz .LBB41_227
; %bb.226:
	scratch_load_b64 v[88:89], off, off offset:136
	v_mov_b64_e32 v[90:91], 0
	scratch_store_b64 off, v[90:91], off offset:136
	s_wait_loadcnt 0x0
	ds_store_b64 v1, v[88:89]
.LBB41_227:
	s_wait_xcnt 0x0
	s_or_b32 exec_lo, exec_lo, s0
	s_wait_storecnt_dscnt 0x0
	s_barrier_signal -1
	s_barrier_wait -1
	s_clause 0x5
	scratch_load_b128 v[88:91], off, off offset:136
	scratch_load_b128 v[92:95], off, off offset:152
	;; [unrolled: 1-line block ×6, first 2 shown]
	ds_load_b128 v[112:115], v2 offset:480
	ds_load_b128 v[116:119], v2 offset:496
	scratch_load_b128 v[120:123], off, off offset:232
	s_mov_b32 s0, exec_lo
	s_wait_loadcnt_dscnt 0x601
	v_fma_f64 v[124:125], v[90:91], v[112:113], 0
	s_wait_loadcnt 0x5
	s_delay_alu instid0(VALU_DEP_1) | instskip(SKIP_4) | instid1(VALU_DEP_1)
	v_fmac_f64_e32 v[124:125], v[92:93], v[114:115]
	scratch_load_b128 v[90:93], off, off offset:248
	s_wait_dscnt 0x0
	v_fmac_f64_e32 v[124:125], v[94:95], v[116:117]
	s_wait_loadcnt 0x5
	v_fmac_f64_e32 v[124:125], v[96:97], v[118:119]
	ds_load_b128 v[94:97], v2 offset:512
	ds_load_b128 v[112:115], v2 offset:528
	s_wait_dscnt 0x1
	v_fmac_f64_e32 v[124:125], v[98:99], v[94:95]
	s_wait_loadcnt 0x4
	s_delay_alu instid0(VALU_DEP_1)
	v_fmac_f64_e32 v[124:125], v[100:101], v[96:97]
	s_clause 0x1
	scratch_load_b128 v[94:97], off, off offset:264
	scratch_load_b128 v[98:101], off, off offset:280
	s_wait_dscnt 0x0
	v_fmac_f64_e32 v[124:125], v[102:103], v[112:113]
	s_wait_loadcnt 0x5
	s_delay_alu instid0(VALU_DEP_1)
	v_fmac_f64_e32 v[124:125], v[104:105], v[114:115]
	ds_load_b128 v[102:105], v2 offset:544
	ds_load_b128 v[112:115], v2 offset:560
	s_wait_dscnt 0x1
	v_fmac_f64_e32 v[124:125], v[106:107], v[102:103]
	s_wait_loadcnt 0x4
	s_delay_alu instid0(VALU_DEP_1)
	v_fmac_f64_e32 v[124:125], v[108:109], v[104:105]
	s_clause 0x1
	scratch_load_b128 v[102:105], off, off offset:296
	scratch_load_b128 v[106:109], off, off offset:312
	s_wait_dscnt 0x0
	v_fmac_f64_e32 v[124:125], v[110:111], v[112:113]
	s_wait_loadcnt 0x5
	s_delay_alu instid0(VALU_DEP_1)
	v_fmac_f64_e32 v[124:125], v[120:121], v[114:115]
	ds_load_b128 v[110:113], v2 offset:576
	ds_load_b128 v[114:117], v2 offset:592
	scratch_load_b64 v[118:119], off, off offset:328
	s_wait_dscnt 0x1
	v_fmac_f64_e32 v[124:125], v[122:123], v[110:111]
	s_wait_loadcnt 0x5
	s_delay_alu instid0(VALU_DEP_1) | instskip(SKIP_1) | instid1(VALU_DEP_1)
	v_fmac_f64_e32 v[124:125], v[90:91], v[112:113]
	s_wait_dscnt 0x0
	v_fmac_f64_e32 v[124:125], v[92:93], v[114:115]
	ds_load_b128 v[90:93], v2 offset:608
	ds_load_b128 v[110:113], v2 offset:624
	s_wait_loadcnt 0x4
	v_fmac_f64_e32 v[124:125], v[94:95], v[116:117]
	s_wait_dscnt 0x1
	s_delay_alu instid0(VALU_DEP_1) | instskip(SKIP_1) | instid1(VALU_DEP_1)
	v_fmac_f64_e32 v[124:125], v[96:97], v[90:91]
	s_wait_loadcnt 0x3
	v_fmac_f64_e32 v[124:125], v[98:99], v[92:93]
	ds_load_b128 v[90:93], v2 offset:640
	ds_load_b128 v[94:97], v2 offset:656
	s_wait_dscnt 0x2
	v_fmac_f64_e32 v[124:125], v[100:101], v[110:111]
	s_wait_loadcnt 0x2
	s_delay_alu instid0(VALU_DEP_1) | instskip(SKIP_1) | instid1(VALU_DEP_1)
	v_fmac_f64_e32 v[124:125], v[102:103], v[112:113]
	s_wait_dscnt 0x1
	v_fmac_f64_e32 v[124:125], v[104:105], v[90:91]
	s_wait_loadcnt 0x1
	s_delay_alu instid0(VALU_DEP_1) | instskip(SKIP_1) | instid1(VALU_DEP_1)
	v_fmac_f64_e32 v[124:125], v[106:107], v[92:93]
	s_wait_dscnt 0x0
	v_fmac_f64_e32 v[124:125], v[108:109], v[94:95]
	s_wait_loadcnt 0x0
	s_delay_alu instid0(VALU_DEP_1) | instskip(NEXT) | instid1(VALU_DEP_1)
	v_fmac_f64_e32 v[124:125], v[118:119], v[96:97]
	v_add_f64_e64 v[2:3], v[88:89], -v[124:125]
	scratch_store_b64 off, v[2:3], off offset:136
	s_wait_xcnt 0x0
	v_cmpx_lt_u32_e32 16, v0
	s_cbranch_execz .LBB41_229
; %bb.228:
	scratch_load_b64 v[2:3], off, off offset:128
	v_mov_b64_e32 v[88:89], 0
	scratch_store_b64 off, v[88:89], off offset:128
	s_wait_loadcnt 0x0
	ds_store_b64 v1, v[2:3]
.LBB41_229:
	s_wait_xcnt 0x0
	s_or_b32 exec_lo, exec_lo, s0
	s_wait_storecnt_dscnt 0x0
	s_barrier_signal -1
	s_barrier_wait -1
	s_clause 0x5
	scratch_load_b128 v[88:91], off, off offset:128
	scratch_load_b128 v[92:95], off, off offset:144
	;; [unrolled: 1-line block ×6, first 2 shown]
	v_mov_b32_e32 v2, 0
	ds_load_2addr_b64 v[112:115], v2 offset0:59 offset1:60
	ds_load_2addr_b64 v[116:119], v2 offset0:61 offset1:62
	scratch_load_b128 v[120:123], off, off offset:224
	s_mov_b32 s0, exec_lo
	s_wait_loadcnt_dscnt 0x601
	v_fma_f64 v[124:125], v[90:91], v[112:113], 0
	s_wait_loadcnt 0x5
	s_delay_alu instid0(VALU_DEP_1) | instskip(SKIP_4) | instid1(VALU_DEP_1)
	v_fmac_f64_e32 v[124:125], v[92:93], v[114:115]
	scratch_load_b128 v[90:93], off, off offset:240
	s_wait_dscnt 0x0
	v_fmac_f64_e32 v[124:125], v[94:95], v[116:117]
	s_wait_loadcnt 0x5
	v_fmac_f64_e32 v[124:125], v[96:97], v[118:119]
	ds_load_2addr_b64 v[94:97], v2 offset0:63 offset1:64
	ds_load_2addr_b64 v[112:115], v2 offset0:65 offset1:66
	s_wait_dscnt 0x1
	v_fmac_f64_e32 v[124:125], v[98:99], v[94:95]
	s_wait_loadcnt 0x4
	s_delay_alu instid0(VALU_DEP_1)
	v_fmac_f64_e32 v[124:125], v[100:101], v[96:97]
	s_clause 0x1
	scratch_load_b128 v[94:97], off, off offset:256
	scratch_load_b128 v[98:101], off, off offset:272
	s_wait_dscnt 0x0
	v_fmac_f64_e32 v[124:125], v[102:103], v[112:113]
	s_wait_loadcnt 0x5
	s_delay_alu instid0(VALU_DEP_1)
	v_fmac_f64_e32 v[124:125], v[104:105], v[114:115]
	ds_load_2addr_b64 v[102:105], v2 offset0:67 offset1:68
	ds_load_2addr_b64 v[112:115], v2 offset0:69 offset1:70
	s_wait_dscnt 0x1
	v_fmac_f64_e32 v[124:125], v[106:107], v[102:103]
	s_wait_loadcnt 0x4
	s_delay_alu instid0(VALU_DEP_1)
	v_fmac_f64_e32 v[124:125], v[108:109], v[104:105]
	s_clause 0x1
	scratch_load_b128 v[102:105], off, off offset:288
	scratch_load_b128 v[106:109], off, off offset:304
	s_wait_dscnt 0x0
	v_fmac_f64_e32 v[124:125], v[110:111], v[112:113]
	s_wait_loadcnt 0x5
	s_delay_alu instid0(VALU_DEP_1)
	v_fmac_f64_e32 v[124:125], v[120:121], v[114:115]
	ds_load_2addr_b64 v[110:113], v2 offset0:71 offset1:72
	ds_load_2addr_b64 v[114:117], v2 offset0:73 offset1:74
	s_wait_dscnt 0x1
	v_fmac_f64_e32 v[124:125], v[122:123], v[110:111]
	s_wait_loadcnt 0x4
	s_delay_alu instid0(VALU_DEP_1) | instskip(SKIP_4) | instid1(VALU_DEP_1)
	v_fmac_f64_e32 v[124:125], v[90:91], v[112:113]
	scratch_load_b128 v[110:113], off, off offset:320
	s_wait_dscnt 0x0
	v_fmac_f64_e32 v[124:125], v[92:93], v[114:115]
	s_wait_loadcnt 0x4
	v_fmac_f64_e32 v[124:125], v[94:95], v[116:117]
	ds_load_2addr_b64 v[90:93], v2 offset0:75 offset1:76
	ds_load_2addr_b64 v[114:117], v2 offset0:77 offset1:78
	s_wait_dscnt 0x1
	v_fmac_f64_e32 v[124:125], v[96:97], v[90:91]
	s_wait_loadcnt 0x3
	s_delay_alu instid0(VALU_DEP_1)
	v_fmac_f64_e32 v[124:125], v[98:99], v[92:93]
	ds_load_2addr_b64 v[90:93], v2 offset0:79 offset1:80
	ds_load_2addr_b64 v[94:97], v2 offset0:81 offset1:82
	s_wait_dscnt 0x2
	v_fmac_f64_e32 v[124:125], v[100:101], v[114:115]
	s_wait_loadcnt 0x2
	s_delay_alu instid0(VALU_DEP_1) | instskip(SKIP_1) | instid1(VALU_DEP_1)
	v_fmac_f64_e32 v[124:125], v[102:103], v[116:117]
	s_wait_dscnt 0x1
	v_fmac_f64_e32 v[124:125], v[104:105], v[90:91]
	ds_load_b64 v[90:91], v2 offset:664
	s_wait_loadcnt 0x1
	v_fmac_f64_e32 v[124:125], v[106:107], v[92:93]
	s_wait_dscnt 0x1
	s_delay_alu instid0(VALU_DEP_1) | instskip(SKIP_1) | instid1(VALU_DEP_1)
	v_fmac_f64_e32 v[124:125], v[108:109], v[94:95]
	s_wait_loadcnt 0x0
	v_fmac_f64_e32 v[124:125], v[110:111], v[96:97]
	s_wait_dscnt 0x0
	s_delay_alu instid0(VALU_DEP_1) | instskip(NEXT) | instid1(VALU_DEP_1)
	v_fmac_f64_e32 v[124:125], v[112:113], v[90:91]
	v_add_f64_e64 v[88:89], v[88:89], -v[124:125]
	scratch_store_b64 off, v[88:89], off offset:128
	s_wait_xcnt 0x0
	v_cmpx_lt_u32_e32 15, v0
	s_cbranch_execz .LBB41_231
; %bb.230:
	scratch_load_b64 v[88:89], off, off offset:120
	v_mov_b64_e32 v[90:91], 0
	scratch_store_b64 off, v[90:91], off offset:120
	s_wait_loadcnt 0x0
	ds_store_b64 v1, v[88:89]
.LBB41_231:
	s_wait_xcnt 0x0
	s_or_b32 exec_lo, exec_lo, s0
	s_wait_storecnt_dscnt 0x0
	s_barrier_signal -1
	s_barrier_wait -1
	s_clause 0x5
	scratch_load_b128 v[88:91], off, off offset:120
	scratch_load_b128 v[92:95], off, off offset:136
	;; [unrolled: 1-line block ×6, first 2 shown]
	ds_load_b128 v[112:115], v2 offset:464
	ds_load_b128 v[116:119], v2 offset:480
	scratch_load_b128 v[120:123], off, off offset:216
	s_mov_b32 s0, exec_lo
	s_wait_loadcnt_dscnt 0x601
	v_fma_f64 v[124:125], v[90:91], v[112:113], 0
	s_wait_loadcnt 0x5
	s_delay_alu instid0(VALU_DEP_1) | instskip(SKIP_4) | instid1(VALU_DEP_1)
	v_fmac_f64_e32 v[124:125], v[92:93], v[114:115]
	scratch_load_b128 v[90:93], off, off offset:232
	s_wait_dscnt 0x0
	v_fmac_f64_e32 v[124:125], v[94:95], v[116:117]
	s_wait_loadcnt 0x5
	v_fmac_f64_e32 v[124:125], v[96:97], v[118:119]
	ds_load_b128 v[94:97], v2 offset:496
	ds_load_b128 v[112:115], v2 offset:512
	scratch_load_b128 v[116:119], off, off offset:248
	s_wait_dscnt 0x1
	v_fmac_f64_e32 v[124:125], v[98:99], v[94:95]
	s_wait_loadcnt 0x5
	s_delay_alu instid0(VALU_DEP_1) | instskip(SKIP_4) | instid1(VALU_DEP_1)
	v_fmac_f64_e32 v[124:125], v[100:101], v[96:97]
	scratch_load_b128 v[94:97], off, off offset:264
	s_wait_dscnt 0x0
	v_fmac_f64_e32 v[124:125], v[102:103], v[112:113]
	s_wait_loadcnt 0x5
	v_fmac_f64_e32 v[124:125], v[104:105], v[114:115]
	ds_load_b128 v[98:101], v2 offset:528
	ds_load_b128 v[102:105], v2 offset:544
	s_wait_dscnt 0x1
	v_fmac_f64_e32 v[124:125], v[106:107], v[98:99]
	s_wait_loadcnt 0x4
	s_delay_alu instid0(VALU_DEP_1) | instskip(SKIP_4) | instid1(VALU_DEP_1)
	v_fmac_f64_e32 v[124:125], v[108:109], v[100:101]
	scratch_load_b128 v[98:101], off, off offset:280
	s_wait_dscnt 0x0
	v_fmac_f64_e32 v[124:125], v[110:111], v[102:103]
	s_wait_loadcnt 0x4
	v_fmac_f64_e32 v[124:125], v[120:121], v[104:105]
	scratch_load_b128 v[102:105], off, off offset:296
	ds_load_b128 v[106:109], v2 offset:560
	ds_load_b128 v[110:113], v2 offset:576
	scratch_load_b64 v[114:115], off, off offset:328
	s_wait_dscnt 0x1
	v_fmac_f64_e32 v[124:125], v[122:123], v[106:107]
	s_wait_loadcnt 0x5
	s_delay_alu instid0(VALU_DEP_1) | instskip(SKIP_4) | instid1(VALU_DEP_1)
	v_fmac_f64_e32 v[124:125], v[90:91], v[108:109]
	scratch_load_b128 v[106:109], off, off offset:312
	s_wait_dscnt 0x0
	v_fmac_f64_e32 v[124:125], v[92:93], v[110:111]
	s_wait_loadcnt 0x5
	v_fmac_f64_e32 v[124:125], v[116:117], v[112:113]
	ds_load_b128 v[90:93], v2 offset:592
	ds_load_b128 v[110:113], v2 offset:608
	s_wait_dscnt 0x1
	v_fmac_f64_e32 v[124:125], v[118:119], v[90:91]
	s_wait_loadcnt 0x4
	s_delay_alu instid0(VALU_DEP_1) | instskip(SKIP_1) | instid1(VALU_DEP_1)
	v_fmac_f64_e32 v[124:125], v[94:95], v[92:93]
	s_wait_dscnt 0x0
	v_fmac_f64_e32 v[124:125], v[96:97], v[110:111]
	ds_load_b128 v[90:93], v2 offset:624
	ds_load_b128 v[94:97], v2 offset:640
	s_wait_loadcnt 0x3
	v_fmac_f64_e32 v[124:125], v[98:99], v[112:113]
	s_wait_dscnt 0x1
	s_delay_alu instid0(VALU_DEP_1) | instskip(SKIP_1) | instid1(VALU_DEP_1)
	v_fmac_f64_e32 v[124:125], v[100:101], v[90:91]
	s_wait_loadcnt 0x2
	v_fmac_f64_e32 v[124:125], v[102:103], v[92:93]
	ds_load_b128 v[90:93], v2 offset:656
	s_wait_dscnt 0x1
	v_fmac_f64_e32 v[124:125], v[104:105], v[94:95]
	s_wait_loadcnt 0x0
	s_delay_alu instid0(VALU_DEP_1) | instskip(SKIP_1) | instid1(VALU_DEP_1)
	v_fmac_f64_e32 v[124:125], v[106:107], v[96:97]
	s_wait_dscnt 0x0
	v_fmac_f64_e32 v[124:125], v[108:109], v[90:91]
	s_delay_alu instid0(VALU_DEP_1) | instskip(NEXT) | instid1(VALU_DEP_1)
	v_fmac_f64_e32 v[124:125], v[114:115], v[92:93]
	v_add_f64_e64 v[2:3], v[88:89], -v[124:125]
	scratch_store_b64 off, v[2:3], off offset:120
	s_wait_xcnt 0x0
	v_cmpx_lt_u32_e32 14, v0
	s_cbranch_execz .LBB41_233
; %bb.232:
	scratch_load_b64 v[2:3], off, off offset:112
	v_mov_b64_e32 v[88:89], 0
	scratch_store_b64 off, v[88:89], off offset:112
	s_wait_loadcnt 0x0
	ds_store_b64 v1, v[2:3]
.LBB41_233:
	s_wait_xcnt 0x0
	s_or_b32 exec_lo, exec_lo, s0
	s_wait_storecnt_dscnt 0x0
	s_barrier_signal -1
	s_barrier_wait -1
	s_clause 0x5
	scratch_load_b128 v[88:91], off, off offset:112
	scratch_load_b128 v[92:95], off, off offset:128
	;; [unrolled: 1-line block ×6, first 2 shown]
	v_mov_b32_e32 v2, 0
	ds_load_2addr_b64 v[112:115], v2 offset0:57 offset1:58
	ds_load_2addr_b64 v[116:119], v2 offset0:59 offset1:60
	scratch_load_b128 v[120:123], off, off offset:208
	s_mov_b32 s0, exec_lo
	s_wait_loadcnt_dscnt 0x601
	v_fma_f64 v[124:125], v[90:91], v[112:113], 0
	s_wait_loadcnt 0x5
	s_delay_alu instid0(VALU_DEP_1) | instskip(SKIP_4) | instid1(VALU_DEP_1)
	v_fmac_f64_e32 v[124:125], v[92:93], v[114:115]
	scratch_load_b128 v[90:93], off, off offset:224
	s_wait_dscnt 0x0
	v_fmac_f64_e32 v[124:125], v[94:95], v[116:117]
	s_wait_loadcnt 0x5
	v_fmac_f64_e32 v[124:125], v[96:97], v[118:119]
	ds_load_2addr_b64 v[94:97], v2 offset0:61 offset1:62
	ds_load_2addr_b64 v[112:115], v2 offset0:63 offset1:64
	scratch_load_b128 v[116:119], off, off offset:240
	s_wait_dscnt 0x1
	v_fmac_f64_e32 v[124:125], v[98:99], v[94:95]
	s_wait_loadcnt 0x5
	s_delay_alu instid0(VALU_DEP_1) | instskip(SKIP_4) | instid1(VALU_DEP_1)
	v_fmac_f64_e32 v[124:125], v[100:101], v[96:97]
	scratch_load_b128 v[94:97], off, off offset:256
	s_wait_dscnt 0x0
	v_fmac_f64_e32 v[124:125], v[102:103], v[112:113]
	s_wait_loadcnt 0x5
	v_fmac_f64_e32 v[124:125], v[104:105], v[114:115]
	ds_load_2addr_b64 v[98:101], v2 offset0:65 offset1:66
	ds_load_2addr_b64 v[102:105], v2 offset0:67 offset1:68
	s_wait_dscnt 0x1
	v_fmac_f64_e32 v[124:125], v[106:107], v[98:99]
	s_wait_loadcnt 0x4
	s_delay_alu instid0(VALU_DEP_1) | instskip(SKIP_4) | instid1(VALU_DEP_1)
	v_fmac_f64_e32 v[124:125], v[108:109], v[100:101]
	scratch_load_b128 v[98:101], off, off offset:272
	s_wait_dscnt 0x0
	v_fmac_f64_e32 v[124:125], v[110:111], v[102:103]
	s_wait_loadcnt 0x4
	v_fmac_f64_e32 v[124:125], v[120:121], v[104:105]
	scratch_load_b128 v[102:105], off, off offset:288
	ds_load_2addr_b64 v[106:109], v2 offset0:69 offset1:70
	ds_load_2addr_b64 v[110:113], v2 offset0:71 offset1:72
	s_wait_dscnt 0x1
	v_fmac_f64_e32 v[124:125], v[122:123], v[106:107]
	s_wait_loadcnt 0x4
	s_delay_alu instid0(VALU_DEP_1)
	v_fmac_f64_e32 v[124:125], v[90:91], v[108:109]
	scratch_load_b128 v[106:109], off, off offset:304
	s_wait_dscnt 0x0
	v_fmac_f64_e32 v[124:125], v[92:93], v[110:111]
	scratch_load_b128 v[90:93], off, off offset:320
	s_wait_loadcnt 0x5
	v_fmac_f64_e32 v[124:125], v[116:117], v[112:113]
	ds_load_2addr_b64 v[110:113], v2 offset0:73 offset1:74
	ds_load_2addr_b64 v[114:117], v2 offset0:75 offset1:76
	s_wait_dscnt 0x1
	v_fmac_f64_e32 v[124:125], v[118:119], v[110:111]
	s_wait_loadcnt 0x4
	s_delay_alu instid0(VALU_DEP_1) | instskip(SKIP_1) | instid1(VALU_DEP_1)
	v_fmac_f64_e32 v[124:125], v[94:95], v[112:113]
	s_wait_dscnt 0x0
	v_fmac_f64_e32 v[124:125], v[96:97], v[114:115]
	ds_load_2addr_b64 v[94:97], v2 offset0:77 offset1:78
	ds_load_2addr_b64 v[110:113], v2 offset0:79 offset1:80
	s_wait_loadcnt 0x3
	v_fmac_f64_e32 v[124:125], v[98:99], v[116:117]
	s_wait_dscnt 0x1
	s_delay_alu instid0(VALU_DEP_1) | instskip(SKIP_1) | instid1(VALU_DEP_1)
	v_fmac_f64_e32 v[124:125], v[100:101], v[94:95]
	s_wait_loadcnt 0x2
	v_fmac_f64_e32 v[124:125], v[102:103], v[96:97]
	ds_load_2addr_b64 v[94:97], v2 offset0:81 offset1:82
	ds_load_b64 v[98:99], v2 offset:664
	s_wait_dscnt 0x2
	v_fmac_f64_e32 v[124:125], v[104:105], v[110:111]
	s_wait_loadcnt 0x1
	s_delay_alu instid0(VALU_DEP_1) | instskip(SKIP_1) | instid1(VALU_DEP_1)
	v_fmac_f64_e32 v[124:125], v[106:107], v[112:113]
	s_wait_dscnt 0x1
	v_fmac_f64_e32 v[124:125], v[108:109], v[94:95]
	s_wait_loadcnt 0x0
	s_delay_alu instid0(VALU_DEP_1) | instskip(SKIP_1) | instid1(VALU_DEP_1)
	v_fmac_f64_e32 v[124:125], v[90:91], v[96:97]
	s_wait_dscnt 0x0
	v_fmac_f64_e32 v[124:125], v[92:93], v[98:99]
	s_delay_alu instid0(VALU_DEP_1)
	v_add_f64_e64 v[88:89], v[88:89], -v[124:125]
	scratch_store_b64 off, v[88:89], off offset:112
	s_wait_xcnt 0x0
	v_cmpx_lt_u32_e32 13, v0
	s_cbranch_execz .LBB41_235
; %bb.234:
	scratch_load_b64 v[88:89], off, off offset:104
	v_mov_b64_e32 v[90:91], 0
	scratch_store_b64 off, v[90:91], off offset:104
	s_wait_loadcnt 0x0
	ds_store_b64 v1, v[88:89]
.LBB41_235:
	s_wait_xcnt 0x0
	s_or_b32 exec_lo, exec_lo, s0
	s_wait_storecnt_dscnt 0x0
	s_barrier_signal -1
	s_barrier_wait -1
	s_clause 0x5
	scratch_load_b128 v[88:91], off, off offset:104
	scratch_load_b128 v[92:95], off, off offset:120
	;; [unrolled: 1-line block ×6, first 2 shown]
	ds_load_b128 v[112:115], v2 offset:448
	ds_load_b128 v[116:119], v2 offset:464
	scratch_load_b128 v[120:123], off, off offset:200
	s_mov_b32 s0, exec_lo
	s_wait_loadcnt_dscnt 0x601
	v_fma_f64 v[124:125], v[90:91], v[112:113], 0
	s_wait_loadcnt 0x5
	s_delay_alu instid0(VALU_DEP_1) | instskip(SKIP_4) | instid1(VALU_DEP_1)
	v_fmac_f64_e32 v[124:125], v[92:93], v[114:115]
	scratch_load_b128 v[90:93], off, off offset:216
	s_wait_dscnt 0x0
	v_fmac_f64_e32 v[124:125], v[94:95], v[116:117]
	s_wait_loadcnt 0x5
	v_fmac_f64_e32 v[124:125], v[96:97], v[118:119]
	ds_load_b128 v[94:97], v2 offset:480
	ds_load_b128 v[112:115], v2 offset:496
	scratch_load_b128 v[116:119], off, off offset:232
	s_wait_dscnt 0x1
	v_fmac_f64_e32 v[124:125], v[98:99], v[94:95]
	s_wait_loadcnt 0x5
	s_delay_alu instid0(VALU_DEP_1) | instskip(SKIP_4) | instid1(VALU_DEP_1)
	v_fmac_f64_e32 v[124:125], v[100:101], v[96:97]
	scratch_load_b128 v[94:97], off, off offset:248
	s_wait_dscnt 0x0
	v_fmac_f64_e32 v[124:125], v[102:103], v[112:113]
	s_wait_loadcnt 0x5
	v_fmac_f64_e32 v[124:125], v[104:105], v[114:115]
	ds_load_b128 v[98:101], v2 offset:512
	ds_load_b128 v[102:105], v2 offset:528
	s_wait_dscnt 0x1
	v_fmac_f64_e32 v[124:125], v[106:107], v[98:99]
	s_wait_loadcnt 0x4
	s_delay_alu instid0(VALU_DEP_1) | instskip(SKIP_4) | instid1(VALU_DEP_1)
	v_fmac_f64_e32 v[124:125], v[108:109], v[100:101]
	scratch_load_b128 v[98:101], off, off offset:264
	s_wait_dscnt 0x0
	v_fmac_f64_e32 v[124:125], v[110:111], v[102:103]
	s_wait_loadcnt 0x4
	v_fmac_f64_e32 v[124:125], v[120:121], v[104:105]
	scratch_load_b128 v[102:105], off, off offset:280
	ds_load_b128 v[106:109], v2 offset:544
	ds_load_b128 v[110:113], v2 offset:560
	s_wait_dscnt 0x1
	v_fmac_f64_e32 v[124:125], v[122:123], v[106:107]
	s_wait_loadcnt 0x4
	s_delay_alu instid0(VALU_DEP_1)
	v_fmac_f64_e32 v[124:125], v[90:91], v[108:109]
	scratch_load_b128 v[106:109], off, off offset:296
	s_wait_dscnt 0x0
	v_fmac_f64_e32 v[124:125], v[92:93], v[110:111]
	scratch_load_b128 v[90:93], off, off offset:312
	s_wait_loadcnt 0x5
	v_fmac_f64_e32 v[124:125], v[116:117], v[112:113]
	ds_load_b128 v[110:113], v2 offset:576
	ds_load_b128 v[114:117], v2 offset:592
	s_wait_dscnt 0x1
	v_fmac_f64_e32 v[124:125], v[118:119], v[110:111]
	scratch_load_b64 v[118:119], off, off offset:328
	s_wait_loadcnt 0x5
	v_fmac_f64_e32 v[124:125], v[94:95], v[112:113]
	s_wait_dscnt 0x0
	s_delay_alu instid0(VALU_DEP_1)
	v_fmac_f64_e32 v[124:125], v[96:97], v[114:115]
	ds_load_b128 v[94:97], v2 offset:608
	ds_load_b128 v[110:113], v2 offset:624
	s_wait_loadcnt 0x4
	v_fmac_f64_e32 v[124:125], v[98:99], v[116:117]
	s_wait_dscnt 0x1
	s_delay_alu instid0(VALU_DEP_1) | instskip(SKIP_1) | instid1(VALU_DEP_1)
	v_fmac_f64_e32 v[124:125], v[100:101], v[94:95]
	s_wait_loadcnt 0x3
	v_fmac_f64_e32 v[124:125], v[102:103], v[96:97]
	ds_load_b128 v[94:97], v2 offset:640
	ds_load_b128 v[98:101], v2 offset:656
	s_wait_dscnt 0x2
	v_fmac_f64_e32 v[124:125], v[104:105], v[110:111]
	s_wait_loadcnt 0x2
	s_delay_alu instid0(VALU_DEP_1) | instskip(SKIP_1) | instid1(VALU_DEP_1)
	v_fmac_f64_e32 v[124:125], v[106:107], v[112:113]
	s_wait_dscnt 0x1
	v_fmac_f64_e32 v[124:125], v[108:109], v[94:95]
	s_wait_loadcnt 0x1
	s_delay_alu instid0(VALU_DEP_1) | instskip(SKIP_1) | instid1(VALU_DEP_1)
	v_fmac_f64_e32 v[124:125], v[90:91], v[96:97]
	s_wait_dscnt 0x0
	v_fmac_f64_e32 v[124:125], v[92:93], v[98:99]
	s_wait_loadcnt 0x0
	s_delay_alu instid0(VALU_DEP_1) | instskip(NEXT) | instid1(VALU_DEP_1)
	v_fmac_f64_e32 v[124:125], v[118:119], v[100:101]
	v_add_f64_e64 v[2:3], v[88:89], -v[124:125]
	scratch_store_b64 off, v[2:3], off offset:104
	s_wait_xcnt 0x0
	v_cmpx_lt_u32_e32 12, v0
	s_cbranch_execz .LBB41_237
; %bb.236:
	scratch_load_b64 v[2:3], off, off offset:96
	v_mov_b64_e32 v[88:89], 0
	scratch_store_b64 off, v[88:89], off offset:96
	s_wait_loadcnt 0x0
	ds_store_b64 v1, v[2:3]
.LBB41_237:
	s_wait_xcnt 0x0
	s_or_b32 exec_lo, exec_lo, s0
	s_wait_storecnt_dscnt 0x0
	s_barrier_signal -1
	s_barrier_wait -1
	s_clause 0x5
	scratch_load_b128 v[88:91], off, off offset:96
	scratch_load_b128 v[92:95], off, off offset:112
	;; [unrolled: 1-line block ×6, first 2 shown]
	v_mov_b32_e32 v2, 0
	ds_load_2addr_b64 v[112:115], v2 offset0:55 offset1:56
	ds_load_2addr_b64 v[116:119], v2 offset0:57 offset1:58
	scratch_load_b128 v[120:123], off, off offset:192
	s_mov_b32 s0, exec_lo
	s_wait_loadcnt_dscnt 0x601
	v_fma_f64 v[124:125], v[90:91], v[112:113], 0
	s_wait_loadcnt 0x5
	s_delay_alu instid0(VALU_DEP_1) | instskip(SKIP_4) | instid1(VALU_DEP_1)
	v_fmac_f64_e32 v[124:125], v[92:93], v[114:115]
	scratch_load_b128 v[90:93], off, off offset:208
	s_wait_dscnt 0x0
	v_fmac_f64_e32 v[124:125], v[94:95], v[116:117]
	s_wait_loadcnt 0x5
	v_fmac_f64_e32 v[124:125], v[96:97], v[118:119]
	ds_load_2addr_b64 v[94:97], v2 offset0:59 offset1:60
	ds_load_2addr_b64 v[112:115], v2 offset0:61 offset1:62
	scratch_load_b128 v[116:119], off, off offset:224
	s_wait_dscnt 0x1
	v_fmac_f64_e32 v[124:125], v[98:99], v[94:95]
	s_wait_loadcnt 0x5
	s_delay_alu instid0(VALU_DEP_1) | instskip(SKIP_4) | instid1(VALU_DEP_1)
	v_fmac_f64_e32 v[124:125], v[100:101], v[96:97]
	scratch_load_b128 v[94:97], off, off offset:240
	s_wait_dscnt 0x0
	v_fmac_f64_e32 v[124:125], v[102:103], v[112:113]
	s_wait_loadcnt 0x5
	v_fmac_f64_e32 v[124:125], v[104:105], v[114:115]
	ds_load_2addr_b64 v[98:101], v2 offset0:63 offset1:64
	ds_load_2addr_b64 v[102:105], v2 offset0:65 offset1:66
	s_wait_dscnt 0x1
	v_fmac_f64_e32 v[124:125], v[106:107], v[98:99]
	s_wait_loadcnt 0x4
	s_delay_alu instid0(VALU_DEP_1) | instskip(SKIP_4) | instid1(VALU_DEP_1)
	v_fmac_f64_e32 v[124:125], v[108:109], v[100:101]
	scratch_load_b128 v[98:101], off, off offset:256
	s_wait_dscnt 0x0
	v_fmac_f64_e32 v[124:125], v[110:111], v[102:103]
	s_wait_loadcnt 0x4
	v_fmac_f64_e32 v[124:125], v[120:121], v[104:105]
	scratch_load_b128 v[102:105], off, off offset:272
	ds_load_2addr_b64 v[106:109], v2 offset0:67 offset1:68
	ds_load_2addr_b64 v[110:113], v2 offset0:69 offset1:70
	s_wait_dscnt 0x1
	v_fmac_f64_e32 v[124:125], v[122:123], v[106:107]
	s_wait_loadcnt 0x4
	s_delay_alu instid0(VALU_DEP_1)
	v_fmac_f64_e32 v[124:125], v[90:91], v[108:109]
	scratch_load_b128 v[106:109], off, off offset:288
	s_wait_dscnt 0x0
	v_fmac_f64_e32 v[124:125], v[92:93], v[110:111]
	scratch_load_b128 v[90:93], off, off offset:304
	s_wait_loadcnt 0x5
	v_fmac_f64_e32 v[124:125], v[116:117], v[112:113]
	ds_load_2addr_b64 v[110:113], v2 offset0:71 offset1:72
	ds_load_2addr_b64 v[114:117], v2 offset0:73 offset1:74
	s_wait_dscnt 0x1
	v_fmac_f64_e32 v[124:125], v[118:119], v[110:111]
	s_wait_loadcnt 0x4
	s_delay_alu instid0(VALU_DEP_1) | instskip(SKIP_4) | instid1(VALU_DEP_1)
	v_fmac_f64_e32 v[124:125], v[94:95], v[112:113]
	scratch_load_b128 v[110:113], off, off offset:320
	s_wait_dscnt 0x0
	v_fmac_f64_e32 v[124:125], v[96:97], v[114:115]
	s_wait_loadcnt 0x4
	v_fmac_f64_e32 v[124:125], v[98:99], v[116:117]
	ds_load_2addr_b64 v[94:97], v2 offset0:75 offset1:76
	ds_load_2addr_b64 v[114:117], v2 offset0:77 offset1:78
	s_wait_dscnt 0x1
	v_fmac_f64_e32 v[124:125], v[100:101], v[94:95]
	s_wait_loadcnt 0x3
	s_delay_alu instid0(VALU_DEP_1)
	v_fmac_f64_e32 v[124:125], v[102:103], v[96:97]
	ds_load_2addr_b64 v[94:97], v2 offset0:79 offset1:80
	ds_load_2addr_b64 v[98:101], v2 offset0:81 offset1:82
	s_wait_dscnt 0x2
	v_fmac_f64_e32 v[124:125], v[104:105], v[114:115]
	s_wait_loadcnt 0x2
	s_delay_alu instid0(VALU_DEP_1) | instskip(SKIP_1) | instid1(VALU_DEP_1)
	v_fmac_f64_e32 v[124:125], v[106:107], v[116:117]
	s_wait_dscnt 0x1
	v_fmac_f64_e32 v[124:125], v[108:109], v[94:95]
	s_wait_loadcnt 0x1
	s_delay_alu instid0(VALU_DEP_1) | instskip(SKIP_4) | instid1(VALU_DEP_1)
	v_fmac_f64_e32 v[124:125], v[90:91], v[96:97]
	ds_load_b64 v[90:91], v2 offset:664
	s_wait_dscnt 0x1
	v_fmac_f64_e32 v[124:125], v[92:93], v[98:99]
	s_wait_loadcnt 0x0
	v_fmac_f64_e32 v[124:125], v[110:111], v[100:101]
	s_wait_dscnt 0x0
	s_delay_alu instid0(VALU_DEP_1) | instskip(NEXT) | instid1(VALU_DEP_1)
	v_fmac_f64_e32 v[124:125], v[112:113], v[90:91]
	v_add_f64_e64 v[88:89], v[88:89], -v[124:125]
	scratch_store_b64 off, v[88:89], off offset:96
	s_wait_xcnt 0x0
	v_cmpx_lt_u32_e32 11, v0
	s_cbranch_execz .LBB41_239
; %bb.238:
	scratch_load_b64 v[88:89], off, off offset:88
	v_mov_b64_e32 v[90:91], 0
	scratch_store_b64 off, v[90:91], off offset:88
	s_wait_loadcnt 0x0
	ds_store_b64 v1, v[88:89]
.LBB41_239:
	s_wait_xcnt 0x0
	s_or_b32 exec_lo, exec_lo, s0
	s_wait_storecnt_dscnt 0x0
	s_barrier_signal -1
	s_barrier_wait -1
	s_clause 0x5
	scratch_load_b128 v[88:91], off, off offset:88
	scratch_load_b128 v[92:95], off, off offset:104
	;; [unrolled: 1-line block ×6, first 2 shown]
	ds_load_b128 v[112:115], v2 offset:432
	ds_load_b128 v[116:119], v2 offset:448
	scratch_load_b128 v[120:123], off, off offset:184
	s_mov_b32 s0, exec_lo
	s_wait_loadcnt_dscnt 0x601
	v_fma_f64 v[124:125], v[90:91], v[112:113], 0
	s_wait_loadcnt 0x5
	s_delay_alu instid0(VALU_DEP_1) | instskip(SKIP_4) | instid1(VALU_DEP_1)
	v_fmac_f64_e32 v[124:125], v[92:93], v[114:115]
	scratch_load_b128 v[90:93], off, off offset:200
	s_wait_dscnt 0x0
	v_fmac_f64_e32 v[124:125], v[94:95], v[116:117]
	s_wait_loadcnt 0x5
	v_fmac_f64_e32 v[124:125], v[96:97], v[118:119]
	ds_load_b128 v[94:97], v2 offset:464
	ds_load_b128 v[112:115], v2 offset:480
	scratch_load_b128 v[116:119], off, off offset:216
	s_wait_dscnt 0x1
	v_fmac_f64_e32 v[124:125], v[98:99], v[94:95]
	s_wait_loadcnt 0x5
	s_delay_alu instid0(VALU_DEP_1) | instskip(SKIP_4) | instid1(VALU_DEP_1)
	v_fmac_f64_e32 v[124:125], v[100:101], v[96:97]
	scratch_load_b128 v[94:97], off, off offset:232
	s_wait_dscnt 0x0
	v_fmac_f64_e32 v[124:125], v[102:103], v[112:113]
	s_wait_loadcnt 0x5
	v_fmac_f64_e32 v[124:125], v[104:105], v[114:115]
	ds_load_b128 v[98:101], v2 offset:496
	ds_load_b128 v[102:105], v2 offset:512
	scratch_load_b128 v[112:115], off, off offset:248
	s_wait_dscnt 0x1
	v_fmac_f64_e32 v[124:125], v[106:107], v[98:99]
	s_wait_loadcnt 0x5
	s_delay_alu instid0(VALU_DEP_1) | instskip(SKIP_4) | instid1(VALU_DEP_1)
	v_fmac_f64_e32 v[124:125], v[108:109], v[100:101]
	scratch_load_b128 v[98:101], off, off offset:264
	s_wait_dscnt 0x0
	v_fmac_f64_e32 v[124:125], v[110:111], v[102:103]
	s_wait_loadcnt 0x5
	v_fmac_f64_e32 v[124:125], v[120:121], v[104:105]
	ds_load_b128 v[102:105], v2 offset:528
	ds_load_b128 v[106:109], v2 offset:544
	s_wait_dscnt 0x1
	v_fmac_f64_e32 v[124:125], v[122:123], v[102:103]
	s_wait_loadcnt 0x4
	s_delay_alu instid0(VALU_DEP_1)
	v_fmac_f64_e32 v[124:125], v[90:91], v[104:105]
	scratch_load_b128 v[102:105], off, off offset:280
	s_wait_dscnt 0x0
	v_fmac_f64_e32 v[124:125], v[92:93], v[106:107]
	scratch_load_b128 v[90:93], off, off offset:296
	s_wait_loadcnt 0x5
	v_fmac_f64_e32 v[124:125], v[116:117], v[108:109]
	ds_load_b128 v[106:109], v2 offset:560
	ds_load_b128 v[120:123], v2 offset:576
	scratch_load_b64 v[116:117], off, off offset:328
	s_wait_dscnt 0x1
	v_fmac_f64_e32 v[124:125], v[118:119], v[106:107]
	s_wait_loadcnt 0x5
	s_delay_alu instid0(VALU_DEP_1) | instskip(SKIP_4) | instid1(VALU_DEP_1)
	v_fmac_f64_e32 v[124:125], v[94:95], v[108:109]
	scratch_load_b128 v[106:109], off, off offset:312
	s_wait_dscnt 0x0
	v_fmac_f64_e32 v[124:125], v[96:97], v[120:121]
	s_wait_loadcnt 0x5
	v_fmac_f64_e32 v[124:125], v[112:113], v[122:123]
	ds_load_b128 v[94:97], v2 offset:592
	ds_load_b128 v[110:113], v2 offset:608
	s_wait_dscnt 0x1
	v_fmac_f64_e32 v[124:125], v[114:115], v[94:95]
	s_wait_loadcnt 0x4
	s_delay_alu instid0(VALU_DEP_1) | instskip(SKIP_1) | instid1(VALU_DEP_1)
	v_fmac_f64_e32 v[124:125], v[98:99], v[96:97]
	s_wait_dscnt 0x0
	v_fmac_f64_e32 v[124:125], v[100:101], v[110:111]
	ds_load_b128 v[94:97], v2 offset:624
	ds_load_b128 v[98:101], v2 offset:640
	s_wait_loadcnt 0x3
	v_fmac_f64_e32 v[124:125], v[102:103], v[112:113]
	s_wait_dscnt 0x1
	s_delay_alu instid0(VALU_DEP_1) | instskip(SKIP_1) | instid1(VALU_DEP_1)
	v_fmac_f64_e32 v[124:125], v[104:105], v[94:95]
	s_wait_loadcnt 0x2
	v_fmac_f64_e32 v[124:125], v[90:91], v[96:97]
	s_wait_dscnt 0x0
	s_delay_alu instid0(VALU_DEP_1) | instskip(SKIP_4) | instid1(VALU_DEP_1)
	v_fmac_f64_e32 v[124:125], v[92:93], v[98:99]
	ds_load_b128 v[90:93], v2 offset:656
	s_wait_loadcnt 0x0
	v_fmac_f64_e32 v[124:125], v[106:107], v[100:101]
	s_wait_dscnt 0x0
	v_fmac_f64_e32 v[124:125], v[108:109], v[90:91]
	s_delay_alu instid0(VALU_DEP_1) | instskip(NEXT) | instid1(VALU_DEP_1)
	v_fmac_f64_e32 v[124:125], v[116:117], v[92:93]
	v_add_f64_e64 v[2:3], v[88:89], -v[124:125]
	scratch_store_b64 off, v[2:3], off offset:88
	s_wait_xcnt 0x0
	v_cmpx_lt_u32_e32 10, v0
	s_cbranch_execz .LBB41_241
; %bb.240:
	scratch_load_b64 v[2:3], off, off offset:80
	v_mov_b64_e32 v[88:89], 0
	scratch_store_b64 off, v[88:89], off offset:80
	s_wait_loadcnt 0x0
	ds_store_b64 v1, v[2:3]
.LBB41_241:
	s_wait_xcnt 0x0
	s_or_b32 exec_lo, exec_lo, s0
	s_wait_storecnt_dscnt 0x0
	s_barrier_signal -1
	s_barrier_wait -1
	s_clause 0x5
	scratch_load_b128 v[88:91], off, off offset:80
	scratch_load_b128 v[92:95], off, off offset:96
	;; [unrolled: 1-line block ×6, first 2 shown]
	v_mov_b32_e32 v2, 0
	ds_load_2addr_b64 v[112:115], v2 offset0:53 offset1:54
	ds_load_2addr_b64 v[116:119], v2 offset0:55 offset1:56
	scratch_load_b128 v[120:123], off, off offset:176
	s_mov_b32 s0, exec_lo
	s_wait_loadcnt_dscnt 0x601
	v_fma_f64 v[124:125], v[90:91], v[112:113], 0
	s_wait_loadcnt 0x5
	s_delay_alu instid0(VALU_DEP_1) | instskip(SKIP_4) | instid1(VALU_DEP_1)
	v_fmac_f64_e32 v[124:125], v[92:93], v[114:115]
	scratch_load_b128 v[90:93], off, off offset:192
	s_wait_dscnt 0x0
	v_fmac_f64_e32 v[124:125], v[94:95], v[116:117]
	s_wait_loadcnt 0x5
	v_fmac_f64_e32 v[124:125], v[96:97], v[118:119]
	ds_load_2addr_b64 v[94:97], v2 offset0:57 offset1:58
	ds_load_2addr_b64 v[112:115], v2 offset0:59 offset1:60
	scratch_load_b128 v[116:119], off, off offset:208
	s_wait_dscnt 0x1
	v_fmac_f64_e32 v[124:125], v[98:99], v[94:95]
	s_wait_loadcnt 0x5
	s_delay_alu instid0(VALU_DEP_1) | instskip(SKIP_4) | instid1(VALU_DEP_1)
	v_fmac_f64_e32 v[124:125], v[100:101], v[96:97]
	scratch_load_b128 v[94:97], off, off offset:224
	s_wait_dscnt 0x0
	v_fmac_f64_e32 v[124:125], v[102:103], v[112:113]
	s_wait_loadcnt 0x5
	v_fmac_f64_e32 v[124:125], v[104:105], v[114:115]
	ds_load_2addr_b64 v[98:101], v2 offset0:61 offset1:62
	ds_load_2addr_b64 v[102:105], v2 offset0:63 offset1:64
	scratch_load_b128 v[112:115], off, off offset:240
	s_wait_dscnt 0x1
	v_fmac_f64_e32 v[124:125], v[106:107], v[98:99]
	s_wait_loadcnt 0x5
	s_delay_alu instid0(VALU_DEP_1) | instskip(SKIP_4) | instid1(VALU_DEP_1)
	v_fmac_f64_e32 v[124:125], v[108:109], v[100:101]
	scratch_load_b128 v[98:101], off, off offset:256
	s_wait_dscnt 0x0
	v_fmac_f64_e32 v[124:125], v[110:111], v[102:103]
	s_wait_loadcnt 0x5
	v_fmac_f64_e32 v[124:125], v[120:121], v[104:105]
	ds_load_2addr_b64 v[102:105], v2 offset0:65 offset1:66
	ds_load_2addr_b64 v[106:109], v2 offset0:67 offset1:68
	s_wait_dscnt 0x1
	v_fmac_f64_e32 v[124:125], v[122:123], v[102:103]
	s_wait_loadcnt 0x4
	s_delay_alu instid0(VALU_DEP_1)
	v_fmac_f64_e32 v[124:125], v[90:91], v[104:105]
	scratch_load_b128 v[102:105], off, off offset:272
	s_wait_dscnt 0x0
	v_fmac_f64_e32 v[124:125], v[92:93], v[106:107]
	scratch_load_b128 v[90:93], off, off offset:288
	s_wait_loadcnt 0x5
	v_fmac_f64_e32 v[124:125], v[116:117], v[108:109]
	ds_load_2addr_b64 v[106:109], v2 offset0:69 offset1:70
	ds_load_2addr_b64 v[120:123], v2 offset0:71 offset1:72
	s_wait_dscnt 0x1
	v_fmac_f64_e32 v[124:125], v[118:119], v[106:107]
	s_wait_loadcnt 0x4
	s_delay_alu instid0(VALU_DEP_1)
	v_fmac_f64_e32 v[124:125], v[94:95], v[108:109]
	scratch_load_b128 v[106:109], off, off offset:304
	s_wait_dscnt 0x0
	v_fmac_f64_e32 v[124:125], v[96:97], v[120:121]
	scratch_load_b128 v[94:97], off, off offset:320
	s_wait_loadcnt 0x5
	v_fmac_f64_e32 v[124:125], v[112:113], v[122:123]
	ds_load_2addr_b64 v[110:113], v2 offset0:73 offset1:74
	ds_load_2addr_b64 v[116:119], v2 offset0:75 offset1:76
	s_wait_dscnt 0x1
	v_fmac_f64_e32 v[124:125], v[114:115], v[110:111]
	s_wait_loadcnt 0x4
	s_delay_alu instid0(VALU_DEP_1) | instskip(SKIP_1) | instid1(VALU_DEP_1)
	v_fmac_f64_e32 v[124:125], v[98:99], v[112:113]
	s_wait_dscnt 0x0
	v_fmac_f64_e32 v[124:125], v[100:101], v[116:117]
	ds_load_2addr_b64 v[98:101], v2 offset0:77 offset1:78
	ds_load_2addr_b64 v[110:113], v2 offset0:79 offset1:80
	s_wait_loadcnt 0x3
	v_fmac_f64_e32 v[124:125], v[102:103], v[118:119]
	s_wait_dscnt 0x1
	s_delay_alu instid0(VALU_DEP_1) | instskip(SKIP_1) | instid1(VALU_DEP_1)
	v_fmac_f64_e32 v[124:125], v[104:105], v[98:99]
	s_wait_loadcnt 0x2
	v_fmac_f64_e32 v[124:125], v[90:91], v[100:101]
	s_wait_dscnt 0x0
	s_delay_alu instid0(VALU_DEP_1)
	v_fmac_f64_e32 v[124:125], v[92:93], v[110:111]
	ds_load_2addr_b64 v[90:93], v2 offset0:81 offset1:82
	ds_load_b64 v[98:99], v2 offset:664
	s_wait_loadcnt 0x1
	v_fmac_f64_e32 v[124:125], v[106:107], v[112:113]
	s_wait_dscnt 0x1
	s_delay_alu instid0(VALU_DEP_1) | instskip(SKIP_1) | instid1(VALU_DEP_1)
	v_fmac_f64_e32 v[124:125], v[108:109], v[90:91]
	s_wait_loadcnt 0x0
	v_fmac_f64_e32 v[124:125], v[94:95], v[92:93]
	s_wait_dscnt 0x0
	s_delay_alu instid0(VALU_DEP_1) | instskip(NEXT) | instid1(VALU_DEP_1)
	v_fmac_f64_e32 v[124:125], v[96:97], v[98:99]
	v_add_f64_e64 v[88:89], v[88:89], -v[124:125]
	scratch_store_b64 off, v[88:89], off offset:80
	s_wait_xcnt 0x0
	v_cmpx_lt_u32_e32 9, v0
	s_cbranch_execz .LBB41_243
; %bb.242:
	scratch_load_b64 v[88:89], off, off offset:72
	v_mov_b64_e32 v[90:91], 0
	scratch_store_b64 off, v[90:91], off offset:72
	s_wait_loadcnt 0x0
	ds_store_b64 v1, v[88:89]
.LBB41_243:
	s_wait_xcnt 0x0
	s_or_b32 exec_lo, exec_lo, s0
	s_wait_storecnt_dscnt 0x0
	s_barrier_signal -1
	s_barrier_wait -1
	s_clause 0x5
	scratch_load_b128 v[88:91], off, off offset:72
	scratch_load_b128 v[92:95], off, off offset:88
	;; [unrolled: 1-line block ×6, first 2 shown]
	ds_load_b128 v[112:115], v2 offset:416
	ds_load_b128 v[116:119], v2 offset:432
	scratch_load_b128 v[120:123], off, off offset:168
	s_mov_b32 s0, exec_lo
	s_wait_loadcnt_dscnt 0x601
	v_fma_f64 v[124:125], v[90:91], v[112:113], 0
	s_wait_loadcnt 0x5
	s_delay_alu instid0(VALU_DEP_1) | instskip(SKIP_4) | instid1(VALU_DEP_1)
	v_fmac_f64_e32 v[124:125], v[92:93], v[114:115]
	scratch_load_b128 v[90:93], off, off offset:184
	s_wait_dscnt 0x0
	v_fmac_f64_e32 v[124:125], v[94:95], v[116:117]
	s_wait_loadcnt 0x5
	v_fmac_f64_e32 v[124:125], v[96:97], v[118:119]
	ds_load_b128 v[94:97], v2 offset:448
	ds_load_b128 v[112:115], v2 offset:464
	scratch_load_b128 v[116:119], off, off offset:200
	s_wait_dscnt 0x1
	v_fmac_f64_e32 v[124:125], v[98:99], v[94:95]
	s_wait_loadcnt 0x5
	s_delay_alu instid0(VALU_DEP_1) | instskip(SKIP_4) | instid1(VALU_DEP_1)
	v_fmac_f64_e32 v[124:125], v[100:101], v[96:97]
	scratch_load_b128 v[94:97], off, off offset:216
	s_wait_dscnt 0x0
	v_fmac_f64_e32 v[124:125], v[102:103], v[112:113]
	s_wait_loadcnt 0x5
	v_fmac_f64_e32 v[124:125], v[104:105], v[114:115]
	ds_load_b128 v[98:101], v2 offset:480
	ds_load_b128 v[102:105], v2 offset:496
	scratch_load_b128 v[112:115], off, off offset:232
	s_wait_dscnt 0x1
	v_fmac_f64_e32 v[124:125], v[106:107], v[98:99]
	s_wait_loadcnt 0x5
	s_delay_alu instid0(VALU_DEP_1) | instskip(SKIP_4) | instid1(VALU_DEP_1)
	v_fmac_f64_e32 v[124:125], v[108:109], v[100:101]
	scratch_load_b128 v[98:101], off, off offset:248
	s_wait_dscnt 0x0
	v_fmac_f64_e32 v[124:125], v[110:111], v[102:103]
	s_wait_loadcnt 0x5
	v_fmac_f64_e32 v[124:125], v[120:121], v[104:105]
	ds_load_b128 v[102:105], v2 offset:512
	ds_load_b128 v[106:109], v2 offset:528
	s_wait_dscnt 0x1
	v_fmac_f64_e32 v[124:125], v[122:123], v[102:103]
	s_wait_loadcnt 0x4
	s_delay_alu instid0(VALU_DEP_1)
	v_fmac_f64_e32 v[124:125], v[90:91], v[104:105]
	scratch_load_b128 v[102:105], off, off offset:264
	s_wait_dscnt 0x0
	v_fmac_f64_e32 v[124:125], v[92:93], v[106:107]
	scratch_load_b128 v[90:93], off, off offset:280
	s_wait_loadcnt 0x5
	v_fmac_f64_e32 v[124:125], v[116:117], v[108:109]
	ds_load_b128 v[106:109], v2 offset:544
	ds_load_b128 v[120:123], v2 offset:560
	s_wait_dscnt 0x1
	v_fmac_f64_e32 v[124:125], v[118:119], v[106:107]
	s_wait_loadcnt 0x4
	s_delay_alu instid0(VALU_DEP_1)
	v_fmac_f64_e32 v[124:125], v[94:95], v[108:109]
	scratch_load_b128 v[106:109], off, off offset:296
	s_wait_dscnt 0x0
	v_fmac_f64_e32 v[124:125], v[96:97], v[120:121]
	scratch_load_b128 v[94:97], off, off offset:312
	s_wait_loadcnt 0x5
	v_fmac_f64_e32 v[124:125], v[112:113], v[122:123]
	ds_load_b128 v[110:113], v2 offset:576
	ds_load_b128 v[116:119], v2 offset:592
	s_wait_dscnt 0x1
	v_fmac_f64_e32 v[124:125], v[114:115], v[110:111]
	scratch_load_b64 v[114:115], off, off offset:328
	s_wait_loadcnt 0x5
	v_fmac_f64_e32 v[124:125], v[98:99], v[112:113]
	s_wait_dscnt 0x0
	s_delay_alu instid0(VALU_DEP_1)
	v_fmac_f64_e32 v[124:125], v[100:101], v[116:117]
	ds_load_b128 v[98:101], v2 offset:608
	ds_load_b128 v[110:113], v2 offset:624
	s_wait_loadcnt 0x4
	v_fmac_f64_e32 v[124:125], v[102:103], v[118:119]
	s_wait_dscnt 0x1
	s_delay_alu instid0(VALU_DEP_1) | instskip(SKIP_1) | instid1(VALU_DEP_1)
	v_fmac_f64_e32 v[124:125], v[104:105], v[98:99]
	s_wait_loadcnt 0x3
	v_fmac_f64_e32 v[124:125], v[90:91], v[100:101]
	s_wait_dscnt 0x0
	s_delay_alu instid0(VALU_DEP_1)
	v_fmac_f64_e32 v[124:125], v[92:93], v[110:111]
	ds_load_b128 v[90:93], v2 offset:640
	ds_load_b128 v[98:101], v2 offset:656
	s_wait_loadcnt 0x2
	v_fmac_f64_e32 v[124:125], v[106:107], v[112:113]
	s_wait_dscnt 0x1
	s_delay_alu instid0(VALU_DEP_1) | instskip(SKIP_1) | instid1(VALU_DEP_1)
	v_fmac_f64_e32 v[124:125], v[108:109], v[90:91]
	s_wait_loadcnt 0x1
	v_fmac_f64_e32 v[124:125], v[94:95], v[92:93]
	s_wait_dscnt 0x0
	s_delay_alu instid0(VALU_DEP_1) | instskip(SKIP_1) | instid1(VALU_DEP_1)
	v_fmac_f64_e32 v[124:125], v[96:97], v[98:99]
	s_wait_loadcnt 0x0
	v_fmac_f64_e32 v[124:125], v[114:115], v[100:101]
	s_delay_alu instid0(VALU_DEP_1)
	v_add_f64_e64 v[2:3], v[88:89], -v[124:125]
	scratch_store_b64 off, v[2:3], off offset:72
	s_wait_xcnt 0x0
	v_cmpx_lt_u32_e32 8, v0
	s_cbranch_execz .LBB41_245
; %bb.244:
	scratch_load_b64 v[2:3], off, off offset:64
	v_mov_b64_e32 v[88:89], 0
	scratch_store_b64 off, v[88:89], off offset:64
	s_wait_loadcnt 0x0
	ds_store_b64 v1, v[2:3]
.LBB41_245:
	s_wait_xcnt 0x0
	s_or_b32 exec_lo, exec_lo, s0
	s_wait_storecnt_dscnt 0x0
	s_barrier_signal -1
	s_barrier_wait -1
	s_clause 0x5
	scratch_load_b128 v[88:91], off, off offset:64
	scratch_load_b128 v[92:95], off, off offset:80
	scratch_load_b128 v[96:99], off, off offset:96
	scratch_load_b128 v[100:103], off, off offset:112
	scratch_load_b128 v[104:107], off, off offset:128
	scratch_load_b128 v[108:111], off, off offset:144
	v_mov_b32_e32 v2, 0
	ds_load_2addr_b64 v[112:115], v2 offset0:51 offset1:52
	ds_load_2addr_b64 v[116:119], v2 offset0:53 offset1:54
	scratch_load_b128 v[120:123], off, off offset:160
	s_mov_b32 s0, exec_lo
	s_wait_loadcnt_dscnt 0x601
	v_fma_f64 v[124:125], v[90:91], v[112:113], 0
	s_wait_loadcnt 0x5
	s_delay_alu instid0(VALU_DEP_1) | instskip(SKIP_4) | instid1(VALU_DEP_1)
	v_fmac_f64_e32 v[124:125], v[92:93], v[114:115]
	scratch_load_b128 v[90:93], off, off offset:176
	s_wait_dscnt 0x0
	v_fmac_f64_e32 v[124:125], v[94:95], v[116:117]
	s_wait_loadcnt 0x5
	v_fmac_f64_e32 v[124:125], v[96:97], v[118:119]
	ds_load_2addr_b64 v[94:97], v2 offset0:55 offset1:56
	ds_load_2addr_b64 v[112:115], v2 offset0:57 offset1:58
	scratch_load_b128 v[116:119], off, off offset:192
	s_wait_dscnt 0x1
	v_fmac_f64_e32 v[124:125], v[98:99], v[94:95]
	s_wait_loadcnt 0x5
	s_delay_alu instid0(VALU_DEP_1) | instskip(SKIP_4) | instid1(VALU_DEP_1)
	v_fmac_f64_e32 v[124:125], v[100:101], v[96:97]
	scratch_load_b128 v[94:97], off, off offset:208
	s_wait_dscnt 0x0
	v_fmac_f64_e32 v[124:125], v[102:103], v[112:113]
	s_wait_loadcnt 0x5
	v_fmac_f64_e32 v[124:125], v[104:105], v[114:115]
	ds_load_2addr_b64 v[98:101], v2 offset0:59 offset1:60
	ds_load_2addr_b64 v[102:105], v2 offset0:61 offset1:62
	scratch_load_b128 v[112:115], off, off offset:224
	s_wait_dscnt 0x1
	v_fmac_f64_e32 v[124:125], v[106:107], v[98:99]
	s_wait_loadcnt 0x5
	s_delay_alu instid0(VALU_DEP_1) | instskip(SKIP_4) | instid1(VALU_DEP_1)
	v_fmac_f64_e32 v[124:125], v[108:109], v[100:101]
	scratch_load_b128 v[98:101], off, off offset:240
	s_wait_dscnt 0x0
	v_fmac_f64_e32 v[124:125], v[110:111], v[102:103]
	s_wait_loadcnt 0x5
	v_fmac_f64_e32 v[124:125], v[120:121], v[104:105]
	ds_load_2addr_b64 v[102:105], v2 offset0:63 offset1:64
	ds_load_2addr_b64 v[106:109], v2 offset0:65 offset1:66
	s_wait_dscnt 0x1
	v_fmac_f64_e32 v[124:125], v[122:123], v[102:103]
	s_wait_loadcnt 0x4
	s_delay_alu instid0(VALU_DEP_1)
	v_fmac_f64_e32 v[124:125], v[90:91], v[104:105]
	scratch_load_b128 v[102:105], off, off offset:256
	s_wait_dscnt 0x0
	v_fmac_f64_e32 v[124:125], v[92:93], v[106:107]
	scratch_load_b128 v[90:93], off, off offset:272
	s_wait_loadcnt 0x5
	v_fmac_f64_e32 v[124:125], v[116:117], v[108:109]
	ds_load_2addr_b64 v[106:109], v2 offset0:67 offset1:68
	ds_load_2addr_b64 v[120:123], v2 offset0:69 offset1:70
	s_wait_dscnt 0x1
	v_fmac_f64_e32 v[124:125], v[118:119], v[106:107]
	s_wait_loadcnt 0x4
	s_delay_alu instid0(VALU_DEP_1)
	v_fmac_f64_e32 v[124:125], v[94:95], v[108:109]
	scratch_load_b128 v[106:109], off, off offset:288
	s_wait_dscnt 0x0
	v_fmac_f64_e32 v[124:125], v[96:97], v[120:121]
	scratch_load_b128 v[94:97], off, off offset:304
	s_wait_loadcnt 0x5
	v_fmac_f64_e32 v[124:125], v[112:113], v[122:123]
	ds_load_2addr_b64 v[110:113], v2 offset0:71 offset1:72
	ds_load_2addr_b64 v[116:119], v2 offset0:73 offset1:74
	s_wait_dscnt 0x1
	v_fmac_f64_e32 v[124:125], v[114:115], v[110:111]
	s_wait_loadcnt 0x4
	s_delay_alu instid0(VALU_DEP_1)
	v_fmac_f64_e32 v[124:125], v[98:99], v[112:113]
	scratch_load_b128 v[110:113], off, off offset:320
	s_wait_dscnt 0x0
	v_fmac_f64_e32 v[124:125], v[100:101], v[116:117]
	ds_load_2addr_b64 v[98:101], v2 offset0:75 offset1:76
	ds_load_2addr_b64 v[114:117], v2 offset0:77 offset1:78
	s_wait_loadcnt 0x4
	v_fmac_f64_e32 v[124:125], v[102:103], v[118:119]
	s_wait_dscnt 0x1
	s_delay_alu instid0(VALU_DEP_1) | instskip(SKIP_1) | instid1(VALU_DEP_1)
	v_fmac_f64_e32 v[124:125], v[104:105], v[98:99]
	s_wait_loadcnt 0x3
	v_fmac_f64_e32 v[124:125], v[90:91], v[100:101]
	s_wait_dscnt 0x0
	s_delay_alu instid0(VALU_DEP_1)
	v_fmac_f64_e32 v[124:125], v[92:93], v[114:115]
	ds_load_2addr_b64 v[90:93], v2 offset0:79 offset1:80
	ds_load_2addr_b64 v[98:101], v2 offset0:81 offset1:82
	s_wait_loadcnt 0x2
	v_fmac_f64_e32 v[124:125], v[106:107], v[116:117]
	s_wait_dscnt 0x1
	s_delay_alu instid0(VALU_DEP_1) | instskip(SKIP_4) | instid1(VALU_DEP_1)
	v_fmac_f64_e32 v[124:125], v[108:109], v[90:91]
	ds_load_b64 v[90:91], v2 offset:664
	s_wait_loadcnt 0x1
	v_fmac_f64_e32 v[124:125], v[94:95], v[92:93]
	s_wait_dscnt 0x1
	v_fmac_f64_e32 v[124:125], v[96:97], v[98:99]
	s_wait_loadcnt 0x0
	s_delay_alu instid0(VALU_DEP_1) | instskip(SKIP_1) | instid1(VALU_DEP_1)
	v_fmac_f64_e32 v[124:125], v[110:111], v[100:101]
	s_wait_dscnt 0x0
	v_fmac_f64_e32 v[124:125], v[112:113], v[90:91]
	s_delay_alu instid0(VALU_DEP_1)
	v_add_f64_e64 v[88:89], v[88:89], -v[124:125]
	scratch_store_b64 off, v[88:89], off offset:64
	s_wait_xcnt 0x0
	v_cmpx_lt_u32_e32 7, v0
	s_cbranch_execz .LBB41_247
; %bb.246:
	scratch_load_b64 v[88:89], off, off offset:56
	v_mov_b64_e32 v[90:91], 0
	scratch_store_b64 off, v[90:91], off offset:56
	s_wait_loadcnt 0x0
	ds_store_b64 v1, v[88:89]
.LBB41_247:
	s_wait_xcnt 0x0
	s_or_b32 exec_lo, exec_lo, s0
	s_wait_storecnt_dscnt 0x0
	s_barrier_signal -1
	s_barrier_wait -1
	s_clause 0x5
	scratch_load_b128 v[88:91], off, off offset:56
	scratch_load_b128 v[92:95], off, off offset:72
	;; [unrolled: 1-line block ×6, first 2 shown]
	ds_load_b128 v[112:115], v2 offset:400
	ds_load_b128 v[116:119], v2 offset:416
	scratch_load_b128 v[120:123], off, off offset:152
	s_mov_b32 s0, exec_lo
	s_wait_loadcnt_dscnt 0x601
	v_fma_f64 v[124:125], v[90:91], v[112:113], 0
	s_wait_loadcnt 0x5
	s_delay_alu instid0(VALU_DEP_1) | instskip(SKIP_4) | instid1(VALU_DEP_1)
	v_fmac_f64_e32 v[124:125], v[92:93], v[114:115]
	scratch_load_b128 v[90:93], off, off offset:168
	s_wait_dscnt 0x0
	v_fmac_f64_e32 v[124:125], v[94:95], v[116:117]
	s_wait_loadcnt 0x5
	v_fmac_f64_e32 v[124:125], v[96:97], v[118:119]
	ds_load_b128 v[94:97], v2 offset:432
	ds_load_b128 v[112:115], v2 offset:448
	scratch_load_b128 v[116:119], off, off offset:184
	s_wait_dscnt 0x1
	v_fmac_f64_e32 v[124:125], v[98:99], v[94:95]
	s_wait_loadcnt 0x5
	s_delay_alu instid0(VALU_DEP_1) | instskip(SKIP_4) | instid1(VALU_DEP_1)
	v_fmac_f64_e32 v[124:125], v[100:101], v[96:97]
	scratch_load_b128 v[94:97], off, off offset:200
	s_wait_dscnt 0x0
	v_fmac_f64_e32 v[124:125], v[102:103], v[112:113]
	s_wait_loadcnt 0x5
	v_fmac_f64_e32 v[124:125], v[104:105], v[114:115]
	ds_load_b128 v[98:101], v2 offset:464
	ds_load_b128 v[102:105], v2 offset:480
	scratch_load_b128 v[112:115], off, off offset:216
	s_wait_dscnt 0x1
	v_fmac_f64_e32 v[124:125], v[106:107], v[98:99]
	s_wait_loadcnt 0x5
	s_delay_alu instid0(VALU_DEP_1) | instskip(SKIP_4) | instid1(VALU_DEP_1)
	v_fmac_f64_e32 v[124:125], v[108:109], v[100:101]
	scratch_load_b128 v[98:101], off, off offset:232
	s_wait_dscnt 0x0
	v_fmac_f64_e32 v[124:125], v[110:111], v[102:103]
	s_wait_loadcnt 0x5
	v_fmac_f64_e32 v[124:125], v[120:121], v[104:105]
	ds_load_b128 v[102:105], v2 offset:496
	ds_load_b128 v[106:109], v2 offset:512
	s_wait_dscnt 0x1
	v_fmac_f64_e32 v[124:125], v[122:123], v[102:103]
	scratch_load_b128 v[120:123], off, off offset:248
	s_wait_loadcnt 0x5
	v_fmac_f64_e32 v[124:125], v[90:91], v[104:105]
	s_wait_dscnt 0x0
	s_delay_alu instid0(VALU_DEP_1)
	v_fmac_f64_e32 v[124:125], v[92:93], v[106:107]
	scratch_load_b128 v[90:93], off, off offset:264
	s_wait_loadcnt 0x5
	v_fmac_f64_e32 v[124:125], v[116:117], v[108:109]
	ds_load_b128 v[102:105], v2 offset:528
	ds_load_b128 v[106:109], v2 offset:544
	s_wait_dscnt 0x1
	v_fmac_f64_e32 v[124:125], v[118:119], v[102:103]
	s_wait_loadcnt 0x4
	s_delay_alu instid0(VALU_DEP_1)
	v_fmac_f64_e32 v[124:125], v[94:95], v[104:105]
	scratch_load_b128 v[102:105], off, off offset:280
	s_wait_dscnt 0x0
	v_fmac_f64_e32 v[124:125], v[96:97], v[106:107]
	scratch_load_b128 v[94:97], off, off offset:296
	s_wait_loadcnt 0x5
	v_fmac_f64_e32 v[124:125], v[112:113], v[108:109]
	ds_load_b128 v[106:109], v2 offset:560
	ds_load_b128 v[110:113], v2 offset:576
	s_wait_dscnt 0x1
	v_fmac_f64_e32 v[124:125], v[114:115], v[106:107]
	scratch_load_b64 v[114:115], off, off offset:328
	s_wait_loadcnt 0x5
	v_fmac_f64_e32 v[124:125], v[98:99], v[108:109]
	scratch_load_b128 v[106:109], off, off offset:312
	s_wait_dscnt 0x0
	v_fmac_f64_e32 v[124:125], v[100:101], v[110:111]
	s_wait_loadcnt 0x5
	s_delay_alu instid0(VALU_DEP_1)
	v_fmac_f64_e32 v[124:125], v[120:121], v[112:113]
	ds_load_b128 v[98:101], v2 offset:592
	ds_load_b128 v[110:113], v2 offset:608
	s_wait_dscnt 0x1
	v_fmac_f64_e32 v[124:125], v[122:123], v[98:99]
	s_wait_loadcnt 0x4
	s_delay_alu instid0(VALU_DEP_1) | instskip(SKIP_1) | instid1(VALU_DEP_1)
	v_fmac_f64_e32 v[124:125], v[90:91], v[100:101]
	s_wait_dscnt 0x0
	v_fmac_f64_e32 v[124:125], v[92:93], v[110:111]
	ds_load_b128 v[90:93], v2 offset:624
	ds_load_b128 v[98:101], v2 offset:640
	s_wait_loadcnt 0x3
	v_fmac_f64_e32 v[124:125], v[102:103], v[112:113]
	s_wait_dscnt 0x1
	s_delay_alu instid0(VALU_DEP_1) | instskip(SKIP_1) | instid1(VALU_DEP_1)
	v_fmac_f64_e32 v[124:125], v[104:105], v[90:91]
	s_wait_loadcnt 0x2
	v_fmac_f64_e32 v[124:125], v[94:95], v[92:93]
	ds_load_b128 v[90:93], v2 offset:656
	s_wait_dscnt 0x1
	v_fmac_f64_e32 v[124:125], v[96:97], v[98:99]
	s_wait_loadcnt 0x0
	s_delay_alu instid0(VALU_DEP_1) | instskip(SKIP_1) | instid1(VALU_DEP_1)
	v_fmac_f64_e32 v[124:125], v[106:107], v[100:101]
	s_wait_dscnt 0x0
	v_fmac_f64_e32 v[124:125], v[108:109], v[90:91]
	s_delay_alu instid0(VALU_DEP_1) | instskip(NEXT) | instid1(VALU_DEP_1)
	v_fmac_f64_e32 v[124:125], v[114:115], v[92:93]
	v_add_f64_e64 v[2:3], v[88:89], -v[124:125]
	scratch_store_b64 off, v[2:3], off offset:56
	s_wait_xcnt 0x0
	v_cmpx_lt_u32_e32 6, v0
	s_cbranch_execz .LBB41_249
; %bb.248:
	scratch_load_b64 v[2:3], off, off offset:48
	v_mov_b64_e32 v[88:89], 0
	scratch_store_b64 off, v[88:89], off offset:48
	s_wait_loadcnt 0x0
	ds_store_b64 v1, v[2:3]
.LBB41_249:
	s_wait_xcnt 0x0
	s_or_b32 exec_lo, exec_lo, s0
	s_wait_storecnt_dscnt 0x0
	s_barrier_signal -1
	s_barrier_wait -1
	s_clause 0x5
	scratch_load_b128 v[88:91], off, off offset:48
	scratch_load_b128 v[92:95], off, off offset:64
	;; [unrolled: 1-line block ×6, first 2 shown]
	v_mov_b32_e32 v2, 0
	ds_load_2addr_b64 v[112:115], v2 offset0:49 offset1:50
	ds_load_2addr_b64 v[116:119], v2 offset0:51 offset1:52
	scratch_load_b128 v[120:123], off, off offset:144
	s_mov_b32 s0, exec_lo
	s_wait_loadcnt_dscnt 0x601
	v_fma_f64 v[124:125], v[90:91], v[112:113], 0
	s_wait_loadcnt 0x5
	s_delay_alu instid0(VALU_DEP_1) | instskip(SKIP_4) | instid1(VALU_DEP_1)
	v_fmac_f64_e32 v[124:125], v[92:93], v[114:115]
	scratch_load_b128 v[90:93], off, off offset:160
	s_wait_dscnt 0x0
	v_fmac_f64_e32 v[124:125], v[94:95], v[116:117]
	s_wait_loadcnt 0x5
	v_fmac_f64_e32 v[124:125], v[96:97], v[118:119]
	ds_load_2addr_b64 v[94:97], v2 offset0:53 offset1:54
	ds_load_2addr_b64 v[112:115], v2 offset0:55 offset1:56
	scratch_load_b128 v[116:119], off, off offset:176
	s_wait_dscnt 0x1
	v_fmac_f64_e32 v[124:125], v[98:99], v[94:95]
	s_wait_loadcnt 0x5
	s_delay_alu instid0(VALU_DEP_1) | instskip(SKIP_4) | instid1(VALU_DEP_1)
	v_fmac_f64_e32 v[124:125], v[100:101], v[96:97]
	scratch_load_b128 v[94:97], off, off offset:192
	s_wait_dscnt 0x0
	v_fmac_f64_e32 v[124:125], v[102:103], v[112:113]
	s_wait_loadcnt 0x5
	v_fmac_f64_e32 v[124:125], v[104:105], v[114:115]
	ds_load_2addr_b64 v[98:101], v2 offset0:57 offset1:58
	ds_load_2addr_b64 v[102:105], v2 offset0:59 offset1:60
	scratch_load_b128 v[112:115], off, off offset:208
	s_wait_dscnt 0x1
	v_fmac_f64_e32 v[124:125], v[106:107], v[98:99]
	s_wait_loadcnt 0x5
	s_delay_alu instid0(VALU_DEP_1) | instskip(SKIP_4) | instid1(VALU_DEP_1)
	v_fmac_f64_e32 v[124:125], v[108:109], v[100:101]
	scratch_load_b128 v[98:101], off, off offset:224
	s_wait_dscnt 0x0
	v_fmac_f64_e32 v[124:125], v[110:111], v[102:103]
	s_wait_loadcnt 0x5
	v_fmac_f64_e32 v[124:125], v[120:121], v[104:105]
	ds_load_2addr_b64 v[102:105], v2 offset0:61 offset1:62
	ds_load_2addr_b64 v[106:109], v2 offset0:63 offset1:64
	s_wait_dscnt 0x1
	v_fmac_f64_e32 v[124:125], v[122:123], v[102:103]
	scratch_load_b128 v[120:123], off, off offset:240
	s_wait_loadcnt 0x5
	v_fmac_f64_e32 v[124:125], v[90:91], v[104:105]
	s_wait_dscnt 0x0
	s_delay_alu instid0(VALU_DEP_1)
	v_fmac_f64_e32 v[124:125], v[92:93], v[106:107]
	scratch_load_b128 v[90:93], off, off offset:256
	s_wait_loadcnt 0x5
	v_fmac_f64_e32 v[124:125], v[116:117], v[108:109]
	ds_load_2addr_b64 v[102:105], v2 offset0:65 offset1:66
	ds_load_2addr_b64 v[106:109], v2 offset0:67 offset1:68
	s_wait_dscnt 0x1
	v_fmac_f64_e32 v[124:125], v[118:119], v[102:103]
	s_wait_loadcnt 0x4
	s_delay_alu instid0(VALU_DEP_1)
	v_fmac_f64_e32 v[124:125], v[94:95], v[104:105]
	scratch_load_b128 v[102:105], off, off offset:272
	s_wait_dscnt 0x0
	v_fmac_f64_e32 v[124:125], v[96:97], v[106:107]
	scratch_load_b128 v[94:97], off, off offset:288
	s_wait_loadcnt 0x5
	v_fmac_f64_e32 v[124:125], v[112:113], v[108:109]
	ds_load_2addr_b64 v[106:109], v2 offset0:69 offset1:70
	ds_load_2addr_b64 v[110:113], v2 offset0:71 offset1:72
	s_wait_dscnt 0x1
	v_fmac_f64_e32 v[124:125], v[114:115], v[106:107]
	s_wait_loadcnt 0x4
	s_delay_alu instid0(VALU_DEP_1)
	v_fmac_f64_e32 v[124:125], v[98:99], v[108:109]
	scratch_load_b128 v[106:109], off, off offset:304
	s_wait_dscnt 0x0
	v_fmac_f64_e32 v[124:125], v[100:101], v[110:111]
	scratch_load_b128 v[98:101], off, off offset:320
	s_wait_loadcnt 0x5
	v_fmac_f64_e32 v[124:125], v[120:121], v[112:113]
	ds_load_2addr_b64 v[110:113], v2 offset0:73 offset1:74
	ds_load_2addr_b64 v[114:117], v2 offset0:75 offset1:76
	s_wait_dscnt 0x1
	v_fmac_f64_e32 v[124:125], v[122:123], v[110:111]
	s_wait_loadcnt 0x4
	s_delay_alu instid0(VALU_DEP_1) | instskip(SKIP_1) | instid1(VALU_DEP_1)
	v_fmac_f64_e32 v[124:125], v[90:91], v[112:113]
	s_wait_dscnt 0x0
	v_fmac_f64_e32 v[124:125], v[92:93], v[114:115]
	ds_load_2addr_b64 v[90:93], v2 offset0:77 offset1:78
	ds_load_2addr_b64 v[110:113], v2 offset0:79 offset1:80
	s_wait_loadcnt 0x3
	v_fmac_f64_e32 v[124:125], v[102:103], v[116:117]
	s_wait_dscnt 0x1
	s_delay_alu instid0(VALU_DEP_1) | instskip(SKIP_1) | instid1(VALU_DEP_1)
	v_fmac_f64_e32 v[124:125], v[104:105], v[90:91]
	s_wait_loadcnt 0x2
	v_fmac_f64_e32 v[124:125], v[94:95], v[92:93]
	ds_load_2addr_b64 v[90:93], v2 offset0:81 offset1:82
	ds_load_b64 v[94:95], v2 offset:664
	s_wait_dscnt 0x2
	v_fmac_f64_e32 v[124:125], v[96:97], v[110:111]
	s_wait_loadcnt 0x1
	s_delay_alu instid0(VALU_DEP_1) | instskip(SKIP_1) | instid1(VALU_DEP_1)
	v_fmac_f64_e32 v[124:125], v[106:107], v[112:113]
	s_wait_dscnt 0x1
	v_fmac_f64_e32 v[124:125], v[108:109], v[90:91]
	s_wait_loadcnt 0x0
	s_delay_alu instid0(VALU_DEP_1) | instskip(SKIP_1) | instid1(VALU_DEP_1)
	v_fmac_f64_e32 v[124:125], v[98:99], v[92:93]
	s_wait_dscnt 0x0
	v_fmac_f64_e32 v[124:125], v[100:101], v[94:95]
	s_delay_alu instid0(VALU_DEP_1)
	v_add_f64_e64 v[88:89], v[88:89], -v[124:125]
	scratch_store_b64 off, v[88:89], off offset:48
	s_wait_xcnt 0x0
	v_cmpx_lt_u32_e32 5, v0
	s_cbranch_execz .LBB41_251
; %bb.250:
	scratch_load_b64 v[88:89], off, off offset:40
	v_mov_b64_e32 v[90:91], 0
	scratch_store_b64 off, v[90:91], off offset:40
	s_wait_loadcnt 0x0
	ds_store_b64 v1, v[88:89]
.LBB41_251:
	s_wait_xcnt 0x0
	s_or_b32 exec_lo, exec_lo, s0
	s_wait_storecnt_dscnt 0x0
	s_barrier_signal -1
	s_barrier_wait -1
	s_clause 0x5
	scratch_load_b128 v[88:91], off, off offset:40
	scratch_load_b128 v[92:95], off, off offset:56
	scratch_load_b128 v[96:99], off, off offset:72
	scratch_load_b128 v[100:103], off, off offset:88
	scratch_load_b128 v[104:107], off, off offset:104
	scratch_load_b128 v[108:111], off, off offset:120
	ds_load_b128 v[112:115], v2 offset:384
	ds_load_b128 v[116:119], v2 offset:400
	scratch_load_b128 v[120:123], off, off offset:136
	s_mov_b32 s0, exec_lo
	s_wait_loadcnt_dscnt 0x601
	v_fma_f64 v[124:125], v[90:91], v[112:113], 0
	s_wait_loadcnt 0x5
	s_delay_alu instid0(VALU_DEP_1) | instskip(SKIP_4) | instid1(VALU_DEP_1)
	v_fmac_f64_e32 v[124:125], v[92:93], v[114:115]
	scratch_load_b128 v[90:93], off, off offset:152
	s_wait_dscnt 0x0
	v_fmac_f64_e32 v[124:125], v[94:95], v[116:117]
	s_wait_loadcnt 0x5
	v_fmac_f64_e32 v[124:125], v[96:97], v[118:119]
	ds_load_b128 v[94:97], v2 offset:416
	ds_load_b128 v[112:115], v2 offset:432
	scratch_load_b128 v[116:119], off, off offset:168
	s_wait_dscnt 0x1
	v_fmac_f64_e32 v[124:125], v[98:99], v[94:95]
	s_wait_loadcnt 0x5
	s_delay_alu instid0(VALU_DEP_1) | instskip(SKIP_4) | instid1(VALU_DEP_1)
	v_fmac_f64_e32 v[124:125], v[100:101], v[96:97]
	scratch_load_b128 v[94:97], off, off offset:184
	s_wait_dscnt 0x0
	v_fmac_f64_e32 v[124:125], v[102:103], v[112:113]
	s_wait_loadcnt 0x5
	v_fmac_f64_e32 v[124:125], v[104:105], v[114:115]
	ds_load_b128 v[98:101], v2 offset:448
	ds_load_b128 v[102:105], v2 offset:464
	scratch_load_b128 v[112:115], off, off offset:200
	s_wait_dscnt 0x1
	v_fmac_f64_e32 v[124:125], v[106:107], v[98:99]
	s_wait_loadcnt 0x5
	s_delay_alu instid0(VALU_DEP_1) | instskip(SKIP_4) | instid1(VALU_DEP_1)
	v_fmac_f64_e32 v[124:125], v[108:109], v[100:101]
	scratch_load_b128 v[98:101], off, off offset:216
	s_wait_dscnt 0x0
	v_fmac_f64_e32 v[124:125], v[110:111], v[102:103]
	s_wait_loadcnt 0x5
	v_fmac_f64_e32 v[124:125], v[120:121], v[104:105]
	ds_load_b128 v[102:105], v2 offset:480
	ds_load_b128 v[106:109], v2 offset:496
	s_wait_dscnt 0x1
	v_fmac_f64_e32 v[124:125], v[122:123], v[102:103]
	scratch_load_b128 v[120:123], off, off offset:232
	s_wait_loadcnt 0x5
	v_fmac_f64_e32 v[124:125], v[90:91], v[104:105]
	s_wait_dscnt 0x0
	s_delay_alu instid0(VALU_DEP_1)
	v_fmac_f64_e32 v[124:125], v[92:93], v[106:107]
	scratch_load_b128 v[90:93], off, off offset:248
	s_wait_loadcnt 0x5
	v_fmac_f64_e32 v[124:125], v[116:117], v[108:109]
	ds_load_b128 v[102:105], v2 offset:512
	ds_load_b128 v[106:109], v2 offset:528
	s_wait_dscnt 0x1
	v_fmac_f64_e32 v[124:125], v[118:119], v[102:103]
	s_wait_loadcnt 0x4
	s_delay_alu instid0(VALU_DEP_1)
	v_fmac_f64_e32 v[124:125], v[94:95], v[104:105]
	scratch_load_b128 v[102:105], off, off offset:264
	s_wait_dscnt 0x0
	v_fmac_f64_e32 v[124:125], v[96:97], v[106:107]
	scratch_load_b128 v[94:97], off, off offset:280
	s_wait_loadcnt 0x5
	v_fmac_f64_e32 v[124:125], v[112:113], v[108:109]
	ds_load_b128 v[106:109], v2 offset:544
	ds_load_b128 v[110:113], v2 offset:560
	s_wait_dscnt 0x1
	v_fmac_f64_e32 v[124:125], v[114:115], v[106:107]
	s_wait_loadcnt 0x4
	s_delay_alu instid0(VALU_DEP_1)
	v_fmac_f64_e32 v[124:125], v[98:99], v[108:109]
	scratch_load_b128 v[106:109], off, off offset:296
	s_wait_dscnt 0x0
	v_fmac_f64_e32 v[124:125], v[100:101], v[110:111]
	scratch_load_b128 v[98:101], off, off offset:312
	s_wait_loadcnt 0x5
	v_fmac_f64_e32 v[124:125], v[120:121], v[112:113]
	ds_load_b128 v[110:113], v2 offset:576
	ds_load_b128 v[114:117], v2 offset:592
	scratch_load_b64 v[118:119], off, off offset:328
	s_wait_dscnt 0x1
	v_fmac_f64_e32 v[124:125], v[122:123], v[110:111]
	s_wait_loadcnt 0x5
	s_delay_alu instid0(VALU_DEP_1) | instskip(SKIP_1) | instid1(VALU_DEP_1)
	v_fmac_f64_e32 v[124:125], v[90:91], v[112:113]
	s_wait_dscnt 0x0
	v_fmac_f64_e32 v[124:125], v[92:93], v[114:115]
	ds_load_b128 v[90:93], v2 offset:608
	ds_load_b128 v[110:113], v2 offset:624
	s_wait_loadcnt 0x4
	v_fmac_f64_e32 v[124:125], v[102:103], v[116:117]
	s_wait_dscnt 0x1
	s_delay_alu instid0(VALU_DEP_1) | instskip(SKIP_1) | instid1(VALU_DEP_1)
	v_fmac_f64_e32 v[124:125], v[104:105], v[90:91]
	s_wait_loadcnt 0x3
	v_fmac_f64_e32 v[124:125], v[94:95], v[92:93]
	s_wait_dscnt 0x0
	s_delay_alu instid0(VALU_DEP_1)
	v_fmac_f64_e32 v[124:125], v[96:97], v[110:111]
	ds_load_b128 v[90:93], v2 offset:640
	ds_load_b128 v[94:97], v2 offset:656
	s_wait_loadcnt 0x2
	v_fmac_f64_e32 v[124:125], v[106:107], v[112:113]
	s_wait_dscnt 0x1
	s_delay_alu instid0(VALU_DEP_1) | instskip(SKIP_1) | instid1(VALU_DEP_1)
	v_fmac_f64_e32 v[124:125], v[108:109], v[90:91]
	s_wait_loadcnt 0x1
	v_fmac_f64_e32 v[124:125], v[98:99], v[92:93]
	s_wait_dscnt 0x0
	s_delay_alu instid0(VALU_DEP_1) | instskip(SKIP_1) | instid1(VALU_DEP_1)
	v_fmac_f64_e32 v[124:125], v[100:101], v[94:95]
	s_wait_loadcnt 0x0
	v_fmac_f64_e32 v[124:125], v[118:119], v[96:97]
	s_delay_alu instid0(VALU_DEP_1)
	v_add_f64_e64 v[2:3], v[88:89], -v[124:125]
	scratch_store_b64 off, v[2:3], off offset:40
	s_wait_xcnt 0x0
	v_cmpx_lt_u32_e32 4, v0
	s_cbranch_execz .LBB41_253
; %bb.252:
	scratch_load_b64 v[2:3], off, off offset:32
	v_mov_b64_e32 v[88:89], 0
	scratch_store_b64 off, v[88:89], off offset:32
	s_wait_loadcnt 0x0
	ds_store_b64 v1, v[2:3]
.LBB41_253:
	s_wait_xcnt 0x0
	s_or_b32 exec_lo, exec_lo, s0
	s_wait_storecnt_dscnt 0x0
	s_barrier_signal -1
	s_barrier_wait -1
	s_clause 0x5
	scratch_load_b128 v[88:91], off, off offset:32
	scratch_load_b128 v[92:95], off, off offset:48
	;; [unrolled: 1-line block ×6, first 2 shown]
	v_mov_b32_e32 v2, 0
	ds_load_2addr_b64 v[112:115], v2 offset0:47 offset1:48
	ds_load_2addr_b64 v[116:119], v2 offset0:49 offset1:50
	scratch_load_b128 v[120:123], off, off offset:128
	s_mov_b32 s0, exec_lo
	s_wait_loadcnt_dscnt 0x601
	v_fma_f64 v[124:125], v[90:91], v[112:113], 0
	s_wait_loadcnt 0x5
	s_delay_alu instid0(VALU_DEP_1) | instskip(SKIP_4) | instid1(VALU_DEP_1)
	v_fmac_f64_e32 v[124:125], v[92:93], v[114:115]
	scratch_load_b128 v[90:93], off, off offset:144
	s_wait_dscnt 0x0
	v_fmac_f64_e32 v[124:125], v[94:95], v[116:117]
	s_wait_loadcnt 0x5
	v_fmac_f64_e32 v[124:125], v[96:97], v[118:119]
	ds_load_2addr_b64 v[94:97], v2 offset0:51 offset1:52
	ds_load_2addr_b64 v[112:115], v2 offset0:53 offset1:54
	scratch_load_b128 v[116:119], off, off offset:160
	s_wait_dscnt 0x1
	v_fmac_f64_e32 v[124:125], v[98:99], v[94:95]
	s_wait_loadcnt 0x5
	s_delay_alu instid0(VALU_DEP_1) | instskip(SKIP_4) | instid1(VALU_DEP_1)
	v_fmac_f64_e32 v[124:125], v[100:101], v[96:97]
	scratch_load_b128 v[94:97], off, off offset:176
	s_wait_dscnt 0x0
	v_fmac_f64_e32 v[124:125], v[102:103], v[112:113]
	s_wait_loadcnt 0x5
	v_fmac_f64_e32 v[124:125], v[104:105], v[114:115]
	ds_load_2addr_b64 v[98:101], v2 offset0:55 offset1:56
	ds_load_2addr_b64 v[102:105], v2 offset0:57 offset1:58
	scratch_load_b128 v[112:115], off, off offset:192
	s_wait_dscnt 0x1
	v_fmac_f64_e32 v[124:125], v[106:107], v[98:99]
	s_wait_loadcnt 0x5
	s_delay_alu instid0(VALU_DEP_1) | instskip(SKIP_4) | instid1(VALU_DEP_1)
	v_fmac_f64_e32 v[124:125], v[108:109], v[100:101]
	scratch_load_b128 v[98:101], off, off offset:208
	s_wait_dscnt 0x0
	v_fmac_f64_e32 v[124:125], v[110:111], v[102:103]
	s_wait_loadcnt 0x5
	v_fmac_f64_e32 v[124:125], v[120:121], v[104:105]
	ds_load_2addr_b64 v[102:105], v2 offset0:59 offset1:60
	ds_load_2addr_b64 v[106:109], v2 offset0:61 offset1:62
	s_wait_dscnt 0x1
	v_fmac_f64_e32 v[124:125], v[122:123], v[102:103]
	scratch_load_b128 v[120:123], off, off offset:224
	s_wait_loadcnt 0x5
	v_fmac_f64_e32 v[124:125], v[90:91], v[104:105]
	s_wait_dscnt 0x0
	s_delay_alu instid0(VALU_DEP_1)
	v_fmac_f64_e32 v[124:125], v[92:93], v[106:107]
	scratch_load_b128 v[90:93], off, off offset:240
	s_wait_loadcnt 0x5
	v_fmac_f64_e32 v[124:125], v[116:117], v[108:109]
	ds_load_2addr_b64 v[102:105], v2 offset0:63 offset1:64
	ds_load_2addr_b64 v[106:109], v2 offset0:65 offset1:66
	s_wait_dscnt 0x1
	v_fmac_f64_e32 v[124:125], v[118:119], v[102:103]
	s_wait_loadcnt 0x4
	s_delay_alu instid0(VALU_DEP_1)
	v_fmac_f64_e32 v[124:125], v[94:95], v[104:105]
	scratch_load_b128 v[102:105], off, off offset:256
	s_wait_dscnt 0x0
	v_fmac_f64_e32 v[124:125], v[96:97], v[106:107]
	scratch_load_b128 v[94:97], off, off offset:272
	s_wait_loadcnt 0x5
	v_fmac_f64_e32 v[124:125], v[112:113], v[108:109]
	ds_load_2addr_b64 v[106:109], v2 offset0:67 offset1:68
	ds_load_2addr_b64 v[110:113], v2 offset0:69 offset1:70
	s_wait_dscnt 0x1
	v_fmac_f64_e32 v[124:125], v[114:115], v[106:107]
	s_wait_loadcnt 0x4
	s_delay_alu instid0(VALU_DEP_1)
	v_fmac_f64_e32 v[124:125], v[98:99], v[108:109]
	scratch_load_b128 v[106:109], off, off offset:288
	s_wait_dscnt 0x0
	v_fmac_f64_e32 v[124:125], v[100:101], v[110:111]
	scratch_load_b128 v[98:101], off, off offset:304
	s_wait_loadcnt 0x5
	v_fmac_f64_e32 v[124:125], v[120:121], v[112:113]
	ds_load_2addr_b64 v[110:113], v2 offset0:71 offset1:72
	ds_load_2addr_b64 v[114:117], v2 offset0:73 offset1:74
	s_wait_dscnt 0x1
	v_fmac_f64_e32 v[124:125], v[122:123], v[110:111]
	s_wait_loadcnt 0x4
	s_delay_alu instid0(VALU_DEP_1) | instskip(SKIP_4) | instid1(VALU_DEP_1)
	v_fmac_f64_e32 v[124:125], v[90:91], v[112:113]
	scratch_load_b128 v[110:113], off, off offset:320
	s_wait_dscnt 0x0
	v_fmac_f64_e32 v[124:125], v[92:93], v[114:115]
	s_wait_loadcnt 0x4
	v_fmac_f64_e32 v[124:125], v[102:103], v[116:117]
	ds_load_2addr_b64 v[90:93], v2 offset0:75 offset1:76
	ds_load_2addr_b64 v[114:117], v2 offset0:77 offset1:78
	s_wait_dscnt 0x1
	v_fmac_f64_e32 v[124:125], v[104:105], v[90:91]
	s_wait_loadcnt 0x3
	s_delay_alu instid0(VALU_DEP_1) | instskip(SKIP_1) | instid1(VALU_DEP_1)
	v_fmac_f64_e32 v[124:125], v[94:95], v[92:93]
	s_wait_dscnt 0x0
	v_fmac_f64_e32 v[124:125], v[96:97], v[114:115]
	ds_load_2addr_b64 v[90:93], v2 offset0:79 offset1:80
	ds_load_2addr_b64 v[94:97], v2 offset0:81 offset1:82
	s_wait_loadcnt 0x2
	v_fmac_f64_e32 v[124:125], v[106:107], v[116:117]
	s_wait_dscnt 0x1
	s_delay_alu instid0(VALU_DEP_1) | instskip(SKIP_4) | instid1(VALU_DEP_1)
	v_fmac_f64_e32 v[124:125], v[108:109], v[90:91]
	ds_load_b64 v[90:91], v2 offset:664
	s_wait_loadcnt 0x1
	v_fmac_f64_e32 v[124:125], v[98:99], v[92:93]
	s_wait_dscnt 0x1
	v_fmac_f64_e32 v[124:125], v[100:101], v[94:95]
	s_wait_loadcnt 0x0
	s_delay_alu instid0(VALU_DEP_1) | instskip(SKIP_1) | instid1(VALU_DEP_1)
	v_fmac_f64_e32 v[124:125], v[110:111], v[96:97]
	s_wait_dscnt 0x0
	v_fmac_f64_e32 v[124:125], v[112:113], v[90:91]
	s_delay_alu instid0(VALU_DEP_1)
	v_add_f64_e64 v[88:89], v[88:89], -v[124:125]
	scratch_store_b64 off, v[88:89], off offset:32
	s_wait_xcnt 0x0
	v_cmpx_lt_u32_e32 3, v0
	s_cbranch_execz .LBB41_255
; %bb.254:
	scratch_load_b64 v[88:89], off, off offset:24
	v_mov_b64_e32 v[90:91], 0
	scratch_store_b64 off, v[90:91], off offset:24
	s_wait_loadcnt 0x0
	ds_store_b64 v1, v[88:89]
.LBB41_255:
	s_wait_xcnt 0x0
	s_or_b32 exec_lo, exec_lo, s0
	s_wait_storecnt_dscnt 0x0
	s_barrier_signal -1
	s_barrier_wait -1
	s_clause 0x5
	scratch_load_b128 v[88:91], off, off offset:24
	scratch_load_b128 v[92:95], off, off offset:40
	;; [unrolled: 1-line block ×6, first 2 shown]
	ds_load_b128 v[112:115], v2 offset:368
	ds_load_b128 v[116:119], v2 offset:384
	scratch_load_b128 v[120:123], off, off offset:120
	s_mov_b32 s0, exec_lo
	s_wait_loadcnt_dscnt 0x601
	v_fma_f64 v[124:125], v[90:91], v[112:113], 0
	s_wait_loadcnt 0x5
	s_delay_alu instid0(VALU_DEP_1) | instskip(SKIP_4) | instid1(VALU_DEP_1)
	v_fmac_f64_e32 v[124:125], v[92:93], v[114:115]
	scratch_load_b128 v[90:93], off, off offset:136
	s_wait_dscnt 0x0
	v_fmac_f64_e32 v[124:125], v[94:95], v[116:117]
	s_wait_loadcnt 0x5
	v_fmac_f64_e32 v[124:125], v[96:97], v[118:119]
	ds_load_b128 v[94:97], v2 offset:400
	ds_load_b128 v[112:115], v2 offset:416
	scratch_load_b128 v[116:119], off, off offset:152
	s_wait_dscnt 0x1
	v_fmac_f64_e32 v[124:125], v[98:99], v[94:95]
	s_wait_loadcnt 0x5
	s_delay_alu instid0(VALU_DEP_1) | instskip(SKIP_4) | instid1(VALU_DEP_1)
	v_fmac_f64_e32 v[124:125], v[100:101], v[96:97]
	scratch_load_b128 v[94:97], off, off offset:168
	s_wait_dscnt 0x0
	v_fmac_f64_e32 v[124:125], v[102:103], v[112:113]
	s_wait_loadcnt 0x5
	v_fmac_f64_e32 v[124:125], v[104:105], v[114:115]
	ds_load_b128 v[98:101], v2 offset:432
	ds_load_b128 v[102:105], v2 offset:448
	scratch_load_b128 v[112:115], off, off offset:184
	s_wait_dscnt 0x1
	v_fmac_f64_e32 v[124:125], v[106:107], v[98:99]
	s_wait_loadcnt 0x5
	s_delay_alu instid0(VALU_DEP_1) | instskip(SKIP_4) | instid1(VALU_DEP_1)
	v_fmac_f64_e32 v[124:125], v[108:109], v[100:101]
	scratch_load_b128 v[98:101], off, off offset:200
	s_wait_dscnt 0x0
	v_fmac_f64_e32 v[124:125], v[110:111], v[102:103]
	s_wait_loadcnt 0x5
	v_fmac_f64_e32 v[124:125], v[120:121], v[104:105]
	ds_load_b128 v[102:105], v2 offset:464
	ds_load_b128 v[106:109], v2 offset:480
	s_wait_dscnt 0x1
	v_fmac_f64_e32 v[124:125], v[122:123], v[102:103]
	scratch_load_b128 v[120:123], off, off offset:216
	s_wait_loadcnt 0x5
	v_fmac_f64_e32 v[124:125], v[90:91], v[104:105]
	s_wait_dscnt 0x0
	s_delay_alu instid0(VALU_DEP_1)
	v_fmac_f64_e32 v[124:125], v[92:93], v[106:107]
	scratch_load_b128 v[90:93], off, off offset:232
	s_wait_loadcnt 0x5
	v_fmac_f64_e32 v[124:125], v[116:117], v[108:109]
	ds_load_b128 v[102:105], v2 offset:496
	ds_load_b128 v[106:109], v2 offset:512
	s_wait_dscnt 0x1
	v_fmac_f64_e32 v[124:125], v[118:119], v[102:103]
	scratch_load_b128 v[116:119], off, off offset:248
	s_wait_loadcnt 0x5
	v_fmac_f64_e32 v[124:125], v[94:95], v[104:105]
	s_wait_dscnt 0x0
	s_delay_alu instid0(VALU_DEP_1)
	v_fmac_f64_e32 v[124:125], v[96:97], v[106:107]
	scratch_load_b128 v[94:97], off, off offset:264
	s_wait_loadcnt 0x5
	v_fmac_f64_e32 v[124:125], v[112:113], v[108:109]
	ds_load_b128 v[102:105], v2 offset:528
	ds_load_b128 v[106:109], v2 offset:544
	s_wait_dscnt 0x1
	v_fmac_f64_e32 v[124:125], v[114:115], v[102:103]
	s_wait_loadcnt 0x4
	s_delay_alu instid0(VALU_DEP_1)
	v_fmac_f64_e32 v[124:125], v[98:99], v[104:105]
	scratch_load_b128 v[102:105], off, off offset:280
	s_wait_dscnt 0x0
	v_fmac_f64_e32 v[124:125], v[100:101], v[106:107]
	scratch_load_b128 v[98:101], off, off offset:296
	s_wait_loadcnt 0x5
	v_fmac_f64_e32 v[124:125], v[120:121], v[108:109]
	ds_load_b128 v[106:109], v2 offset:560
	ds_load_b128 v[110:113], v2 offset:576
	scratch_load_b64 v[114:115], off, off offset:328
	s_wait_dscnt 0x1
	v_fmac_f64_e32 v[124:125], v[122:123], v[106:107]
	s_wait_loadcnt 0x5
	s_delay_alu instid0(VALU_DEP_1) | instskip(SKIP_4) | instid1(VALU_DEP_1)
	v_fmac_f64_e32 v[124:125], v[90:91], v[108:109]
	scratch_load_b128 v[106:109], off, off offset:312
	s_wait_dscnt 0x0
	v_fmac_f64_e32 v[124:125], v[92:93], v[110:111]
	s_wait_loadcnt 0x5
	v_fmac_f64_e32 v[124:125], v[116:117], v[112:113]
	ds_load_b128 v[90:93], v2 offset:592
	ds_load_b128 v[110:113], v2 offset:608
	s_wait_dscnt 0x1
	v_fmac_f64_e32 v[124:125], v[118:119], v[90:91]
	s_wait_loadcnt 0x4
	s_delay_alu instid0(VALU_DEP_1) | instskip(SKIP_1) | instid1(VALU_DEP_1)
	v_fmac_f64_e32 v[124:125], v[94:95], v[92:93]
	s_wait_dscnt 0x0
	v_fmac_f64_e32 v[124:125], v[96:97], v[110:111]
	ds_load_b128 v[90:93], v2 offset:624
	ds_load_b128 v[94:97], v2 offset:640
	s_wait_loadcnt 0x3
	v_fmac_f64_e32 v[124:125], v[102:103], v[112:113]
	s_wait_dscnt 0x1
	s_delay_alu instid0(VALU_DEP_1) | instskip(SKIP_1) | instid1(VALU_DEP_1)
	v_fmac_f64_e32 v[124:125], v[104:105], v[90:91]
	s_wait_loadcnt 0x2
	v_fmac_f64_e32 v[124:125], v[98:99], v[92:93]
	ds_load_b128 v[90:93], v2 offset:656
	s_wait_dscnt 0x1
	v_fmac_f64_e32 v[124:125], v[100:101], v[94:95]
	s_wait_loadcnt 0x0
	s_delay_alu instid0(VALU_DEP_1) | instskip(SKIP_1) | instid1(VALU_DEP_1)
	v_fmac_f64_e32 v[124:125], v[106:107], v[96:97]
	s_wait_dscnt 0x0
	v_fmac_f64_e32 v[124:125], v[108:109], v[90:91]
	s_delay_alu instid0(VALU_DEP_1) | instskip(NEXT) | instid1(VALU_DEP_1)
	v_fmac_f64_e32 v[124:125], v[114:115], v[92:93]
	v_add_f64_e64 v[2:3], v[88:89], -v[124:125]
	scratch_store_b64 off, v[2:3], off offset:24
	s_wait_xcnt 0x0
	v_cmpx_lt_u32_e32 2, v0
	s_cbranch_execz .LBB41_257
; %bb.256:
	scratch_load_b64 v[2:3], off, off offset:16
	v_mov_b64_e32 v[88:89], 0
	scratch_store_b64 off, v[88:89], off offset:16
	s_wait_loadcnt 0x0
	ds_store_b64 v1, v[2:3]
.LBB41_257:
	s_wait_xcnt 0x0
	s_or_b32 exec_lo, exec_lo, s0
	s_wait_storecnt_dscnt 0x0
	s_barrier_signal -1
	s_barrier_wait -1
	s_clause 0x5
	scratch_load_b128 v[88:91], off, off offset:16
	scratch_load_b128 v[92:95], off, off offset:32
	;; [unrolled: 1-line block ×6, first 2 shown]
	v_mov_b32_e32 v2, 0
	ds_load_2addr_b64 v[112:115], v2 offset0:45 offset1:46
	ds_load_2addr_b64 v[116:119], v2 offset0:47 offset1:48
	scratch_load_b128 v[120:123], off, off offset:112
	s_mov_b32 s0, exec_lo
	s_wait_loadcnt_dscnt 0x601
	v_fma_f64 v[124:125], v[90:91], v[112:113], 0
	s_wait_loadcnt 0x5
	s_delay_alu instid0(VALU_DEP_1) | instskip(SKIP_4) | instid1(VALU_DEP_1)
	v_fmac_f64_e32 v[124:125], v[92:93], v[114:115]
	scratch_load_b128 v[90:93], off, off offset:128
	s_wait_dscnt 0x0
	v_fmac_f64_e32 v[124:125], v[94:95], v[116:117]
	s_wait_loadcnt 0x5
	v_fmac_f64_e32 v[124:125], v[96:97], v[118:119]
	ds_load_2addr_b64 v[94:97], v2 offset0:49 offset1:50
	ds_load_2addr_b64 v[112:115], v2 offset0:51 offset1:52
	scratch_load_b128 v[116:119], off, off offset:144
	s_wait_dscnt 0x1
	v_fmac_f64_e32 v[124:125], v[98:99], v[94:95]
	s_wait_loadcnt 0x5
	s_delay_alu instid0(VALU_DEP_1) | instskip(SKIP_4) | instid1(VALU_DEP_1)
	v_fmac_f64_e32 v[124:125], v[100:101], v[96:97]
	scratch_load_b128 v[94:97], off, off offset:160
	s_wait_dscnt 0x0
	v_fmac_f64_e32 v[124:125], v[102:103], v[112:113]
	s_wait_loadcnt 0x5
	v_fmac_f64_e32 v[124:125], v[104:105], v[114:115]
	ds_load_2addr_b64 v[98:101], v2 offset0:53 offset1:54
	ds_load_2addr_b64 v[102:105], v2 offset0:55 offset1:56
	scratch_load_b128 v[112:115], off, off offset:176
	s_wait_dscnt 0x1
	v_fmac_f64_e32 v[124:125], v[106:107], v[98:99]
	s_wait_loadcnt 0x5
	s_delay_alu instid0(VALU_DEP_1) | instskip(SKIP_4) | instid1(VALU_DEP_1)
	v_fmac_f64_e32 v[124:125], v[108:109], v[100:101]
	scratch_load_b128 v[98:101], off, off offset:192
	s_wait_dscnt 0x0
	v_fmac_f64_e32 v[124:125], v[110:111], v[102:103]
	s_wait_loadcnt 0x5
	v_fmac_f64_e32 v[124:125], v[120:121], v[104:105]
	ds_load_2addr_b64 v[102:105], v2 offset0:57 offset1:58
	ds_load_2addr_b64 v[106:109], v2 offset0:59 offset1:60
	s_wait_dscnt 0x1
	v_fmac_f64_e32 v[124:125], v[122:123], v[102:103]
	scratch_load_b128 v[120:123], off, off offset:208
	s_wait_loadcnt 0x5
	v_fmac_f64_e32 v[124:125], v[90:91], v[104:105]
	s_wait_dscnt 0x0
	s_delay_alu instid0(VALU_DEP_1)
	v_fmac_f64_e32 v[124:125], v[92:93], v[106:107]
	scratch_load_b128 v[90:93], off, off offset:224
	s_wait_loadcnt 0x5
	v_fmac_f64_e32 v[124:125], v[116:117], v[108:109]
	ds_load_2addr_b64 v[102:105], v2 offset0:61 offset1:62
	ds_load_2addr_b64 v[106:109], v2 offset0:63 offset1:64
	s_wait_dscnt 0x1
	v_fmac_f64_e32 v[124:125], v[118:119], v[102:103]
	scratch_load_b128 v[116:119], off, off offset:240
	s_wait_loadcnt 0x5
	v_fmac_f64_e32 v[124:125], v[94:95], v[104:105]
	s_wait_dscnt 0x0
	s_delay_alu instid0(VALU_DEP_1)
	v_fmac_f64_e32 v[124:125], v[96:97], v[106:107]
	scratch_load_b128 v[94:97], off, off offset:256
	s_wait_loadcnt 0x5
	v_fmac_f64_e32 v[124:125], v[112:113], v[108:109]
	ds_load_2addr_b64 v[102:105], v2 offset0:65 offset1:66
	ds_load_2addr_b64 v[106:109], v2 offset0:67 offset1:68
	s_wait_dscnt 0x1
	v_fmac_f64_e32 v[124:125], v[114:115], v[102:103]
	s_wait_loadcnt 0x4
	s_delay_alu instid0(VALU_DEP_1)
	v_fmac_f64_e32 v[124:125], v[98:99], v[104:105]
	scratch_load_b128 v[102:105], off, off offset:272
	s_wait_dscnt 0x0
	v_fmac_f64_e32 v[124:125], v[100:101], v[106:107]
	scratch_load_b128 v[98:101], off, off offset:288
	s_wait_loadcnt 0x5
	v_fmac_f64_e32 v[124:125], v[120:121], v[108:109]
	ds_load_2addr_b64 v[106:109], v2 offset0:69 offset1:70
	ds_load_2addr_b64 v[110:113], v2 offset0:71 offset1:72
	s_wait_dscnt 0x1
	v_fmac_f64_e32 v[124:125], v[122:123], v[106:107]
	s_wait_loadcnt 0x4
	s_delay_alu instid0(VALU_DEP_1)
	v_fmac_f64_e32 v[124:125], v[90:91], v[108:109]
	scratch_load_b128 v[106:109], off, off offset:304
	s_wait_dscnt 0x0
	v_fmac_f64_e32 v[124:125], v[92:93], v[110:111]
	scratch_load_b128 v[90:93], off, off offset:320
	s_wait_loadcnt 0x5
	v_fmac_f64_e32 v[124:125], v[116:117], v[112:113]
	ds_load_2addr_b64 v[110:113], v2 offset0:73 offset1:74
	ds_load_2addr_b64 v[114:117], v2 offset0:75 offset1:76
	s_wait_dscnt 0x1
	v_fmac_f64_e32 v[124:125], v[118:119], v[110:111]
	s_wait_loadcnt 0x4
	s_delay_alu instid0(VALU_DEP_1) | instskip(SKIP_1) | instid1(VALU_DEP_1)
	v_fmac_f64_e32 v[124:125], v[94:95], v[112:113]
	s_wait_dscnt 0x0
	v_fmac_f64_e32 v[124:125], v[96:97], v[114:115]
	ds_load_2addr_b64 v[94:97], v2 offset0:77 offset1:78
	ds_load_2addr_b64 v[110:113], v2 offset0:79 offset1:80
	s_wait_loadcnt 0x3
	v_fmac_f64_e32 v[124:125], v[102:103], v[116:117]
	s_wait_dscnt 0x1
	s_delay_alu instid0(VALU_DEP_1) | instskip(SKIP_1) | instid1(VALU_DEP_1)
	v_fmac_f64_e32 v[124:125], v[104:105], v[94:95]
	s_wait_loadcnt 0x2
	v_fmac_f64_e32 v[124:125], v[98:99], v[96:97]
	ds_load_2addr_b64 v[94:97], v2 offset0:81 offset1:82
	ds_load_b64 v[98:99], v2 offset:664
	s_wait_dscnt 0x2
	v_fmac_f64_e32 v[124:125], v[100:101], v[110:111]
	s_wait_loadcnt 0x1
	s_delay_alu instid0(VALU_DEP_1) | instskip(SKIP_1) | instid1(VALU_DEP_1)
	v_fmac_f64_e32 v[124:125], v[106:107], v[112:113]
	s_wait_dscnt 0x1
	v_fmac_f64_e32 v[124:125], v[108:109], v[94:95]
	s_wait_loadcnt 0x0
	s_delay_alu instid0(VALU_DEP_1) | instskip(SKIP_1) | instid1(VALU_DEP_1)
	v_fmac_f64_e32 v[124:125], v[90:91], v[96:97]
	s_wait_dscnt 0x0
	v_fmac_f64_e32 v[124:125], v[92:93], v[98:99]
	s_delay_alu instid0(VALU_DEP_1)
	v_add_f64_e64 v[88:89], v[88:89], -v[124:125]
	scratch_store_b64 off, v[88:89], off offset:16
	s_wait_xcnt 0x0
	v_cmpx_lt_u32_e32 1, v0
	s_cbranch_execz .LBB41_259
; %bb.258:
	scratch_load_b64 v[88:89], off, off offset:8
	v_mov_b64_e32 v[90:91], 0
	scratch_store_b64 off, v[90:91], off offset:8
	s_wait_loadcnt 0x0
	ds_store_b64 v1, v[88:89]
.LBB41_259:
	s_wait_xcnt 0x0
	s_or_b32 exec_lo, exec_lo, s0
	s_wait_storecnt_dscnt 0x0
	s_barrier_signal -1
	s_barrier_wait -1
	s_clause 0x5
	scratch_load_b128 v[88:91], off, off offset:8
	scratch_load_b128 v[92:95], off, off offset:24
	;; [unrolled: 1-line block ×6, first 2 shown]
	ds_load_b128 v[112:115], v2 offset:352
	ds_load_b128 v[116:119], v2 offset:368
	scratch_load_b128 v[120:123], off, off offset:104
	v_dual_ashrrev_i32 v9, 31, v8 :: v_dual_ashrrev_i32 v11, 31, v10
	v_dual_ashrrev_i32 v13, 31, v12 :: v_dual_ashrrev_i32 v15, 31, v14
	;; [unrolled: 1-line block ×19, first 2 shown]
	v_ashrrev_i32_e32 v85, 31, v84
	s_mov_b32 s0, exec_lo
	v_ashrrev_i32_e32 v39, 31, v38
	s_wait_loadcnt_dscnt 0x601
	v_fma_f64 v[124:125], v[90:91], v[112:113], 0
	s_wait_loadcnt 0x5
	s_delay_alu instid0(VALU_DEP_1) | instskip(SKIP_4) | instid1(VALU_DEP_1)
	v_fmac_f64_e32 v[124:125], v[92:93], v[114:115]
	scratch_load_b128 v[90:93], off, off offset:120
	s_wait_dscnt 0x0
	v_fmac_f64_e32 v[124:125], v[94:95], v[116:117]
	s_wait_loadcnt 0x5
	v_fmac_f64_e32 v[124:125], v[96:97], v[118:119]
	ds_load_b128 v[94:97], v2 offset:384
	ds_load_b128 v[112:115], v2 offset:400
	scratch_load_b128 v[116:119], off, off offset:136
	s_wait_dscnt 0x1
	v_fmac_f64_e32 v[124:125], v[98:99], v[94:95]
	s_wait_loadcnt 0x5
	s_delay_alu instid0(VALU_DEP_1) | instskip(SKIP_4) | instid1(VALU_DEP_1)
	v_fmac_f64_e32 v[124:125], v[100:101], v[96:97]
	scratch_load_b128 v[94:97], off, off offset:152
	s_wait_dscnt 0x0
	v_fmac_f64_e32 v[124:125], v[102:103], v[112:113]
	s_wait_loadcnt 0x5
	v_fmac_f64_e32 v[124:125], v[104:105], v[114:115]
	ds_load_b128 v[98:101], v2 offset:416
	ds_load_b128 v[102:105], v2 offset:432
	scratch_load_b128 v[112:115], off, off offset:168
	s_wait_dscnt 0x1
	v_fmac_f64_e32 v[124:125], v[106:107], v[98:99]
	s_wait_loadcnt 0x5
	s_delay_alu instid0(VALU_DEP_1) | instskip(SKIP_4) | instid1(VALU_DEP_1)
	v_fmac_f64_e32 v[124:125], v[108:109], v[100:101]
	scratch_load_b128 v[98:101], off, off offset:184
	s_wait_dscnt 0x0
	v_fmac_f64_e32 v[124:125], v[110:111], v[102:103]
	s_wait_loadcnt 0x5
	v_fmac_f64_e32 v[124:125], v[120:121], v[104:105]
	ds_load_b128 v[102:105], v2 offset:448
	ds_load_b128 v[106:109], v2 offset:464
	s_wait_dscnt 0x1
	v_fmac_f64_e32 v[124:125], v[122:123], v[102:103]
	scratch_load_b128 v[120:123], off, off offset:200
	s_wait_loadcnt 0x5
	v_fmac_f64_e32 v[124:125], v[90:91], v[104:105]
	s_wait_dscnt 0x0
	s_delay_alu instid0(VALU_DEP_1)
	v_fmac_f64_e32 v[124:125], v[92:93], v[106:107]
	scratch_load_b128 v[90:93], off, off offset:216
	s_wait_loadcnt 0x5
	v_fmac_f64_e32 v[124:125], v[116:117], v[108:109]
	ds_load_b128 v[102:105], v2 offset:480
	ds_load_b128 v[106:109], v2 offset:496
	s_wait_dscnt 0x1
	v_fmac_f64_e32 v[124:125], v[118:119], v[102:103]
	scratch_load_b128 v[116:119], off, off offset:232
	s_wait_loadcnt 0x5
	v_fmac_f64_e32 v[124:125], v[94:95], v[104:105]
	s_wait_dscnt 0x0
	s_delay_alu instid0(VALU_DEP_1)
	v_fmac_f64_e32 v[124:125], v[96:97], v[106:107]
	scratch_load_b128 v[94:97], off, off offset:248
	s_wait_loadcnt 0x5
	v_fmac_f64_e32 v[124:125], v[112:113], v[108:109]
	ds_load_b128 v[102:105], v2 offset:512
	ds_load_b128 v[106:109], v2 offset:528
	s_wait_dscnt 0x1
	v_fmac_f64_e32 v[124:125], v[114:115], v[102:103]
	s_wait_loadcnt 0x4
	s_delay_alu instid0(VALU_DEP_1)
	v_fmac_f64_e32 v[124:125], v[98:99], v[104:105]
	scratch_load_b128 v[102:105], off, off offset:264
	s_wait_dscnt 0x0
	v_fmac_f64_e32 v[124:125], v[100:101], v[106:107]
	scratch_load_b128 v[98:101], off, off offset:280
	s_wait_loadcnt 0x5
	v_fmac_f64_e32 v[124:125], v[120:121], v[108:109]
	ds_load_b128 v[106:109], v2 offset:544
	ds_load_b128 v[110:113], v2 offset:560
	s_wait_dscnt 0x1
	v_fmac_f64_e32 v[124:125], v[122:123], v[106:107]
	s_wait_loadcnt 0x4
	s_delay_alu instid0(VALU_DEP_1)
	v_fmac_f64_e32 v[124:125], v[90:91], v[108:109]
	scratch_load_b128 v[106:109], off, off offset:296
	s_wait_dscnt 0x0
	v_fmac_f64_e32 v[124:125], v[92:93], v[110:111]
	scratch_load_b128 v[90:93], off, off offset:312
	s_wait_loadcnt 0x5
	v_fmac_f64_e32 v[124:125], v[116:117], v[112:113]
	ds_load_b128 v[110:113], v2 offset:576
	ds_load_b128 v[114:117], v2 offset:592
	s_wait_dscnt 0x1
	v_fmac_f64_e32 v[124:125], v[118:119], v[110:111]
	scratch_load_b64 v[118:119], off, off offset:328
	s_wait_loadcnt 0x5
	v_fmac_f64_e32 v[124:125], v[94:95], v[112:113]
	s_wait_dscnt 0x0
	s_delay_alu instid0(VALU_DEP_1)
	v_fmac_f64_e32 v[124:125], v[96:97], v[114:115]
	ds_load_b128 v[94:97], v2 offset:608
	ds_load_b128 v[110:113], v2 offset:624
	s_wait_loadcnt 0x4
	v_fmac_f64_e32 v[124:125], v[102:103], v[116:117]
	s_wait_dscnt 0x1
	s_delay_alu instid0(VALU_DEP_1) | instskip(SKIP_1) | instid1(VALU_DEP_1)
	v_fmac_f64_e32 v[124:125], v[104:105], v[94:95]
	s_wait_loadcnt 0x3
	v_fmac_f64_e32 v[124:125], v[98:99], v[96:97]
	s_wait_dscnt 0x0
	s_delay_alu instid0(VALU_DEP_1)
	v_fmac_f64_e32 v[124:125], v[100:101], v[110:111]
	ds_load_b128 v[94:97], v2 offset:640
	ds_load_b128 v[98:101], v2 offset:656
	s_wait_loadcnt 0x2
	v_fmac_f64_e32 v[124:125], v[106:107], v[112:113]
	s_wait_dscnt 0x1
	s_delay_alu instid0(VALU_DEP_1) | instskip(SKIP_1) | instid1(VALU_DEP_1)
	v_fmac_f64_e32 v[124:125], v[108:109], v[94:95]
	s_wait_loadcnt 0x1
	v_fmac_f64_e32 v[124:125], v[90:91], v[96:97]
	s_wait_dscnt 0x0
	s_delay_alu instid0(VALU_DEP_1) | instskip(SKIP_1) | instid1(VALU_DEP_1)
	v_fmac_f64_e32 v[124:125], v[92:93], v[98:99]
	s_wait_loadcnt 0x0
	v_fmac_f64_e32 v[124:125], v[118:119], v[100:101]
	s_delay_alu instid0(VALU_DEP_1)
	v_add_f64_e64 v[2:3], v[88:89], -v[124:125]
	scratch_store_b64 off, v[2:3], off offset:8
	s_wait_xcnt 0x0
	v_cmpx_ne_u32_e32 0, v0
	s_cbranch_execz .LBB41_261
; %bb.260:
	scratch_load_b64 v[2:3], off, off
	v_mov_b64_e32 v[88:89], 0
	scratch_store_b64 off, v[88:89], off
	s_wait_loadcnt 0x0
	ds_store_b64 v1, v[2:3]
.LBB41_261:
	s_wait_xcnt 0x0
	s_or_b32 exec_lo, exec_lo, s0
	s_wait_storecnt_dscnt 0x0
	s_barrier_signal -1
	s_barrier_wait -1
	s_clause 0x5
	scratch_load_b128 v[90:93], off, off
	scratch_load_b128 v[0:3], off, off offset:16
	scratch_load_b128 v[94:97], off, off offset:32
	;; [unrolled: 1-line block ×5, first 2 shown]
	v_mov_b32_e32 v88, 0
	scratch_load_b128 v[114:117], off, off offset:96
	s_and_b32 vcc_lo, exec_lo, s18
	ds_load_2addr_b64 v[110:113], v88 offset0:43 offset1:44
	s_wait_loadcnt_dscnt 0x600
	v_fma_f64 v[120:121], v[92:93], v[110:111], 0
	s_wait_loadcnt 0x5
	s_delay_alu instid0(VALU_DEP_1)
	v_fmac_f64_e32 v[120:121], v[0:1], v[112:113]
	ds_load_2addr_b64 v[110:113], v88 offset0:45 offset1:46
	s_wait_dscnt 0x0
	v_fmac_f64_e32 v[120:121], v[2:3], v[110:111]
	scratch_load_b128 v[0:3], off, off offset:112
	s_wait_loadcnt 0x5
	v_fmac_f64_e32 v[120:121], v[94:95], v[112:113]
	ds_load_2addr_b64 v[92:95], v88 offset0:47 offset1:48
	scratch_load_b128 v[110:113], off, off offset:128
	s_wait_dscnt 0x0
	v_fmac_f64_e32 v[120:121], v[96:97], v[92:93]
	s_wait_loadcnt 0x5
	s_delay_alu instid0(VALU_DEP_1)
	v_fmac_f64_e32 v[120:121], v[98:99], v[94:95]
	ds_load_2addr_b64 v[92:95], v88 offset0:49 offset1:50
	scratch_load_b128 v[96:99], off, off offset:144
	s_wait_dscnt 0x0
	v_fmac_f64_e32 v[120:121], v[100:101], v[92:93]
	s_wait_loadcnt 0x5
	s_delay_alu instid0(VALU_DEP_1)
	;; [unrolled: 7-line block ×4, first 2 shown]
	v_fmac_f64_e32 v[120:121], v[114:115], v[94:95]
	ds_load_2addr_b64 v[92:95], v88 offset0:55 offset1:56
	s_wait_dscnt 0x0
	v_fmac_f64_e32 v[120:121], v[116:117], v[92:93]
	scratch_load_b128 v[114:117], off, off offset:192
	s_wait_loadcnt 0x5
	v_fmac_f64_e32 v[120:121], v[0:1], v[94:95]
	ds_load_2addr_b64 v[92:95], v88 offset0:57 offset1:58
	s_wait_dscnt 0x0
	v_fmac_f64_e32 v[120:121], v[2:3], v[92:93]
	scratch_load_b128 v[0:3], off, off offset:208
	s_wait_loadcnt 0x5
	v_fmac_f64_e32 v[120:121], v[110:111], v[94:95]
	ds_load_2addr_b64 v[92:95], v88 offset0:59 offset1:60
	scratch_load_b128 v[108:111], off, off offset:224
	s_wait_dscnt 0x0
	v_fmac_f64_e32 v[120:121], v[112:113], v[92:93]
	s_wait_loadcnt 0x5
	s_delay_alu instid0(VALU_DEP_1)
	v_fmac_f64_e32 v[120:121], v[96:97], v[94:95]
	ds_load_2addr_b64 v[92:95], v88 offset0:61 offset1:62
	s_wait_dscnt 0x0
	v_fmac_f64_e32 v[120:121], v[98:99], v[92:93]
	scratch_load_b128 v[96:99], off, off offset:240
	s_wait_loadcnt 0x5
	v_fmac_f64_e32 v[120:121], v[100:101], v[94:95]
	ds_load_2addr_b64 v[92:95], v88 offset0:63 offset1:64
	s_wait_dscnt 0x0
	v_fmac_f64_e32 v[120:121], v[102:103], v[92:93]
	scratch_load_b128 v[100:103], off, off offset:256
	s_wait_loadcnt 0x5
	;; [unrolled: 6-line block ×3, first 2 shown]
	v_fmac_f64_e32 v[120:121], v[114:115], v[94:95]
	ds_load_2addr_b64 v[92:95], v88 offset0:67 offset1:68
	scratch_load_b128 v[112:115], off, off offset:288
	s_wait_dscnt 0x0
	v_fmac_f64_e32 v[120:121], v[116:117], v[92:93]
	scratch_load_b128 v[116:119], off, off offset:304
	s_wait_loadcnt 0x6
	v_fmac_f64_e32 v[120:121], v[0:1], v[94:95]
	ds_load_2addr_b64 v[92:95], v88 offset0:69 offset1:70
	s_wait_dscnt 0x0
	v_fmac_f64_e32 v[120:121], v[2:3], v[92:93]
	scratch_load_b128 v[0:3], off, off offset:320
	s_wait_loadcnt 0x6
	v_fmac_f64_e32 v[120:121], v[108:109], v[94:95]
	ds_load_2addr_b64 v[92:95], v88 offset0:71 offset1:72
	s_wait_dscnt 0x0
	v_fmac_f64_e32 v[120:121], v[110:111], v[92:93]
	s_wait_loadcnt 0x5
	s_delay_alu instid0(VALU_DEP_1) | instskip(SKIP_4) | instid1(VALU_DEP_1)
	v_fmac_f64_e32 v[120:121], v[96:97], v[94:95]
	ds_load_2addr_b64 v[92:95], v88 offset0:73 offset1:74
	s_wait_dscnt 0x0
	v_fmac_f64_e32 v[120:121], v[98:99], v[92:93]
	s_wait_loadcnt 0x4
	v_fmac_f64_e32 v[120:121], v[100:101], v[94:95]
	ds_load_2addr_b64 v[92:95], v88 offset0:75 offset1:76
	s_wait_dscnt 0x0
	v_fmac_f64_e32 v[120:121], v[102:103], v[92:93]
	s_wait_loadcnt 0x3
	s_delay_alu instid0(VALU_DEP_1) | instskip(SKIP_4) | instid1(VALU_DEP_1)
	v_fmac_f64_e32 v[120:121], v[104:105], v[94:95]
	ds_load_2addr_b64 v[92:95], v88 offset0:77 offset1:78
	s_wait_dscnt 0x0
	v_fmac_f64_e32 v[120:121], v[106:107], v[92:93]
	s_wait_loadcnt 0x2
	v_fmac_f64_e32 v[120:121], v[112:113], v[94:95]
	ds_load_2addr_b64 v[92:95], v88 offset0:79 offset1:80
	s_wait_dscnt 0x0
	v_fmac_f64_e32 v[120:121], v[114:115], v[92:93]
	s_wait_loadcnt 0x1
	s_delay_alu instid0(VALU_DEP_1)
	v_fmac_f64_e32 v[120:121], v[116:117], v[94:95]
	ds_load_2addr_b64 v[92:95], v88 offset0:81 offset1:82
	s_wait_dscnt 0x0
	v_fmac_f64_e32 v[120:121], v[118:119], v[92:93]
	ds_load_b64 v[92:93], v88 offset:664
	s_wait_loadcnt 0x0
	v_fmac_f64_e32 v[120:121], v[0:1], v[94:95]
	s_wait_dscnt 0x0
	s_delay_alu instid0(VALU_DEP_1) | instskip(NEXT) | instid1(VALU_DEP_1)
	v_fmac_f64_e32 v[120:121], v[2:3], v[92:93]
	v_add_f64_e64 v[102:103], v[90:91], -v[120:121]
	scratch_store_b64 off, v[102:103], off
	s_cbranch_vccz .LBB41_344
; %bb.262:
	global_load_b32 v2, v88, s[2:3] offset:160
	s_wait_loadcnt 0x0
	v_cmp_ne_u32_e32 vcc_lo, 41, v2
	s_cbranch_vccz .LBB41_264
; %bb.263:
	v_lshlrev_b32_e32 v2, 3, v2
	s_wait_xcnt 0x0
	s_delay_alu instid0(VALU_DEP_1)
	v_mov_b32_e32 v88, v2
	scratch_load_b64 v[2:3], v88, off offset:-8
	s_wait_loadcnt 0x0
	scratch_store_b64 off, v[2:3], off offset:320
	scratch_store_b64 v88, v[0:1], off offset:-8
.LBB41_264:
	s_wait_xcnt 0x0
	v_mov_b32_e32 v0, 0
	global_load_b32 v1, v0, s[2:3] offset:156
	s_wait_loadcnt 0x0
	v_cmp_eq_u32_e32 vcc_lo, 40, v1
	s_cbranch_vccnz .LBB41_266
; %bb.265:
	v_lshlrev_b32_e32 v1, 3, v1
	scratch_load_b64 v[2:3], v1, off offset:-8
	scratch_load_b64 v[88:89], off, off offset:312
	s_wait_loadcnt 0x1
	scratch_store_b64 off, v[2:3], off offset:312
	s_wait_loadcnt 0x0
	scratch_store_b64 v1, v[88:89], off offset:-8
.LBB41_266:
	global_load_b32 v0, v0, s[2:3] offset:152
	s_wait_loadcnt 0x0
	v_cmp_eq_u32_e32 vcc_lo, 39, v0
	s_cbranch_vccnz .LBB41_268
; %bb.267:
	s_wait_xcnt 0x0
	v_lshlrev_b32_e32 v0, 3, v0
	s_delay_alu instid0(VALU_DEP_1)
	v_mov_b32_e32 v88, v0
	scratch_load_b64 v[0:1], v88, off offset:-8
	scratch_load_b64 v[2:3], off, off offset:304
	s_wait_loadcnt 0x1
	scratch_store_b64 off, v[0:1], off offset:304
	s_wait_loadcnt 0x0
	scratch_store_b64 v88, v[2:3], off offset:-8
.LBB41_268:
	s_wait_xcnt 0x0
	v_mov_b32_e32 v0, 0
	global_load_b32 v1, v0, s[2:3] offset:148
	s_wait_loadcnt 0x0
	v_cmp_eq_u32_e32 vcc_lo, 38, v1
	s_cbranch_vccnz .LBB41_270
; %bb.269:
	v_lshlrev_b32_e32 v1, 3, v1
	scratch_load_b64 v[2:3], v1, off offset:-8
	scratch_load_b64 v[88:89], off, off offset:296
	s_wait_loadcnt 0x1
	scratch_store_b64 off, v[2:3], off offset:296
	s_wait_loadcnt 0x0
	scratch_store_b64 v1, v[88:89], off offset:-8
.LBB41_270:
	global_load_b32 v0, v0, s[2:3] offset:144
	s_wait_loadcnt 0x0
	v_cmp_eq_u32_e32 vcc_lo, 37, v0
	s_cbranch_vccnz .LBB41_272
; %bb.271:
	s_wait_xcnt 0x0
	v_lshlrev_b32_e32 v0, 3, v0
	s_delay_alu instid0(VALU_DEP_1)
	v_mov_b32_e32 v88, v0
	scratch_load_b64 v[0:1], v88, off offset:-8
	scratch_load_b64 v[2:3], off, off offset:288
	s_wait_loadcnt 0x1
	scratch_store_b64 off, v[0:1], off offset:288
	s_wait_loadcnt 0x0
	scratch_store_b64 v88, v[2:3], off offset:-8
.LBB41_272:
	s_wait_xcnt 0x0
	v_mov_b32_e32 v0, 0
	global_load_b32 v1, v0, s[2:3] offset:140
	s_wait_loadcnt 0x0
	v_cmp_eq_u32_e32 vcc_lo, 36, v1
	s_cbranch_vccnz .LBB41_274
; %bb.273:
	v_lshlrev_b32_e32 v1, 3, v1
	scratch_load_b64 v[2:3], v1, off offset:-8
	scratch_load_b64 v[88:89], off, off offset:280
	s_wait_loadcnt 0x1
	scratch_store_b64 off, v[2:3], off offset:280
	s_wait_loadcnt 0x0
	scratch_store_b64 v1, v[88:89], off offset:-8
.LBB41_274:
	global_load_b32 v0, v0, s[2:3] offset:136
	s_wait_loadcnt 0x0
	v_cmp_eq_u32_e32 vcc_lo, 35, v0
	s_cbranch_vccnz .LBB41_276
; %bb.275:
	s_wait_xcnt 0x0
	v_lshlrev_b32_e32 v0, 3, v0
	s_delay_alu instid0(VALU_DEP_1)
	v_mov_b32_e32 v88, v0
	scratch_load_b64 v[0:1], v88, off offset:-8
	scratch_load_b64 v[2:3], off, off offset:272
	s_wait_loadcnt 0x1
	scratch_store_b64 off, v[0:1], off offset:272
	s_wait_loadcnt 0x0
	scratch_store_b64 v88, v[2:3], off offset:-8
.LBB41_276:
	s_wait_xcnt 0x0
	v_mov_b32_e32 v0, 0
	global_load_b32 v1, v0, s[2:3] offset:132
	s_wait_loadcnt 0x0
	v_cmp_eq_u32_e32 vcc_lo, 34, v1
	s_cbranch_vccnz .LBB41_278
; %bb.277:
	v_lshlrev_b32_e32 v1, 3, v1
	scratch_load_b64 v[2:3], v1, off offset:-8
	scratch_load_b64 v[88:89], off, off offset:264
	s_wait_loadcnt 0x1
	scratch_store_b64 off, v[2:3], off offset:264
	s_wait_loadcnt 0x0
	scratch_store_b64 v1, v[88:89], off offset:-8
.LBB41_278:
	global_load_b32 v0, v0, s[2:3] offset:128
	s_wait_loadcnt 0x0
	v_cmp_eq_u32_e32 vcc_lo, 33, v0
	s_cbranch_vccnz .LBB41_280
; %bb.279:
	s_wait_xcnt 0x0
	v_lshlrev_b32_e32 v0, 3, v0
	s_delay_alu instid0(VALU_DEP_1)
	v_mov_b32_e32 v88, v0
	scratch_load_b64 v[0:1], v88, off offset:-8
	scratch_load_b64 v[2:3], off, off offset:256
	s_wait_loadcnt 0x1
	scratch_store_b64 off, v[0:1], off offset:256
	s_wait_loadcnt 0x0
	scratch_store_b64 v88, v[2:3], off offset:-8
.LBB41_280:
	s_wait_xcnt 0x0
	v_mov_b32_e32 v0, 0
	global_load_b32 v1, v0, s[2:3] offset:124
	s_wait_loadcnt 0x0
	v_cmp_eq_u32_e32 vcc_lo, 32, v1
	s_cbranch_vccnz .LBB41_282
; %bb.281:
	v_lshlrev_b32_e32 v1, 3, v1
	scratch_load_b64 v[2:3], v1, off offset:-8
	scratch_load_b64 v[88:89], off, off offset:248
	s_wait_loadcnt 0x1
	scratch_store_b64 off, v[2:3], off offset:248
	s_wait_loadcnt 0x0
	scratch_store_b64 v1, v[88:89], off offset:-8
.LBB41_282:
	global_load_b32 v0, v0, s[2:3] offset:120
	s_wait_loadcnt 0x0
	v_cmp_eq_u32_e32 vcc_lo, 31, v0
	s_cbranch_vccnz .LBB41_284
; %bb.283:
	s_wait_xcnt 0x0
	v_lshlrev_b32_e32 v0, 3, v0
	s_delay_alu instid0(VALU_DEP_1)
	v_mov_b32_e32 v88, v0
	scratch_load_b64 v[0:1], v88, off offset:-8
	scratch_load_b64 v[2:3], off, off offset:240
	s_wait_loadcnt 0x1
	scratch_store_b64 off, v[0:1], off offset:240
	s_wait_loadcnt 0x0
	scratch_store_b64 v88, v[2:3], off offset:-8
.LBB41_284:
	s_wait_xcnt 0x0
	v_mov_b32_e32 v0, 0
	global_load_b32 v1, v0, s[2:3] offset:116
	s_wait_loadcnt 0x0
	v_cmp_eq_u32_e32 vcc_lo, 30, v1
	s_cbranch_vccnz .LBB41_286
; %bb.285:
	v_lshlrev_b32_e32 v1, 3, v1
	scratch_load_b64 v[2:3], v1, off offset:-8
	scratch_load_b64 v[88:89], off, off offset:232
	s_wait_loadcnt 0x1
	scratch_store_b64 off, v[2:3], off offset:232
	s_wait_loadcnt 0x0
	scratch_store_b64 v1, v[88:89], off offset:-8
.LBB41_286:
	global_load_b32 v0, v0, s[2:3] offset:112
	s_wait_loadcnt 0x0
	v_cmp_eq_u32_e32 vcc_lo, 29, v0
	s_cbranch_vccnz .LBB41_288
; %bb.287:
	s_wait_xcnt 0x0
	v_lshlrev_b32_e32 v0, 3, v0
	s_delay_alu instid0(VALU_DEP_1)
	v_mov_b32_e32 v88, v0
	scratch_load_b64 v[0:1], v88, off offset:-8
	scratch_load_b64 v[2:3], off, off offset:224
	s_wait_loadcnt 0x1
	scratch_store_b64 off, v[0:1], off offset:224
	s_wait_loadcnt 0x0
	scratch_store_b64 v88, v[2:3], off offset:-8
.LBB41_288:
	s_wait_xcnt 0x0
	v_mov_b32_e32 v0, 0
	global_load_b32 v1, v0, s[2:3] offset:108
	s_wait_loadcnt 0x0
	v_cmp_eq_u32_e32 vcc_lo, 28, v1
	s_cbranch_vccnz .LBB41_290
; %bb.289:
	v_lshlrev_b32_e32 v1, 3, v1
	scratch_load_b64 v[2:3], v1, off offset:-8
	scratch_load_b64 v[88:89], off, off offset:216
	s_wait_loadcnt 0x1
	scratch_store_b64 off, v[2:3], off offset:216
	s_wait_loadcnt 0x0
	scratch_store_b64 v1, v[88:89], off offset:-8
.LBB41_290:
	global_load_b32 v0, v0, s[2:3] offset:104
	s_wait_loadcnt 0x0
	v_cmp_eq_u32_e32 vcc_lo, 27, v0
	s_cbranch_vccnz .LBB41_292
; %bb.291:
	s_wait_xcnt 0x0
	v_lshlrev_b32_e32 v0, 3, v0
	s_delay_alu instid0(VALU_DEP_1)
	v_mov_b32_e32 v88, v0
	scratch_load_b64 v[0:1], v88, off offset:-8
	scratch_load_b64 v[2:3], off, off offset:208
	s_wait_loadcnt 0x1
	scratch_store_b64 off, v[0:1], off offset:208
	s_wait_loadcnt 0x0
	scratch_store_b64 v88, v[2:3], off offset:-8
.LBB41_292:
	s_wait_xcnt 0x0
	v_mov_b32_e32 v0, 0
	global_load_b32 v1, v0, s[2:3] offset:100
	s_wait_loadcnt 0x0
	v_cmp_eq_u32_e32 vcc_lo, 26, v1
	s_cbranch_vccnz .LBB41_294
; %bb.293:
	v_lshlrev_b32_e32 v1, 3, v1
	scratch_load_b64 v[2:3], v1, off offset:-8
	scratch_load_b64 v[88:89], off, off offset:200
	s_wait_loadcnt 0x1
	scratch_store_b64 off, v[2:3], off offset:200
	s_wait_loadcnt 0x0
	scratch_store_b64 v1, v[88:89], off offset:-8
.LBB41_294:
	global_load_b32 v0, v0, s[2:3] offset:96
	s_wait_loadcnt 0x0
	v_cmp_eq_u32_e32 vcc_lo, 25, v0
	s_cbranch_vccnz .LBB41_296
; %bb.295:
	s_wait_xcnt 0x0
	v_lshlrev_b32_e32 v0, 3, v0
	s_delay_alu instid0(VALU_DEP_1)
	v_mov_b32_e32 v88, v0
	scratch_load_b64 v[0:1], v88, off offset:-8
	scratch_load_b64 v[2:3], off, off offset:192
	s_wait_loadcnt 0x1
	scratch_store_b64 off, v[0:1], off offset:192
	s_wait_loadcnt 0x0
	scratch_store_b64 v88, v[2:3], off offset:-8
.LBB41_296:
	s_wait_xcnt 0x0
	v_mov_b32_e32 v0, 0
	global_load_b32 v1, v0, s[2:3] offset:92
	s_wait_loadcnt 0x0
	v_cmp_eq_u32_e32 vcc_lo, 24, v1
	s_cbranch_vccnz .LBB41_298
; %bb.297:
	v_lshlrev_b32_e32 v1, 3, v1
	scratch_load_b64 v[2:3], v1, off offset:-8
	scratch_load_b64 v[88:89], off, off offset:184
	s_wait_loadcnt 0x1
	scratch_store_b64 off, v[2:3], off offset:184
	s_wait_loadcnt 0x0
	scratch_store_b64 v1, v[88:89], off offset:-8
.LBB41_298:
	global_load_b32 v0, v0, s[2:3] offset:88
	s_wait_loadcnt 0x0
	v_cmp_eq_u32_e32 vcc_lo, 23, v0
	s_cbranch_vccnz .LBB41_300
; %bb.299:
	s_wait_xcnt 0x0
	v_lshlrev_b32_e32 v0, 3, v0
	s_delay_alu instid0(VALU_DEP_1)
	v_mov_b32_e32 v88, v0
	scratch_load_b64 v[0:1], v88, off offset:-8
	scratch_load_b64 v[2:3], off, off offset:176
	s_wait_loadcnt 0x1
	scratch_store_b64 off, v[0:1], off offset:176
	s_wait_loadcnt 0x0
	scratch_store_b64 v88, v[2:3], off offset:-8
.LBB41_300:
	s_wait_xcnt 0x0
	v_mov_b32_e32 v0, 0
	global_load_b32 v1, v0, s[2:3] offset:84
	s_wait_loadcnt 0x0
	v_cmp_eq_u32_e32 vcc_lo, 22, v1
	s_cbranch_vccnz .LBB41_302
; %bb.301:
	v_lshlrev_b32_e32 v1, 3, v1
	scratch_load_b64 v[2:3], v1, off offset:-8
	scratch_load_b64 v[88:89], off, off offset:168
	s_wait_loadcnt 0x1
	scratch_store_b64 off, v[2:3], off offset:168
	s_wait_loadcnt 0x0
	scratch_store_b64 v1, v[88:89], off offset:-8
.LBB41_302:
	global_load_b32 v0, v0, s[2:3] offset:80
	s_wait_loadcnt 0x0
	v_cmp_eq_u32_e32 vcc_lo, 21, v0
	s_cbranch_vccnz .LBB41_304
; %bb.303:
	s_wait_xcnt 0x0
	v_lshlrev_b32_e32 v0, 3, v0
	s_delay_alu instid0(VALU_DEP_1)
	v_mov_b32_e32 v88, v0
	scratch_load_b64 v[0:1], v88, off offset:-8
	scratch_load_b64 v[2:3], off, off offset:160
	s_wait_loadcnt 0x1
	scratch_store_b64 off, v[0:1], off offset:160
	s_wait_loadcnt 0x0
	scratch_store_b64 v88, v[2:3], off offset:-8
.LBB41_304:
	s_wait_xcnt 0x0
	v_mov_b32_e32 v0, 0
	global_load_b32 v1, v0, s[2:3] offset:76
	s_wait_loadcnt 0x0
	v_cmp_eq_u32_e32 vcc_lo, 20, v1
	s_cbranch_vccnz .LBB41_306
; %bb.305:
	v_lshlrev_b32_e32 v1, 3, v1
	scratch_load_b64 v[2:3], v1, off offset:-8
	scratch_load_b64 v[88:89], off, off offset:152
	s_wait_loadcnt 0x1
	scratch_store_b64 off, v[2:3], off offset:152
	s_wait_loadcnt 0x0
	scratch_store_b64 v1, v[88:89], off offset:-8
.LBB41_306:
	global_load_b32 v0, v0, s[2:3] offset:72
	s_wait_loadcnt 0x0
	v_cmp_eq_u32_e32 vcc_lo, 19, v0
	s_cbranch_vccnz .LBB41_308
; %bb.307:
	s_wait_xcnt 0x0
	v_lshlrev_b32_e32 v0, 3, v0
	s_delay_alu instid0(VALU_DEP_1)
	v_mov_b32_e32 v88, v0
	scratch_load_b64 v[0:1], v88, off offset:-8
	scratch_load_b64 v[2:3], off, off offset:144
	s_wait_loadcnt 0x1
	scratch_store_b64 off, v[0:1], off offset:144
	s_wait_loadcnt 0x0
	scratch_store_b64 v88, v[2:3], off offset:-8
.LBB41_308:
	s_wait_xcnt 0x0
	v_mov_b32_e32 v0, 0
	global_load_b32 v1, v0, s[2:3] offset:68
	s_wait_loadcnt 0x0
	v_cmp_eq_u32_e32 vcc_lo, 18, v1
	s_cbranch_vccnz .LBB41_310
; %bb.309:
	v_lshlrev_b32_e32 v1, 3, v1
	scratch_load_b64 v[2:3], v1, off offset:-8
	scratch_load_b64 v[88:89], off, off offset:136
	s_wait_loadcnt 0x1
	scratch_store_b64 off, v[2:3], off offset:136
	s_wait_loadcnt 0x0
	scratch_store_b64 v1, v[88:89], off offset:-8
.LBB41_310:
	global_load_b32 v0, v0, s[2:3] offset:64
	s_wait_loadcnt 0x0
	v_cmp_eq_u32_e32 vcc_lo, 17, v0
	s_cbranch_vccnz .LBB41_312
; %bb.311:
	s_wait_xcnt 0x0
	v_lshlrev_b32_e32 v0, 3, v0
	s_delay_alu instid0(VALU_DEP_1)
	v_mov_b32_e32 v88, v0
	scratch_load_b64 v[0:1], v88, off offset:-8
	scratch_load_b64 v[2:3], off, off offset:128
	s_wait_loadcnt 0x1
	scratch_store_b64 off, v[0:1], off offset:128
	s_wait_loadcnt 0x0
	scratch_store_b64 v88, v[2:3], off offset:-8
.LBB41_312:
	s_wait_xcnt 0x0
	v_mov_b32_e32 v0, 0
	global_load_b32 v1, v0, s[2:3] offset:60
	s_wait_loadcnt 0x0
	v_cmp_eq_u32_e32 vcc_lo, 16, v1
	s_cbranch_vccnz .LBB41_314
; %bb.313:
	v_lshlrev_b32_e32 v1, 3, v1
	scratch_load_b64 v[2:3], v1, off offset:-8
	scratch_load_b64 v[88:89], off, off offset:120
	s_wait_loadcnt 0x1
	scratch_store_b64 off, v[2:3], off offset:120
	s_wait_loadcnt 0x0
	scratch_store_b64 v1, v[88:89], off offset:-8
.LBB41_314:
	global_load_b32 v0, v0, s[2:3] offset:56
	s_wait_loadcnt 0x0
	v_cmp_eq_u32_e32 vcc_lo, 15, v0
	s_cbranch_vccnz .LBB41_316
; %bb.315:
	s_wait_xcnt 0x0
	v_lshlrev_b32_e32 v0, 3, v0
	s_delay_alu instid0(VALU_DEP_1)
	v_mov_b32_e32 v88, v0
	scratch_load_b64 v[0:1], v88, off offset:-8
	scratch_load_b64 v[2:3], off, off offset:112
	s_wait_loadcnt 0x1
	scratch_store_b64 off, v[0:1], off offset:112
	s_wait_loadcnt 0x0
	scratch_store_b64 v88, v[2:3], off offset:-8
.LBB41_316:
	s_wait_xcnt 0x0
	v_mov_b32_e32 v0, 0
	global_load_b32 v1, v0, s[2:3] offset:52
	s_wait_loadcnt 0x0
	v_cmp_eq_u32_e32 vcc_lo, 14, v1
	s_cbranch_vccnz .LBB41_318
; %bb.317:
	v_lshlrev_b32_e32 v1, 3, v1
	scratch_load_b64 v[2:3], v1, off offset:-8
	scratch_load_b64 v[88:89], off, off offset:104
	s_wait_loadcnt 0x1
	scratch_store_b64 off, v[2:3], off offset:104
	s_wait_loadcnt 0x0
	scratch_store_b64 v1, v[88:89], off offset:-8
.LBB41_318:
	global_load_b32 v0, v0, s[2:3] offset:48
	s_wait_loadcnt 0x0
	v_cmp_eq_u32_e32 vcc_lo, 13, v0
	s_cbranch_vccnz .LBB41_320
; %bb.319:
	s_wait_xcnt 0x0
	v_lshlrev_b32_e32 v0, 3, v0
	s_delay_alu instid0(VALU_DEP_1)
	v_mov_b32_e32 v88, v0
	scratch_load_b64 v[0:1], v88, off offset:-8
	scratch_load_b64 v[2:3], off, off offset:96
	s_wait_loadcnt 0x1
	scratch_store_b64 off, v[0:1], off offset:96
	s_wait_loadcnt 0x0
	scratch_store_b64 v88, v[2:3], off offset:-8
.LBB41_320:
	s_wait_xcnt 0x0
	v_mov_b32_e32 v0, 0
	global_load_b32 v1, v0, s[2:3] offset:44
	s_wait_loadcnt 0x0
	v_cmp_eq_u32_e32 vcc_lo, 12, v1
	s_cbranch_vccnz .LBB41_322
; %bb.321:
	v_lshlrev_b32_e32 v1, 3, v1
	scratch_load_b64 v[2:3], v1, off offset:-8
	scratch_load_b64 v[88:89], off, off offset:88
	s_wait_loadcnt 0x1
	scratch_store_b64 off, v[2:3], off offset:88
	s_wait_loadcnt 0x0
	scratch_store_b64 v1, v[88:89], off offset:-8
.LBB41_322:
	global_load_b32 v0, v0, s[2:3] offset:40
	s_wait_loadcnt 0x0
	v_cmp_eq_u32_e32 vcc_lo, 11, v0
	s_cbranch_vccnz .LBB41_324
; %bb.323:
	s_wait_xcnt 0x0
	v_lshlrev_b32_e32 v0, 3, v0
	s_delay_alu instid0(VALU_DEP_1)
	v_mov_b32_e32 v88, v0
	scratch_load_b64 v[0:1], v88, off offset:-8
	scratch_load_b64 v[2:3], off, off offset:80
	s_wait_loadcnt 0x1
	scratch_store_b64 off, v[0:1], off offset:80
	s_wait_loadcnt 0x0
	scratch_store_b64 v88, v[2:3], off offset:-8
.LBB41_324:
	s_wait_xcnt 0x0
	v_mov_b32_e32 v0, 0
	global_load_b32 v1, v0, s[2:3] offset:36
	s_wait_loadcnt 0x0
	v_cmp_eq_u32_e32 vcc_lo, 10, v1
	s_cbranch_vccnz .LBB41_326
; %bb.325:
	v_lshlrev_b32_e32 v1, 3, v1
	scratch_load_b64 v[2:3], v1, off offset:-8
	scratch_load_b64 v[88:89], off, off offset:72
	s_wait_loadcnt 0x1
	scratch_store_b64 off, v[2:3], off offset:72
	s_wait_loadcnt 0x0
	scratch_store_b64 v1, v[88:89], off offset:-8
.LBB41_326:
	global_load_b32 v0, v0, s[2:3] offset:32
	s_wait_loadcnt 0x0
	v_cmp_eq_u32_e32 vcc_lo, 9, v0
	s_cbranch_vccnz .LBB41_328
; %bb.327:
	s_wait_xcnt 0x0
	v_lshlrev_b32_e32 v0, 3, v0
	s_delay_alu instid0(VALU_DEP_1)
	v_mov_b32_e32 v88, v0
	scratch_load_b64 v[0:1], v88, off offset:-8
	scratch_load_b64 v[2:3], off, off offset:64
	s_wait_loadcnt 0x1
	scratch_store_b64 off, v[0:1], off offset:64
	s_wait_loadcnt 0x0
	scratch_store_b64 v88, v[2:3], off offset:-8
.LBB41_328:
	s_wait_xcnt 0x0
	v_mov_b32_e32 v0, 0
	global_load_b32 v1, v0, s[2:3] offset:28
	s_wait_loadcnt 0x0
	v_cmp_eq_u32_e32 vcc_lo, 8, v1
	s_cbranch_vccnz .LBB41_330
; %bb.329:
	v_lshlrev_b32_e32 v1, 3, v1
	scratch_load_b64 v[2:3], v1, off offset:-8
	scratch_load_b64 v[88:89], off, off offset:56
	s_wait_loadcnt 0x1
	scratch_store_b64 off, v[2:3], off offset:56
	s_wait_loadcnt 0x0
	scratch_store_b64 v1, v[88:89], off offset:-8
.LBB41_330:
	global_load_b32 v0, v0, s[2:3] offset:24
	s_wait_loadcnt 0x0
	v_cmp_eq_u32_e32 vcc_lo, 7, v0
	s_cbranch_vccnz .LBB41_332
; %bb.331:
	s_wait_xcnt 0x0
	v_lshlrev_b32_e32 v0, 3, v0
	s_delay_alu instid0(VALU_DEP_1)
	v_mov_b32_e32 v88, v0
	scratch_load_b64 v[0:1], v88, off offset:-8
	scratch_load_b64 v[2:3], off, off offset:48
	s_wait_loadcnt 0x1
	scratch_store_b64 off, v[0:1], off offset:48
	s_wait_loadcnt 0x0
	scratch_store_b64 v88, v[2:3], off offset:-8
.LBB41_332:
	s_wait_xcnt 0x0
	v_mov_b32_e32 v0, 0
	global_load_b32 v1, v0, s[2:3] offset:20
	s_wait_loadcnt 0x0
	v_cmp_eq_u32_e32 vcc_lo, 6, v1
	s_cbranch_vccnz .LBB41_334
; %bb.333:
	v_lshlrev_b32_e32 v1, 3, v1
	scratch_load_b64 v[2:3], v1, off offset:-8
	scratch_load_b64 v[88:89], off, off offset:40
	s_wait_loadcnt 0x1
	scratch_store_b64 off, v[2:3], off offset:40
	s_wait_loadcnt 0x0
	scratch_store_b64 v1, v[88:89], off offset:-8
.LBB41_334:
	global_load_b32 v0, v0, s[2:3] offset:16
	s_wait_loadcnt 0x0
	v_cmp_eq_u32_e32 vcc_lo, 5, v0
	s_cbranch_vccnz .LBB41_336
; %bb.335:
	s_wait_xcnt 0x0
	v_lshlrev_b32_e32 v0, 3, v0
	s_delay_alu instid0(VALU_DEP_1)
	v_mov_b32_e32 v88, v0
	scratch_load_b64 v[0:1], v88, off offset:-8
	scratch_load_b64 v[2:3], off, off offset:32
	s_wait_loadcnt 0x1
	scratch_store_b64 off, v[0:1], off offset:32
	s_wait_loadcnt 0x0
	scratch_store_b64 v88, v[2:3], off offset:-8
.LBB41_336:
	s_wait_xcnt 0x0
	v_mov_b32_e32 v0, 0
	global_load_b32 v1, v0, s[2:3] offset:12
	s_wait_loadcnt 0x0
	v_cmp_eq_u32_e32 vcc_lo, 4, v1
	s_cbranch_vccnz .LBB41_338
; %bb.337:
	v_lshlrev_b32_e32 v1, 3, v1
	scratch_load_b64 v[2:3], v1, off offset:-8
	scratch_load_b64 v[88:89], off, off offset:24
	s_wait_loadcnt 0x1
	scratch_store_b64 off, v[2:3], off offset:24
	s_wait_loadcnt 0x0
	scratch_store_b64 v1, v[88:89], off offset:-8
.LBB41_338:
	global_load_b32 v0, v0, s[2:3] offset:8
	s_wait_loadcnt 0x0
	v_cmp_eq_u32_e32 vcc_lo, 3, v0
	s_cbranch_vccnz .LBB41_340
; %bb.339:
	s_wait_xcnt 0x0
	v_lshlrev_b32_e32 v0, 3, v0
	s_delay_alu instid0(VALU_DEP_1)
	v_mov_b32_e32 v88, v0
	scratch_load_b64 v[0:1], v88, off offset:-8
	scratch_load_b64 v[2:3], off, off offset:16
	s_wait_loadcnt 0x1
	scratch_store_b64 off, v[0:1], off offset:16
	s_wait_loadcnt 0x0
	scratch_store_b64 v88, v[2:3], off offset:-8
.LBB41_340:
	s_wait_xcnt 0x0
	v_mov_b32_e32 v0, 0
	global_load_b32 v1, v0, s[2:3] offset:4
	s_wait_loadcnt 0x0
	v_cmp_eq_u32_e32 vcc_lo, 2, v1
	s_cbranch_vccnz .LBB41_342
; %bb.341:
	v_lshlrev_b32_e32 v1, 3, v1
	scratch_load_b64 v[2:3], v1, off offset:-8
	scratch_load_b64 v[88:89], off, off offset:8
	s_wait_loadcnt 0x1
	scratch_store_b64 off, v[2:3], off offset:8
	s_wait_loadcnt 0x0
	scratch_store_b64 v1, v[88:89], off offset:-8
.LBB41_342:
	global_load_b32 v0, v0, s[2:3]
	scratch_load_b64 v[102:103], off, off
	s_wait_loadcnt 0x1
	v_cmp_eq_u32_e32 vcc_lo, 1, v0
	s_cbranch_vccnz .LBB41_344
; %bb.343:
	s_wait_xcnt 0x1
	v_lshlrev_b32_e32 v0, 3, v0
	s_delay_alu instid0(VALU_DEP_1)
	v_mov_b32_e32 v2, v0
	scratch_load_b64 v[0:1], v2, off offset:-8
	s_wait_loadcnt 0x0
	scratch_store_b64 off, v[0:1], off
	scratch_store_b64 v2, v[102:103], off offset:-8
	scratch_load_b64 v[102:103], off, off
.LBB41_344:
	v_lshl_add_u64 v[106:107], v[8:9], 3, s[4:5]
	v_lshl_add_u64 v[104:105], v[10:11], 3, s[4:5]
	;; [unrolled: 1-line block ×8, first 2 shown]
	s_wait_xcnt 0x1
	v_lshl_add_u64 v[0:1], v[26:27], 3, s[4:5]
	v_lshl_add_u64 v[2:3], v[28:29], 3, s[4:5]
	;; [unrolled: 1-line block ×28, first 2 shown]
	s_clause 0x8
	scratch_load_b128 v[66:69], off, off offset:8
	scratch_load_b128 v[70:73], off, off offset:24
	;; [unrolled: 1-line block ×9, first 2 shown]
	v_lshl_add_u64 v[92:93], v[20:21], 3, s[4:5]
	s_wait_loadcnt 0x9
	global_store_b64 v[4:5], v[102:103], off
	v_lshl_add_u64 v[20:21], v[42:43], 3, s[4:5]
	v_lshl_add_u64 v[42:43], v[64:65], 3, s[4:5]
	;; [unrolled: 1-line block ×3, first 2 shown]
	scratch_load_b128 v[124:127], off, off offset:152
	s_wait_loadcnt 0x9
	s_clause 0x1
	global_store_b64 v[6:7], v[66:67], off
	global_store_b64 v[106:107], v[68:69], off
	s_wait_loadcnt 0x8
	s_clause 0x1
	global_store_b64 v[104:105], v[70:71], off
	global_store_b64 v[100:101], v[72:73], off
	;; [unrolled: 4-line block ×5, first 2 shown]
	s_clause 0xa
	scratch_load_b128 v[4:7], off, off offset:168
	scratch_load_b128 v[66:69], off, off offset:184
	;; [unrolled: 1-line block ×10, first 2 shown]
	scratch_load_b64 v[86:87], off, off offset:328
	s_wait_loadcnt 0xf
	s_clause 0x1
	global_store_b64 v[0:1], v[108:109], off
	global_store_b64 v[2:3], v[110:111], off
	s_wait_loadcnt 0xe
	s_clause 0x1
	global_store_b64 v[8:9], v[112:113], off
	global_store_b64 v[10:11], v[114:115], off
	;; [unrolled: 4-line block ×15, first 2 shown]
	s_wait_loadcnt 0x0
	global_store_b64 v[64:65], v[86:87], off
	s_sendmsg sendmsg(MSG_DEALLOC_VGPRS)
	s_endpgm
	.section	.rodata,"a",@progbits
	.p2align	6, 0x0
	.amdhsa_kernel _ZN9rocsolver6v33100L18getri_kernel_smallILi42EdPdEEvT1_iilPiilS4_bb
		.amdhsa_group_segment_fixed_size 680
		.amdhsa_private_segment_fixed_size 352
		.amdhsa_kernarg_size 60
		.amdhsa_user_sgpr_count 2
		.amdhsa_user_sgpr_dispatch_ptr 0
		.amdhsa_user_sgpr_queue_ptr 0
		.amdhsa_user_sgpr_kernarg_segment_ptr 1
		.amdhsa_user_sgpr_dispatch_id 0
		.amdhsa_user_sgpr_kernarg_preload_length 0
		.amdhsa_user_sgpr_kernarg_preload_offset 0
		.amdhsa_user_sgpr_private_segment_size 0
		.amdhsa_wavefront_size32 1
		.amdhsa_uses_dynamic_stack 0
		.amdhsa_enable_private_segment 1
		.amdhsa_system_sgpr_workgroup_id_x 1
		.amdhsa_system_sgpr_workgroup_id_y 0
		.amdhsa_system_sgpr_workgroup_id_z 0
		.amdhsa_system_sgpr_workgroup_info 0
		.amdhsa_system_vgpr_workitem_id 0
		.amdhsa_next_free_vgpr 128
		.amdhsa_next_free_sgpr 19
		.amdhsa_named_barrier_count 0
		.amdhsa_reserve_vcc 1
		.amdhsa_float_round_mode_32 0
		.amdhsa_float_round_mode_16_64 0
		.amdhsa_float_denorm_mode_32 3
		.amdhsa_float_denorm_mode_16_64 3
		.amdhsa_fp16_overflow 0
		.amdhsa_memory_ordered 1
		.amdhsa_forward_progress 1
		.amdhsa_inst_pref_size 255
		.amdhsa_round_robin_scheduling 0
		.amdhsa_exception_fp_ieee_invalid_op 0
		.amdhsa_exception_fp_denorm_src 0
		.amdhsa_exception_fp_ieee_div_zero 0
		.amdhsa_exception_fp_ieee_overflow 0
		.amdhsa_exception_fp_ieee_underflow 0
		.amdhsa_exception_fp_ieee_inexact 0
		.amdhsa_exception_int_div_zero 0
	.end_amdhsa_kernel
	.section	.text._ZN9rocsolver6v33100L18getri_kernel_smallILi42EdPdEEvT1_iilPiilS4_bb,"axG",@progbits,_ZN9rocsolver6v33100L18getri_kernel_smallILi42EdPdEEvT1_iilPiilS4_bb,comdat
.Lfunc_end41:
	.size	_ZN9rocsolver6v33100L18getri_kernel_smallILi42EdPdEEvT1_iilPiilS4_bb, .Lfunc_end41-_ZN9rocsolver6v33100L18getri_kernel_smallILi42EdPdEEvT1_iilPiilS4_bb
                                        ; -- End function
	.set _ZN9rocsolver6v33100L18getri_kernel_smallILi42EdPdEEvT1_iilPiilS4_bb.num_vgpr, 128
	.set _ZN9rocsolver6v33100L18getri_kernel_smallILi42EdPdEEvT1_iilPiilS4_bb.num_agpr, 0
	.set _ZN9rocsolver6v33100L18getri_kernel_smallILi42EdPdEEvT1_iilPiilS4_bb.numbered_sgpr, 19
	.set _ZN9rocsolver6v33100L18getri_kernel_smallILi42EdPdEEvT1_iilPiilS4_bb.num_named_barrier, 0
	.set _ZN9rocsolver6v33100L18getri_kernel_smallILi42EdPdEEvT1_iilPiilS4_bb.private_seg_size, 352
	.set _ZN9rocsolver6v33100L18getri_kernel_smallILi42EdPdEEvT1_iilPiilS4_bb.uses_vcc, 1
	.set _ZN9rocsolver6v33100L18getri_kernel_smallILi42EdPdEEvT1_iilPiilS4_bb.uses_flat_scratch, 1
	.set _ZN9rocsolver6v33100L18getri_kernel_smallILi42EdPdEEvT1_iilPiilS4_bb.has_dyn_sized_stack, 0
	.set _ZN9rocsolver6v33100L18getri_kernel_smallILi42EdPdEEvT1_iilPiilS4_bb.has_recursion, 0
	.set _ZN9rocsolver6v33100L18getri_kernel_smallILi42EdPdEEvT1_iilPiilS4_bb.has_indirect_call, 0
	.section	.AMDGPU.csdata,"",@progbits
; Kernel info:
; codeLenInByte = 36824
; TotalNumSgprs: 21
; NumVgprs: 128
; ScratchSize: 352
; MemoryBound: 0
; FloatMode: 240
; IeeeMode: 1
; LDSByteSize: 680 bytes/workgroup (compile time only)
; SGPRBlocks: 0
; VGPRBlocks: 7
; NumSGPRsForWavesPerEU: 21
; NumVGPRsForWavesPerEU: 128
; NamedBarCnt: 0
; Occupancy: 8
; WaveLimiterHint : 1
; COMPUTE_PGM_RSRC2:SCRATCH_EN: 1
; COMPUTE_PGM_RSRC2:USER_SGPR: 2
; COMPUTE_PGM_RSRC2:TRAP_HANDLER: 0
; COMPUTE_PGM_RSRC2:TGID_X_EN: 1
; COMPUTE_PGM_RSRC2:TGID_Y_EN: 0
; COMPUTE_PGM_RSRC2:TGID_Z_EN: 0
; COMPUTE_PGM_RSRC2:TIDIG_COMP_CNT: 0
	.section	.text._ZN9rocsolver6v33100L18getri_kernel_smallILi43EdPdEEvT1_iilPiilS4_bb,"axG",@progbits,_ZN9rocsolver6v33100L18getri_kernel_smallILi43EdPdEEvT1_iilPiilS4_bb,comdat
	.globl	_ZN9rocsolver6v33100L18getri_kernel_smallILi43EdPdEEvT1_iilPiilS4_bb ; -- Begin function _ZN9rocsolver6v33100L18getri_kernel_smallILi43EdPdEEvT1_iilPiilS4_bb
	.p2align	8
	.type	_ZN9rocsolver6v33100L18getri_kernel_smallILi43EdPdEEvT1_iilPiilS4_bb,@function
_ZN9rocsolver6v33100L18getri_kernel_smallILi43EdPdEEvT1_iilPiilS4_bb: ; @_ZN9rocsolver6v33100L18getri_kernel_smallILi43EdPdEEvT1_iilPiilS4_bb
; %bb.0:
	s_mov_b32 s2, exec_lo
	v_cmpx_gt_u32_e32 43, v0
	s_cbranch_execz .LBB42_182
; %bb.1:
	s_clause 0x2
	s_load_b32 s2, s[0:1], 0x38
	s_load_b128 s[12:15], s[0:1], 0x10
	s_load_b128 s[4:7], s[0:1], 0x28
	s_getreg_b32 s9, hwreg(HW_REG_IB_STS2, 6, 4)
	s_wait_kmcnt 0x0
	s_bitcmp1_b32 s2, 8
	s_cselect_b32 s18, -1, 0
	s_bfe_u32 s3, ttmp6, 0x4000c
	s_and_b32 s8, ttmp6, 15
	s_add_co_i32 s3, s3, 1
	s_delay_alu instid0(SALU_CYCLE_1) | instskip(NEXT) | instid1(SALU_CYCLE_1)
	s_mul_i32 s3, ttmp9, s3
	s_add_co_i32 s8, s8, s3
	s_cmp_eq_u32 s9, 0
	s_cselect_b32 s16, ttmp9, s8
	s_bfe_u32 s2, s2, 0x10008
	s_ashr_i32 s17, s16, 31
	s_cmp_eq_u32 s2, 0
                                        ; implicit-def: $sgpr2_sgpr3
	s_cbranch_scc1 .LBB42_3
; %bb.2:
	s_load_b32 s2, s[0:1], 0x20
	s_mul_u64 s[4:5], s[4:5], s[16:17]
	s_delay_alu instid0(SALU_CYCLE_1) | instskip(NEXT) | instid1(SALU_CYCLE_1)
	s_lshl_b64 s[4:5], s[4:5], 2
	s_add_nc_u64 s[4:5], s[14:15], s[4:5]
	s_wait_kmcnt 0x0
	s_ashr_i32 s3, s2, 31
	s_delay_alu instid0(SALU_CYCLE_1) | instskip(NEXT) | instid1(SALU_CYCLE_1)
	s_lshl_b64 s[2:3], s[2:3], 2
	s_add_nc_u64 s[2:3], s[4:5], s[2:3]
.LBB42_3:
	s_clause 0x1
	s_load_b128 s[8:11], s[0:1], 0x0
	s_load_b32 s14, s[0:1], 0x38
	s_wait_xcnt 0x0
	s_mul_u64 s[0:1], s[12:13], s[16:17]
	v_mov_b32_e32 v3, 0
	s_lshl_b64 s[0:1], s[0:1], 3
	v_lshlrev_b32_e32 v2, 3, v0
	s_wait_kmcnt 0x0
	v_add3_u32 v8, s11, s11, v0
	s_ashr_i32 s5, s10, 31
	s_mov_b32 s4, s10
	s_add_nc_u64 s[0:1], s[8:9], s[0:1]
	s_lshl_b64 s[4:5], s[4:5], 3
	v_add_nc_u32_e32 v10, s11, v8
	s_add_nc_u64 s[4:5], s[0:1], s[4:5]
	s_ashr_i32 s1, s11, 31
	s_mov_b32 s0, s11
	s_bitcmp0_b32 s14, 0
	v_add_nc_u32_e32 v12, s11, v10
	v_add_nc_u64_e32 v[6:7], s[4:5], v[2:3]
	s_delay_alu instid0(VALU_DEP_2) | instskip(NEXT) | instid1(VALU_DEP_2)
	v_add_nc_u32_e32 v14, s11, v12
	v_lshl_add_u64 v[4:5], s[0:1], 3, v[6:7]
	s_mov_b32 s1, -1
	s_delay_alu instid0(VALU_DEP_2)
	v_add_nc_u32_e32 v16, s11, v14
	s_clause 0x3
	global_load_b64 v[72:73], v0, s[4:5] scale_offset
	global_load_b64 v[74:75], v[4:5], off
	global_load_b64 v[76:77], v8, s[4:5] scale_offset
	global_load_b64 v[78:79], v10, s[4:5] scale_offset
	v_add_nc_u32_e32 v18, s11, v16
	s_delay_alu instid0(VALU_DEP_1)
	v_add_nc_u32_e32 v20, s11, v18
	s_clause 0x1
	global_load_b64 v[80:81], v12, s[4:5] scale_offset
	global_load_b64 v[82:83], v14, s[4:5] scale_offset
	v_add_nc_u32_e32 v22, s11, v20
	s_clause 0x3
	global_load_b64 v[84:85], v16, s[4:5] scale_offset
	global_load_b64 v[86:87], v18, s[4:5] scale_offset
	;; [unrolled: 1-line block ×4, first 2 shown]
	v_add_nc_u32_e32 v24, s11, v22
	s_delay_alu instid0(VALU_DEP_1) | instskip(NEXT) | instid1(VALU_DEP_1)
	v_add_nc_u32_e32 v26, s11, v24
	v_add_nc_u32_e32 v28, s11, v26
	s_delay_alu instid0(VALU_DEP_1) | instskip(NEXT) | instid1(VALU_DEP_1)
	v_add_nc_u32_e32 v30, s11, v28
	;; [unrolled: 3-line block ×3, first 2 shown]
	v_add_nc_u32_e32 v36, s11, v34
	s_clause 0x3
	global_load_b64 v[92:93], v24, s[4:5] scale_offset
	global_load_b64 v[94:95], v26, s[4:5] scale_offset
	;; [unrolled: 1-line block ×4, first 2 shown]
	v_add_nc_u32_e32 v38, s11, v36
	s_delay_alu instid0(VALU_DEP_1) | instskip(NEXT) | instid1(VALU_DEP_1)
	v_add_nc_u32_e32 v40, s11, v38
	v_add_nc_u32_e32 v42, s11, v40
	s_delay_alu instid0(VALU_DEP_1)
	v_add_nc_u32_e32 v44, s11, v42
	s_clause 0x3
	global_load_b64 v[100:101], v32, s[4:5] scale_offset
	global_load_b64 v[102:103], v34, s[4:5] scale_offset
	;; [unrolled: 1-line block ×4, first 2 shown]
	v_add_nc_u32_e32 v46, s11, v44
	s_delay_alu instid0(VALU_DEP_1)
	v_add_nc_u32_e32 v48, s11, v46
	s_clause 0x3
	global_load_b64 v[108:109], v40, s[4:5] scale_offset
	global_load_b64 v[110:111], v42, s[4:5] scale_offset
	;; [unrolled: 1-line block ×4, first 2 shown]
	v_add_nc_u32_e32 v50, s11, v48
	s_delay_alu instid0(VALU_DEP_1) | instskip(NEXT) | instid1(VALU_DEP_1)
	v_add_nc_u32_e32 v52, s11, v50
	v_add_nc_u32_e32 v54, s11, v52
	s_delay_alu instid0(VALU_DEP_1) | instskip(NEXT) | instid1(VALU_DEP_1)
	v_add_nc_u32_e32 v56, s11, v54
	v_add_nc_u32_e32 v58, s11, v56
	s_delay_alu instid0(VALU_DEP_1)
	v_add_nc_u32_e32 v60, s11, v58
	s_clause 0x3
	global_load_b64 v[116:117], v48, s[4:5] scale_offset
	global_load_b64 v[118:119], v50, s[4:5] scale_offset
	global_load_b64 v[120:121], v52, s[4:5] scale_offset
	global_load_b64 v[122:123], v54, s[4:5] scale_offset
	v_add_nc_u32_e32 v62, s11, v60
	s_delay_alu instid0(VALU_DEP_1) | instskip(NEXT) | instid1(VALU_DEP_1)
	v_add_nc_u32_e32 v64, s11, v62
	v_add_nc_u32_e32 v66, s11, v64
	s_delay_alu instid0(VALU_DEP_1) | instskip(NEXT) | instid1(VALU_DEP_1)
	v_add_nc_u32_e32 v68, s11, v66
	v_add_nc_u32_e32 v70, s11, v68
	s_wait_loadcnt 0x18
	scratch_store_b128 off, v[72:75], off
	s_wait_loadcnt 0x16
	scratch_store_b128 off, v[76:79], off offset:16
	s_wait_xcnt 0x1
	v_add_nc_u32_e32 v72, s11, v70
	s_delay_alu instid0(VALU_DEP_1)
	v_add_nc_u32_e32 v74, s11, v72
	s_wait_loadcnt 0x14
	scratch_store_b128 off, v[80:83], off offset:32
	s_wait_loadcnt 0x12
	scratch_store_b128 off, v[84:87], off offset:48
	;; [unrolled: 2-line block ×3, first 2 shown]
	s_clause 0x3
	global_load_b64 v[124:125], v56, s[4:5] scale_offset
	global_load_b64 v[126:127], v58, s[4:5] scale_offset
	;; [unrolled: 1-line block ×4, first 2 shown]
	s_wait_xcnt 0x7
	v_add_nc_u32_e32 v76, s11, v74
	s_delay_alu instid0(VALU_DEP_1) | instskip(SKIP_1) | instid1(VALU_DEP_1)
	v_add_nc_u32_e32 v78, s11, v76
	s_wait_xcnt 0x6
	v_add_nc_u32_e32 v80, s11, v78
	s_delay_alu instid0(VALU_DEP_1) | instskip(SKIP_1) | instid1(VALU_DEP_1)
	v_add_nc_u32_e32 v82, s11, v80
	s_wait_xcnt 0x5
	v_add_nc_u32_e32 v84, s11, v82
	s_delay_alu instid0(VALU_DEP_1)
	v_add_nc_u32_e32 v86, s11, v84
	s_wait_loadcnt 0x12
	scratch_store_b128 off, v[92:95], off offset:80
	s_wait_loadcnt 0x10
	scratch_store_b128 off, v[96:99], off offset:96
	;; [unrolled: 2-line block ×3, first 2 shown]
	s_clause 0x3
	global_load_b64 v[90:91], v64, s[4:5] scale_offset
	global_load_b64 v[92:93], v66, s[4:5] scale_offset
	;; [unrolled: 1-line block ×4, first 2 shown]
	v_add_nc_u32_e32 v88, s11, v86
	s_wait_loadcnt 0x10
	scratch_store_b128 off, v[104:107], off offset:128
	s_wait_loadcnt 0xe
	scratch_store_b128 off, v[108:111], off offset:144
	s_clause 0x3
	global_load_b64 v[98:99], v72, s[4:5] scale_offset
	global_load_b64 v[100:101], v74, s[4:5] scale_offset
	;; [unrolled: 1-line block ×4, first 2 shown]
	s_wait_loadcnt 0x10
	scratch_store_b128 off, v[112:115], off offset:160
	s_wait_loadcnt 0xe
	scratch_store_b128 off, v[116:119], off offset:176
	s_clause 0x1
	global_load_b64 v[106:107], v80, s[4:5] scale_offset
	global_load_b64 v[108:109], v82, s[4:5] scale_offset
	s_wait_loadcnt 0xe
	scratch_store_b128 off, v[120:123], off offset:192
	s_clause 0x2
	global_load_b64 v[110:111], v84, s[4:5] scale_offset
	global_load_b64 v[112:113], v86, s[4:5] scale_offset
	;; [unrolled: 1-line block ×3, first 2 shown]
	s_wait_loadcnt 0xf
	scratch_store_b128 off, v[124:127], off offset:208
	s_wait_loadcnt 0xd
	scratch_store_b128 off, v[128:131], off offset:224
	s_wait_loadcnt 0xb
	scratch_store_b128 off, v[90:93], off offset:240
	s_wait_loadcnt 0x9
	scratch_store_b128 off, v[94:97], off offset:256
	s_wait_loadcnt 0x7
	scratch_store_b128 off, v[98:101], off offset:272
	s_wait_loadcnt 0x5
	scratch_store_b128 off, v[102:105], off offset:288
	s_wait_loadcnt 0x3
	scratch_store_b128 off, v[106:109], off offset:304
	s_wait_loadcnt 0x1
	scratch_store_b128 off, v[110:113], off offset:320
	s_wait_loadcnt 0x0
	scratch_store_b64 off, v[114:115], off offset:336
	s_cbranch_scc1 .LBB42_180
; %bb.4:
	v_cmp_eq_u32_e64 s0, 0, v0
	s_wait_xcnt 0x0
	s_and_saveexec_b32 s1, s0
; %bb.5:
	v_mov_b32_e32 v1, 0
	ds_store_b32 v1, v1 offset:344
; %bb.6:
	s_or_b32 exec_lo, exec_lo, s1
	s_wait_storecnt_dscnt 0x0
	s_barrier_signal -1
	s_barrier_wait -1
	scratch_load_b64 v[90:91], v0, off scale_offset
	s_mov_b32 s8, exec_lo
	s_wait_loadcnt 0x0
	v_cmpx_eq_f64_e32 0, v[90:91]
	s_cbranch_execz .LBB42_10
; %bb.7:
	v_mov_b32_e32 v1, 0
	s_mov_b32 s9, 0
	ds_load_b32 v3, v1 offset:344
	s_wait_dscnt 0x0
	v_readfirstlane_b32 s1, v3
	v_add_nc_u32_e32 v3, 1, v0
	s_cmp_eq_u32 s1, 0
	s_delay_alu instid0(VALU_DEP_1) | instskip(SKIP_1) | instid1(SALU_CYCLE_1)
	v_cmp_gt_i32_e32 vcc_lo, s1, v3
	s_cselect_b32 s10, -1, 0
	s_or_b32 s10, s10, vcc_lo
	s_delay_alu instid0(SALU_CYCLE_1)
	s_and_b32 exec_lo, exec_lo, s10
	s_cbranch_execz .LBB42_10
; %bb.8:
	v_mov_b32_e32 v9, s1
.LBB42_9:                               ; =>This Inner Loop Header: Depth=1
	ds_cmpstore_rtn_b32 v9, v1, v3, v9 offset:344
	s_wait_dscnt 0x0
	v_cmp_ne_u32_e32 vcc_lo, 0, v9
	v_cmp_le_i32_e64 s1, v9, v3
	s_and_b32 s1, vcc_lo, s1
	s_delay_alu instid0(SALU_CYCLE_1) | instskip(NEXT) | instid1(SALU_CYCLE_1)
	s_and_b32 s1, exec_lo, s1
	s_or_b32 s9, s1, s9
	s_delay_alu instid0(SALU_CYCLE_1)
	s_and_not1_b32 exec_lo, exec_lo, s9
	s_cbranch_execnz .LBB42_9
.LBB42_10:
	s_or_b32 exec_lo, exec_lo, s8
	v_mov_b32_e32 v1, 0
	s_barrier_signal -1
	s_barrier_wait -1
	ds_load_b32 v3, v1 offset:344
	s_and_saveexec_b32 s1, s0
	s_cbranch_execz .LBB42_12
; %bb.11:
	s_lshl_b64 s[8:9], s[16:17], 2
	s_delay_alu instid0(SALU_CYCLE_1)
	s_add_nc_u64 s[8:9], s[6:7], s[8:9]
	s_wait_dscnt 0x0
	global_store_b32 v1, v3, s[8:9]
.LBB42_12:
	s_wait_xcnt 0x0
	s_or_b32 exec_lo, exec_lo, s1
	s_wait_dscnt 0x0
	v_cmp_ne_u32_e32 vcc_lo, 0, v3
	s_mov_b32 s1, 0
	s_cbranch_vccnz .LBB42_180
; %bb.13:
	v_lshl_add_u32 v3, v0, 3, 0
	v_add_nc_u32_e32 v1, 0x160, v2
	scratch_load_b64 v[90:91], v3, off
	s_wait_loadcnt 0x0
	v_div_scale_f64 v[92:93], null, v[90:91], v[90:91], 1.0
	v_div_scale_f64 v[98:99], vcc_lo, 1.0, v[90:91], 1.0
	s_delay_alu instid0(VALU_DEP_2) | instskip(SKIP_1) | instid1(TRANS32_DEP_1)
	v_rcp_f64_e32 v[94:95], v[92:93]
	v_nop
	v_fma_f64 v[96:97], -v[92:93], v[94:95], 1.0
	s_delay_alu instid0(VALU_DEP_1) | instskip(NEXT) | instid1(VALU_DEP_1)
	v_fmac_f64_e32 v[94:95], v[94:95], v[96:97]
	v_fma_f64 v[96:97], -v[92:93], v[94:95], 1.0
	s_delay_alu instid0(VALU_DEP_1) | instskip(NEXT) | instid1(VALU_DEP_1)
	v_fmac_f64_e32 v[94:95], v[94:95], v[96:97]
	v_mul_f64_e32 v[96:97], v[98:99], v[94:95]
	s_delay_alu instid0(VALU_DEP_1) | instskip(NEXT) | instid1(VALU_DEP_1)
	v_fma_f64 v[92:93], -v[92:93], v[96:97], v[98:99]
	v_div_fmas_f64 v[92:93], v[92:93], v[94:95], v[96:97]
	s_delay_alu instid0(VALU_DEP_1)
	v_div_fixup_f64 v[90:91], v[92:93], v[90:91], 1.0
	scratch_store_b64 v3, v[90:91], off
	scratch_load_b64 v[92:93], off, off offset:8
	s_wait_xcnt 0x1
	v_xor_b32_e32 v91, 0x80000000, v91
	s_wait_loadcnt 0x0
	ds_store_2addr_b64 v2, v[90:91], v[92:93] offset1:44
	s_wait_storecnt_dscnt 0x0
	s_barrier_signal -1
	s_barrier_wait -1
	s_wait_xcnt 0x0
	s_and_saveexec_b32 s1, s0
	s_cbranch_execz .LBB42_15
; %bb.14:
	scratch_load_b64 v[90:91], v3, off
	ds_load_b64 v[92:93], v1
	s_wait_loadcnt_dscnt 0x0
	v_fma_f64 v[90:91], v[90:91], v[92:93], 0
	v_mov_b32_e32 v9, 0
	ds_load_b64 v[94:95], v9 offset:8
	s_wait_dscnt 0x0
	v_mul_f64_e32 v[90:91], v[90:91], v[94:95]
	scratch_store_b64 off, v[90:91], off offset:8
.LBB42_15:
	s_wait_xcnt 0x0
	s_or_b32 exec_lo, exec_lo, s1
	s_wait_storecnt 0x0
	s_barrier_signal -1
	s_barrier_wait -1
	scratch_load_b64 v[90:91], off, off offset:16
	s_mov_b32 s1, exec_lo
	s_wait_loadcnt 0x0
	ds_store_b64 v1, v[90:91]
	s_wait_dscnt 0x0
	s_barrier_signal -1
	s_barrier_wait -1
	v_cmpx_gt_u32_e32 2, v0
	s_cbranch_execz .LBB42_19
; %bb.16:
	scratch_load_b64 v[90:91], v3, off
	ds_load_b64 v[92:93], v1
	s_wait_loadcnt_dscnt 0x0
	v_fma_f64 v[90:91], v[90:91], v[92:93], 0
	s_and_saveexec_b32 s8, s0
	s_cbranch_execz .LBB42_18
; %bb.17:
	scratch_load_b64 v[92:93], off, off offset:8
	v_mov_b32_e32 v3, 0
	ds_load_b64 v[94:95], v3 offset:360
	s_wait_loadcnt_dscnt 0x0
	v_fmac_f64_e32 v[90:91], v[92:93], v[94:95]
.LBB42_18:
	s_or_b32 exec_lo, exec_lo, s8
	v_mov_b32_e32 v3, 0
	ds_load_b64 v[92:93], v3 offset:16
	s_wait_dscnt 0x0
	v_mul_f64_e32 v[90:91], v[90:91], v[92:93]
	scratch_store_b64 off, v[90:91], off offset:16
.LBB42_19:
	s_wait_xcnt 0x0
	s_or_b32 exec_lo, exec_lo, s1
	s_wait_storecnt 0x0
	s_barrier_signal -1
	s_barrier_wait -1
	scratch_load_b64 v[90:91], off, off offset:24
	v_add_nc_u32_e32 v3, -1, v0
	s_mov_b32 s0, exec_lo
	s_wait_loadcnt 0x0
	ds_store_b64 v1, v[90:91]
	s_wait_dscnt 0x0
	s_barrier_signal -1
	s_barrier_wait -1
	v_cmpx_gt_u32_e32 3, v0
	s_cbranch_execz .LBB42_23
; %bb.20:
	v_mov_b64_e32 v[90:91], 0
	v_dual_add_nc_u32 v9, -1, v0 :: v_dual_mov_b32 v13, v2
	v_add_nc_u32_e32 v11, 0x160, v2
	s_mov_b32 s1, 0
.LBB42_21:                              ; =>This Inner Loop Header: Depth=1
	scratch_load_b64 v[92:93], v13, off
	ds_load_b64 v[94:95], v11
	v_dual_add_nc_u32 v9, 1, v9 :: v_dual_add_nc_u32 v11, 8, v11
	s_wait_xcnt 0x0
	v_add_nc_u32_e32 v13, 8, v13
	s_delay_alu instid0(VALU_DEP_2)
	v_cmp_lt_u32_e32 vcc_lo, 1, v9
	s_or_b32 s1, vcc_lo, s1
	s_wait_loadcnt_dscnt 0x0
	v_fmac_f64_e32 v[90:91], v[92:93], v[94:95]
	s_and_not1_b32 exec_lo, exec_lo, s1
	s_cbranch_execnz .LBB42_21
; %bb.22:
	s_or_b32 exec_lo, exec_lo, s1
	v_mov_b32_e32 v9, 0
	ds_load_b64 v[92:93], v9 offset:24
	s_wait_dscnt 0x0
	v_mul_f64_e32 v[90:91], v[90:91], v[92:93]
	scratch_store_b64 off, v[90:91], off offset:24
.LBB42_23:
	s_wait_xcnt 0x0
	s_or_b32 exec_lo, exec_lo, s0
	s_wait_storecnt 0x0
	s_barrier_signal -1
	s_barrier_wait -1
	scratch_load_b64 v[90:91], off, off offset:32
	s_mov_b32 s0, exec_lo
	s_wait_loadcnt 0x0
	ds_store_b64 v1, v[90:91]
	s_wait_dscnt 0x0
	s_barrier_signal -1
	s_barrier_wait -1
	v_cmpx_gt_u32_e32 4, v0
	s_cbranch_execz .LBB42_27
; %bb.24:
	v_mov_b64_e32 v[90:91], 0
	v_dual_add_nc_u32 v9, -1, v0 :: v_dual_mov_b32 v13, v2
	v_add_nc_u32_e32 v11, 0x160, v2
	s_mov_b32 s1, 0
.LBB42_25:                              ; =>This Inner Loop Header: Depth=1
	scratch_load_b64 v[92:93], v13, off
	ds_load_b64 v[94:95], v11
	v_dual_add_nc_u32 v9, 1, v9 :: v_dual_add_nc_u32 v11, 8, v11
	s_wait_xcnt 0x0
	v_add_nc_u32_e32 v13, 8, v13
	s_delay_alu instid0(VALU_DEP_2)
	v_cmp_lt_u32_e32 vcc_lo, 2, v9
	s_or_b32 s1, vcc_lo, s1
	s_wait_loadcnt_dscnt 0x0
	v_fmac_f64_e32 v[90:91], v[92:93], v[94:95]
	s_and_not1_b32 exec_lo, exec_lo, s1
	s_cbranch_execnz .LBB42_25
; %bb.26:
	s_or_b32 exec_lo, exec_lo, s1
	v_mov_b32_e32 v9, 0
	ds_load_b64 v[92:93], v9 offset:32
	s_wait_dscnt 0x0
	v_mul_f64_e32 v[90:91], v[90:91], v[92:93]
	scratch_store_b64 off, v[90:91], off offset:32
.LBB42_27:
	s_wait_xcnt 0x0
	s_or_b32 exec_lo, exec_lo, s0
	s_wait_storecnt 0x0
	s_barrier_signal -1
	s_barrier_wait -1
	scratch_load_b64 v[90:91], off, off offset:40
	s_mov_b32 s0, exec_lo
	s_wait_loadcnt 0x0
	ds_store_b64 v1, v[90:91]
	s_wait_dscnt 0x0
	s_barrier_signal -1
	s_barrier_wait -1
	v_cmpx_gt_u32_e32 5, v0
	s_cbranch_execz .LBB42_31
; %bb.28:
	v_mov_b64_e32 v[90:91], 0
	v_dual_add_nc_u32 v9, -1, v0 :: v_dual_mov_b32 v13, v2
	v_add_nc_u32_e32 v11, 0x160, v2
	s_mov_b32 s1, 0
.LBB42_29:                              ; =>This Inner Loop Header: Depth=1
	scratch_load_b64 v[92:93], v13, off
	ds_load_b64 v[94:95], v11
	v_dual_add_nc_u32 v9, 1, v9 :: v_dual_add_nc_u32 v11, 8, v11
	s_wait_xcnt 0x0
	v_add_nc_u32_e32 v13, 8, v13
	s_delay_alu instid0(VALU_DEP_2)
	v_cmp_lt_u32_e32 vcc_lo, 3, v9
	s_or_b32 s1, vcc_lo, s1
	s_wait_loadcnt_dscnt 0x0
	v_fmac_f64_e32 v[90:91], v[92:93], v[94:95]
	s_and_not1_b32 exec_lo, exec_lo, s1
	s_cbranch_execnz .LBB42_29
; %bb.30:
	s_or_b32 exec_lo, exec_lo, s1
	v_mov_b32_e32 v9, 0
	ds_load_b64 v[92:93], v9 offset:40
	s_wait_dscnt 0x0
	v_mul_f64_e32 v[90:91], v[90:91], v[92:93]
	scratch_store_b64 off, v[90:91], off offset:40
.LBB42_31:
	s_wait_xcnt 0x0
	s_or_b32 exec_lo, exec_lo, s0
	s_wait_storecnt 0x0
	s_barrier_signal -1
	s_barrier_wait -1
	scratch_load_b64 v[90:91], off, off offset:48
	s_mov_b32 s0, exec_lo
	s_wait_loadcnt 0x0
	ds_store_b64 v1, v[90:91]
	s_wait_dscnt 0x0
	s_barrier_signal -1
	s_barrier_wait -1
	v_cmpx_gt_u32_e32 6, v0
	s_cbranch_execz .LBB42_35
; %bb.32:
	v_mov_b64_e32 v[90:91], 0
	v_dual_add_nc_u32 v9, -1, v0 :: v_dual_mov_b32 v13, v2
	v_add_nc_u32_e32 v11, 0x160, v2
	s_mov_b32 s1, 0
.LBB42_33:                              ; =>This Inner Loop Header: Depth=1
	scratch_load_b64 v[92:93], v13, off
	ds_load_b64 v[94:95], v11
	v_dual_add_nc_u32 v9, 1, v9 :: v_dual_add_nc_u32 v11, 8, v11
	s_wait_xcnt 0x0
	v_add_nc_u32_e32 v13, 8, v13
	s_delay_alu instid0(VALU_DEP_2)
	v_cmp_lt_u32_e32 vcc_lo, 4, v9
	s_or_b32 s1, vcc_lo, s1
	s_wait_loadcnt_dscnt 0x0
	v_fmac_f64_e32 v[90:91], v[92:93], v[94:95]
	s_and_not1_b32 exec_lo, exec_lo, s1
	s_cbranch_execnz .LBB42_33
; %bb.34:
	s_or_b32 exec_lo, exec_lo, s1
	v_mov_b32_e32 v9, 0
	ds_load_b64 v[92:93], v9 offset:48
	s_wait_dscnt 0x0
	v_mul_f64_e32 v[90:91], v[90:91], v[92:93]
	scratch_store_b64 off, v[90:91], off offset:48
.LBB42_35:
	s_wait_xcnt 0x0
	s_or_b32 exec_lo, exec_lo, s0
	s_wait_storecnt 0x0
	s_barrier_signal -1
	s_barrier_wait -1
	scratch_load_b64 v[90:91], off, off offset:56
	s_mov_b32 s0, exec_lo
	s_wait_loadcnt 0x0
	ds_store_b64 v1, v[90:91]
	s_wait_dscnt 0x0
	s_barrier_signal -1
	s_barrier_wait -1
	v_cmpx_gt_u32_e32 7, v0
	s_cbranch_execz .LBB42_39
; %bb.36:
	v_mov_b64_e32 v[90:91], 0
	v_dual_add_nc_u32 v9, -1, v0 :: v_dual_mov_b32 v13, v2
	v_add_nc_u32_e32 v11, 0x160, v2
	s_mov_b32 s1, 0
.LBB42_37:                              ; =>This Inner Loop Header: Depth=1
	scratch_load_b64 v[92:93], v13, off
	ds_load_b64 v[94:95], v11
	v_dual_add_nc_u32 v9, 1, v9 :: v_dual_add_nc_u32 v11, 8, v11
	s_wait_xcnt 0x0
	v_add_nc_u32_e32 v13, 8, v13
	s_delay_alu instid0(VALU_DEP_2)
	v_cmp_lt_u32_e32 vcc_lo, 5, v9
	s_or_b32 s1, vcc_lo, s1
	s_wait_loadcnt_dscnt 0x0
	v_fmac_f64_e32 v[90:91], v[92:93], v[94:95]
	s_and_not1_b32 exec_lo, exec_lo, s1
	s_cbranch_execnz .LBB42_37
; %bb.38:
	s_or_b32 exec_lo, exec_lo, s1
	v_mov_b32_e32 v9, 0
	ds_load_b64 v[92:93], v9 offset:56
	s_wait_dscnt 0x0
	v_mul_f64_e32 v[90:91], v[90:91], v[92:93]
	scratch_store_b64 off, v[90:91], off offset:56
.LBB42_39:
	s_wait_xcnt 0x0
	s_or_b32 exec_lo, exec_lo, s0
	s_wait_storecnt 0x0
	s_barrier_signal -1
	s_barrier_wait -1
	scratch_load_b64 v[90:91], off, off offset:64
	s_mov_b32 s0, exec_lo
	s_wait_loadcnt 0x0
	ds_store_b64 v1, v[90:91]
	s_wait_dscnt 0x0
	s_barrier_signal -1
	s_barrier_wait -1
	v_cmpx_gt_u32_e32 8, v0
	s_cbranch_execz .LBB42_43
; %bb.40:
	v_mov_b64_e32 v[90:91], 0
	v_dual_add_nc_u32 v9, -1, v0 :: v_dual_mov_b32 v13, v2
	v_add_nc_u32_e32 v11, 0x160, v2
	s_mov_b32 s1, 0
.LBB42_41:                              ; =>This Inner Loop Header: Depth=1
	scratch_load_b64 v[92:93], v13, off
	ds_load_b64 v[94:95], v11
	v_dual_add_nc_u32 v9, 1, v9 :: v_dual_add_nc_u32 v11, 8, v11
	s_wait_xcnt 0x0
	v_add_nc_u32_e32 v13, 8, v13
	s_delay_alu instid0(VALU_DEP_2)
	v_cmp_lt_u32_e32 vcc_lo, 6, v9
	s_or_b32 s1, vcc_lo, s1
	s_wait_loadcnt_dscnt 0x0
	v_fmac_f64_e32 v[90:91], v[92:93], v[94:95]
	s_and_not1_b32 exec_lo, exec_lo, s1
	s_cbranch_execnz .LBB42_41
; %bb.42:
	s_or_b32 exec_lo, exec_lo, s1
	v_mov_b32_e32 v9, 0
	ds_load_b64 v[92:93], v9 offset:64
	s_wait_dscnt 0x0
	v_mul_f64_e32 v[90:91], v[90:91], v[92:93]
	scratch_store_b64 off, v[90:91], off offset:64
.LBB42_43:
	s_wait_xcnt 0x0
	s_or_b32 exec_lo, exec_lo, s0
	s_wait_storecnt 0x0
	s_barrier_signal -1
	s_barrier_wait -1
	scratch_load_b64 v[90:91], off, off offset:72
	s_mov_b32 s0, exec_lo
	s_wait_loadcnt 0x0
	ds_store_b64 v1, v[90:91]
	s_wait_dscnt 0x0
	s_barrier_signal -1
	s_barrier_wait -1
	v_cmpx_gt_u32_e32 9, v0
	s_cbranch_execz .LBB42_47
; %bb.44:
	v_mov_b64_e32 v[90:91], 0
	v_dual_add_nc_u32 v9, -1, v0 :: v_dual_mov_b32 v13, v2
	v_add_nc_u32_e32 v11, 0x160, v2
	s_mov_b32 s1, 0
.LBB42_45:                              ; =>This Inner Loop Header: Depth=1
	scratch_load_b64 v[92:93], v13, off
	ds_load_b64 v[94:95], v11
	v_dual_add_nc_u32 v9, 1, v9 :: v_dual_add_nc_u32 v11, 8, v11
	s_wait_xcnt 0x0
	v_add_nc_u32_e32 v13, 8, v13
	s_delay_alu instid0(VALU_DEP_2)
	v_cmp_lt_u32_e32 vcc_lo, 7, v9
	s_or_b32 s1, vcc_lo, s1
	s_wait_loadcnt_dscnt 0x0
	v_fmac_f64_e32 v[90:91], v[92:93], v[94:95]
	s_and_not1_b32 exec_lo, exec_lo, s1
	s_cbranch_execnz .LBB42_45
; %bb.46:
	s_or_b32 exec_lo, exec_lo, s1
	v_mov_b32_e32 v9, 0
	ds_load_b64 v[92:93], v9 offset:72
	s_wait_dscnt 0x0
	v_mul_f64_e32 v[90:91], v[90:91], v[92:93]
	scratch_store_b64 off, v[90:91], off offset:72
.LBB42_47:
	s_wait_xcnt 0x0
	s_or_b32 exec_lo, exec_lo, s0
	s_wait_storecnt 0x0
	s_barrier_signal -1
	s_barrier_wait -1
	scratch_load_b64 v[90:91], off, off offset:80
	s_mov_b32 s0, exec_lo
	s_wait_loadcnt 0x0
	ds_store_b64 v1, v[90:91]
	s_wait_dscnt 0x0
	s_barrier_signal -1
	s_barrier_wait -1
	v_cmpx_gt_u32_e32 10, v0
	s_cbranch_execz .LBB42_51
; %bb.48:
	v_mov_b64_e32 v[90:91], 0
	v_dual_add_nc_u32 v9, -1, v0 :: v_dual_mov_b32 v13, v2
	v_add_nc_u32_e32 v11, 0x160, v2
	s_mov_b32 s1, 0
.LBB42_49:                              ; =>This Inner Loop Header: Depth=1
	scratch_load_b64 v[92:93], v13, off
	ds_load_b64 v[94:95], v11
	v_dual_add_nc_u32 v9, 1, v9 :: v_dual_add_nc_u32 v11, 8, v11
	s_wait_xcnt 0x0
	v_add_nc_u32_e32 v13, 8, v13
	s_delay_alu instid0(VALU_DEP_2)
	v_cmp_lt_u32_e32 vcc_lo, 8, v9
	s_or_b32 s1, vcc_lo, s1
	s_wait_loadcnt_dscnt 0x0
	v_fmac_f64_e32 v[90:91], v[92:93], v[94:95]
	s_and_not1_b32 exec_lo, exec_lo, s1
	s_cbranch_execnz .LBB42_49
; %bb.50:
	s_or_b32 exec_lo, exec_lo, s1
	v_mov_b32_e32 v9, 0
	ds_load_b64 v[92:93], v9 offset:80
	s_wait_dscnt 0x0
	v_mul_f64_e32 v[90:91], v[90:91], v[92:93]
	scratch_store_b64 off, v[90:91], off offset:80
.LBB42_51:
	s_wait_xcnt 0x0
	s_or_b32 exec_lo, exec_lo, s0
	s_wait_storecnt 0x0
	s_barrier_signal -1
	s_barrier_wait -1
	scratch_load_b64 v[90:91], off, off offset:88
	s_mov_b32 s0, exec_lo
	s_wait_loadcnt 0x0
	ds_store_b64 v1, v[90:91]
	s_wait_dscnt 0x0
	s_barrier_signal -1
	s_barrier_wait -1
	v_cmpx_gt_u32_e32 11, v0
	s_cbranch_execz .LBB42_55
; %bb.52:
	v_mov_b64_e32 v[90:91], 0
	v_dual_add_nc_u32 v9, -1, v0 :: v_dual_mov_b32 v13, v2
	v_add_nc_u32_e32 v11, 0x160, v2
	s_mov_b32 s1, 0
.LBB42_53:                              ; =>This Inner Loop Header: Depth=1
	scratch_load_b64 v[92:93], v13, off
	ds_load_b64 v[94:95], v11
	v_dual_add_nc_u32 v9, 1, v9 :: v_dual_add_nc_u32 v11, 8, v11
	s_wait_xcnt 0x0
	v_add_nc_u32_e32 v13, 8, v13
	s_delay_alu instid0(VALU_DEP_2)
	v_cmp_lt_u32_e32 vcc_lo, 9, v9
	s_or_b32 s1, vcc_lo, s1
	s_wait_loadcnt_dscnt 0x0
	v_fmac_f64_e32 v[90:91], v[92:93], v[94:95]
	s_and_not1_b32 exec_lo, exec_lo, s1
	s_cbranch_execnz .LBB42_53
; %bb.54:
	s_or_b32 exec_lo, exec_lo, s1
	v_mov_b32_e32 v9, 0
	ds_load_b64 v[92:93], v9 offset:88
	s_wait_dscnt 0x0
	v_mul_f64_e32 v[90:91], v[90:91], v[92:93]
	scratch_store_b64 off, v[90:91], off offset:88
.LBB42_55:
	s_wait_xcnt 0x0
	s_or_b32 exec_lo, exec_lo, s0
	s_wait_storecnt 0x0
	s_barrier_signal -1
	s_barrier_wait -1
	scratch_load_b64 v[90:91], off, off offset:96
	s_mov_b32 s0, exec_lo
	s_wait_loadcnt 0x0
	ds_store_b64 v1, v[90:91]
	s_wait_dscnt 0x0
	s_barrier_signal -1
	s_barrier_wait -1
	v_cmpx_gt_u32_e32 12, v0
	s_cbranch_execz .LBB42_59
; %bb.56:
	v_mov_b64_e32 v[90:91], 0
	v_dual_add_nc_u32 v9, -1, v0 :: v_dual_mov_b32 v13, v2
	v_add_nc_u32_e32 v11, 0x160, v2
	s_mov_b32 s1, 0
.LBB42_57:                              ; =>This Inner Loop Header: Depth=1
	scratch_load_b64 v[92:93], v13, off
	ds_load_b64 v[94:95], v11
	v_dual_add_nc_u32 v9, 1, v9 :: v_dual_add_nc_u32 v11, 8, v11
	s_wait_xcnt 0x0
	v_add_nc_u32_e32 v13, 8, v13
	s_delay_alu instid0(VALU_DEP_2)
	v_cmp_lt_u32_e32 vcc_lo, 10, v9
	s_or_b32 s1, vcc_lo, s1
	s_wait_loadcnt_dscnt 0x0
	v_fmac_f64_e32 v[90:91], v[92:93], v[94:95]
	s_and_not1_b32 exec_lo, exec_lo, s1
	s_cbranch_execnz .LBB42_57
; %bb.58:
	s_or_b32 exec_lo, exec_lo, s1
	v_mov_b32_e32 v9, 0
	ds_load_b64 v[92:93], v9 offset:96
	s_wait_dscnt 0x0
	v_mul_f64_e32 v[90:91], v[90:91], v[92:93]
	scratch_store_b64 off, v[90:91], off offset:96
.LBB42_59:
	s_wait_xcnt 0x0
	s_or_b32 exec_lo, exec_lo, s0
	s_wait_storecnt 0x0
	s_barrier_signal -1
	s_barrier_wait -1
	scratch_load_b64 v[90:91], off, off offset:104
	s_mov_b32 s0, exec_lo
	s_wait_loadcnt 0x0
	ds_store_b64 v1, v[90:91]
	s_wait_dscnt 0x0
	s_barrier_signal -1
	s_barrier_wait -1
	v_cmpx_gt_u32_e32 13, v0
	s_cbranch_execz .LBB42_63
; %bb.60:
	v_mov_b64_e32 v[90:91], 0
	v_dual_add_nc_u32 v9, -1, v0 :: v_dual_mov_b32 v13, v2
	v_add_nc_u32_e32 v11, 0x160, v2
	s_mov_b32 s1, 0
.LBB42_61:                              ; =>This Inner Loop Header: Depth=1
	scratch_load_b64 v[92:93], v13, off
	ds_load_b64 v[94:95], v11
	v_dual_add_nc_u32 v9, 1, v9 :: v_dual_add_nc_u32 v11, 8, v11
	s_wait_xcnt 0x0
	v_add_nc_u32_e32 v13, 8, v13
	s_delay_alu instid0(VALU_DEP_2)
	v_cmp_lt_u32_e32 vcc_lo, 11, v9
	s_or_b32 s1, vcc_lo, s1
	s_wait_loadcnt_dscnt 0x0
	v_fmac_f64_e32 v[90:91], v[92:93], v[94:95]
	s_and_not1_b32 exec_lo, exec_lo, s1
	s_cbranch_execnz .LBB42_61
; %bb.62:
	s_or_b32 exec_lo, exec_lo, s1
	v_mov_b32_e32 v9, 0
	ds_load_b64 v[92:93], v9 offset:104
	s_wait_dscnt 0x0
	v_mul_f64_e32 v[90:91], v[90:91], v[92:93]
	scratch_store_b64 off, v[90:91], off offset:104
.LBB42_63:
	s_wait_xcnt 0x0
	s_or_b32 exec_lo, exec_lo, s0
	s_wait_storecnt 0x0
	s_barrier_signal -1
	s_barrier_wait -1
	scratch_load_b64 v[90:91], off, off offset:112
	s_mov_b32 s0, exec_lo
	s_wait_loadcnt 0x0
	ds_store_b64 v1, v[90:91]
	s_wait_dscnt 0x0
	s_barrier_signal -1
	s_barrier_wait -1
	v_cmpx_gt_u32_e32 14, v0
	s_cbranch_execz .LBB42_67
; %bb.64:
	v_mov_b64_e32 v[90:91], 0
	v_dual_add_nc_u32 v9, -1, v0 :: v_dual_mov_b32 v13, v2
	v_add_nc_u32_e32 v11, 0x160, v2
	s_mov_b32 s1, 0
.LBB42_65:                              ; =>This Inner Loop Header: Depth=1
	scratch_load_b64 v[92:93], v13, off
	ds_load_b64 v[94:95], v11
	v_dual_add_nc_u32 v9, 1, v9 :: v_dual_add_nc_u32 v11, 8, v11
	s_wait_xcnt 0x0
	v_add_nc_u32_e32 v13, 8, v13
	s_delay_alu instid0(VALU_DEP_2)
	v_cmp_lt_u32_e32 vcc_lo, 12, v9
	s_or_b32 s1, vcc_lo, s1
	s_wait_loadcnt_dscnt 0x0
	v_fmac_f64_e32 v[90:91], v[92:93], v[94:95]
	s_and_not1_b32 exec_lo, exec_lo, s1
	s_cbranch_execnz .LBB42_65
; %bb.66:
	s_or_b32 exec_lo, exec_lo, s1
	v_mov_b32_e32 v9, 0
	ds_load_b64 v[92:93], v9 offset:112
	s_wait_dscnt 0x0
	v_mul_f64_e32 v[90:91], v[90:91], v[92:93]
	scratch_store_b64 off, v[90:91], off offset:112
.LBB42_67:
	s_wait_xcnt 0x0
	s_or_b32 exec_lo, exec_lo, s0
	s_wait_storecnt 0x0
	s_barrier_signal -1
	s_barrier_wait -1
	scratch_load_b64 v[90:91], off, off offset:120
	s_mov_b32 s0, exec_lo
	s_wait_loadcnt 0x0
	ds_store_b64 v1, v[90:91]
	s_wait_dscnt 0x0
	s_barrier_signal -1
	s_barrier_wait -1
	v_cmpx_gt_u32_e32 15, v0
	s_cbranch_execz .LBB42_71
; %bb.68:
	v_mov_b64_e32 v[90:91], 0
	v_dual_add_nc_u32 v9, -1, v0 :: v_dual_mov_b32 v13, v2
	v_add_nc_u32_e32 v11, 0x160, v2
	s_mov_b32 s1, 0
.LBB42_69:                              ; =>This Inner Loop Header: Depth=1
	scratch_load_b64 v[92:93], v13, off
	ds_load_b64 v[94:95], v11
	v_dual_add_nc_u32 v9, 1, v9 :: v_dual_add_nc_u32 v11, 8, v11
	s_wait_xcnt 0x0
	v_add_nc_u32_e32 v13, 8, v13
	s_delay_alu instid0(VALU_DEP_2)
	v_cmp_lt_u32_e32 vcc_lo, 13, v9
	s_or_b32 s1, vcc_lo, s1
	s_wait_loadcnt_dscnt 0x0
	v_fmac_f64_e32 v[90:91], v[92:93], v[94:95]
	s_and_not1_b32 exec_lo, exec_lo, s1
	s_cbranch_execnz .LBB42_69
; %bb.70:
	s_or_b32 exec_lo, exec_lo, s1
	v_mov_b32_e32 v9, 0
	ds_load_b64 v[92:93], v9 offset:120
	s_wait_dscnt 0x0
	v_mul_f64_e32 v[90:91], v[90:91], v[92:93]
	scratch_store_b64 off, v[90:91], off offset:120
.LBB42_71:
	s_wait_xcnt 0x0
	s_or_b32 exec_lo, exec_lo, s0
	s_wait_storecnt 0x0
	s_barrier_signal -1
	s_barrier_wait -1
	scratch_load_b64 v[90:91], off, off offset:128
	s_mov_b32 s0, exec_lo
	s_wait_loadcnt 0x0
	ds_store_b64 v1, v[90:91]
	s_wait_dscnt 0x0
	s_barrier_signal -1
	s_barrier_wait -1
	v_cmpx_gt_u32_e32 16, v0
	s_cbranch_execz .LBB42_75
; %bb.72:
	v_mov_b64_e32 v[90:91], 0
	v_dual_add_nc_u32 v9, -1, v0 :: v_dual_mov_b32 v13, v2
	v_add_nc_u32_e32 v11, 0x160, v2
	s_mov_b32 s1, 0
.LBB42_73:                              ; =>This Inner Loop Header: Depth=1
	scratch_load_b64 v[92:93], v13, off
	ds_load_b64 v[94:95], v11
	v_dual_add_nc_u32 v9, 1, v9 :: v_dual_add_nc_u32 v11, 8, v11
	s_wait_xcnt 0x0
	v_add_nc_u32_e32 v13, 8, v13
	s_delay_alu instid0(VALU_DEP_2)
	v_cmp_lt_u32_e32 vcc_lo, 14, v9
	s_or_b32 s1, vcc_lo, s1
	s_wait_loadcnt_dscnt 0x0
	v_fmac_f64_e32 v[90:91], v[92:93], v[94:95]
	s_and_not1_b32 exec_lo, exec_lo, s1
	s_cbranch_execnz .LBB42_73
; %bb.74:
	s_or_b32 exec_lo, exec_lo, s1
	v_mov_b32_e32 v9, 0
	ds_load_b64 v[92:93], v9 offset:128
	s_wait_dscnt 0x0
	v_mul_f64_e32 v[90:91], v[90:91], v[92:93]
	scratch_store_b64 off, v[90:91], off offset:128
.LBB42_75:
	s_wait_xcnt 0x0
	s_or_b32 exec_lo, exec_lo, s0
	s_wait_storecnt 0x0
	s_barrier_signal -1
	s_barrier_wait -1
	scratch_load_b64 v[90:91], off, off offset:136
	s_mov_b32 s0, exec_lo
	s_wait_loadcnt 0x0
	ds_store_b64 v1, v[90:91]
	s_wait_dscnt 0x0
	s_barrier_signal -1
	s_barrier_wait -1
	v_cmpx_gt_u32_e32 17, v0
	s_cbranch_execz .LBB42_79
; %bb.76:
	v_mov_b64_e32 v[90:91], 0
	v_dual_add_nc_u32 v9, -1, v0 :: v_dual_mov_b32 v13, v2
	v_add_nc_u32_e32 v11, 0x160, v2
	s_mov_b32 s1, 0
.LBB42_77:                              ; =>This Inner Loop Header: Depth=1
	scratch_load_b64 v[92:93], v13, off
	ds_load_b64 v[94:95], v11
	v_dual_add_nc_u32 v9, 1, v9 :: v_dual_add_nc_u32 v11, 8, v11
	s_wait_xcnt 0x0
	v_add_nc_u32_e32 v13, 8, v13
	s_delay_alu instid0(VALU_DEP_2)
	v_cmp_lt_u32_e32 vcc_lo, 15, v9
	s_or_b32 s1, vcc_lo, s1
	s_wait_loadcnt_dscnt 0x0
	v_fmac_f64_e32 v[90:91], v[92:93], v[94:95]
	s_and_not1_b32 exec_lo, exec_lo, s1
	s_cbranch_execnz .LBB42_77
; %bb.78:
	s_or_b32 exec_lo, exec_lo, s1
	v_mov_b32_e32 v9, 0
	ds_load_b64 v[92:93], v9 offset:136
	s_wait_dscnt 0x0
	v_mul_f64_e32 v[90:91], v[90:91], v[92:93]
	scratch_store_b64 off, v[90:91], off offset:136
.LBB42_79:
	s_wait_xcnt 0x0
	s_or_b32 exec_lo, exec_lo, s0
	s_wait_storecnt 0x0
	s_barrier_signal -1
	s_barrier_wait -1
	scratch_load_b64 v[90:91], off, off offset:144
	s_mov_b32 s0, exec_lo
	s_wait_loadcnt 0x0
	ds_store_b64 v1, v[90:91]
	s_wait_dscnt 0x0
	s_barrier_signal -1
	s_barrier_wait -1
	v_cmpx_gt_u32_e32 18, v0
	s_cbranch_execz .LBB42_83
; %bb.80:
	v_mov_b64_e32 v[90:91], 0
	v_dual_add_nc_u32 v9, -1, v0 :: v_dual_mov_b32 v13, v2
	v_add_nc_u32_e32 v11, 0x160, v2
	s_mov_b32 s1, 0
.LBB42_81:                              ; =>This Inner Loop Header: Depth=1
	scratch_load_b64 v[92:93], v13, off
	ds_load_b64 v[94:95], v11
	v_dual_add_nc_u32 v9, 1, v9 :: v_dual_add_nc_u32 v11, 8, v11
	s_wait_xcnt 0x0
	v_add_nc_u32_e32 v13, 8, v13
	s_delay_alu instid0(VALU_DEP_2)
	v_cmp_lt_u32_e32 vcc_lo, 16, v9
	s_or_b32 s1, vcc_lo, s1
	s_wait_loadcnt_dscnt 0x0
	v_fmac_f64_e32 v[90:91], v[92:93], v[94:95]
	s_and_not1_b32 exec_lo, exec_lo, s1
	s_cbranch_execnz .LBB42_81
; %bb.82:
	s_or_b32 exec_lo, exec_lo, s1
	v_mov_b32_e32 v9, 0
	ds_load_b64 v[92:93], v9 offset:144
	s_wait_dscnt 0x0
	v_mul_f64_e32 v[90:91], v[90:91], v[92:93]
	scratch_store_b64 off, v[90:91], off offset:144
.LBB42_83:
	s_wait_xcnt 0x0
	s_or_b32 exec_lo, exec_lo, s0
	s_wait_storecnt 0x0
	s_barrier_signal -1
	s_barrier_wait -1
	scratch_load_b64 v[90:91], off, off offset:152
	s_mov_b32 s0, exec_lo
	s_wait_loadcnt 0x0
	ds_store_b64 v1, v[90:91]
	s_wait_dscnt 0x0
	s_barrier_signal -1
	s_barrier_wait -1
	v_cmpx_gt_u32_e32 19, v0
	s_cbranch_execz .LBB42_87
; %bb.84:
	v_mov_b64_e32 v[90:91], 0
	v_dual_add_nc_u32 v9, -1, v0 :: v_dual_mov_b32 v13, v2
	v_add_nc_u32_e32 v11, 0x160, v2
	s_mov_b32 s1, 0
.LBB42_85:                              ; =>This Inner Loop Header: Depth=1
	scratch_load_b64 v[92:93], v13, off
	ds_load_b64 v[94:95], v11
	v_dual_add_nc_u32 v9, 1, v9 :: v_dual_add_nc_u32 v11, 8, v11
	s_wait_xcnt 0x0
	v_add_nc_u32_e32 v13, 8, v13
	s_delay_alu instid0(VALU_DEP_2)
	v_cmp_lt_u32_e32 vcc_lo, 17, v9
	s_or_b32 s1, vcc_lo, s1
	s_wait_loadcnt_dscnt 0x0
	v_fmac_f64_e32 v[90:91], v[92:93], v[94:95]
	s_and_not1_b32 exec_lo, exec_lo, s1
	s_cbranch_execnz .LBB42_85
; %bb.86:
	s_or_b32 exec_lo, exec_lo, s1
	v_mov_b32_e32 v9, 0
	ds_load_b64 v[92:93], v9 offset:152
	s_wait_dscnt 0x0
	v_mul_f64_e32 v[90:91], v[90:91], v[92:93]
	scratch_store_b64 off, v[90:91], off offset:152
.LBB42_87:
	s_wait_xcnt 0x0
	s_or_b32 exec_lo, exec_lo, s0
	s_wait_storecnt 0x0
	s_barrier_signal -1
	s_barrier_wait -1
	scratch_load_b64 v[90:91], off, off offset:160
	s_mov_b32 s0, exec_lo
	s_wait_loadcnt 0x0
	ds_store_b64 v1, v[90:91]
	s_wait_dscnt 0x0
	s_barrier_signal -1
	s_barrier_wait -1
	v_cmpx_gt_u32_e32 20, v0
	s_cbranch_execz .LBB42_91
; %bb.88:
	v_mov_b64_e32 v[90:91], 0
	v_dual_add_nc_u32 v9, -1, v0 :: v_dual_mov_b32 v13, v2
	v_add_nc_u32_e32 v11, 0x160, v2
	s_mov_b32 s1, 0
.LBB42_89:                              ; =>This Inner Loop Header: Depth=1
	scratch_load_b64 v[92:93], v13, off
	ds_load_b64 v[94:95], v11
	v_dual_add_nc_u32 v9, 1, v9 :: v_dual_add_nc_u32 v11, 8, v11
	s_wait_xcnt 0x0
	v_add_nc_u32_e32 v13, 8, v13
	s_delay_alu instid0(VALU_DEP_2)
	v_cmp_lt_u32_e32 vcc_lo, 18, v9
	s_or_b32 s1, vcc_lo, s1
	s_wait_loadcnt_dscnt 0x0
	v_fmac_f64_e32 v[90:91], v[92:93], v[94:95]
	s_and_not1_b32 exec_lo, exec_lo, s1
	s_cbranch_execnz .LBB42_89
; %bb.90:
	s_or_b32 exec_lo, exec_lo, s1
	v_mov_b32_e32 v9, 0
	ds_load_b64 v[92:93], v9 offset:160
	s_wait_dscnt 0x0
	v_mul_f64_e32 v[90:91], v[90:91], v[92:93]
	scratch_store_b64 off, v[90:91], off offset:160
.LBB42_91:
	s_wait_xcnt 0x0
	s_or_b32 exec_lo, exec_lo, s0
	s_wait_storecnt 0x0
	s_barrier_signal -1
	s_barrier_wait -1
	scratch_load_b64 v[90:91], off, off offset:168
	s_mov_b32 s0, exec_lo
	s_wait_loadcnt 0x0
	ds_store_b64 v1, v[90:91]
	s_wait_dscnt 0x0
	s_barrier_signal -1
	s_barrier_wait -1
	v_cmpx_gt_u32_e32 21, v0
	s_cbranch_execz .LBB42_95
; %bb.92:
	v_mov_b64_e32 v[90:91], 0
	v_dual_add_nc_u32 v9, -1, v0 :: v_dual_mov_b32 v13, v2
	v_add_nc_u32_e32 v11, 0x160, v2
	s_mov_b32 s1, 0
.LBB42_93:                              ; =>This Inner Loop Header: Depth=1
	scratch_load_b64 v[92:93], v13, off
	ds_load_b64 v[94:95], v11
	v_dual_add_nc_u32 v9, 1, v9 :: v_dual_add_nc_u32 v11, 8, v11
	s_wait_xcnt 0x0
	v_add_nc_u32_e32 v13, 8, v13
	s_delay_alu instid0(VALU_DEP_2)
	v_cmp_lt_u32_e32 vcc_lo, 19, v9
	s_or_b32 s1, vcc_lo, s1
	s_wait_loadcnt_dscnt 0x0
	v_fmac_f64_e32 v[90:91], v[92:93], v[94:95]
	s_and_not1_b32 exec_lo, exec_lo, s1
	s_cbranch_execnz .LBB42_93
; %bb.94:
	s_or_b32 exec_lo, exec_lo, s1
	v_mov_b32_e32 v9, 0
	ds_load_b64 v[92:93], v9 offset:168
	s_wait_dscnt 0x0
	v_mul_f64_e32 v[90:91], v[90:91], v[92:93]
	scratch_store_b64 off, v[90:91], off offset:168
.LBB42_95:
	s_wait_xcnt 0x0
	s_or_b32 exec_lo, exec_lo, s0
	s_wait_storecnt 0x0
	s_barrier_signal -1
	s_barrier_wait -1
	scratch_load_b64 v[90:91], off, off offset:176
	s_mov_b32 s0, exec_lo
	s_wait_loadcnt 0x0
	ds_store_b64 v1, v[90:91]
	s_wait_dscnt 0x0
	s_barrier_signal -1
	s_barrier_wait -1
	v_cmpx_gt_u32_e32 22, v0
	s_cbranch_execz .LBB42_99
; %bb.96:
	v_mov_b64_e32 v[90:91], 0
	v_dual_add_nc_u32 v9, -1, v0 :: v_dual_mov_b32 v13, v2
	v_add_nc_u32_e32 v11, 0x160, v2
	s_mov_b32 s1, 0
.LBB42_97:                              ; =>This Inner Loop Header: Depth=1
	scratch_load_b64 v[92:93], v13, off
	ds_load_b64 v[94:95], v11
	v_dual_add_nc_u32 v9, 1, v9 :: v_dual_add_nc_u32 v11, 8, v11
	s_wait_xcnt 0x0
	v_add_nc_u32_e32 v13, 8, v13
	s_delay_alu instid0(VALU_DEP_2)
	v_cmp_lt_u32_e32 vcc_lo, 20, v9
	s_or_b32 s1, vcc_lo, s1
	s_wait_loadcnt_dscnt 0x0
	v_fmac_f64_e32 v[90:91], v[92:93], v[94:95]
	s_and_not1_b32 exec_lo, exec_lo, s1
	s_cbranch_execnz .LBB42_97
; %bb.98:
	s_or_b32 exec_lo, exec_lo, s1
	v_mov_b32_e32 v9, 0
	ds_load_b64 v[92:93], v9 offset:176
	s_wait_dscnt 0x0
	v_mul_f64_e32 v[90:91], v[90:91], v[92:93]
	scratch_store_b64 off, v[90:91], off offset:176
.LBB42_99:
	s_wait_xcnt 0x0
	s_or_b32 exec_lo, exec_lo, s0
	s_wait_storecnt 0x0
	s_barrier_signal -1
	s_barrier_wait -1
	scratch_load_b64 v[90:91], off, off offset:184
	s_mov_b32 s0, exec_lo
	s_wait_loadcnt 0x0
	ds_store_b64 v1, v[90:91]
	s_wait_dscnt 0x0
	s_barrier_signal -1
	s_barrier_wait -1
	v_cmpx_gt_u32_e32 23, v0
	s_cbranch_execz .LBB42_103
; %bb.100:
	v_mov_b64_e32 v[90:91], 0
	v_dual_add_nc_u32 v9, -1, v0 :: v_dual_mov_b32 v13, v2
	v_add_nc_u32_e32 v11, 0x160, v2
	s_mov_b32 s1, 0
.LBB42_101:                             ; =>This Inner Loop Header: Depth=1
	scratch_load_b64 v[92:93], v13, off
	ds_load_b64 v[94:95], v11
	v_dual_add_nc_u32 v9, 1, v9 :: v_dual_add_nc_u32 v11, 8, v11
	s_wait_xcnt 0x0
	v_add_nc_u32_e32 v13, 8, v13
	s_delay_alu instid0(VALU_DEP_2)
	v_cmp_lt_u32_e32 vcc_lo, 21, v9
	s_or_b32 s1, vcc_lo, s1
	s_wait_loadcnt_dscnt 0x0
	v_fmac_f64_e32 v[90:91], v[92:93], v[94:95]
	s_and_not1_b32 exec_lo, exec_lo, s1
	s_cbranch_execnz .LBB42_101
; %bb.102:
	s_or_b32 exec_lo, exec_lo, s1
	v_mov_b32_e32 v9, 0
	ds_load_b64 v[92:93], v9 offset:184
	s_wait_dscnt 0x0
	v_mul_f64_e32 v[90:91], v[90:91], v[92:93]
	scratch_store_b64 off, v[90:91], off offset:184
.LBB42_103:
	s_wait_xcnt 0x0
	s_or_b32 exec_lo, exec_lo, s0
	s_wait_storecnt 0x0
	s_barrier_signal -1
	s_barrier_wait -1
	scratch_load_b64 v[90:91], off, off offset:192
	s_mov_b32 s0, exec_lo
	s_wait_loadcnt 0x0
	ds_store_b64 v1, v[90:91]
	s_wait_dscnt 0x0
	s_barrier_signal -1
	s_barrier_wait -1
	v_cmpx_gt_u32_e32 24, v0
	s_cbranch_execz .LBB42_107
; %bb.104:
	v_mov_b64_e32 v[90:91], 0
	v_dual_add_nc_u32 v9, -1, v0 :: v_dual_mov_b32 v13, v2
	v_add_nc_u32_e32 v11, 0x160, v2
	s_mov_b32 s1, 0
.LBB42_105:                             ; =>This Inner Loop Header: Depth=1
	scratch_load_b64 v[92:93], v13, off
	ds_load_b64 v[94:95], v11
	v_dual_add_nc_u32 v9, 1, v9 :: v_dual_add_nc_u32 v11, 8, v11
	s_wait_xcnt 0x0
	v_add_nc_u32_e32 v13, 8, v13
	s_delay_alu instid0(VALU_DEP_2)
	v_cmp_lt_u32_e32 vcc_lo, 22, v9
	s_or_b32 s1, vcc_lo, s1
	s_wait_loadcnt_dscnt 0x0
	v_fmac_f64_e32 v[90:91], v[92:93], v[94:95]
	s_and_not1_b32 exec_lo, exec_lo, s1
	s_cbranch_execnz .LBB42_105
; %bb.106:
	s_or_b32 exec_lo, exec_lo, s1
	v_mov_b32_e32 v9, 0
	ds_load_b64 v[92:93], v9 offset:192
	s_wait_dscnt 0x0
	v_mul_f64_e32 v[90:91], v[90:91], v[92:93]
	scratch_store_b64 off, v[90:91], off offset:192
.LBB42_107:
	s_wait_xcnt 0x0
	s_or_b32 exec_lo, exec_lo, s0
	s_wait_storecnt 0x0
	s_barrier_signal -1
	s_barrier_wait -1
	scratch_load_b64 v[90:91], off, off offset:200
	;; [unrolled: 40-line block ×19, first 2 shown]
	s_mov_b32 s0, exec_lo
	s_wait_loadcnt 0x0
	ds_store_b64 v1, v[90:91]
	s_wait_dscnt 0x0
	s_barrier_signal -1
	s_barrier_wait -1
	v_cmpx_ne_u32_e32 42, v0
	s_cbranch_execz .LBB42_179
; %bb.176:
	v_mov_b64_e32 v[90:91], 0
	s_mov_b32 s1, 0
.LBB42_177:                             ; =>This Inner Loop Header: Depth=1
	scratch_load_b64 v[92:93], v2, off
	ds_load_b64 v[94:95], v1
	v_dual_add_nc_u32 v3, 1, v3 :: v_dual_add_nc_u32 v1, 8, v1
	s_wait_xcnt 0x0
	v_add_nc_u32_e32 v2, 8, v2
	s_delay_alu instid0(VALU_DEP_2)
	v_cmp_lt_u32_e32 vcc_lo, 40, v3
	s_or_b32 s1, vcc_lo, s1
	s_wait_loadcnt_dscnt 0x0
	v_fmac_f64_e32 v[90:91], v[92:93], v[94:95]
	s_and_not1_b32 exec_lo, exec_lo, s1
	s_cbranch_execnz .LBB42_177
; %bb.178:
	s_or_b32 exec_lo, exec_lo, s1
	v_mov_b32_e32 v1, 0
	ds_load_b64 v[2:3], v1 offset:336
	s_wait_dscnt 0x0
	v_mul_f64_e32 v[2:3], v[90:91], v[2:3]
	scratch_store_b64 off, v[2:3], off offset:336
.LBB42_179:
	s_wait_xcnt 0x0
	s_or_b32 exec_lo, exec_lo, s0
	s_mov_b32 s1, -1
	s_wait_storecnt 0x0
	s_barrier_signal -1
	s_barrier_wait -1
.LBB42_180:
	s_and_b32 vcc_lo, exec_lo, s1
	s_cbranch_vccz .LBB42_182
; %bb.181:
	v_mov_b32_e32 v1, 0
	s_lshl_b64 s[0:1], s[16:17], 2
	s_delay_alu instid0(SALU_CYCLE_1)
	s_add_nc_u64 s[0:1], s[6:7], s[0:1]
	global_load_b32 v1, v1, s[0:1]
	s_wait_loadcnt 0x0
	v_cmp_ne_u32_e32 vcc_lo, 0, v1
	s_cbranch_vccz .LBB42_183
.LBB42_182:
	s_sendmsg sendmsg(MSG_DEALLOC_VGPRS)
	s_endpgm
.LBB42_183:
	s_wait_xcnt 0x0
	v_lshl_add_u32 v1, v0, 3, 0x160
	s_mov_b32 s0, exec_lo
	v_cmpx_eq_u32_e32 42, v0
	s_cbranch_execz .LBB42_185
; %bb.184:
	scratch_load_b64 v[2:3], off, off offset:328
	v_mov_b64_e32 v[90:91], 0
	scratch_store_b64 off, v[90:91], off offset:328
	s_wait_loadcnt 0x0
	ds_store_b64 v1, v[2:3]
.LBB42_185:
	s_wait_xcnt 0x0
	s_or_b32 exec_lo, exec_lo, s0
	s_wait_storecnt_dscnt 0x0
	s_barrier_signal -1
	s_barrier_wait -1
	scratch_load_b128 v[90:93], off, off offset:328
	v_mov_b32_e32 v2, 0
	s_mov_b32 s0, exec_lo
	ds_load_b64 v[94:95], v2 offset:688
	s_wait_loadcnt_dscnt 0x0
	v_fma_f64 v[92:93], v[92:93], v[94:95], 0
	s_delay_alu instid0(VALU_DEP_1)
	v_add_f64_e64 v[90:91], v[90:91], -v[92:93]
	scratch_store_b64 off, v[90:91], off offset:328
	s_wait_xcnt 0x0
	v_cmpx_lt_u32_e32 40, v0
	s_cbranch_execz .LBB42_187
; %bb.186:
	scratch_load_b64 v[90:91], off, off offset:320
	v_mov_b64_e32 v[92:93], 0
	scratch_store_b64 off, v[92:93], off offset:320
	s_wait_loadcnt 0x0
	ds_store_b64 v1, v[90:91]
.LBB42_187:
	s_wait_xcnt 0x0
	s_or_b32 exec_lo, exec_lo, s0
	s_wait_storecnt_dscnt 0x0
	s_barrier_signal -1
	s_barrier_wait -1
	s_clause 0x1
	scratch_load_b128 v[90:93], off, off offset:320
	scratch_load_b64 v[98:99], off, off offset:336
	ds_load_2addr_b64 v[94:97], v2 offset0:85 offset1:86
	s_mov_b32 s0, exec_lo
	s_wait_loadcnt_dscnt 0x100
	v_fma_f64 v[2:3], v[92:93], v[94:95], 0
	s_wait_loadcnt 0x0
	s_delay_alu instid0(VALU_DEP_1) | instskip(NEXT) | instid1(VALU_DEP_1)
	v_fmac_f64_e32 v[2:3], v[98:99], v[96:97]
	v_add_f64_e64 v[2:3], v[90:91], -v[2:3]
	scratch_store_b64 off, v[2:3], off offset:320
	s_wait_xcnt 0x0
	v_cmpx_lt_u32_e32 39, v0
	s_cbranch_execz .LBB42_189
; %bb.188:
	scratch_load_b64 v[2:3], off, off offset:312
	v_mov_b64_e32 v[90:91], 0
	scratch_store_b64 off, v[90:91], off offset:312
	s_wait_loadcnt 0x0
	ds_store_b64 v1, v[2:3]
.LBB42_189:
	s_wait_xcnt 0x0
	s_or_b32 exec_lo, exec_lo, s0
	s_wait_storecnt_dscnt 0x0
	s_barrier_signal -1
	s_barrier_wait -1
	s_clause 0x1
	scratch_load_b128 v[90:93], off, off offset:312
	scratch_load_b128 v[94:97], off, off offset:328
	v_mov_b32_e32 v2, 0
	ds_load_b128 v[98:101], v2 offset:672
	ds_load_b64 v[102:103], v2 offset:688
	s_mov_b32 s0, exec_lo
	s_wait_loadcnt_dscnt 0x101
	v_fma_f64 v[92:93], v[92:93], v[98:99], 0
	s_wait_loadcnt 0x0
	s_delay_alu instid0(VALU_DEP_1) | instskip(SKIP_1) | instid1(VALU_DEP_1)
	v_fmac_f64_e32 v[92:93], v[94:95], v[100:101]
	s_wait_dscnt 0x0
	v_fmac_f64_e32 v[92:93], v[96:97], v[102:103]
	s_delay_alu instid0(VALU_DEP_1)
	v_add_f64_e64 v[90:91], v[90:91], -v[92:93]
	scratch_store_b64 off, v[90:91], off offset:312
	s_wait_xcnt 0x0
	v_cmpx_lt_u32_e32 38, v0
	s_cbranch_execz .LBB42_191
; %bb.190:
	scratch_load_b64 v[90:91], off, off offset:304
	v_mov_b64_e32 v[92:93], 0
	scratch_store_b64 off, v[92:93], off offset:304
	s_wait_loadcnt 0x0
	ds_store_b64 v1, v[90:91]
.LBB42_191:
	s_wait_xcnt 0x0
	s_or_b32 exec_lo, exec_lo, s0
	s_wait_storecnt_dscnt 0x0
	s_barrier_signal -1
	s_barrier_wait -1
	s_clause 0x2
	scratch_load_b128 v[90:93], off, off offset:304
	scratch_load_b128 v[94:97], off, off offset:320
	scratch_load_b64 v[106:107], off, off offset:336
	ds_load_2addr_b64 v[98:101], v2 offset0:83 offset1:84
	ds_load_2addr_b64 v[102:105], v2 offset0:85 offset1:86
	s_mov_b32 s0, exec_lo
	s_wait_loadcnt_dscnt 0x201
	v_fma_f64 v[2:3], v[92:93], v[98:99], 0
	s_wait_loadcnt 0x1
	s_delay_alu instid0(VALU_DEP_1) | instskip(SKIP_1) | instid1(VALU_DEP_1)
	v_fmac_f64_e32 v[2:3], v[94:95], v[100:101]
	s_wait_dscnt 0x0
	v_fmac_f64_e32 v[2:3], v[96:97], v[102:103]
	s_wait_loadcnt 0x0
	s_delay_alu instid0(VALU_DEP_1) | instskip(NEXT) | instid1(VALU_DEP_1)
	v_fmac_f64_e32 v[2:3], v[106:107], v[104:105]
	v_add_f64_e64 v[2:3], v[90:91], -v[2:3]
	scratch_store_b64 off, v[2:3], off offset:304
	s_wait_xcnt 0x0
	v_cmpx_lt_u32_e32 37, v0
	s_cbranch_execz .LBB42_193
; %bb.192:
	scratch_load_b64 v[2:3], off, off offset:296
	v_mov_b64_e32 v[90:91], 0
	scratch_store_b64 off, v[90:91], off offset:296
	s_wait_loadcnt 0x0
	ds_store_b64 v1, v[2:3]
.LBB42_193:
	s_wait_xcnt 0x0
	s_or_b32 exec_lo, exec_lo, s0
	s_wait_storecnt_dscnt 0x0
	s_barrier_signal -1
	s_barrier_wait -1
	s_clause 0x2
	scratch_load_b128 v[90:93], off, off offset:296
	scratch_load_b128 v[94:97], off, off offset:312
	;; [unrolled: 1-line block ×3, first 2 shown]
	v_mov_b32_e32 v2, 0
	ds_load_b128 v[102:105], v2 offset:656
	ds_load_b128 v[106:109], v2 offset:672
	s_mov_b32 s0, exec_lo
	s_wait_loadcnt_dscnt 0x201
	v_fma_f64 v[92:93], v[92:93], v[102:103], 0
	s_wait_loadcnt 0x1
	s_delay_alu instid0(VALU_DEP_1) | instskip(SKIP_4) | instid1(VALU_DEP_1)
	v_fmac_f64_e32 v[92:93], v[94:95], v[104:105]
	ds_load_b64 v[94:95], v2 offset:688
	s_wait_dscnt 0x1
	v_fmac_f64_e32 v[92:93], v[96:97], v[106:107]
	s_wait_loadcnt 0x0
	v_fmac_f64_e32 v[92:93], v[98:99], v[108:109]
	s_wait_dscnt 0x0
	s_delay_alu instid0(VALU_DEP_1) | instskip(NEXT) | instid1(VALU_DEP_1)
	v_fmac_f64_e32 v[92:93], v[100:101], v[94:95]
	v_add_f64_e64 v[90:91], v[90:91], -v[92:93]
	scratch_store_b64 off, v[90:91], off offset:296
	s_wait_xcnt 0x0
	v_cmpx_lt_u32_e32 36, v0
	s_cbranch_execz .LBB42_195
; %bb.194:
	scratch_load_b64 v[90:91], off, off offset:288
	v_mov_b64_e32 v[92:93], 0
	scratch_store_b64 off, v[92:93], off offset:288
	s_wait_loadcnt 0x0
	ds_store_b64 v1, v[90:91]
.LBB42_195:
	s_wait_xcnt 0x0
	s_or_b32 exec_lo, exec_lo, s0
	s_wait_storecnt_dscnt 0x0
	s_barrier_signal -1
	s_barrier_wait -1
	s_clause 0x3
	scratch_load_b128 v[90:93], off, off offset:288
	scratch_load_b128 v[94:97], off, off offset:304
	;; [unrolled: 1-line block ×3, first 2 shown]
	scratch_load_b64 v[110:111], off, off offset:336
	ds_load_2addr_b64 v[102:105], v2 offset0:81 offset1:82
	ds_load_2addr_b64 v[106:109], v2 offset0:83 offset1:84
	s_mov_b32 s0, exec_lo
	s_wait_loadcnt_dscnt 0x301
	v_fma_f64 v[102:103], v[92:93], v[102:103], 0
	s_wait_loadcnt 0x2
	s_delay_alu instid0(VALU_DEP_1) | instskip(SKIP_4) | instid1(VALU_DEP_1)
	v_fmac_f64_e32 v[102:103], v[94:95], v[104:105]
	ds_load_2addr_b64 v[92:95], v2 offset0:85 offset1:86
	s_wait_dscnt 0x1
	v_fmac_f64_e32 v[102:103], v[96:97], v[106:107]
	s_wait_loadcnt 0x1
	v_fmac_f64_e32 v[102:103], v[98:99], v[108:109]
	s_wait_dscnt 0x0
	s_delay_alu instid0(VALU_DEP_1) | instskip(SKIP_1) | instid1(VALU_DEP_1)
	v_fmac_f64_e32 v[102:103], v[100:101], v[92:93]
	s_wait_loadcnt 0x0
	v_fmac_f64_e32 v[102:103], v[110:111], v[94:95]
	s_delay_alu instid0(VALU_DEP_1)
	v_add_f64_e64 v[2:3], v[90:91], -v[102:103]
	scratch_store_b64 off, v[2:3], off offset:288
	s_wait_xcnt 0x0
	v_cmpx_lt_u32_e32 35, v0
	s_cbranch_execz .LBB42_197
; %bb.196:
	scratch_load_b64 v[2:3], off, off offset:280
	v_mov_b64_e32 v[90:91], 0
	scratch_store_b64 off, v[90:91], off offset:280
	s_wait_loadcnt 0x0
	ds_store_b64 v1, v[2:3]
.LBB42_197:
	s_wait_xcnt 0x0
	s_or_b32 exec_lo, exec_lo, s0
	s_wait_storecnt_dscnt 0x0
	s_barrier_signal -1
	s_barrier_wait -1
	s_clause 0x3
	scratch_load_b128 v[90:93], off, off offset:280
	scratch_load_b128 v[94:97], off, off offset:296
	;; [unrolled: 1-line block ×4, first 2 shown]
	v_mov_b32_e32 v2, 0
	ds_load_b128 v[106:109], v2 offset:640
	ds_load_b128 v[110:113], v2 offset:656
	s_mov_b32 s0, exec_lo
	s_wait_loadcnt_dscnt 0x301
	v_fma_f64 v[106:107], v[92:93], v[106:107], 0
	s_wait_loadcnt 0x2
	s_delay_alu instid0(VALU_DEP_1) | instskip(SKIP_1) | instid1(VALU_DEP_1)
	v_fmac_f64_e32 v[106:107], v[94:95], v[108:109]
	s_wait_dscnt 0x0
	v_fmac_f64_e32 v[106:107], v[96:97], v[110:111]
	ds_load_b128 v[92:95], v2 offset:672
	ds_load_b64 v[96:97], v2 offset:688
	s_wait_loadcnt 0x1
	v_fmac_f64_e32 v[106:107], v[98:99], v[112:113]
	s_wait_dscnt 0x1
	s_delay_alu instid0(VALU_DEP_1) | instskip(SKIP_1) | instid1(VALU_DEP_1)
	v_fmac_f64_e32 v[106:107], v[100:101], v[92:93]
	s_wait_loadcnt 0x0
	v_fmac_f64_e32 v[106:107], v[102:103], v[94:95]
	s_wait_dscnt 0x0
	s_delay_alu instid0(VALU_DEP_1) | instskip(NEXT) | instid1(VALU_DEP_1)
	v_fmac_f64_e32 v[106:107], v[104:105], v[96:97]
	v_add_f64_e64 v[90:91], v[90:91], -v[106:107]
	scratch_store_b64 off, v[90:91], off offset:280
	s_wait_xcnt 0x0
	v_cmpx_lt_u32_e32 34, v0
	s_cbranch_execz .LBB42_199
; %bb.198:
	scratch_load_b64 v[90:91], off, off offset:272
	v_mov_b64_e32 v[92:93], 0
	scratch_store_b64 off, v[92:93], off offset:272
	s_wait_loadcnt 0x0
	ds_store_b64 v1, v[90:91]
.LBB42_199:
	s_wait_xcnt 0x0
	s_or_b32 exec_lo, exec_lo, s0
	s_wait_storecnt_dscnt 0x0
	s_barrier_signal -1
	s_barrier_wait -1
	s_clause 0x4
	scratch_load_b128 v[90:93], off, off offset:272
	scratch_load_b128 v[94:97], off, off offset:288
	;; [unrolled: 1-line block ×4, first 2 shown]
	scratch_load_b64 v[114:115], off, off offset:336
	ds_load_2addr_b64 v[106:109], v2 offset0:79 offset1:80
	ds_load_2addr_b64 v[110:113], v2 offset0:81 offset1:82
	s_mov_b32 s0, exec_lo
	s_wait_loadcnt_dscnt 0x401
	v_fma_f64 v[106:107], v[92:93], v[106:107], 0
	s_wait_loadcnt 0x3
	s_delay_alu instid0(VALU_DEP_1) | instskip(SKIP_1) | instid1(VALU_DEP_1)
	v_fmac_f64_e32 v[106:107], v[94:95], v[108:109]
	s_wait_dscnt 0x0
	v_fmac_f64_e32 v[106:107], v[96:97], v[110:111]
	s_wait_loadcnt 0x2
	s_delay_alu instid0(VALU_DEP_1)
	v_fmac_f64_e32 v[106:107], v[98:99], v[112:113]
	ds_load_2addr_b64 v[92:95], v2 offset0:83 offset1:84
	ds_load_2addr_b64 v[96:99], v2 offset0:85 offset1:86
	s_wait_dscnt 0x1
	v_fmac_f64_e32 v[106:107], v[100:101], v[92:93]
	s_wait_loadcnt 0x1
	s_delay_alu instid0(VALU_DEP_1) | instskip(SKIP_1) | instid1(VALU_DEP_1)
	v_fmac_f64_e32 v[106:107], v[102:103], v[94:95]
	s_wait_dscnt 0x0
	v_fmac_f64_e32 v[106:107], v[104:105], v[96:97]
	s_wait_loadcnt 0x0
	s_delay_alu instid0(VALU_DEP_1) | instskip(NEXT) | instid1(VALU_DEP_1)
	v_fmac_f64_e32 v[106:107], v[114:115], v[98:99]
	v_add_f64_e64 v[2:3], v[90:91], -v[106:107]
	scratch_store_b64 off, v[2:3], off offset:272
	s_wait_xcnt 0x0
	v_cmpx_lt_u32_e32 33, v0
	s_cbranch_execz .LBB42_201
; %bb.200:
	scratch_load_b64 v[2:3], off, off offset:264
	v_mov_b64_e32 v[90:91], 0
	scratch_store_b64 off, v[90:91], off offset:264
	s_wait_loadcnt 0x0
	ds_store_b64 v1, v[2:3]
.LBB42_201:
	s_wait_xcnt 0x0
	s_or_b32 exec_lo, exec_lo, s0
	s_wait_storecnt_dscnt 0x0
	s_barrier_signal -1
	s_barrier_wait -1
	s_clause 0x4
	scratch_load_b128 v[90:93], off, off offset:264
	scratch_load_b128 v[94:97], off, off offset:280
	;; [unrolled: 1-line block ×5, first 2 shown]
	v_mov_b32_e32 v2, 0
	ds_load_b128 v[110:113], v2 offset:624
	ds_load_b128 v[114:117], v2 offset:640
	s_mov_b32 s0, exec_lo
	s_wait_loadcnt_dscnt 0x401
	v_fma_f64 v[110:111], v[92:93], v[110:111], 0
	s_wait_loadcnt 0x3
	s_delay_alu instid0(VALU_DEP_1) | instskip(SKIP_1) | instid1(VALU_DEP_1)
	v_fmac_f64_e32 v[110:111], v[94:95], v[112:113]
	s_wait_dscnt 0x0
	v_fmac_f64_e32 v[110:111], v[96:97], v[114:115]
	s_wait_loadcnt 0x2
	s_delay_alu instid0(VALU_DEP_1)
	v_fmac_f64_e32 v[110:111], v[98:99], v[116:117]
	ds_load_b128 v[92:95], v2 offset:656
	ds_load_b128 v[96:99], v2 offset:672
	s_wait_dscnt 0x1
	v_fmac_f64_e32 v[110:111], v[100:101], v[92:93]
	ds_load_b64 v[92:93], v2 offset:688
	s_wait_loadcnt 0x1
	v_fmac_f64_e32 v[110:111], v[102:103], v[94:95]
	s_wait_dscnt 0x1
	s_delay_alu instid0(VALU_DEP_1) | instskip(SKIP_1) | instid1(VALU_DEP_1)
	v_fmac_f64_e32 v[110:111], v[104:105], v[96:97]
	s_wait_loadcnt 0x0
	v_fmac_f64_e32 v[110:111], v[106:107], v[98:99]
	s_wait_dscnt 0x0
	s_delay_alu instid0(VALU_DEP_1) | instskip(NEXT) | instid1(VALU_DEP_1)
	v_fmac_f64_e32 v[110:111], v[108:109], v[92:93]
	v_add_f64_e64 v[90:91], v[90:91], -v[110:111]
	scratch_store_b64 off, v[90:91], off offset:264
	s_wait_xcnt 0x0
	v_cmpx_lt_u32_e32 32, v0
	s_cbranch_execz .LBB42_203
; %bb.202:
	scratch_load_b64 v[90:91], off, off offset:256
	v_mov_b64_e32 v[92:93], 0
	scratch_store_b64 off, v[92:93], off offset:256
	s_wait_loadcnt 0x0
	ds_store_b64 v1, v[90:91]
.LBB42_203:
	s_wait_xcnt 0x0
	s_or_b32 exec_lo, exec_lo, s0
	s_wait_storecnt_dscnt 0x0
	s_barrier_signal -1
	s_barrier_wait -1
	s_clause 0x5
	scratch_load_b128 v[90:93], off, off offset:256
	scratch_load_b128 v[94:97], off, off offset:272
	;; [unrolled: 1-line block ×5, first 2 shown]
	scratch_load_b64 v[118:119], off, off offset:336
	ds_load_2addr_b64 v[110:113], v2 offset0:77 offset1:78
	ds_load_2addr_b64 v[114:117], v2 offset0:79 offset1:80
	s_mov_b32 s0, exec_lo
	s_wait_loadcnt_dscnt 0x501
	v_fma_f64 v[110:111], v[92:93], v[110:111], 0
	s_wait_loadcnt 0x4
	s_delay_alu instid0(VALU_DEP_1) | instskip(SKIP_1) | instid1(VALU_DEP_1)
	v_fmac_f64_e32 v[110:111], v[94:95], v[112:113]
	s_wait_dscnt 0x0
	v_fmac_f64_e32 v[110:111], v[96:97], v[114:115]
	s_wait_loadcnt 0x3
	s_delay_alu instid0(VALU_DEP_1)
	v_fmac_f64_e32 v[110:111], v[98:99], v[116:117]
	ds_load_2addr_b64 v[92:95], v2 offset0:81 offset1:82
	ds_load_2addr_b64 v[96:99], v2 offset0:83 offset1:84
	s_wait_dscnt 0x1
	v_fmac_f64_e32 v[110:111], v[100:101], v[92:93]
	s_wait_loadcnt 0x2
	s_delay_alu instid0(VALU_DEP_1) | instskip(SKIP_4) | instid1(VALU_DEP_1)
	v_fmac_f64_e32 v[110:111], v[102:103], v[94:95]
	ds_load_2addr_b64 v[92:95], v2 offset0:85 offset1:86
	s_wait_dscnt 0x1
	v_fmac_f64_e32 v[110:111], v[104:105], v[96:97]
	s_wait_loadcnt 0x1
	v_fmac_f64_e32 v[110:111], v[106:107], v[98:99]
	s_wait_dscnt 0x0
	s_delay_alu instid0(VALU_DEP_1) | instskip(SKIP_1) | instid1(VALU_DEP_1)
	v_fmac_f64_e32 v[110:111], v[108:109], v[92:93]
	s_wait_loadcnt 0x0
	v_fmac_f64_e32 v[110:111], v[118:119], v[94:95]
	s_delay_alu instid0(VALU_DEP_1)
	v_add_f64_e64 v[2:3], v[90:91], -v[110:111]
	scratch_store_b64 off, v[2:3], off offset:256
	s_wait_xcnt 0x0
	v_cmpx_lt_u32_e32 31, v0
	s_cbranch_execz .LBB42_205
; %bb.204:
	scratch_load_b64 v[2:3], off, off offset:248
	v_mov_b64_e32 v[90:91], 0
	scratch_store_b64 off, v[90:91], off offset:248
	s_wait_loadcnt 0x0
	ds_store_b64 v1, v[2:3]
.LBB42_205:
	s_wait_xcnt 0x0
	s_or_b32 exec_lo, exec_lo, s0
	s_wait_storecnt_dscnt 0x0
	s_barrier_signal -1
	s_barrier_wait -1
	s_clause 0x5
	scratch_load_b128 v[90:93], off, off offset:248
	scratch_load_b128 v[94:97], off, off offset:264
	;; [unrolled: 1-line block ×6, first 2 shown]
	v_mov_b32_e32 v2, 0
	ds_load_b128 v[114:117], v2 offset:608
	ds_load_b128 v[118:121], v2 offset:624
	s_mov_b32 s0, exec_lo
	s_wait_loadcnt_dscnt 0x501
	v_fma_f64 v[114:115], v[92:93], v[114:115], 0
	s_wait_loadcnt 0x4
	s_delay_alu instid0(VALU_DEP_1) | instskip(SKIP_1) | instid1(VALU_DEP_1)
	v_fmac_f64_e32 v[114:115], v[94:95], v[116:117]
	s_wait_dscnt 0x0
	v_fmac_f64_e32 v[114:115], v[96:97], v[118:119]
	s_wait_loadcnt 0x3
	s_delay_alu instid0(VALU_DEP_1)
	v_fmac_f64_e32 v[114:115], v[98:99], v[120:121]
	ds_load_b128 v[92:95], v2 offset:640
	ds_load_b128 v[96:99], v2 offset:656
	s_wait_dscnt 0x1
	v_fmac_f64_e32 v[114:115], v[100:101], v[92:93]
	s_wait_loadcnt 0x2
	s_delay_alu instid0(VALU_DEP_1) | instskip(SKIP_1) | instid1(VALU_DEP_1)
	v_fmac_f64_e32 v[114:115], v[102:103], v[94:95]
	s_wait_dscnt 0x0
	v_fmac_f64_e32 v[114:115], v[104:105], v[96:97]
	ds_load_b128 v[92:95], v2 offset:672
	ds_load_b64 v[96:97], v2 offset:688
	s_wait_loadcnt 0x1
	v_fmac_f64_e32 v[114:115], v[106:107], v[98:99]
	s_wait_dscnt 0x1
	s_delay_alu instid0(VALU_DEP_1) | instskip(SKIP_1) | instid1(VALU_DEP_1)
	v_fmac_f64_e32 v[114:115], v[108:109], v[92:93]
	s_wait_loadcnt 0x0
	v_fmac_f64_e32 v[114:115], v[110:111], v[94:95]
	s_wait_dscnt 0x0
	s_delay_alu instid0(VALU_DEP_1) | instskip(NEXT) | instid1(VALU_DEP_1)
	v_fmac_f64_e32 v[114:115], v[112:113], v[96:97]
	v_add_f64_e64 v[90:91], v[90:91], -v[114:115]
	scratch_store_b64 off, v[90:91], off offset:248
	s_wait_xcnt 0x0
	v_cmpx_lt_u32_e32 30, v0
	s_cbranch_execz .LBB42_207
; %bb.206:
	scratch_load_b64 v[90:91], off, off offset:240
	v_mov_b64_e32 v[92:93], 0
	scratch_store_b64 off, v[92:93], off offset:240
	s_wait_loadcnt 0x0
	ds_store_b64 v1, v[90:91]
.LBB42_207:
	s_wait_xcnt 0x0
	s_or_b32 exec_lo, exec_lo, s0
	s_wait_storecnt_dscnt 0x0
	s_barrier_signal -1
	s_barrier_wait -1
	s_clause 0x5
	scratch_load_b128 v[90:93], off, off offset:240
	scratch_load_b128 v[94:97], off, off offset:256
	;; [unrolled: 1-line block ×6, first 2 shown]
	ds_load_2addr_b64 v[114:117], v2 offset0:75 offset1:76
	ds_load_2addr_b64 v[118:121], v2 offset0:77 offset1:78
	s_mov_b32 s0, exec_lo
	s_wait_loadcnt_dscnt 0x501
	v_fma_f64 v[114:115], v[92:93], v[114:115], 0
	s_wait_loadcnt 0x4
	s_delay_alu instid0(VALU_DEP_1) | instskip(SKIP_4) | instid1(VALU_DEP_1)
	v_fmac_f64_e32 v[114:115], v[94:95], v[116:117]
	scratch_load_b64 v[116:117], off, off offset:336
	s_wait_dscnt 0x0
	v_fmac_f64_e32 v[114:115], v[96:97], v[118:119]
	s_wait_loadcnt 0x4
	v_fmac_f64_e32 v[114:115], v[98:99], v[120:121]
	ds_load_2addr_b64 v[92:95], v2 offset0:79 offset1:80
	ds_load_2addr_b64 v[96:99], v2 offset0:81 offset1:82
	s_wait_dscnt 0x1
	v_fmac_f64_e32 v[114:115], v[100:101], v[92:93]
	s_wait_loadcnt 0x3
	s_delay_alu instid0(VALU_DEP_1) | instskip(SKIP_1) | instid1(VALU_DEP_1)
	v_fmac_f64_e32 v[114:115], v[102:103], v[94:95]
	s_wait_dscnt 0x0
	v_fmac_f64_e32 v[114:115], v[104:105], v[96:97]
	s_wait_loadcnt 0x2
	s_delay_alu instid0(VALU_DEP_1)
	v_fmac_f64_e32 v[114:115], v[106:107], v[98:99]
	ds_load_2addr_b64 v[92:95], v2 offset0:83 offset1:84
	ds_load_2addr_b64 v[96:99], v2 offset0:85 offset1:86
	s_wait_dscnt 0x1
	v_fmac_f64_e32 v[114:115], v[108:109], v[92:93]
	s_wait_loadcnt 0x1
	s_delay_alu instid0(VALU_DEP_1) | instskip(SKIP_1) | instid1(VALU_DEP_1)
	v_fmac_f64_e32 v[114:115], v[110:111], v[94:95]
	s_wait_dscnt 0x0
	v_fmac_f64_e32 v[114:115], v[112:113], v[96:97]
	s_wait_loadcnt 0x0
	s_delay_alu instid0(VALU_DEP_1) | instskip(NEXT) | instid1(VALU_DEP_1)
	v_fmac_f64_e32 v[114:115], v[116:117], v[98:99]
	v_add_f64_e64 v[2:3], v[90:91], -v[114:115]
	scratch_store_b64 off, v[2:3], off offset:240
	s_wait_xcnt 0x0
	v_cmpx_lt_u32_e32 29, v0
	s_cbranch_execz .LBB42_209
; %bb.208:
	scratch_load_b64 v[2:3], off, off offset:232
	v_mov_b64_e32 v[90:91], 0
	scratch_store_b64 off, v[90:91], off offset:232
	s_wait_loadcnt 0x0
	ds_store_b64 v1, v[2:3]
.LBB42_209:
	s_wait_xcnt 0x0
	s_or_b32 exec_lo, exec_lo, s0
	s_wait_storecnt_dscnt 0x0
	s_barrier_signal -1
	s_barrier_wait -1
	s_clause 0x5
	scratch_load_b128 v[90:93], off, off offset:232
	scratch_load_b128 v[94:97], off, off offset:248
	;; [unrolled: 1-line block ×6, first 2 shown]
	v_mov_b32_e32 v2, 0
	ds_load_b128 v[114:117], v2 offset:592
	ds_load_b128 v[118:121], v2 offset:608
	s_mov_b32 s0, exec_lo
	s_wait_loadcnt_dscnt 0x501
	v_fma_f64 v[122:123], v[92:93], v[114:115], 0
	s_wait_loadcnt 0x4
	s_delay_alu instid0(VALU_DEP_1) | instskip(SKIP_4) | instid1(VALU_DEP_1)
	v_fmac_f64_e32 v[122:123], v[94:95], v[116:117]
	scratch_load_b128 v[92:95], off, off offset:328
	s_wait_dscnt 0x0
	v_fmac_f64_e32 v[122:123], v[96:97], v[118:119]
	s_wait_loadcnt 0x4
	v_fmac_f64_e32 v[122:123], v[98:99], v[120:121]
	ds_load_b128 v[96:99], v2 offset:624
	ds_load_b128 v[114:117], v2 offset:640
	s_wait_dscnt 0x1
	v_fmac_f64_e32 v[122:123], v[100:101], v[96:97]
	s_wait_loadcnt 0x3
	s_delay_alu instid0(VALU_DEP_1)
	v_fmac_f64_e32 v[122:123], v[102:103], v[98:99]
	ds_load_b128 v[96:99], v2 offset:656
	ds_load_b128 v[100:103], v2 offset:672
	s_wait_dscnt 0x2
	v_fmac_f64_e32 v[122:123], v[104:105], v[114:115]
	s_wait_loadcnt 0x2
	s_delay_alu instid0(VALU_DEP_1) | instskip(SKIP_1) | instid1(VALU_DEP_1)
	v_fmac_f64_e32 v[122:123], v[106:107], v[116:117]
	s_wait_dscnt 0x1
	v_fmac_f64_e32 v[122:123], v[108:109], v[96:97]
	s_wait_loadcnt 0x1
	s_delay_alu instid0(VALU_DEP_1) | instskip(SKIP_1) | instid1(VALU_DEP_1)
	v_fmac_f64_e32 v[122:123], v[110:111], v[98:99]
	s_wait_dscnt 0x0
	v_fmac_f64_e32 v[122:123], v[112:113], v[100:101]
	s_wait_loadcnt 0x0
	s_delay_alu instid0(VALU_DEP_1) | instskip(SKIP_3) | instid1(VALU_DEP_1)
	v_fmac_f64_e32 v[122:123], v[92:93], v[102:103]
	ds_load_b64 v[92:93], v2 offset:688
	s_wait_dscnt 0x0
	v_fmac_f64_e32 v[122:123], v[94:95], v[92:93]
	v_add_f64_e64 v[90:91], v[90:91], -v[122:123]
	scratch_store_b64 off, v[90:91], off offset:232
	s_wait_xcnt 0x0
	v_cmpx_lt_u32_e32 28, v0
	s_cbranch_execz .LBB42_211
; %bb.210:
	scratch_load_b64 v[90:91], off, off offset:224
	v_mov_b64_e32 v[92:93], 0
	scratch_store_b64 off, v[92:93], off offset:224
	s_wait_loadcnt 0x0
	ds_store_b64 v1, v[90:91]
.LBB42_211:
	s_wait_xcnt 0x0
	s_or_b32 exec_lo, exec_lo, s0
	s_wait_storecnt_dscnt 0x0
	s_barrier_signal -1
	s_barrier_wait -1
	s_clause 0x5
	scratch_load_b128 v[90:93], off, off offset:224
	scratch_load_b128 v[94:97], off, off offset:240
	;; [unrolled: 1-line block ×6, first 2 shown]
	ds_load_2addr_b64 v[114:117], v2 offset0:73 offset1:74
	ds_load_2addr_b64 v[118:121], v2 offset0:75 offset1:76
	s_mov_b32 s0, exec_lo
	s_wait_loadcnt_dscnt 0x501
	v_fma_f64 v[122:123], v[92:93], v[114:115], 0
	s_wait_loadcnt 0x4
	s_delay_alu instid0(VALU_DEP_1)
	v_fmac_f64_e32 v[122:123], v[94:95], v[116:117]
	scratch_load_b128 v[92:95], off, off offset:320
	s_wait_dscnt 0x0
	v_fmac_f64_e32 v[122:123], v[96:97], v[118:119]
	scratch_load_b64 v[118:119], off, off offset:336
	s_wait_loadcnt 0x5
	v_fmac_f64_e32 v[122:123], v[98:99], v[120:121]
	ds_load_2addr_b64 v[96:99], v2 offset0:77 offset1:78
	ds_load_2addr_b64 v[114:117], v2 offset0:79 offset1:80
	s_wait_dscnt 0x1
	v_fmac_f64_e32 v[122:123], v[100:101], v[96:97]
	s_wait_loadcnt 0x4
	s_delay_alu instid0(VALU_DEP_1)
	v_fmac_f64_e32 v[122:123], v[102:103], v[98:99]
	ds_load_2addr_b64 v[96:99], v2 offset0:81 offset1:82
	ds_load_2addr_b64 v[100:103], v2 offset0:83 offset1:84
	s_wait_dscnt 0x2
	v_fmac_f64_e32 v[122:123], v[104:105], v[114:115]
	s_wait_loadcnt 0x3
	s_delay_alu instid0(VALU_DEP_1) | instskip(SKIP_1) | instid1(VALU_DEP_1)
	v_fmac_f64_e32 v[122:123], v[106:107], v[116:117]
	s_wait_dscnt 0x1
	v_fmac_f64_e32 v[122:123], v[108:109], v[96:97]
	s_wait_loadcnt 0x2
	s_delay_alu instid0(VALU_DEP_1) | instskip(SKIP_4) | instid1(VALU_DEP_1)
	v_fmac_f64_e32 v[122:123], v[110:111], v[98:99]
	ds_load_2addr_b64 v[96:99], v2 offset0:85 offset1:86
	s_wait_dscnt 0x1
	v_fmac_f64_e32 v[122:123], v[112:113], v[100:101]
	s_wait_loadcnt 0x1
	v_fmac_f64_e32 v[122:123], v[92:93], v[102:103]
	s_wait_dscnt 0x0
	s_delay_alu instid0(VALU_DEP_1) | instskip(SKIP_1) | instid1(VALU_DEP_1)
	v_fmac_f64_e32 v[122:123], v[94:95], v[96:97]
	s_wait_loadcnt 0x0
	v_fmac_f64_e32 v[122:123], v[118:119], v[98:99]
	s_delay_alu instid0(VALU_DEP_1)
	v_add_f64_e64 v[2:3], v[90:91], -v[122:123]
	scratch_store_b64 off, v[2:3], off offset:224
	s_wait_xcnt 0x0
	v_cmpx_lt_u32_e32 27, v0
	s_cbranch_execz .LBB42_213
; %bb.212:
	scratch_load_b64 v[2:3], off, off offset:216
	v_mov_b64_e32 v[90:91], 0
	scratch_store_b64 off, v[90:91], off offset:216
	s_wait_loadcnt 0x0
	ds_store_b64 v1, v[2:3]
.LBB42_213:
	s_wait_xcnt 0x0
	s_or_b32 exec_lo, exec_lo, s0
	s_wait_storecnt_dscnt 0x0
	s_barrier_signal -1
	s_barrier_wait -1
	s_clause 0x5
	scratch_load_b128 v[90:93], off, off offset:216
	scratch_load_b128 v[94:97], off, off offset:232
	;; [unrolled: 1-line block ×6, first 2 shown]
	v_mov_b32_e32 v2, 0
	ds_load_b128 v[114:117], v2 offset:576
	ds_load_b128 v[118:121], v2 offset:592
	s_mov_b32 s0, exec_lo
	s_wait_loadcnt_dscnt 0x501
	v_fma_f64 v[122:123], v[92:93], v[114:115], 0
	s_wait_loadcnt 0x4
	s_delay_alu instid0(VALU_DEP_1) | instskip(SKIP_4) | instid1(VALU_DEP_1)
	v_fmac_f64_e32 v[122:123], v[94:95], v[116:117]
	scratch_load_b128 v[92:95], off, off offset:312
	s_wait_dscnt 0x0
	v_fmac_f64_e32 v[122:123], v[96:97], v[118:119]
	s_wait_loadcnt 0x4
	v_fmac_f64_e32 v[122:123], v[98:99], v[120:121]
	scratch_load_b128 v[96:99], off, off offset:328
	ds_load_b128 v[114:117], v2 offset:608
	ds_load_b128 v[118:121], v2 offset:624
	s_wait_dscnt 0x1
	v_fmac_f64_e32 v[122:123], v[100:101], v[114:115]
	s_wait_loadcnt 0x4
	s_delay_alu instid0(VALU_DEP_1) | instskip(SKIP_1) | instid1(VALU_DEP_1)
	v_fmac_f64_e32 v[122:123], v[102:103], v[116:117]
	s_wait_dscnt 0x0
	v_fmac_f64_e32 v[122:123], v[104:105], v[118:119]
	s_wait_loadcnt 0x3
	s_delay_alu instid0(VALU_DEP_1)
	v_fmac_f64_e32 v[122:123], v[106:107], v[120:121]
	ds_load_b128 v[100:103], v2 offset:640
	ds_load_b128 v[104:107], v2 offset:656
	s_wait_dscnt 0x1
	v_fmac_f64_e32 v[122:123], v[108:109], v[100:101]
	s_wait_loadcnt 0x2
	s_delay_alu instid0(VALU_DEP_1) | instskip(SKIP_1) | instid1(VALU_DEP_1)
	v_fmac_f64_e32 v[122:123], v[110:111], v[102:103]
	s_wait_dscnt 0x0
	v_fmac_f64_e32 v[122:123], v[112:113], v[104:105]
	s_wait_loadcnt 0x1
	s_delay_alu instid0(VALU_DEP_1)
	v_fmac_f64_e32 v[122:123], v[92:93], v[106:107]
	ds_load_b128 v[100:103], v2 offset:672
	ds_load_b64 v[92:93], v2 offset:688
	s_wait_dscnt 0x1
	v_fmac_f64_e32 v[122:123], v[94:95], v[100:101]
	s_wait_loadcnt 0x0
	s_delay_alu instid0(VALU_DEP_1) | instskip(SKIP_1) | instid1(VALU_DEP_1)
	v_fmac_f64_e32 v[122:123], v[96:97], v[102:103]
	s_wait_dscnt 0x0
	v_fmac_f64_e32 v[122:123], v[98:99], v[92:93]
	s_delay_alu instid0(VALU_DEP_1)
	v_add_f64_e64 v[90:91], v[90:91], -v[122:123]
	scratch_store_b64 off, v[90:91], off offset:216
	s_wait_xcnt 0x0
	v_cmpx_lt_u32_e32 26, v0
	s_cbranch_execz .LBB42_215
; %bb.214:
	scratch_load_b64 v[90:91], off, off offset:208
	v_mov_b64_e32 v[92:93], 0
	scratch_store_b64 off, v[92:93], off offset:208
	s_wait_loadcnt 0x0
	ds_store_b64 v1, v[90:91]
.LBB42_215:
	s_wait_xcnt 0x0
	s_or_b32 exec_lo, exec_lo, s0
	s_wait_storecnt_dscnt 0x0
	s_barrier_signal -1
	s_barrier_wait -1
	s_clause 0x5
	scratch_load_b128 v[90:93], off, off offset:208
	scratch_load_b128 v[94:97], off, off offset:224
	;; [unrolled: 1-line block ×6, first 2 shown]
	ds_load_2addr_b64 v[114:117], v2 offset0:71 offset1:72
	ds_load_2addr_b64 v[118:121], v2 offset0:73 offset1:74
	s_mov_b32 s0, exec_lo
	s_wait_loadcnt_dscnt 0x501
	v_fma_f64 v[122:123], v[92:93], v[114:115], 0
	s_wait_loadcnt 0x4
	s_delay_alu instid0(VALU_DEP_1) | instskip(SKIP_4) | instid1(VALU_DEP_1)
	v_fmac_f64_e32 v[122:123], v[94:95], v[116:117]
	scratch_load_b128 v[92:95], off, off offset:304
	s_wait_dscnt 0x0
	v_fmac_f64_e32 v[122:123], v[96:97], v[118:119]
	s_wait_loadcnt 0x4
	v_fmac_f64_e32 v[122:123], v[98:99], v[120:121]
	scratch_load_b128 v[96:99], off, off offset:320
	ds_load_2addr_b64 v[114:117], v2 offset0:75 offset1:76
	ds_load_2addr_b64 v[118:121], v2 offset0:77 offset1:78
	s_wait_dscnt 0x1
	v_fmac_f64_e32 v[122:123], v[100:101], v[114:115]
	scratch_load_b64 v[114:115], off, off offset:336
	s_wait_loadcnt 0x5
	v_fmac_f64_e32 v[122:123], v[102:103], v[116:117]
	s_wait_dscnt 0x0
	s_delay_alu instid0(VALU_DEP_1) | instskip(SKIP_1) | instid1(VALU_DEP_1)
	v_fmac_f64_e32 v[122:123], v[104:105], v[118:119]
	s_wait_loadcnt 0x4
	v_fmac_f64_e32 v[122:123], v[106:107], v[120:121]
	ds_load_2addr_b64 v[100:103], v2 offset0:79 offset1:80
	ds_load_2addr_b64 v[104:107], v2 offset0:81 offset1:82
	s_wait_dscnt 0x1
	v_fmac_f64_e32 v[122:123], v[108:109], v[100:101]
	s_wait_loadcnt 0x3
	s_delay_alu instid0(VALU_DEP_1) | instskip(SKIP_1) | instid1(VALU_DEP_1)
	v_fmac_f64_e32 v[122:123], v[110:111], v[102:103]
	s_wait_dscnt 0x0
	v_fmac_f64_e32 v[122:123], v[112:113], v[104:105]
	s_wait_loadcnt 0x2
	s_delay_alu instid0(VALU_DEP_1)
	v_fmac_f64_e32 v[122:123], v[92:93], v[106:107]
	ds_load_2addr_b64 v[100:103], v2 offset0:83 offset1:84
	ds_load_2addr_b64 v[104:107], v2 offset0:85 offset1:86
	s_wait_dscnt 0x1
	v_fmac_f64_e32 v[122:123], v[94:95], v[100:101]
	s_wait_loadcnt 0x1
	s_delay_alu instid0(VALU_DEP_1) | instskip(SKIP_1) | instid1(VALU_DEP_1)
	v_fmac_f64_e32 v[122:123], v[96:97], v[102:103]
	s_wait_dscnt 0x0
	v_fmac_f64_e32 v[122:123], v[98:99], v[104:105]
	s_wait_loadcnt 0x0
	s_delay_alu instid0(VALU_DEP_1) | instskip(NEXT) | instid1(VALU_DEP_1)
	v_fmac_f64_e32 v[122:123], v[114:115], v[106:107]
	v_add_f64_e64 v[2:3], v[90:91], -v[122:123]
	scratch_store_b64 off, v[2:3], off offset:208
	s_wait_xcnt 0x0
	v_cmpx_lt_u32_e32 25, v0
	s_cbranch_execz .LBB42_217
; %bb.216:
	scratch_load_b64 v[2:3], off, off offset:200
	v_mov_b64_e32 v[90:91], 0
	scratch_store_b64 off, v[90:91], off offset:200
	s_wait_loadcnt 0x0
	ds_store_b64 v1, v[2:3]
.LBB42_217:
	s_wait_xcnt 0x0
	s_or_b32 exec_lo, exec_lo, s0
	s_wait_storecnt_dscnt 0x0
	s_barrier_signal -1
	s_barrier_wait -1
	s_clause 0x5
	scratch_load_b128 v[90:93], off, off offset:200
	scratch_load_b128 v[94:97], off, off offset:216
	;; [unrolled: 1-line block ×6, first 2 shown]
	v_mov_b32_e32 v2, 0
	ds_load_b128 v[114:117], v2 offset:560
	ds_load_b128 v[118:121], v2 offset:576
	s_mov_b32 s0, exec_lo
	s_wait_loadcnt_dscnt 0x501
	v_fma_f64 v[122:123], v[92:93], v[114:115], 0
	s_wait_loadcnt 0x4
	s_delay_alu instid0(VALU_DEP_1) | instskip(SKIP_4) | instid1(VALU_DEP_1)
	v_fmac_f64_e32 v[122:123], v[94:95], v[116:117]
	scratch_load_b128 v[92:95], off, off offset:296
	s_wait_dscnt 0x0
	v_fmac_f64_e32 v[122:123], v[96:97], v[118:119]
	s_wait_loadcnt 0x4
	v_fmac_f64_e32 v[122:123], v[98:99], v[120:121]
	scratch_load_b128 v[96:99], off, off offset:312
	ds_load_b128 v[114:117], v2 offset:592
	ds_load_b128 v[118:121], v2 offset:608
	s_wait_dscnt 0x1
	v_fmac_f64_e32 v[122:123], v[100:101], v[114:115]
	s_wait_loadcnt 0x4
	s_delay_alu instid0(VALU_DEP_1) | instskip(SKIP_4) | instid1(VALU_DEP_1)
	v_fmac_f64_e32 v[122:123], v[102:103], v[116:117]
	scratch_load_b128 v[100:103], off, off offset:328
	s_wait_dscnt 0x0
	v_fmac_f64_e32 v[122:123], v[104:105], v[118:119]
	s_wait_loadcnt 0x4
	v_fmac_f64_e32 v[122:123], v[106:107], v[120:121]
	ds_load_b128 v[104:107], v2 offset:624
	ds_load_b128 v[114:117], v2 offset:640
	s_wait_dscnt 0x1
	v_fmac_f64_e32 v[122:123], v[108:109], v[104:105]
	s_wait_loadcnt 0x3
	s_delay_alu instid0(VALU_DEP_1)
	v_fmac_f64_e32 v[122:123], v[110:111], v[106:107]
	ds_load_b128 v[104:107], v2 offset:656
	ds_load_b128 v[108:111], v2 offset:672
	s_wait_dscnt 0x2
	v_fmac_f64_e32 v[122:123], v[112:113], v[114:115]
	s_wait_loadcnt 0x2
	s_delay_alu instid0(VALU_DEP_1) | instskip(SKIP_4) | instid1(VALU_DEP_1)
	v_fmac_f64_e32 v[122:123], v[92:93], v[116:117]
	ds_load_b64 v[92:93], v2 offset:688
	s_wait_dscnt 0x2
	v_fmac_f64_e32 v[122:123], v[94:95], v[104:105]
	s_wait_loadcnt 0x1
	v_fmac_f64_e32 v[122:123], v[96:97], v[106:107]
	s_wait_dscnt 0x1
	s_delay_alu instid0(VALU_DEP_1) | instskip(SKIP_1) | instid1(VALU_DEP_1)
	v_fmac_f64_e32 v[122:123], v[98:99], v[108:109]
	s_wait_loadcnt 0x0
	v_fmac_f64_e32 v[122:123], v[100:101], v[110:111]
	s_wait_dscnt 0x0
	s_delay_alu instid0(VALU_DEP_1) | instskip(NEXT) | instid1(VALU_DEP_1)
	v_fmac_f64_e32 v[122:123], v[102:103], v[92:93]
	v_add_f64_e64 v[90:91], v[90:91], -v[122:123]
	scratch_store_b64 off, v[90:91], off offset:200
	s_wait_xcnt 0x0
	v_cmpx_lt_u32_e32 24, v0
	s_cbranch_execz .LBB42_219
; %bb.218:
	scratch_load_b64 v[90:91], off, off offset:192
	v_mov_b64_e32 v[92:93], 0
	scratch_store_b64 off, v[92:93], off offset:192
	s_wait_loadcnt 0x0
	ds_store_b64 v1, v[90:91]
.LBB42_219:
	s_wait_xcnt 0x0
	s_or_b32 exec_lo, exec_lo, s0
	s_wait_storecnt_dscnt 0x0
	s_barrier_signal -1
	s_barrier_wait -1
	s_clause 0x5
	scratch_load_b128 v[90:93], off, off offset:192
	scratch_load_b128 v[94:97], off, off offset:208
	;; [unrolled: 1-line block ×6, first 2 shown]
	ds_load_2addr_b64 v[114:117], v2 offset0:69 offset1:70
	ds_load_2addr_b64 v[118:121], v2 offset0:71 offset1:72
	s_mov_b32 s0, exec_lo
	s_wait_loadcnt_dscnt 0x501
	v_fma_f64 v[122:123], v[92:93], v[114:115], 0
	s_wait_loadcnt 0x4
	s_delay_alu instid0(VALU_DEP_1) | instskip(SKIP_4) | instid1(VALU_DEP_1)
	v_fmac_f64_e32 v[122:123], v[94:95], v[116:117]
	scratch_load_b128 v[92:95], off, off offset:288
	s_wait_dscnt 0x0
	v_fmac_f64_e32 v[122:123], v[96:97], v[118:119]
	s_wait_loadcnt 0x4
	v_fmac_f64_e32 v[122:123], v[98:99], v[120:121]
	scratch_load_b128 v[96:99], off, off offset:304
	ds_load_2addr_b64 v[114:117], v2 offset0:73 offset1:74
	ds_load_2addr_b64 v[118:121], v2 offset0:75 offset1:76
	s_wait_dscnt 0x1
	v_fmac_f64_e32 v[122:123], v[100:101], v[114:115]
	s_wait_loadcnt 0x4
	s_delay_alu instid0(VALU_DEP_1)
	v_fmac_f64_e32 v[122:123], v[102:103], v[116:117]
	scratch_load_b128 v[100:103], off, off offset:320
	s_wait_dscnt 0x0
	v_fmac_f64_e32 v[122:123], v[104:105], v[118:119]
	scratch_load_b64 v[118:119], off, off offset:336
	s_wait_loadcnt 0x5
	v_fmac_f64_e32 v[122:123], v[106:107], v[120:121]
	ds_load_2addr_b64 v[104:107], v2 offset0:77 offset1:78
	ds_load_2addr_b64 v[114:117], v2 offset0:79 offset1:80
	s_wait_dscnt 0x1
	v_fmac_f64_e32 v[122:123], v[108:109], v[104:105]
	s_wait_loadcnt 0x4
	s_delay_alu instid0(VALU_DEP_1)
	v_fmac_f64_e32 v[122:123], v[110:111], v[106:107]
	ds_load_2addr_b64 v[104:107], v2 offset0:81 offset1:82
	ds_load_2addr_b64 v[108:111], v2 offset0:83 offset1:84
	s_wait_dscnt 0x2
	v_fmac_f64_e32 v[122:123], v[112:113], v[114:115]
	s_wait_loadcnt 0x3
	s_delay_alu instid0(VALU_DEP_1) | instskip(SKIP_1) | instid1(VALU_DEP_1)
	v_fmac_f64_e32 v[122:123], v[92:93], v[116:117]
	s_wait_dscnt 0x1
	v_fmac_f64_e32 v[122:123], v[94:95], v[104:105]
	ds_load_2addr_b64 v[92:95], v2 offset0:85 offset1:86
	s_wait_loadcnt 0x2
	v_fmac_f64_e32 v[122:123], v[96:97], v[106:107]
	s_wait_dscnt 0x1
	s_delay_alu instid0(VALU_DEP_1) | instskip(SKIP_1) | instid1(VALU_DEP_1)
	v_fmac_f64_e32 v[122:123], v[98:99], v[108:109]
	s_wait_loadcnt 0x1
	v_fmac_f64_e32 v[122:123], v[100:101], v[110:111]
	s_wait_dscnt 0x0
	s_delay_alu instid0(VALU_DEP_1) | instskip(SKIP_1) | instid1(VALU_DEP_1)
	v_fmac_f64_e32 v[122:123], v[102:103], v[92:93]
	s_wait_loadcnt 0x0
	v_fmac_f64_e32 v[122:123], v[118:119], v[94:95]
	s_delay_alu instid0(VALU_DEP_1)
	v_add_f64_e64 v[2:3], v[90:91], -v[122:123]
	scratch_store_b64 off, v[2:3], off offset:192
	s_wait_xcnt 0x0
	v_cmpx_lt_u32_e32 23, v0
	s_cbranch_execz .LBB42_221
; %bb.220:
	scratch_load_b64 v[2:3], off, off offset:184
	v_mov_b64_e32 v[90:91], 0
	scratch_store_b64 off, v[90:91], off offset:184
	s_wait_loadcnt 0x0
	ds_store_b64 v1, v[2:3]
.LBB42_221:
	s_wait_xcnt 0x0
	s_or_b32 exec_lo, exec_lo, s0
	s_wait_storecnt_dscnt 0x0
	s_barrier_signal -1
	s_barrier_wait -1
	s_clause 0x5
	scratch_load_b128 v[90:93], off, off offset:184
	scratch_load_b128 v[94:97], off, off offset:200
	;; [unrolled: 1-line block ×6, first 2 shown]
	v_mov_b32_e32 v2, 0
	ds_load_b128 v[114:117], v2 offset:544
	ds_load_b128 v[118:121], v2 offset:560
	s_mov_b32 s0, exec_lo
	s_wait_loadcnt_dscnt 0x501
	v_fma_f64 v[122:123], v[92:93], v[114:115], 0
	s_wait_loadcnt 0x4
	s_delay_alu instid0(VALU_DEP_1) | instskip(SKIP_4) | instid1(VALU_DEP_1)
	v_fmac_f64_e32 v[122:123], v[94:95], v[116:117]
	scratch_load_b128 v[92:95], off, off offset:280
	s_wait_dscnt 0x0
	v_fmac_f64_e32 v[122:123], v[96:97], v[118:119]
	s_wait_loadcnt 0x4
	v_fmac_f64_e32 v[122:123], v[98:99], v[120:121]
	scratch_load_b128 v[96:99], off, off offset:296
	ds_load_b128 v[114:117], v2 offset:576
	ds_load_b128 v[118:121], v2 offset:592
	s_wait_dscnt 0x1
	v_fmac_f64_e32 v[122:123], v[100:101], v[114:115]
	s_wait_loadcnt 0x4
	s_delay_alu instid0(VALU_DEP_1) | instskip(SKIP_4) | instid1(VALU_DEP_1)
	v_fmac_f64_e32 v[122:123], v[102:103], v[116:117]
	scratch_load_b128 v[100:103], off, off offset:312
	s_wait_dscnt 0x0
	v_fmac_f64_e32 v[122:123], v[104:105], v[118:119]
	s_wait_loadcnt 0x4
	v_fmac_f64_e32 v[122:123], v[106:107], v[120:121]
	scratch_load_b128 v[104:107], off, off offset:328
	ds_load_b128 v[114:117], v2 offset:608
	ds_load_b128 v[118:121], v2 offset:624
	s_wait_dscnt 0x1
	v_fmac_f64_e32 v[122:123], v[108:109], v[114:115]
	s_wait_loadcnt 0x4
	s_delay_alu instid0(VALU_DEP_1) | instskip(SKIP_1) | instid1(VALU_DEP_1)
	v_fmac_f64_e32 v[122:123], v[110:111], v[116:117]
	s_wait_dscnt 0x0
	v_fmac_f64_e32 v[122:123], v[112:113], v[118:119]
	ds_load_b128 v[108:111], v2 offset:640
	ds_load_b128 v[112:115], v2 offset:656
	s_wait_loadcnt 0x3
	v_fmac_f64_e32 v[122:123], v[92:93], v[120:121]
	s_wait_dscnt 0x1
	s_delay_alu instid0(VALU_DEP_1) | instskip(SKIP_1) | instid1(VALU_DEP_1)
	v_fmac_f64_e32 v[122:123], v[94:95], v[108:109]
	s_wait_loadcnt 0x2
	v_fmac_f64_e32 v[122:123], v[96:97], v[110:111]
	ds_load_b128 v[92:95], v2 offset:672
	ds_load_b64 v[96:97], v2 offset:688
	s_wait_dscnt 0x2
	v_fmac_f64_e32 v[122:123], v[98:99], v[112:113]
	s_wait_loadcnt 0x1
	s_delay_alu instid0(VALU_DEP_1) | instskip(SKIP_1) | instid1(VALU_DEP_1)
	v_fmac_f64_e32 v[122:123], v[100:101], v[114:115]
	s_wait_dscnt 0x1
	v_fmac_f64_e32 v[122:123], v[102:103], v[92:93]
	s_wait_loadcnt 0x0
	s_delay_alu instid0(VALU_DEP_1) | instskip(SKIP_1) | instid1(VALU_DEP_1)
	v_fmac_f64_e32 v[122:123], v[104:105], v[94:95]
	s_wait_dscnt 0x0
	v_fmac_f64_e32 v[122:123], v[106:107], v[96:97]
	s_delay_alu instid0(VALU_DEP_1)
	v_add_f64_e64 v[90:91], v[90:91], -v[122:123]
	scratch_store_b64 off, v[90:91], off offset:184
	s_wait_xcnt 0x0
	v_cmpx_lt_u32_e32 22, v0
	s_cbranch_execz .LBB42_223
; %bb.222:
	scratch_load_b64 v[90:91], off, off offset:176
	v_mov_b64_e32 v[92:93], 0
	scratch_store_b64 off, v[92:93], off offset:176
	s_wait_loadcnt 0x0
	ds_store_b64 v1, v[90:91]
.LBB42_223:
	s_wait_xcnt 0x0
	s_or_b32 exec_lo, exec_lo, s0
	s_wait_storecnt_dscnt 0x0
	s_barrier_signal -1
	s_barrier_wait -1
	s_clause 0x5
	scratch_load_b128 v[90:93], off, off offset:176
	scratch_load_b128 v[94:97], off, off offset:192
	;; [unrolled: 1-line block ×6, first 2 shown]
	ds_load_2addr_b64 v[114:117], v2 offset0:67 offset1:68
	ds_load_2addr_b64 v[118:121], v2 offset0:69 offset1:70
	s_mov_b32 s0, exec_lo
	s_wait_loadcnt_dscnt 0x501
	v_fma_f64 v[122:123], v[92:93], v[114:115], 0
	s_wait_loadcnt 0x4
	s_delay_alu instid0(VALU_DEP_1) | instskip(SKIP_4) | instid1(VALU_DEP_1)
	v_fmac_f64_e32 v[122:123], v[94:95], v[116:117]
	scratch_load_b128 v[92:95], off, off offset:272
	s_wait_dscnt 0x0
	v_fmac_f64_e32 v[122:123], v[96:97], v[118:119]
	s_wait_loadcnt 0x4
	v_fmac_f64_e32 v[122:123], v[98:99], v[120:121]
	scratch_load_b128 v[96:99], off, off offset:288
	ds_load_2addr_b64 v[114:117], v2 offset0:71 offset1:72
	ds_load_2addr_b64 v[118:121], v2 offset0:73 offset1:74
	s_wait_dscnt 0x1
	v_fmac_f64_e32 v[122:123], v[100:101], v[114:115]
	s_wait_loadcnt 0x4
	s_delay_alu instid0(VALU_DEP_1) | instskip(SKIP_4) | instid1(VALU_DEP_1)
	v_fmac_f64_e32 v[122:123], v[102:103], v[116:117]
	scratch_load_b128 v[100:103], off, off offset:304
	s_wait_dscnt 0x0
	v_fmac_f64_e32 v[122:123], v[104:105], v[118:119]
	s_wait_loadcnt 0x4
	v_fmac_f64_e32 v[122:123], v[106:107], v[120:121]
	scratch_load_b128 v[104:107], off, off offset:320
	ds_load_2addr_b64 v[114:117], v2 offset0:75 offset1:76
	ds_load_2addr_b64 v[118:121], v2 offset0:77 offset1:78
	s_wait_dscnt 0x1
	v_fmac_f64_e32 v[122:123], v[108:109], v[114:115]
	s_wait_loadcnt 0x4
	s_delay_alu instid0(VALU_DEP_1)
	v_fmac_f64_e32 v[122:123], v[110:111], v[116:117]
	scratch_load_b64 v[116:117], off, off offset:336
	s_wait_dscnt 0x0
	v_fmac_f64_e32 v[122:123], v[112:113], v[118:119]
	ds_load_2addr_b64 v[108:111], v2 offset0:79 offset1:80
	ds_load_2addr_b64 v[112:115], v2 offset0:81 offset1:82
	s_wait_loadcnt 0x4
	v_fmac_f64_e32 v[122:123], v[92:93], v[120:121]
	s_wait_dscnt 0x1
	s_delay_alu instid0(VALU_DEP_1) | instskip(SKIP_1) | instid1(VALU_DEP_1)
	v_fmac_f64_e32 v[122:123], v[94:95], v[108:109]
	s_wait_loadcnt 0x3
	v_fmac_f64_e32 v[122:123], v[96:97], v[110:111]
	s_wait_dscnt 0x0
	s_delay_alu instid0(VALU_DEP_1)
	v_fmac_f64_e32 v[122:123], v[98:99], v[112:113]
	ds_load_2addr_b64 v[92:95], v2 offset0:83 offset1:84
	ds_load_2addr_b64 v[96:99], v2 offset0:85 offset1:86
	s_wait_loadcnt 0x2
	v_fmac_f64_e32 v[122:123], v[100:101], v[114:115]
	s_wait_dscnt 0x1
	s_delay_alu instid0(VALU_DEP_1) | instskip(SKIP_1) | instid1(VALU_DEP_1)
	v_fmac_f64_e32 v[122:123], v[102:103], v[92:93]
	s_wait_loadcnt 0x1
	v_fmac_f64_e32 v[122:123], v[104:105], v[94:95]
	s_wait_dscnt 0x0
	s_delay_alu instid0(VALU_DEP_1) | instskip(SKIP_1) | instid1(VALU_DEP_1)
	v_fmac_f64_e32 v[122:123], v[106:107], v[96:97]
	s_wait_loadcnt 0x0
	v_fmac_f64_e32 v[122:123], v[116:117], v[98:99]
	s_delay_alu instid0(VALU_DEP_1)
	v_add_f64_e64 v[2:3], v[90:91], -v[122:123]
	scratch_store_b64 off, v[2:3], off offset:176
	s_wait_xcnt 0x0
	v_cmpx_lt_u32_e32 21, v0
	s_cbranch_execz .LBB42_225
; %bb.224:
	scratch_load_b64 v[2:3], off, off offset:168
	v_mov_b64_e32 v[90:91], 0
	scratch_store_b64 off, v[90:91], off offset:168
	s_wait_loadcnt 0x0
	ds_store_b64 v1, v[2:3]
.LBB42_225:
	s_wait_xcnt 0x0
	s_or_b32 exec_lo, exec_lo, s0
	s_wait_storecnt_dscnt 0x0
	s_barrier_signal -1
	s_barrier_wait -1
	s_clause 0x5
	scratch_load_b128 v[90:93], off, off offset:168
	scratch_load_b128 v[94:97], off, off offset:184
	;; [unrolled: 1-line block ×6, first 2 shown]
	v_mov_b32_e32 v2, 0
	ds_load_b128 v[114:117], v2 offset:528
	ds_load_b128 v[118:121], v2 offset:544
	s_mov_b32 s0, exec_lo
	s_wait_loadcnt_dscnt 0x501
	v_fma_f64 v[122:123], v[92:93], v[114:115], 0
	s_wait_loadcnt 0x4
	s_delay_alu instid0(VALU_DEP_1) | instskip(SKIP_4) | instid1(VALU_DEP_1)
	v_fmac_f64_e32 v[122:123], v[94:95], v[116:117]
	scratch_load_b128 v[92:95], off, off offset:264
	s_wait_dscnt 0x0
	v_fmac_f64_e32 v[122:123], v[96:97], v[118:119]
	s_wait_loadcnt 0x4
	v_fmac_f64_e32 v[122:123], v[98:99], v[120:121]
	scratch_load_b128 v[96:99], off, off offset:280
	ds_load_b128 v[114:117], v2 offset:560
	ds_load_b128 v[118:121], v2 offset:576
	s_wait_dscnt 0x1
	v_fmac_f64_e32 v[122:123], v[100:101], v[114:115]
	s_wait_loadcnt 0x4
	s_delay_alu instid0(VALU_DEP_1) | instskip(SKIP_4) | instid1(VALU_DEP_1)
	v_fmac_f64_e32 v[122:123], v[102:103], v[116:117]
	scratch_load_b128 v[100:103], off, off offset:296
	s_wait_dscnt 0x0
	v_fmac_f64_e32 v[122:123], v[104:105], v[118:119]
	s_wait_loadcnt 0x4
	v_fmac_f64_e32 v[122:123], v[106:107], v[120:121]
	scratch_load_b128 v[104:107], off, off offset:312
	ds_load_b128 v[114:117], v2 offset:592
	ds_load_b128 v[118:121], v2 offset:608
	s_wait_dscnt 0x1
	v_fmac_f64_e32 v[122:123], v[108:109], v[114:115]
	s_wait_loadcnt 0x4
	s_delay_alu instid0(VALU_DEP_1)
	v_fmac_f64_e32 v[122:123], v[110:111], v[116:117]
	scratch_load_b128 v[108:111], off, off offset:328
	s_wait_dscnt 0x0
	v_fmac_f64_e32 v[122:123], v[112:113], v[118:119]
	ds_load_b128 v[112:115], v2 offset:624
	ds_load_b128 v[116:119], v2 offset:640
	s_wait_loadcnt 0x4
	v_fmac_f64_e32 v[122:123], v[92:93], v[120:121]
	s_wait_dscnt 0x1
	s_delay_alu instid0(VALU_DEP_1) | instskip(SKIP_1) | instid1(VALU_DEP_1)
	v_fmac_f64_e32 v[122:123], v[94:95], v[112:113]
	s_wait_loadcnt 0x3
	v_fmac_f64_e32 v[122:123], v[96:97], v[114:115]
	s_wait_dscnt 0x0
	s_delay_alu instid0(VALU_DEP_1)
	v_fmac_f64_e32 v[122:123], v[98:99], v[116:117]
	ds_load_b128 v[92:95], v2 offset:656
	ds_load_b128 v[96:99], v2 offset:672
	s_wait_loadcnt 0x2
	v_fmac_f64_e32 v[122:123], v[100:101], v[118:119]
	s_wait_dscnt 0x1
	s_delay_alu instid0(VALU_DEP_1) | instskip(SKIP_4) | instid1(VALU_DEP_1)
	v_fmac_f64_e32 v[122:123], v[102:103], v[92:93]
	ds_load_b64 v[92:93], v2 offset:688
	s_wait_loadcnt 0x1
	v_fmac_f64_e32 v[122:123], v[104:105], v[94:95]
	s_wait_dscnt 0x1
	v_fmac_f64_e32 v[122:123], v[106:107], v[96:97]
	s_wait_loadcnt 0x0
	s_delay_alu instid0(VALU_DEP_1) | instskip(SKIP_1) | instid1(VALU_DEP_1)
	v_fmac_f64_e32 v[122:123], v[108:109], v[98:99]
	s_wait_dscnt 0x0
	v_fmac_f64_e32 v[122:123], v[110:111], v[92:93]
	s_delay_alu instid0(VALU_DEP_1)
	v_add_f64_e64 v[90:91], v[90:91], -v[122:123]
	scratch_store_b64 off, v[90:91], off offset:168
	s_wait_xcnt 0x0
	v_cmpx_lt_u32_e32 20, v0
	s_cbranch_execz .LBB42_227
; %bb.226:
	scratch_load_b64 v[90:91], off, off offset:160
	v_mov_b64_e32 v[92:93], 0
	scratch_store_b64 off, v[92:93], off offset:160
	s_wait_loadcnt 0x0
	ds_store_b64 v1, v[90:91]
.LBB42_227:
	s_wait_xcnt 0x0
	s_or_b32 exec_lo, exec_lo, s0
	s_wait_storecnt_dscnt 0x0
	s_barrier_signal -1
	s_barrier_wait -1
	s_clause 0x5
	scratch_load_b128 v[90:93], off, off offset:160
	scratch_load_b128 v[94:97], off, off offset:176
	scratch_load_b128 v[98:101], off, off offset:192
	scratch_load_b128 v[102:105], off, off offset:208
	scratch_load_b128 v[106:109], off, off offset:224
	scratch_load_b128 v[110:113], off, off offset:240
	ds_load_2addr_b64 v[114:117], v2 offset0:65 offset1:66
	ds_load_2addr_b64 v[118:121], v2 offset0:67 offset1:68
	scratch_load_b128 v[122:125], off, off offset:256
	s_mov_b32 s0, exec_lo
	s_wait_loadcnt_dscnt 0x601
	v_fma_f64 v[126:127], v[92:93], v[114:115], 0
	s_wait_loadcnt 0x5
	s_delay_alu instid0(VALU_DEP_1) | instskip(SKIP_4) | instid1(VALU_DEP_1)
	v_fmac_f64_e32 v[126:127], v[94:95], v[116:117]
	scratch_load_b128 v[92:95], off, off offset:272
	s_wait_dscnt 0x0
	v_fmac_f64_e32 v[126:127], v[96:97], v[118:119]
	s_wait_loadcnt 0x5
	v_fmac_f64_e32 v[126:127], v[98:99], v[120:121]
	ds_load_2addr_b64 v[96:99], v2 offset0:69 offset1:70
	ds_load_2addr_b64 v[114:117], v2 offset0:71 offset1:72
	s_wait_dscnt 0x1
	v_fmac_f64_e32 v[126:127], v[100:101], v[96:97]
	s_wait_loadcnt 0x4
	s_delay_alu instid0(VALU_DEP_1)
	v_fmac_f64_e32 v[126:127], v[102:103], v[98:99]
	s_clause 0x1
	scratch_load_b128 v[96:99], off, off offset:288
	scratch_load_b128 v[100:103], off, off offset:304
	s_wait_dscnt 0x0
	v_fmac_f64_e32 v[126:127], v[104:105], v[114:115]
	s_wait_loadcnt 0x5
	s_delay_alu instid0(VALU_DEP_1)
	v_fmac_f64_e32 v[126:127], v[106:107], v[116:117]
	ds_load_2addr_b64 v[104:107], v2 offset0:73 offset1:74
	ds_load_2addr_b64 v[114:117], v2 offset0:75 offset1:76
	s_wait_dscnt 0x1
	v_fmac_f64_e32 v[126:127], v[108:109], v[104:105]
	s_wait_loadcnt 0x4
	s_delay_alu instid0(VALU_DEP_1) | instskip(SKIP_4) | instid1(VALU_DEP_1)
	v_fmac_f64_e32 v[126:127], v[110:111], v[106:107]
	scratch_load_b128 v[104:107], off, off offset:320
	s_wait_dscnt 0x0
	v_fmac_f64_e32 v[126:127], v[112:113], v[114:115]
	s_wait_loadcnt 0x4
	v_fmac_f64_e32 v[126:127], v[122:123], v[116:117]
	scratch_load_b64 v[116:117], off, off offset:336
	ds_load_2addr_b64 v[108:111], v2 offset0:77 offset1:78
	ds_load_2addr_b64 v[112:115], v2 offset0:79 offset1:80
	s_wait_dscnt 0x1
	v_fmac_f64_e32 v[126:127], v[124:125], v[108:109]
	s_wait_loadcnt 0x4
	s_delay_alu instid0(VALU_DEP_1) | instskip(SKIP_1) | instid1(VALU_DEP_1)
	v_fmac_f64_e32 v[126:127], v[92:93], v[110:111]
	s_wait_dscnt 0x0
	v_fmac_f64_e32 v[126:127], v[94:95], v[112:113]
	ds_load_2addr_b64 v[92:95], v2 offset0:81 offset1:82
	ds_load_2addr_b64 v[108:111], v2 offset0:83 offset1:84
	s_wait_loadcnt 0x3
	v_fmac_f64_e32 v[126:127], v[96:97], v[114:115]
	s_wait_dscnt 0x1
	s_delay_alu instid0(VALU_DEP_1) | instskip(SKIP_1) | instid1(VALU_DEP_1)
	v_fmac_f64_e32 v[126:127], v[98:99], v[92:93]
	s_wait_loadcnt 0x2
	v_fmac_f64_e32 v[126:127], v[100:101], v[94:95]
	ds_load_2addr_b64 v[92:95], v2 offset0:85 offset1:86
	s_wait_dscnt 0x1
	v_fmac_f64_e32 v[126:127], v[102:103], v[108:109]
	s_wait_loadcnt 0x1
	s_delay_alu instid0(VALU_DEP_1) | instskip(SKIP_1) | instid1(VALU_DEP_1)
	v_fmac_f64_e32 v[126:127], v[104:105], v[110:111]
	s_wait_dscnt 0x0
	v_fmac_f64_e32 v[126:127], v[106:107], v[92:93]
	s_wait_loadcnt 0x0
	s_delay_alu instid0(VALU_DEP_1) | instskip(NEXT) | instid1(VALU_DEP_1)
	v_fmac_f64_e32 v[126:127], v[116:117], v[94:95]
	v_add_f64_e64 v[2:3], v[90:91], -v[126:127]
	scratch_store_b64 off, v[2:3], off offset:160
	s_wait_xcnt 0x0
	v_cmpx_lt_u32_e32 19, v0
	s_cbranch_execz .LBB42_229
; %bb.228:
	scratch_load_b64 v[2:3], off, off offset:152
	v_mov_b64_e32 v[90:91], 0
	scratch_store_b64 off, v[90:91], off offset:152
	s_wait_loadcnt 0x0
	ds_store_b64 v1, v[2:3]
.LBB42_229:
	s_wait_xcnt 0x0
	s_or_b32 exec_lo, exec_lo, s0
	s_wait_storecnt_dscnt 0x0
	s_barrier_signal -1
	s_barrier_wait -1
	s_clause 0x5
	scratch_load_b128 v[90:93], off, off offset:152
	scratch_load_b128 v[94:97], off, off offset:168
	;; [unrolled: 1-line block ×6, first 2 shown]
	v_mov_b32_e32 v2, 0
	ds_load_b128 v[114:117], v2 offset:512
	ds_load_b128 v[118:121], v2 offset:528
	scratch_load_b128 v[122:125], off, off offset:248
	s_mov_b32 s0, exec_lo
	s_wait_loadcnt_dscnt 0x601
	v_fma_f64 v[126:127], v[92:93], v[114:115], 0
	s_wait_loadcnt 0x5
	s_delay_alu instid0(VALU_DEP_1) | instskip(SKIP_4) | instid1(VALU_DEP_1)
	v_fmac_f64_e32 v[126:127], v[94:95], v[116:117]
	scratch_load_b128 v[92:95], off, off offset:264
	s_wait_dscnt 0x0
	v_fmac_f64_e32 v[126:127], v[96:97], v[118:119]
	s_wait_loadcnt 0x5
	v_fmac_f64_e32 v[126:127], v[98:99], v[120:121]
	ds_load_b128 v[96:99], v2 offset:544
	ds_load_b128 v[114:117], v2 offset:560
	s_wait_dscnt 0x1
	v_fmac_f64_e32 v[126:127], v[100:101], v[96:97]
	s_wait_loadcnt 0x4
	s_delay_alu instid0(VALU_DEP_1)
	v_fmac_f64_e32 v[126:127], v[102:103], v[98:99]
	s_clause 0x1
	scratch_load_b128 v[96:99], off, off offset:280
	scratch_load_b128 v[100:103], off, off offset:296
	s_wait_dscnt 0x0
	v_fmac_f64_e32 v[126:127], v[104:105], v[114:115]
	s_wait_loadcnt 0x5
	s_delay_alu instid0(VALU_DEP_1)
	v_fmac_f64_e32 v[126:127], v[106:107], v[116:117]
	ds_load_b128 v[104:107], v2 offset:576
	ds_load_b128 v[114:117], v2 offset:592
	s_wait_dscnt 0x1
	v_fmac_f64_e32 v[126:127], v[108:109], v[104:105]
	s_wait_loadcnt 0x4
	s_delay_alu instid0(VALU_DEP_1)
	v_fmac_f64_e32 v[126:127], v[110:111], v[106:107]
	s_clause 0x1
	scratch_load_b128 v[104:107], off, off offset:312
	scratch_load_b128 v[108:111], off, off offset:328
	s_wait_dscnt 0x0
	v_fmac_f64_e32 v[126:127], v[112:113], v[114:115]
	s_wait_loadcnt 0x5
	s_delay_alu instid0(VALU_DEP_1)
	v_fmac_f64_e32 v[126:127], v[122:123], v[116:117]
	ds_load_b128 v[112:115], v2 offset:608
	ds_load_b128 v[116:119], v2 offset:624
	s_wait_dscnt 0x1
	v_fmac_f64_e32 v[126:127], v[124:125], v[112:113]
	s_wait_loadcnt 0x4
	s_delay_alu instid0(VALU_DEP_1) | instskip(SKIP_1) | instid1(VALU_DEP_1)
	v_fmac_f64_e32 v[126:127], v[92:93], v[114:115]
	s_wait_dscnt 0x0
	v_fmac_f64_e32 v[126:127], v[94:95], v[116:117]
	ds_load_b128 v[92:95], v2 offset:640
	ds_load_b128 v[112:115], v2 offset:656
	s_wait_loadcnt 0x3
	v_fmac_f64_e32 v[126:127], v[96:97], v[118:119]
	s_wait_dscnt 0x1
	s_delay_alu instid0(VALU_DEP_1) | instskip(SKIP_1) | instid1(VALU_DEP_1)
	v_fmac_f64_e32 v[126:127], v[98:99], v[92:93]
	s_wait_loadcnt 0x2
	v_fmac_f64_e32 v[126:127], v[100:101], v[94:95]
	ds_load_b128 v[92:95], v2 offset:672
	ds_load_b64 v[96:97], v2 offset:688
	s_wait_dscnt 0x2
	v_fmac_f64_e32 v[126:127], v[102:103], v[112:113]
	s_wait_loadcnt 0x1
	s_delay_alu instid0(VALU_DEP_1) | instskip(SKIP_1) | instid1(VALU_DEP_1)
	v_fmac_f64_e32 v[126:127], v[104:105], v[114:115]
	s_wait_dscnt 0x1
	v_fmac_f64_e32 v[126:127], v[106:107], v[92:93]
	s_wait_loadcnt 0x0
	s_delay_alu instid0(VALU_DEP_1) | instskip(SKIP_1) | instid1(VALU_DEP_1)
	v_fmac_f64_e32 v[126:127], v[108:109], v[94:95]
	s_wait_dscnt 0x0
	v_fmac_f64_e32 v[126:127], v[110:111], v[96:97]
	s_delay_alu instid0(VALU_DEP_1)
	v_add_f64_e64 v[90:91], v[90:91], -v[126:127]
	scratch_store_b64 off, v[90:91], off offset:152
	s_wait_xcnt 0x0
	v_cmpx_lt_u32_e32 18, v0
	s_cbranch_execz .LBB42_231
; %bb.230:
	scratch_load_b64 v[90:91], off, off offset:144
	v_mov_b64_e32 v[92:93], 0
	scratch_store_b64 off, v[92:93], off offset:144
	s_wait_loadcnt 0x0
	ds_store_b64 v1, v[90:91]
.LBB42_231:
	s_wait_xcnt 0x0
	s_or_b32 exec_lo, exec_lo, s0
	s_wait_storecnt_dscnt 0x0
	s_barrier_signal -1
	s_barrier_wait -1
	s_clause 0x5
	scratch_load_b128 v[90:93], off, off offset:144
	scratch_load_b128 v[94:97], off, off offset:160
	;; [unrolled: 1-line block ×6, first 2 shown]
	ds_load_2addr_b64 v[114:117], v2 offset0:63 offset1:64
	ds_load_2addr_b64 v[118:121], v2 offset0:65 offset1:66
	scratch_load_b128 v[122:125], off, off offset:240
	s_mov_b32 s0, exec_lo
	s_wait_loadcnt_dscnt 0x601
	v_fma_f64 v[126:127], v[92:93], v[114:115], 0
	s_wait_loadcnt 0x5
	s_delay_alu instid0(VALU_DEP_1) | instskip(SKIP_4) | instid1(VALU_DEP_1)
	v_fmac_f64_e32 v[126:127], v[94:95], v[116:117]
	scratch_load_b128 v[92:95], off, off offset:256
	s_wait_dscnt 0x0
	v_fmac_f64_e32 v[126:127], v[96:97], v[118:119]
	s_wait_loadcnt 0x5
	v_fmac_f64_e32 v[126:127], v[98:99], v[120:121]
	ds_load_2addr_b64 v[96:99], v2 offset0:67 offset1:68
	ds_load_2addr_b64 v[114:117], v2 offset0:69 offset1:70
	s_wait_dscnt 0x1
	v_fmac_f64_e32 v[126:127], v[100:101], v[96:97]
	s_wait_loadcnt 0x4
	s_delay_alu instid0(VALU_DEP_1)
	v_fmac_f64_e32 v[126:127], v[102:103], v[98:99]
	s_clause 0x1
	scratch_load_b128 v[96:99], off, off offset:272
	scratch_load_b128 v[100:103], off, off offset:288
	s_wait_dscnt 0x0
	v_fmac_f64_e32 v[126:127], v[104:105], v[114:115]
	s_wait_loadcnt 0x5
	s_delay_alu instid0(VALU_DEP_1)
	v_fmac_f64_e32 v[126:127], v[106:107], v[116:117]
	ds_load_2addr_b64 v[104:107], v2 offset0:71 offset1:72
	ds_load_2addr_b64 v[114:117], v2 offset0:73 offset1:74
	s_wait_dscnt 0x1
	v_fmac_f64_e32 v[126:127], v[108:109], v[104:105]
	s_wait_loadcnt 0x4
	s_delay_alu instid0(VALU_DEP_1)
	v_fmac_f64_e32 v[126:127], v[110:111], v[106:107]
	s_clause 0x1
	scratch_load_b128 v[104:107], off, off offset:304
	scratch_load_b128 v[108:111], off, off offset:320
	s_wait_dscnt 0x0
	v_fmac_f64_e32 v[126:127], v[112:113], v[114:115]
	s_wait_loadcnt 0x5
	s_delay_alu instid0(VALU_DEP_1)
	v_fmac_f64_e32 v[126:127], v[122:123], v[116:117]
	ds_load_2addr_b64 v[112:115], v2 offset0:75 offset1:76
	ds_load_2addr_b64 v[116:119], v2 offset0:77 offset1:78
	scratch_load_b64 v[120:121], off, off offset:336
	s_wait_dscnt 0x1
	v_fmac_f64_e32 v[126:127], v[124:125], v[112:113]
	s_wait_loadcnt 0x5
	s_delay_alu instid0(VALU_DEP_1) | instskip(SKIP_1) | instid1(VALU_DEP_1)
	v_fmac_f64_e32 v[126:127], v[92:93], v[114:115]
	s_wait_dscnt 0x0
	v_fmac_f64_e32 v[126:127], v[94:95], v[116:117]
	ds_load_2addr_b64 v[92:95], v2 offset0:79 offset1:80
	ds_load_2addr_b64 v[112:115], v2 offset0:81 offset1:82
	s_wait_loadcnt 0x4
	v_fmac_f64_e32 v[126:127], v[96:97], v[118:119]
	s_wait_dscnt 0x1
	s_delay_alu instid0(VALU_DEP_1) | instskip(SKIP_1) | instid1(VALU_DEP_1)
	v_fmac_f64_e32 v[126:127], v[98:99], v[92:93]
	s_wait_loadcnt 0x3
	v_fmac_f64_e32 v[126:127], v[100:101], v[94:95]
	ds_load_2addr_b64 v[92:95], v2 offset0:83 offset1:84
	ds_load_2addr_b64 v[96:99], v2 offset0:85 offset1:86
	s_wait_dscnt 0x2
	v_fmac_f64_e32 v[126:127], v[102:103], v[112:113]
	s_wait_loadcnt 0x2
	s_delay_alu instid0(VALU_DEP_1) | instskip(SKIP_1) | instid1(VALU_DEP_1)
	v_fmac_f64_e32 v[126:127], v[104:105], v[114:115]
	s_wait_dscnt 0x1
	v_fmac_f64_e32 v[126:127], v[106:107], v[92:93]
	s_wait_loadcnt 0x1
	s_delay_alu instid0(VALU_DEP_1) | instskip(SKIP_1) | instid1(VALU_DEP_1)
	v_fmac_f64_e32 v[126:127], v[108:109], v[94:95]
	s_wait_dscnt 0x0
	v_fmac_f64_e32 v[126:127], v[110:111], v[96:97]
	s_wait_loadcnt 0x0
	s_delay_alu instid0(VALU_DEP_1) | instskip(NEXT) | instid1(VALU_DEP_1)
	v_fmac_f64_e32 v[126:127], v[120:121], v[98:99]
	v_add_f64_e64 v[2:3], v[90:91], -v[126:127]
	scratch_store_b64 off, v[2:3], off offset:144
	s_wait_xcnt 0x0
	v_cmpx_lt_u32_e32 17, v0
	s_cbranch_execz .LBB42_233
; %bb.232:
	scratch_load_b64 v[2:3], off, off offset:136
	v_mov_b64_e32 v[90:91], 0
	scratch_store_b64 off, v[90:91], off offset:136
	s_wait_loadcnt 0x0
	ds_store_b64 v1, v[2:3]
.LBB42_233:
	s_wait_xcnt 0x0
	s_or_b32 exec_lo, exec_lo, s0
	s_wait_storecnt_dscnt 0x0
	s_barrier_signal -1
	s_barrier_wait -1
	s_clause 0x5
	scratch_load_b128 v[90:93], off, off offset:136
	scratch_load_b128 v[94:97], off, off offset:152
	scratch_load_b128 v[98:101], off, off offset:168
	scratch_load_b128 v[102:105], off, off offset:184
	scratch_load_b128 v[106:109], off, off offset:200
	scratch_load_b128 v[110:113], off, off offset:216
	v_mov_b32_e32 v2, 0
	ds_load_b128 v[114:117], v2 offset:496
	ds_load_b128 v[118:121], v2 offset:512
	scratch_load_b128 v[122:125], off, off offset:232
	s_mov_b32 s0, exec_lo
	s_wait_loadcnt_dscnt 0x601
	v_fma_f64 v[126:127], v[92:93], v[114:115], 0
	s_wait_loadcnt 0x5
	s_delay_alu instid0(VALU_DEP_1) | instskip(SKIP_4) | instid1(VALU_DEP_1)
	v_fmac_f64_e32 v[126:127], v[94:95], v[116:117]
	scratch_load_b128 v[92:95], off, off offset:248
	s_wait_dscnt 0x0
	v_fmac_f64_e32 v[126:127], v[96:97], v[118:119]
	s_wait_loadcnt 0x5
	v_fmac_f64_e32 v[126:127], v[98:99], v[120:121]
	ds_load_b128 v[96:99], v2 offset:528
	ds_load_b128 v[114:117], v2 offset:544
	s_wait_dscnt 0x1
	v_fmac_f64_e32 v[126:127], v[100:101], v[96:97]
	s_wait_loadcnt 0x4
	s_delay_alu instid0(VALU_DEP_1)
	v_fmac_f64_e32 v[126:127], v[102:103], v[98:99]
	s_clause 0x1
	scratch_load_b128 v[96:99], off, off offset:264
	scratch_load_b128 v[100:103], off, off offset:280
	s_wait_dscnt 0x0
	v_fmac_f64_e32 v[126:127], v[104:105], v[114:115]
	s_wait_loadcnt 0x5
	s_delay_alu instid0(VALU_DEP_1)
	v_fmac_f64_e32 v[126:127], v[106:107], v[116:117]
	ds_load_b128 v[104:107], v2 offset:560
	ds_load_b128 v[114:117], v2 offset:576
	s_wait_dscnt 0x1
	v_fmac_f64_e32 v[126:127], v[108:109], v[104:105]
	s_wait_loadcnt 0x4
	s_delay_alu instid0(VALU_DEP_1)
	v_fmac_f64_e32 v[126:127], v[110:111], v[106:107]
	s_clause 0x1
	scratch_load_b128 v[104:107], off, off offset:296
	scratch_load_b128 v[108:111], off, off offset:312
	s_wait_dscnt 0x0
	v_fmac_f64_e32 v[126:127], v[112:113], v[114:115]
	s_wait_loadcnt 0x5
	s_delay_alu instid0(VALU_DEP_1)
	v_fmac_f64_e32 v[126:127], v[122:123], v[116:117]
	ds_load_b128 v[112:115], v2 offset:592
	ds_load_b128 v[116:119], v2 offset:608
	s_wait_dscnt 0x1
	v_fmac_f64_e32 v[126:127], v[124:125], v[112:113]
	s_wait_loadcnt 0x4
	s_delay_alu instid0(VALU_DEP_1) | instskip(SKIP_4) | instid1(VALU_DEP_1)
	v_fmac_f64_e32 v[126:127], v[92:93], v[114:115]
	scratch_load_b128 v[112:115], off, off offset:328
	s_wait_dscnt 0x0
	v_fmac_f64_e32 v[126:127], v[94:95], v[116:117]
	s_wait_loadcnt 0x4
	v_fmac_f64_e32 v[126:127], v[96:97], v[118:119]
	ds_load_b128 v[92:95], v2 offset:624
	ds_load_b128 v[116:119], v2 offset:640
	s_wait_dscnt 0x1
	v_fmac_f64_e32 v[126:127], v[98:99], v[92:93]
	s_wait_loadcnt 0x3
	s_delay_alu instid0(VALU_DEP_1)
	v_fmac_f64_e32 v[126:127], v[100:101], v[94:95]
	ds_load_b128 v[92:95], v2 offset:656
	ds_load_b128 v[96:99], v2 offset:672
	s_wait_dscnt 0x2
	v_fmac_f64_e32 v[126:127], v[102:103], v[116:117]
	s_wait_loadcnt 0x2
	s_delay_alu instid0(VALU_DEP_1) | instskip(SKIP_1) | instid1(VALU_DEP_1)
	v_fmac_f64_e32 v[126:127], v[104:105], v[118:119]
	s_wait_dscnt 0x1
	v_fmac_f64_e32 v[126:127], v[106:107], v[92:93]
	ds_load_b64 v[92:93], v2 offset:688
	s_wait_loadcnt 0x1
	v_fmac_f64_e32 v[126:127], v[108:109], v[94:95]
	s_wait_dscnt 0x1
	s_delay_alu instid0(VALU_DEP_1) | instskip(SKIP_1) | instid1(VALU_DEP_1)
	v_fmac_f64_e32 v[126:127], v[110:111], v[96:97]
	s_wait_loadcnt 0x0
	v_fmac_f64_e32 v[126:127], v[112:113], v[98:99]
	s_wait_dscnt 0x0
	s_delay_alu instid0(VALU_DEP_1) | instskip(NEXT) | instid1(VALU_DEP_1)
	v_fmac_f64_e32 v[126:127], v[114:115], v[92:93]
	v_add_f64_e64 v[90:91], v[90:91], -v[126:127]
	scratch_store_b64 off, v[90:91], off offset:136
	s_wait_xcnt 0x0
	v_cmpx_lt_u32_e32 16, v0
	s_cbranch_execz .LBB42_235
; %bb.234:
	scratch_load_b64 v[90:91], off, off offset:128
	v_mov_b64_e32 v[92:93], 0
	scratch_store_b64 off, v[92:93], off offset:128
	s_wait_loadcnt 0x0
	ds_store_b64 v1, v[90:91]
.LBB42_235:
	s_wait_xcnt 0x0
	s_or_b32 exec_lo, exec_lo, s0
	s_wait_storecnt_dscnt 0x0
	s_barrier_signal -1
	s_barrier_wait -1
	s_clause 0x5
	scratch_load_b128 v[90:93], off, off offset:128
	scratch_load_b128 v[94:97], off, off offset:144
	;; [unrolled: 1-line block ×6, first 2 shown]
	ds_load_2addr_b64 v[114:117], v2 offset0:61 offset1:62
	ds_load_2addr_b64 v[118:121], v2 offset0:63 offset1:64
	scratch_load_b128 v[122:125], off, off offset:224
	s_mov_b32 s0, exec_lo
	s_wait_loadcnt_dscnt 0x601
	v_fma_f64 v[126:127], v[92:93], v[114:115], 0
	s_wait_loadcnt 0x5
	s_delay_alu instid0(VALU_DEP_1) | instskip(SKIP_4) | instid1(VALU_DEP_1)
	v_fmac_f64_e32 v[126:127], v[94:95], v[116:117]
	scratch_load_b128 v[92:95], off, off offset:240
	s_wait_dscnt 0x0
	v_fmac_f64_e32 v[126:127], v[96:97], v[118:119]
	s_wait_loadcnt 0x5
	v_fmac_f64_e32 v[126:127], v[98:99], v[120:121]
	ds_load_2addr_b64 v[96:99], v2 offset0:65 offset1:66
	ds_load_2addr_b64 v[114:117], v2 offset0:67 offset1:68
	scratch_load_b128 v[118:121], off, off offset:256
	s_wait_dscnt 0x1
	v_fmac_f64_e32 v[126:127], v[100:101], v[96:97]
	s_wait_loadcnt 0x5
	s_delay_alu instid0(VALU_DEP_1) | instskip(SKIP_4) | instid1(VALU_DEP_1)
	v_fmac_f64_e32 v[126:127], v[102:103], v[98:99]
	scratch_load_b128 v[96:99], off, off offset:272
	s_wait_dscnt 0x0
	v_fmac_f64_e32 v[126:127], v[104:105], v[114:115]
	s_wait_loadcnt 0x5
	v_fmac_f64_e32 v[126:127], v[106:107], v[116:117]
	ds_load_2addr_b64 v[100:103], v2 offset0:69 offset1:70
	ds_load_2addr_b64 v[104:107], v2 offset0:71 offset1:72
	s_wait_dscnt 0x1
	v_fmac_f64_e32 v[126:127], v[108:109], v[100:101]
	s_wait_loadcnt 0x4
	s_delay_alu instid0(VALU_DEP_1) | instskip(SKIP_4) | instid1(VALU_DEP_1)
	v_fmac_f64_e32 v[126:127], v[110:111], v[102:103]
	scratch_load_b128 v[100:103], off, off offset:288
	s_wait_dscnt 0x0
	v_fmac_f64_e32 v[126:127], v[112:113], v[104:105]
	s_wait_loadcnt 0x4
	v_fmac_f64_e32 v[126:127], v[122:123], v[106:107]
	scratch_load_b128 v[104:107], off, off offset:304
	ds_load_2addr_b64 v[108:111], v2 offset0:73 offset1:74
	ds_load_2addr_b64 v[112:115], v2 offset0:75 offset1:76
	scratch_load_b64 v[116:117], off, off offset:336
	s_wait_dscnt 0x1
	v_fmac_f64_e32 v[126:127], v[124:125], v[108:109]
	s_wait_loadcnt 0x5
	s_delay_alu instid0(VALU_DEP_1) | instskip(SKIP_4) | instid1(VALU_DEP_1)
	v_fmac_f64_e32 v[126:127], v[92:93], v[110:111]
	scratch_load_b128 v[108:111], off, off offset:320
	s_wait_dscnt 0x0
	v_fmac_f64_e32 v[126:127], v[94:95], v[112:113]
	s_wait_loadcnt 0x5
	v_fmac_f64_e32 v[126:127], v[118:119], v[114:115]
	ds_load_2addr_b64 v[92:95], v2 offset0:77 offset1:78
	ds_load_2addr_b64 v[112:115], v2 offset0:79 offset1:80
	s_wait_dscnt 0x1
	v_fmac_f64_e32 v[126:127], v[120:121], v[92:93]
	s_wait_loadcnt 0x4
	s_delay_alu instid0(VALU_DEP_1) | instskip(SKIP_1) | instid1(VALU_DEP_1)
	v_fmac_f64_e32 v[126:127], v[96:97], v[94:95]
	s_wait_dscnt 0x0
	v_fmac_f64_e32 v[126:127], v[98:99], v[112:113]
	ds_load_2addr_b64 v[92:95], v2 offset0:81 offset1:82
	ds_load_2addr_b64 v[96:99], v2 offset0:83 offset1:84
	s_wait_loadcnt 0x3
	v_fmac_f64_e32 v[126:127], v[100:101], v[114:115]
	s_wait_dscnt 0x1
	s_delay_alu instid0(VALU_DEP_1) | instskip(SKIP_1) | instid1(VALU_DEP_1)
	v_fmac_f64_e32 v[126:127], v[102:103], v[92:93]
	s_wait_loadcnt 0x2
	v_fmac_f64_e32 v[126:127], v[104:105], v[94:95]
	ds_load_2addr_b64 v[92:95], v2 offset0:85 offset1:86
	s_wait_dscnt 0x1
	v_fmac_f64_e32 v[126:127], v[106:107], v[96:97]
	s_wait_loadcnt 0x0
	s_delay_alu instid0(VALU_DEP_1) | instskip(SKIP_1) | instid1(VALU_DEP_1)
	v_fmac_f64_e32 v[126:127], v[108:109], v[98:99]
	s_wait_dscnt 0x0
	v_fmac_f64_e32 v[126:127], v[110:111], v[92:93]
	s_delay_alu instid0(VALU_DEP_1) | instskip(NEXT) | instid1(VALU_DEP_1)
	v_fmac_f64_e32 v[126:127], v[116:117], v[94:95]
	v_add_f64_e64 v[2:3], v[90:91], -v[126:127]
	scratch_store_b64 off, v[2:3], off offset:128
	s_wait_xcnt 0x0
	v_cmpx_lt_u32_e32 15, v0
	s_cbranch_execz .LBB42_237
; %bb.236:
	scratch_load_b64 v[2:3], off, off offset:120
	v_mov_b64_e32 v[90:91], 0
	scratch_store_b64 off, v[90:91], off offset:120
	s_wait_loadcnt 0x0
	ds_store_b64 v1, v[2:3]
.LBB42_237:
	s_wait_xcnt 0x0
	s_or_b32 exec_lo, exec_lo, s0
	s_wait_storecnt_dscnt 0x0
	s_barrier_signal -1
	s_barrier_wait -1
	s_clause 0x5
	scratch_load_b128 v[90:93], off, off offset:120
	scratch_load_b128 v[94:97], off, off offset:136
	;; [unrolled: 1-line block ×6, first 2 shown]
	v_mov_b32_e32 v2, 0
	ds_load_b128 v[114:117], v2 offset:480
	ds_load_b128 v[118:121], v2 offset:496
	scratch_load_b128 v[122:125], off, off offset:216
	s_mov_b32 s0, exec_lo
	s_wait_loadcnt_dscnt 0x601
	v_fma_f64 v[126:127], v[92:93], v[114:115], 0
	s_wait_loadcnt 0x5
	s_delay_alu instid0(VALU_DEP_1) | instskip(SKIP_4) | instid1(VALU_DEP_1)
	v_fmac_f64_e32 v[126:127], v[94:95], v[116:117]
	scratch_load_b128 v[92:95], off, off offset:232
	s_wait_dscnt 0x0
	v_fmac_f64_e32 v[126:127], v[96:97], v[118:119]
	s_wait_loadcnt 0x5
	v_fmac_f64_e32 v[126:127], v[98:99], v[120:121]
	ds_load_b128 v[96:99], v2 offset:512
	ds_load_b128 v[114:117], v2 offset:528
	scratch_load_b128 v[118:121], off, off offset:248
	s_wait_dscnt 0x1
	v_fmac_f64_e32 v[126:127], v[100:101], v[96:97]
	s_wait_loadcnt 0x5
	s_delay_alu instid0(VALU_DEP_1) | instskip(SKIP_4) | instid1(VALU_DEP_1)
	v_fmac_f64_e32 v[126:127], v[102:103], v[98:99]
	scratch_load_b128 v[96:99], off, off offset:264
	s_wait_dscnt 0x0
	v_fmac_f64_e32 v[126:127], v[104:105], v[114:115]
	s_wait_loadcnt 0x5
	v_fmac_f64_e32 v[126:127], v[106:107], v[116:117]
	ds_load_b128 v[100:103], v2 offset:544
	ds_load_b128 v[104:107], v2 offset:560
	s_wait_dscnt 0x1
	v_fmac_f64_e32 v[126:127], v[108:109], v[100:101]
	s_wait_loadcnt 0x4
	s_delay_alu instid0(VALU_DEP_1) | instskip(SKIP_4) | instid1(VALU_DEP_1)
	v_fmac_f64_e32 v[126:127], v[110:111], v[102:103]
	scratch_load_b128 v[100:103], off, off offset:280
	s_wait_dscnt 0x0
	v_fmac_f64_e32 v[126:127], v[112:113], v[104:105]
	s_wait_loadcnt 0x4
	v_fmac_f64_e32 v[126:127], v[122:123], v[106:107]
	scratch_load_b128 v[104:107], off, off offset:296
	ds_load_b128 v[108:111], v2 offset:576
	ds_load_b128 v[112:115], v2 offset:592
	s_wait_dscnt 0x1
	v_fmac_f64_e32 v[126:127], v[124:125], v[108:109]
	s_wait_loadcnt 0x4
	s_delay_alu instid0(VALU_DEP_1)
	v_fmac_f64_e32 v[126:127], v[92:93], v[110:111]
	scratch_load_b128 v[108:111], off, off offset:312
	s_wait_dscnt 0x0
	v_fmac_f64_e32 v[126:127], v[94:95], v[112:113]
	scratch_load_b128 v[92:95], off, off offset:328
	s_wait_loadcnt 0x5
	v_fmac_f64_e32 v[126:127], v[118:119], v[114:115]
	ds_load_b128 v[112:115], v2 offset:608
	ds_load_b128 v[116:119], v2 offset:624
	s_wait_dscnt 0x1
	v_fmac_f64_e32 v[126:127], v[120:121], v[112:113]
	s_wait_loadcnt 0x4
	s_delay_alu instid0(VALU_DEP_1) | instskip(SKIP_1) | instid1(VALU_DEP_1)
	v_fmac_f64_e32 v[126:127], v[96:97], v[114:115]
	s_wait_dscnt 0x0
	v_fmac_f64_e32 v[126:127], v[98:99], v[116:117]
	ds_load_b128 v[96:99], v2 offset:640
	ds_load_b128 v[112:115], v2 offset:656
	s_wait_loadcnt 0x3
	v_fmac_f64_e32 v[126:127], v[100:101], v[118:119]
	s_wait_dscnt 0x1
	s_delay_alu instid0(VALU_DEP_1) | instskip(SKIP_1) | instid1(VALU_DEP_1)
	v_fmac_f64_e32 v[126:127], v[102:103], v[96:97]
	s_wait_loadcnt 0x2
	v_fmac_f64_e32 v[126:127], v[104:105], v[98:99]
	ds_load_b128 v[96:99], v2 offset:672
	ds_load_b64 v[100:101], v2 offset:688
	s_wait_dscnt 0x2
	v_fmac_f64_e32 v[126:127], v[106:107], v[112:113]
	s_wait_loadcnt 0x1
	s_delay_alu instid0(VALU_DEP_1) | instskip(SKIP_1) | instid1(VALU_DEP_1)
	v_fmac_f64_e32 v[126:127], v[108:109], v[114:115]
	s_wait_dscnt 0x1
	v_fmac_f64_e32 v[126:127], v[110:111], v[96:97]
	s_wait_loadcnt 0x0
	s_delay_alu instid0(VALU_DEP_1) | instskip(SKIP_1) | instid1(VALU_DEP_1)
	v_fmac_f64_e32 v[126:127], v[92:93], v[98:99]
	s_wait_dscnt 0x0
	v_fmac_f64_e32 v[126:127], v[94:95], v[100:101]
	s_delay_alu instid0(VALU_DEP_1)
	v_add_f64_e64 v[90:91], v[90:91], -v[126:127]
	scratch_store_b64 off, v[90:91], off offset:120
	s_wait_xcnt 0x0
	v_cmpx_lt_u32_e32 14, v0
	s_cbranch_execz .LBB42_239
; %bb.238:
	scratch_load_b64 v[90:91], off, off offset:112
	v_mov_b64_e32 v[92:93], 0
	scratch_store_b64 off, v[92:93], off offset:112
	s_wait_loadcnt 0x0
	ds_store_b64 v1, v[90:91]
.LBB42_239:
	s_wait_xcnt 0x0
	s_or_b32 exec_lo, exec_lo, s0
	s_wait_storecnt_dscnt 0x0
	s_barrier_signal -1
	s_barrier_wait -1
	s_clause 0x5
	scratch_load_b128 v[90:93], off, off offset:112
	scratch_load_b128 v[94:97], off, off offset:128
	;; [unrolled: 1-line block ×6, first 2 shown]
	ds_load_2addr_b64 v[114:117], v2 offset0:59 offset1:60
	ds_load_2addr_b64 v[118:121], v2 offset0:61 offset1:62
	scratch_load_b128 v[122:125], off, off offset:208
	s_mov_b32 s0, exec_lo
	s_wait_loadcnt_dscnt 0x601
	v_fma_f64 v[126:127], v[92:93], v[114:115], 0
	s_wait_loadcnt 0x5
	s_delay_alu instid0(VALU_DEP_1) | instskip(SKIP_4) | instid1(VALU_DEP_1)
	v_fmac_f64_e32 v[126:127], v[94:95], v[116:117]
	scratch_load_b128 v[92:95], off, off offset:224
	s_wait_dscnt 0x0
	v_fmac_f64_e32 v[126:127], v[96:97], v[118:119]
	s_wait_loadcnt 0x5
	v_fmac_f64_e32 v[126:127], v[98:99], v[120:121]
	ds_load_2addr_b64 v[96:99], v2 offset0:63 offset1:64
	ds_load_2addr_b64 v[114:117], v2 offset0:65 offset1:66
	scratch_load_b128 v[118:121], off, off offset:240
	s_wait_dscnt 0x1
	v_fmac_f64_e32 v[126:127], v[100:101], v[96:97]
	s_wait_loadcnt 0x5
	s_delay_alu instid0(VALU_DEP_1) | instskip(SKIP_4) | instid1(VALU_DEP_1)
	v_fmac_f64_e32 v[126:127], v[102:103], v[98:99]
	scratch_load_b128 v[96:99], off, off offset:256
	s_wait_dscnt 0x0
	v_fmac_f64_e32 v[126:127], v[104:105], v[114:115]
	s_wait_loadcnt 0x5
	v_fmac_f64_e32 v[126:127], v[106:107], v[116:117]
	ds_load_2addr_b64 v[100:103], v2 offset0:67 offset1:68
	ds_load_2addr_b64 v[104:107], v2 offset0:69 offset1:70
	s_wait_dscnt 0x1
	v_fmac_f64_e32 v[126:127], v[108:109], v[100:101]
	s_wait_loadcnt 0x4
	s_delay_alu instid0(VALU_DEP_1) | instskip(SKIP_4) | instid1(VALU_DEP_1)
	v_fmac_f64_e32 v[126:127], v[110:111], v[102:103]
	scratch_load_b128 v[100:103], off, off offset:272
	s_wait_dscnt 0x0
	v_fmac_f64_e32 v[126:127], v[112:113], v[104:105]
	s_wait_loadcnt 0x4
	v_fmac_f64_e32 v[126:127], v[122:123], v[106:107]
	scratch_load_b128 v[104:107], off, off offset:288
	ds_load_2addr_b64 v[108:111], v2 offset0:71 offset1:72
	ds_load_2addr_b64 v[112:115], v2 offset0:73 offset1:74
	s_wait_dscnt 0x1
	v_fmac_f64_e32 v[126:127], v[124:125], v[108:109]
	s_wait_loadcnt 0x4
	s_delay_alu instid0(VALU_DEP_1)
	v_fmac_f64_e32 v[126:127], v[92:93], v[110:111]
	scratch_load_b128 v[108:111], off, off offset:304
	s_wait_dscnt 0x0
	v_fmac_f64_e32 v[126:127], v[94:95], v[112:113]
	scratch_load_b128 v[92:95], off, off offset:320
	s_wait_loadcnt 0x5
	v_fmac_f64_e32 v[126:127], v[118:119], v[114:115]
	ds_load_2addr_b64 v[112:115], v2 offset0:75 offset1:76
	ds_load_2addr_b64 v[116:119], v2 offset0:77 offset1:78
	s_wait_dscnt 0x1
	v_fmac_f64_e32 v[126:127], v[120:121], v[112:113]
	scratch_load_b64 v[120:121], off, off offset:336
	s_wait_loadcnt 0x5
	v_fmac_f64_e32 v[126:127], v[96:97], v[114:115]
	s_wait_dscnt 0x0
	s_delay_alu instid0(VALU_DEP_1)
	v_fmac_f64_e32 v[126:127], v[98:99], v[116:117]
	ds_load_2addr_b64 v[96:99], v2 offset0:79 offset1:80
	ds_load_2addr_b64 v[112:115], v2 offset0:81 offset1:82
	s_wait_loadcnt 0x4
	v_fmac_f64_e32 v[126:127], v[100:101], v[118:119]
	s_wait_dscnt 0x1
	s_delay_alu instid0(VALU_DEP_1) | instskip(SKIP_1) | instid1(VALU_DEP_1)
	v_fmac_f64_e32 v[126:127], v[102:103], v[96:97]
	s_wait_loadcnt 0x3
	v_fmac_f64_e32 v[126:127], v[104:105], v[98:99]
	ds_load_2addr_b64 v[96:99], v2 offset0:83 offset1:84
	ds_load_2addr_b64 v[100:103], v2 offset0:85 offset1:86
	s_wait_dscnt 0x2
	v_fmac_f64_e32 v[126:127], v[106:107], v[112:113]
	s_wait_loadcnt 0x2
	s_delay_alu instid0(VALU_DEP_1) | instskip(SKIP_1) | instid1(VALU_DEP_1)
	v_fmac_f64_e32 v[126:127], v[108:109], v[114:115]
	s_wait_dscnt 0x1
	v_fmac_f64_e32 v[126:127], v[110:111], v[96:97]
	s_wait_loadcnt 0x1
	s_delay_alu instid0(VALU_DEP_1) | instskip(SKIP_1) | instid1(VALU_DEP_1)
	v_fmac_f64_e32 v[126:127], v[92:93], v[98:99]
	s_wait_dscnt 0x0
	v_fmac_f64_e32 v[126:127], v[94:95], v[100:101]
	s_wait_loadcnt 0x0
	s_delay_alu instid0(VALU_DEP_1) | instskip(NEXT) | instid1(VALU_DEP_1)
	v_fmac_f64_e32 v[126:127], v[120:121], v[102:103]
	v_add_f64_e64 v[2:3], v[90:91], -v[126:127]
	scratch_store_b64 off, v[2:3], off offset:112
	s_wait_xcnt 0x0
	v_cmpx_lt_u32_e32 13, v0
	s_cbranch_execz .LBB42_241
; %bb.240:
	scratch_load_b64 v[2:3], off, off offset:104
	v_mov_b64_e32 v[90:91], 0
	scratch_store_b64 off, v[90:91], off offset:104
	s_wait_loadcnt 0x0
	ds_store_b64 v1, v[2:3]
.LBB42_241:
	s_wait_xcnt 0x0
	s_or_b32 exec_lo, exec_lo, s0
	s_wait_storecnt_dscnt 0x0
	s_barrier_signal -1
	s_barrier_wait -1
	s_clause 0x5
	scratch_load_b128 v[90:93], off, off offset:104
	scratch_load_b128 v[94:97], off, off offset:120
	scratch_load_b128 v[98:101], off, off offset:136
	scratch_load_b128 v[102:105], off, off offset:152
	scratch_load_b128 v[106:109], off, off offset:168
	scratch_load_b128 v[110:113], off, off offset:184
	v_mov_b32_e32 v2, 0
	ds_load_b128 v[114:117], v2 offset:464
	ds_load_b128 v[118:121], v2 offset:480
	scratch_load_b128 v[122:125], off, off offset:200
	s_mov_b32 s0, exec_lo
	s_wait_loadcnt_dscnt 0x601
	v_fma_f64 v[126:127], v[92:93], v[114:115], 0
	s_wait_loadcnt 0x5
	s_delay_alu instid0(VALU_DEP_1) | instskip(SKIP_4) | instid1(VALU_DEP_1)
	v_fmac_f64_e32 v[126:127], v[94:95], v[116:117]
	scratch_load_b128 v[92:95], off, off offset:216
	s_wait_dscnt 0x0
	v_fmac_f64_e32 v[126:127], v[96:97], v[118:119]
	s_wait_loadcnt 0x5
	v_fmac_f64_e32 v[126:127], v[98:99], v[120:121]
	ds_load_b128 v[96:99], v2 offset:496
	ds_load_b128 v[114:117], v2 offset:512
	scratch_load_b128 v[118:121], off, off offset:232
	s_wait_dscnt 0x1
	v_fmac_f64_e32 v[126:127], v[100:101], v[96:97]
	s_wait_loadcnt 0x5
	s_delay_alu instid0(VALU_DEP_1) | instskip(SKIP_4) | instid1(VALU_DEP_1)
	v_fmac_f64_e32 v[126:127], v[102:103], v[98:99]
	scratch_load_b128 v[96:99], off, off offset:248
	s_wait_dscnt 0x0
	v_fmac_f64_e32 v[126:127], v[104:105], v[114:115]
	s_wait_loadcnt 0x5
	v_fmac_f64_e32 v[126:127], v[106:107], v[116:117]
	ds_load_b128 v[100:103], v2 offset:528
	ds_load_b128 v[104:107], v2 offset:544
	s_wait_dscnt 0x1
	v_fmac_f64_e32 v[126:127], v[108:109], v[100:101]
	s_wait_loadcnt 0x4
	s_delay_alu instid0(VALU_DEP_1) | instskip(SKIP_4) | instid1(VALU_DEP_1)
	v_fmac_f64_e32 v[126:127], v[110:111], v[102:103]
	scratch_load_b128 v[100:103], off, off offset:264
	s_wait_dscnt 0x0
	v_fmac_f64_e32 v[126:127], v[112:113], v[104:105]
	s_wait_loadcnt 0x4
	v_fmac_f64_e32 v[126:127], v[122:123], v[106:107]
	scratch_load_b128 v[104:107], off, off offset:280
	ds_load_b128 v[108:111], v2 offset:560
	ds_load_b128 v[112:115], v2 offset:576
	s_wait_dscnt 0x1
	v_fmac_f64_e32 v[126:127], v[124:125], v[108:109]
	s_wait_loadcnt 0x4
	s_delay_alu instid0(VALU_DEP_1)
	v_fmac_f64_e32 v[126:127], v[92:93], v[110:111]
	scratch_load_b128 v[108:111], off, off offset:296
	s_wait_dscnt 0x0
	v_fmac_f64_e32 v[126:127], v[94:95], v[112:113]
	scratch_load_b128 v[92:95], off, off offset:312
	s_wait_loadcnt 0x5
	v_fmac_f64_e32 v[126:127], v[118:119], v[114:115]
	ds_load_b128 v[112:115], v2 offset:592
	ds_load_b128 v[116:119], v2 offset:608
	s_wait_dscnt 0x1
	v_fmac_f64_e32 v[126:127], v[120:121], v[112:113]
	s_wait_loadcnt 0x4
	s_delay_alu instid0(VALU_DEP_1) | instskip(SKIP_4) | instid1(VALU_DEP_1)
	v_fmac_f64_e32 v[126:127], v[96:97], v[114:115]
	scratch_load_b128 v[112:115], off, off offset:328
	s_wait_dscnt 0x0
	v_fmac_f64_e32 v[126:127], v[98:99], v[116:117]
	s_wait_loadcnt 0x4
	v_fmac_f64_e32 v[126:127], v[100:101], v[118:119]
	ds_load_b128 v[96:99], v2 offset:624
	ds_load_b128 v[116:119], v2 offset:640
	s_wait_dscnt 0x1
	v_fmac_f64_e32 v[126:127], v[102:103], v[96:97]
	s_wait_loadcnt 0x3
	s_delay_alu instid0(VALU_DEP_1)
	v_fmac_f64_e32 v[126:127], v[104:105], v[98:99]
	ds_load_b128 v[96:99], v2 offset:656
	ds_load_b128 v[100:103], v2 offset:672
	s_wait_dscnt 0x2
	v_fmac_f64_e32 v[126:127], v[106:107], v[116:117]
	s_wait_loadcnt 0x2
	s_delay_alu instid0(VALU_DEP_1) | instskip(SKIP_1) | instid1(VALU_DEP_1)
	v_fmac_f64_e32 v[126:127], v[108:109], v[118:119]
	s_wait_dscnt 0x1
	v_fmac_f64_e32 v[126:127], v[110:111], v[96:97]
	s_wait_loadcnt 0x1
	s_delay_alu instid0(VALU_DEP_1) | instskip(SKIP_4) | instid1(VALU_DEP_1)
	v_fmac_f64_e32 v[126:127], v[92:93], v[98:99]
	ds_load_b64 v[92:93], v2 offset:688
	s_wait_dscnt 0x1
	v_fmac_f64_e32 v[126:127], v[94:95], v[100:101]
	s_wait_loadcnt 0x0
	v_fmac_f64_e32 v[126:127], v[112:113], v[102:103]
	s_wait_dscnt 0x0
	s_delay_alu instid0(VALU_DEP_1) | instskip(NEXT) | instid1(VALU_DEP_1)
	v_fmac_f64_e32 v[126:127], v[114:115], v[92:93]
	v_add_f64_e64 v[90:91], v[90:91], -v[126:127]
	scratch_store_b64 off, v[90:91], off offset:104
	s_wait_xcnt 0x0
	v_cmpx_lt_u32_e32 12, v0
	s_cbranch_execz .LBB42_243
; %bb.242:
	scratch_load_b64 v[90:91], off, off offset:96
	v_mov_b64_e32 v[92:93], 0
	scratch_store_b64 off, v[92:93], off offset:96
	s_wait_loadcnt 0x0
	ds_store_b64 v1, v[90:91]
.LBB42_243:
	s_wait_xcnt 0x0
	s_or_b32 exec_lo, exec_lo, s0
	s_wait_storecnt_dscnt 0x0
	s_barrier_signal -1
	s_barrier_wait -1
	s_clause 0x5
	scratch_load_b128 v[90:93], off, off offset:96
	scratch_load_b128 v[94:97], off, off offset:112
	;; [unrolled: 1-line block ×6, first 2 shown]
	ds_load_2addr_b64 v[114:117], v2 offset0:57 offset1:58
	ds_load_2addr_b64 v[118:121], v2 offset0:59 offset1:60
	scratch_load_b128 v[122:125], off, off offset:192
	s_mov_b32 s0, exec_lo
	s_wait_loadcnt_dscnt 0x601
	v_fma_f64 v[126:127], v[92:93], v[114:115], 0
	s_wait_loadcnt 0x5
	s_delay_alu instid0(VALU_DEP_1) | instskip(SKIP_4) | instid1(VALU_DEP_1)
	v_fmac_f64_e32 v[126:127], v[94:95], v[116:117]
	scratch_load_b128 v[92:95], off, off offset:208
	s_wait_dscnt 0x0
	v_fmac_f64_e32 v[126:127], v[96:97], v[118:119]
	s_wait_loadcnt 0x5
	v_fmac_f64_e32 v[126:127], v[98:99], v[120:121]
	ds_load_2addr_b64 v[96:99], v2 offset0:61 offset1:62
	ds_load_2addr_b64 v[114:117], v2 offset0:63 offset1:64
	scratch_load_b128 v[118:121], off, off offset:224
	s_wait_dscnt 0x1
	v_fmac_f64_e32 v[126:127], v[100:101], v[96:97]
	s_wait_loadcnt 0x5
	s_delay_alu instid0(VALU_DEP_1) | instskip(SKIP_4) | instid1(VALU_DEP_1)
	v_fmac_f64_e32 v[126:127], v[102:103], v[98:99]
	scratch_load_b128 v[96:99], off, off offset:240
	s_wait_dscnt 0x0
	v_fmac_f64_e32 v[126:127], v[104:105], v[114:115]
	s_wait_loadcnt 0x5
	v_fmac_f64_e32 v[126:127], v[106:107], v[116:117]
	ds_load_2addr_b64 v[100:103], v2 offset0:65 offset1:66
	ds_load_2addr_b64 v[104:107], v2 offset0:67 offset1:68
	scratch_load_b128 v[114:117], off, off offset:256
	s_wait_dscnt 0x1
	v_fmac_f64_e32 v[126:127], v[108:109], v[100:101]
	s_wait_loadcnt 0x5
	s_delay_alu instid0(VALU_DEP_1) | instskip(SKIP_4) | instid1(VALU_DEP_1)
	v_fmac_f64_e32 v[126:127], v[110:111], v[102:103]
	scratch_load_b128 v[100:103], off, off offset:272
	s_wait_dscnt 0x0
	v_fmac_f64_e32 v[126:127], v[112:113], v[104:105]
	s_wait_loadcnt 0x5
	v_fmac_f64_e32 v[126:127], v[122:123], v[106:107]
	ds_load_2addr_b64 v[104:107], v2 offset0:69 offset1:70
	ds_load_2addr_b64 v[108:111], v2 offset0:71 offset1:72
	s_wait_dscnt 0x1
	v_fmac_f64_e32 v[126:127], v[124:125], v[104:105]
	s_wait_loadcnt 0x4
	s_delay_alu instid0(VALU_DEP_1)
	v_fmac_f64_e32 v[126:127], v[92:93], v[106:107]
	scratch_load_b128 v[104:107], off, off offset:288
	s_wait_dscnt 0x0
	v_fmac_f64_e32 v[126:127], v[94:95], v[108:109]
	scratch_load_b128 v[92:95], off, off offset:304
	s_wait_loadcnt 0x5
	v_fmac_f64_e32 v[126:127], v[118:119], v[110:111]
	ds_load_2addr_b64 v[108:111], v2 offset0:73 offset1:74
	ds_load_2addr_b64 v[122:125], v2 offset0:75 offset1:76
	scratch_load_b64 v[118:119], off, off offset:336
	s_wait_dscnt 0x1
	v_fmac_f64_e32 v[126:127], v[120:121], v[108:109]
	s_wait_loadcnt 0x5
	s_delay_alu instid0(VALU_DEP_1) | instskip(SKIP_4) | instid1(VALU_DEP_1)
	v_fmac_f64_e32 v[126:127], v[96:97], v[110:111]
	scratch_load_b128 v[108:111], off, off offset:320
	s_wait_dscnt 0x0
	v_fmac_f64_e32 v[126:127], v[98:99], v[122:123]
	s_wait_loadcnt 0x5
	v_fmac_f64_e32 v[126:127], v[114:115], v[124:125]
	ds_load_2addr_b64 v[96:99], v2 offset0:77 offset1:78
	ds_load_2addr_b64 v[112:115], v2 offset0:79 offset1:80
	s_wait_dscnt 0x1
	v_fmac_f64_e32 v[126:127], v[116:117], v[96:97]
	s_wait_loadcnt 0x4
	s_delay_alu instid0(VALU_DEP_1) | instskip(SKIP_1) | instid1(VALU_DEP_1)
	v_fmac_f64_e32 v[126:127], v[100:101], v[98:99]
	s_wait_dscnt 0x0
	v_fmac_f64_e32 v[126:127], v[102:103], v[112:113]
	ds_load_2addr_b64 v[96:99], v2 offset0:81 offset1:82
	ds_load_2addr_b64 v[100:103], v2 offset0:83 offset1:84
	s_wait_loadcnt 0x3
	v_fmac_f64_e32 v[126:127], v[104:105], v[114:115]
	s_wait_dscnt 0x1
	s_delay_alu instid0(VALU_DEP_1) | instskip(SKIP_1) | instid1(VALU_DEP_1)
	v_fmac_f64_e32 v[126:127], v[106:107], v[96:97]
	s_wait_loadcnt 0x2
	v_fmac_f64_e32 v[126:127], v[92:93], v[98:99]
	s_wait_dscnt 0x0
	s_delay_alu instid0(VALU_DEP_1) | instskip(SKIP_4) | instid1(VALU_DEP_1)
	v_fmac_f64_e32 v[126:127], v[94:95], v[100:101]
	ds_load_2addr_b64 v[92:95], v2 offset0:85 offset1:86
	s_wait_loadcnt 0x0
	v_fmac_f64_e32 v[126:127], v[108:109], v[102:103]
	s_wait_dscnt 0x0
	v_fmac_f64_e32 v[126:127], v[110:111], v[92:93]
	s_delay_alu instid0(VALU_DEP_1) | instskip(NEXT) | instid1(VALU_DEP_1)
	v_fmac_f64_e32 v[126:127], v[118:119], v[94:95]
	v_add_f64_e64 v[2:3], v[90:91], -v[126:127]
	scratch_store_b64 off, v[2:3], off offset:96
	s_wait_xcnt 0x0
	v_cmpx_lt_u32_e32 11, v0
	s_cbranch_execz .LBB42_245
; %bb.244:
	scratch_load_b64 v[2:3], off, off offset:88
	v_mov_b64_e32 v[90:91], 0
	scratch_store_b64 off, v[90:91], off offset:88
	s_wait_loadcnt 0x0
	ds_store_b64 v1, v[2:3]
.LBB42_245:
	s_wait_xcnt 0x0
	s_or_b32 exec_lo, exec_lo, s0
	s_wait_storecnt_dscnt 0x0
	s_barrier_signal -1
	s_barrier_wait -1
	s_clause 0x5
	scratch_load_b128 v[90:93], off, off offset:88
	scratch_load_b128 v[94:97], off, off offset:104
	;; [unrolled: 1-line block ×6, first 2 shown]
	v_mov_b32_e32 v2, 0
	ds_load_b128 v[114:117], v2 offset:448
	ds_load_b128 v[118:121], v2 offset:464
	scratch_load_b128 v[122:125], off, off offset:184
	s_mov_b32 s0, exec_lo
	s_wait_loadcnt_dscnt 0x601
	v_fma_f64 v[126:127], v[92:93], v[114:115], 0
	s_wait_loadcnt 0x5
	s_delay_alu instid0(VALU_DEP_1) | instskip(SKIP_4) | instid1(VALU_DEP_1)
	v_fmac_f64_e32 v[126:127], v[94:95], v[116:117]
	scratch_load_b128 v[92:95], off, off offset:200
	s_wait_dscnt 0x0
	v_fmac_f64_e32 v[126:127], v[96:97], v[118:119]
	s_wait_loadcnt 0x5
	v_fmac_f64_e32 v[126:127], v[98:99], v[120:121]
	ds_load_b128 v[96:99], v2 offset:480
	ds_load_b128 v[114:117], v2 offset:496
	scratch_load_b128 v[118:121], off, off offset:216
	s_wait_dscnt 0x1
	v_fmac_f64_e32 v[126:127], v[100:101], v[96:97]
	s_wait_loadcnt 0x5
	s_delay_alu instid0(VALU_DEP_1) | instskip(SKIP_4) | instid1(VALU_DEP_1)
	v_fmac_f64_e32 v[126:127], v[102:103], v[98:99]
	scratch_load_b128 v[96:99], off, off offset:232
	s_wait_dscnt 0x0
	v_fmac_f64_e32 v[126:127], v[104:105], v[114:115]
	s_wait_loadcnt 0x5
	v_fmac_f64_e32 v[126:127], v[106:107], v[116:117]
	ds_load_b128 v[100:103], v2 offset:512
	ds_load_b128 v[104:107], v2 offset:528
	scratch_load_b128 v[114:117], off, off offset:248
	s_wait_dscnt 0x1
	v_fmac_f64_e32 v[126:127], v[108:109], v[100:101]
	s_wait_loadcnt 0x5
	s_delay_alu instid0(VALU_DEP_1) | instskip(SKIP_4) | instid1(VALU_DEP_1)
	v_fmac_f64_e32 v[126:127], v[110:111], v[102:103]
	scratch_load_b128 v[100:103], off, off offset:264
	s_wait_dscnt 0x0
	v_fmac_f64_e32 v[126:127], v[112:113], v[104:105]
	s_wait_loadcnt 0x5
	v_fmac_f64_e32 v[126:127], v[122:123], v[106:107]
	ds_load_b128 v[104:107], v2 offset:544
	ds_load_b128 v[108:111], v2 offset:560
	s_wait_dscnt 0x1
	v_fmac_f64_e32 v[126:127], v[124:125], v[104:105]
	s_wait_loadcnt 0x4
	s_delay_alu instid0(VALU_DEP_1)
	v_fmac_f64_e32 v[126:127], v[92:93], v[106:107]
	scratch_load_b128 v[104:107], off, off offset:280
	s_wait_dscnt 0x0
	v_fmac_f64_e32 v[126:127], v[94:95], v[108:109]
	scratch_load_b128 v[92:95], off, off offset:296
	s_wait_loadcnt 0x5
	v_fmac_f64_e32 v[126:127], v[118:119], v[110:111]
	ds_load_b128 v[108:111], v2 offset:576
	ds_load_b128 v[122:125], v2 offset:592
	s_wait_dscnt 0x1
	v_fmac_f64_e32 v[126:127], v[120:121], v[108:109]
	s_wait_loadcnt 0x4
	s_delay_alu instid0(VALU_DEP_1)
	v_fmac_f64_e32 v[126:127], v[96:97], v[110:111]
	scratch_load_b128 v[108:111], off, off offset:312
	s_wait_dscnt 0x0
	v_fmac_f64_e32 v[126:127], v[98:99], v[122:123]
	scratch_load_b128 v[96:99], off, off offset:328
	s_wait_loadcnt 0x5
	v_fmac_f64_e32 v[126:127], v[114:115], v[124:125]
	ds_load_b128 v[112:115], v2 offset:608
	ds_load_b128 v[118:121], v2 offset:624
	s_wait_dscnt 0x1
	v_fmac_f64_e32 v[126:127], v[116:117], v[112:113]
	s_wait_loadcnt 0x4
	s_delay_alu instid0(VALU_DEP_1) | instskip(SKIP_1) | instid1(VALU_DEP_1)
	v_fmac_f64_e32 v[126:127], v[100:101], v[114:115]
	s_wait_dscnt 0x0
	v_fmac_f64_e32 v[126:127], v[102:103], v[118:119]
	ds_load_b128 v[100:103], v2 offset:640
	ds_load_b128 v[112:115], v2 offset:656
	s_wait_loadcnt 0x3
	v_fmac_f64_e32 v[126:127], v[104:105], v[120:121]
	s_wait_dscnt 0x1
	s_delay_alu instid0(VALU_DEP_1) | instskip(SKIP_1) | instid1(VALU_DEP_1)
	v_fmac_f64_e32 v[126:127], v[106:107], v[100:101]
	s_wait_loadcnt 0x2
	v_fmac_f64_e32 v[126:127], v[92:93], v[102:103]
	s_wait_dscnt 0x0
	s_delay_alu instid0(VALU_DEP_1)
	v_fmac_f64_e32 v[126:127], v[94:95], v[112:113]
	ds_load_b128 v[92:95], v2 offset:672
	ds_load_b64 v[100:101], v2 offset:688
	s_wait_loadcnt 0x1
	v_fmac_f64_e32 v[126:127], v[108:109], v[114:115]
	s_wait_dscnt 0x1
	s_delay_alu instid0(VALU_DEP_1) | instskip(SKIP_1) | instid1(VALU_DEP_1)
	v_fmac_f64_e32 v[126:127], v[110:111], v[92:93]
	s_wait_loadcnt 0x0
	v_fmac_f64_e32 v[126:127], v[96:97], v[94:95]
	s_wait_dscnt 0x0
	s_delay_alu instid0(VALU_DEP_1) | instskip(NEXT) | instid1(VALU_DEP_1)
	v_fmac_f64_e32 v[126:127], v[98:99], v[100:101]
	v_add_f64_e64 v[90:91], v[90:91], -v[126:127]
	scratch_store_b64 off, v[90:91], off offset:88
	s_wait_xcnt 0x0
	v_cmpx_lt_u32_e32 10, v0
	s_cbranch_execz .LBB42_247
; %bb.246:
	scratch_load_b64 v[90:91], off, off offset:80
	v_mov_b64_e32 v[92:93], 0
	scratch_store_b64 off, v[92:93], off offset:80
	s_wait_loadcnt 0x0
	ds_store_b64 v1, v[90:91]
.LBB42_247:
	s_wait_xcnt 0x0
	s_or_b32 exec_lo, exec_lo, s0
	s_wait_storecnt_dscnt 0x0
	s_barrier_signal -1
	s_barrier_wait -1
	s_clause 0x5
	scratch_load_b128 v[90:93], off, off offset:80
	scratch_load_b128 v[94:97], off, off offset:96
	;; [unrolled: 1-line block ×6, first 2 shown]
	ds_load_2addr_b64 v[114:117], v2 offset0:55 offset1:56
	ds_load_2addr_b64 v[118:121], v2 offset0:57 offset1:58
	scratch_load_b128 v[122:125], off, off offset:176
	s_mov_b32 s0, exec_lo
	s_wait_loadcnt_dscnt 0x601
	v_fma_f64 v[126:127], v[92:93], v[114:115], 0
	s_wait_loadcnt 0x5
	s_delay_alu instid0(VALU_DEP_1) | instskip(SKIP_4) | instid1(VALU_DEP_1)
	v_fmac_f64_e32 v[126:127], v[94:95], v[116:117]
	scratch_load_b128 v[92:95], off, off offset:192
	s_wait_dscnt 0x0
	v_fmac_f64_e32 v[126:127], v[96:97], v[118:119]
	s_wait_loadcnt 0x5
	v_fmac_f64_e32 v[126:127], v[98:99], v[120:121]
	ds_load_2addr_b64 v[96:99], v2 offset0:59 offset1:60
	ds_load_2addr_b64 v[114:117], v2 offset0:61 offset1:62
	scratch_load_b128 v[118:121], off, off offset:208
	s_wait_dscnt 0x1
	v_fmac_f64_e32 v[126:127], v[100:101], v[96:97]
	s_wait_loadcnt 0x5
	s_delay_alu instid0(VALU_DEP_1) | instskip(SKIP_4) | instid1(VALU_DEP_1)
	v_fmac_f64_e32 v[126:127], v[102:103], v[98:99]
	scratch_load_b128 v[96:99], off, off offset:224
	s_wait_dscnt 0x0
	v_fmac_f64_e32 v[126:127], v[104:105], v[114:115]
	s_wait_loadcnt 0x5
	v_fmac_f64_e32 v[126:127], v[106:107], v[116:117]
	ds_load_2addr_b64 v[100:103], v2 offset0:63 offset1:64
	ds_load_2addr_b64 v[104:107], v2 offset0:65 offset1:66
	scratch_load_b128 v[114:117], off, off offset:240
	s_wait_dscnt 0x1
	v_fmac_f64_e32 v[126:127], v[108:109], v[100:101]
	s_wait_loadcnt 0x5
	s_delay_alu instid0(VALU_DEP_1) | instskip(SKIP_4) | instid1(VALU_DEP_1)
	v_fmac_f64_e32 v[126:127], v[110:111], v[102:103]
	scratch_load_b128 v[100:103], off, off offset:256
	s_wait_dscnt 0x0
	v_fmac_f64_e32 v[126:127], v[112:113], v[104:105]
	s_wait_loadcnt 0x5
	v_fmac_f64_e32 v[126:127], v[122:123], v[106:107]
	ds_load_2addr_b64 v[104:107], v2 offset0:67 offset1:68
	ds_load_2addr_b64 v[108:111], v2 offset0:69 offset1:70
	s_wait_dscnt 0x1
	v_fmac_f64_e32 v[126:127], v[124:125], v[104:105]
	s_wait_loadcnt 0x4
	s_delay_alu instid0(VALU_DEP_1)
	v_fmac_f64_e32 v[126:127], v[92:93], v[106:107]
	scratch_load_b128 v[104:107], off, off offset:272
	s_wait_dscnt 0x0
	v_fmac_f64_e32 v[126:127], v[94:95], v[108:109]
	scratch_load_b128 v[92:95], off, off offset:288
	s_wait_loadcnt 0x5
	v_fmac_f64_e32 v[126:127], v[118:119], v[110:111]
	ds_load_2addr_b64 v[108:111], v2 offset0:71 offset1:72
	ds_load_2addr_b64 v[122:125], v2 offset0:73 offset1:74
	s_wait_dscnt 0x1
	v_fmac_f64_e32 v[126:127], v[120:121], v[108:109]
	s_wait_loadcnt 0x4
	s_delay_alu instid0(VALU_DEP_1)
	v_fmac_f64_e32 v[126:127], v[96:97], v[110:111]
	scratch_load_b128 v[108:111], off, off offset:304
	s_wait_dscnt 0x0
	v_fmac_f64_e32 v[126:127], v[98:99], v[122:123]
	scratch_load_b128 v[96:99], off, off offset:320
	s_wait_loadcnt 0x5
	v_fmac_f64_e32 v[126:127], v[114:115], v[124:125]
	ds_load_2addr_b64 v[112:115], v2 offset0:75 offset1:76
	ds_load_2addr_b64 v[118:121], v2 offset0:77 offset1:78
	s_wait_dscnt 0x1
	v_fmac_f64_e32 v[126:127], v[116:117], v[112:113]
	scratch_load_b64 v[116:117], off, off offset:336
	s_wait_loadcnt 0x5
	v_fmac_f64_e32 v[126:127], v[100:101], v[114:115]
	s_wait_dscnt 0x0
	s_delay_alu instid0(VALU_DEP_1)
	v_fmac_f64_e32 v[126:127], v[102:103], v[118:119]
	ds_load_2addr_b64 v[100:103], v2 offset0:79 offset1:80
	ds_load_2addr_b64 v[112:115], v2 offset0:81 offset1:82
	s_wait_loadcnt 0x4
	v_fmac_f64_e32 v[126:127], v[104:105], v[120:121]
	s_wait_dscnt 0x1
	s_delay_alu instid0(VALU_DEP_1) | instskip(SKIP_1) | instid1(VALU_DEP_1)
	v_fmac_f64_e32 v[126:127], v[106:107], v[100:101]
	s_wait_loadcnt 0x3
	v_fmac_f64_e32 v[126:127], v[92:93], v[102:103]
	s_wait_dscnt 0x0
	s_delay_alu instid0(VALU_DEP_1)
	v_fmac_f64_e32 v[126:127], v[94:95], v[112:113]
	ds_load_2addr_b64 v[92:95], v2 offset0:83 offset1:84
	ds_load_2addr_b64 v[100:103], v2 offset0:85 offset1:86
	s_wait_loadcnt 0x2
	v_fmac_f64_e32 v[126:127], v[108:109], v[114:115]
	s_wait_dscnt 0x1
	s_delay_alu instid0(VALU_DEP_1) | instskip(SKIP_1) | instid1(VALU_DEP_1)
	v_fmac_f64_e32 v[126:127], v[110:111], v[92:93]
	s_wait_loadcnt 0x1
	v_fmac_f64_e32 v[126:127], v[96:97], v[94:95]
	s_wait_dscnt 0x0
	s_delay_alu instid0(VALU_DEP_1) | instskip(SKIP_1) | instid1(VALU_DEP_1)
	v_fmac_f64_e32 v[126:127], v[98:99], v[100:101]
	s_wait_loadcnt 0x0
	v_fmac_f64_e32 v[126:127], v[116:117], v[102:103]
	s_delay_alu instid0(VALU_DEP_1)
	v_add_f64_e64 v[2:3], v[90:91], -v[126:127]
	scratch_store_b64 off, v[2:3], off offset:80
	s_wait_xcnt 0x0
	v_cmpx_lt_u32_e32 9, v0
	s_cbranch_execz .LBB42_249
; %bb.248:
	scratch_load_b64 v[2:3], off, off offset:72
	v_mov_b64_e32 v[90:91], 0
	scratch_store_b64 off, v[90:91], off offset:72
	s_wait_loadcnt 0x0
	ds_store_b64 v1, v[2:3]
.LBB42_249:
	s_wait_xcnt 0x0
	s_or_b32 exec_lo, exec_lo, s0
	s_wait_storecnt_dscnt 0x0
	s_barrier_signal -1
	s_barrier_wait -1
	s_clause 0x5
	scratch_load_b128 v[90:93], off, off offset:72
	scratch_load_b128 v[94:97], off, off offset:88
	;; [unrolled: 1-line block ×6, first 2 shown]
	v_mov_b32_e32 v2, 0
	ds_load_b128 v[114:117], v2 offset:432
	ds_load_b128 v[118:121], v2 offset:448
	scratch_load_b128 v[122:125], off, off offset:168
	s_mov_b32 s0, exec_lo
	s_wait_loadcnt_dscnt 0x601
	v_fma_f64 v[126:127], v[92:93], v[114:115], 0
	s_wait_loadcnt 0x5
	s_delay_alu instid0(VALU_DEP_1) | instskip(SKIP_4) | instid1(VALU_DEP_1)
	v_fmac_f64_e32 v[126:127], v[94:95], v[116:117]
	scratch_load_b128 v[92:95], off, off offset:184
	s_wait_dscnt 0x0
	v_fmac_f64_e32 v[126:127], v[96:97], v[118:119]
	s_wait_loadcnt 0x5
	v_fmac_f64_e32 v[126:127], v[98:99], v[120:121]
	ds_load_b128 v[96:99], v2 offset:464
	ds_load_b128 v[114:117], v2 offset:480
	scratch_load_b128 v[118:121], off, off offset:200
	s_wait_dscnt 0x1
	v_fmac_f64_e32 v[126:127], v[100:101], v[96:97]
	s_wait_loadcnt 0x5
	s_delay_alu instid0(VALU_DEP_1) | instskip(SKIP_4) | instid1(VALU_DEP_1)
	v_fmac_f64_e32 v[126:127], v[102:103], v[98:99]
	scratch_load_b128 v[96:99], off, off offset:216
	s_wait_dscnt 0x0
	v_fmac_f64_e32 v[126:127], v[104:105], v[114:115]
	s_wait_loadcnt 0x5
	v_fmac_f64_e32 v[126:127], v[106:107], v[116:117]
	ds_load_b128 v[100:103], v2 offset:496
	ds_load_b128 v[104:107], v2 offset:512
	scratch_load_b128 v[114:117], off, off offset:232
	s_wait_dscnt 0x1
	v_fmac_f64_e32 v[126:127], v[108:109], v[100:101]
	s_wait_loadcnt 0x5
	s_delay_alu instid0(VALU_DEP_1) | instskip(SKIP_4) | instid1(VALU_DEP_1)
	v_fmac_f64_e32 v[126:127], v[110:111], v[102:103]
	scratch_load_b128 v[100:103], off, off offset:248
	s_wait_dscnt 0x0
	v_fmac_f64_e32 v[126:127], v[112:113], v[104:105]
	s_wait_loadcnt 0x5
	v_fmac_f64_e32 v[126:127], v[122:123], v[106:107]
	ds_load_b128 v[104:107], v2 offset:528
	ds_load_b128 v[108:111], v2 offset:544
	s_wait_dscnt 0x1
	v_fmac_f64_e32 v[126:127], v[124:125], v[104:105]
	s_wait_loadcnt 0x4
	s_delay_alu instid0(VALU_DEP_1)
	v_fmac_f64_e32 v[126:127], v[92:93], v[106:107]
	scratch_load_b128 v[104:107], off, off offset:264
	s_wait_dscnt 0x0
	v_fmac_f64_e32 v[126:127], v[94:95], v[108:109]
	scratch_load_b128 v[92:95], off, off offset:280
	s_wait_loadcnt 0x5
	v_fmac_f64_e32 v[126:127], v[118:119], v[110:111]
	ds_load_b128 v[108:111], v2 offset:560
	ds_load_b128 v[122:125], v2 offset:576
	s_wait_dscnt 0x1
	v_fmac_f64_e32 v[126:127], v[120:121], v[108:109]
	s_wait_loadcnt 0x4
	s_delay_alu instid0(VALU_DEP_1)
	v_fmac_f64_e32 v[126:127], v[96:97], v[110:111]
	scratch_load_b128 v[108:111], off, off offset:296
	s_wait_dscnt 0x0
	v_fmac_f64_e32 v[126:127], v[98:99], v[122:123]
	scratch_load_b128 v[96:99], off, off offset:312
	s_wait_loadcnt 0x5
	v_fmac_f64_e32 v[126:127], v[114:115], v[124:125]
	ds_load_b128 v[112:115], v2 offset:592
	ds_load_b128 v[118:121], v2 offset:608
	s_wait_dscnt 0x1
	v_fmac_f64_e32 v[126:127], v[116:117], v[112:113]
	s_wait_loadcnt 0x4
	s_delay_alu instid0(VALU_DEP_1)
	v_fmac_f64_e32 v[126:127], v[100:101], v[114:115]
	scratch_load_b128 v[112:115], off, off offset:328
	s_wait_dscnt 0x0
	v_fmac_f64_e32 v[126:127], v[102:103], v[118:119]
	ds_load_b128 v[100:103], v2 offset:624
	ds_load_b128 v[116:119], v2 offset:640
	s_wait_loadcnt 0x4
	v_fmac_f64_e32 v[126:127], v[104:105], v[120:121]
	s_wait_dscnt 0x1
	s_delay_alu instid0(VALU_DEP_1) | instskip(SKIP_1) | instid1(VALU_DEP_1)
	v_fmac_f64_e32 v[126:127], v[106:107], v[100:101]
	s_wait_loadcnt 0x3
	v_fmac_f64_e32 v[126:127], v[92:93], v[102:103]
	s_wait_dscnt 0x0
	s_delay_alu instid0(VALU_DEP_1)
	v_fmac_f64_e32 v[126:127], v[94:95], v[116:117]
	ds_load_b128 v[92:95], v2 offset:656
	ds_load_b128 v[100:103], v2 offset:672
	s_wait_loadcnt 0x2
	v_fmac_f64_e32 v[126:127], v[108:109], v[118:119]
	s_wait_dscnt 0x1
	s_delay_alu instid0(VALU_DEP_1) | instskip(SKIP_4) | instid1(VALU_DEP_1)
	v_fmac_f64_e32 v[126:127], v[110:111], v[92:93]
	ds_load_b64 v[92:93], v2 offset:688
	s_wait_loadcnt 0x1
	v_fmac_f64_e32 v[126:127], v[96:97], v[94:95]
	s_wait_dscnt 0x1
	v_fmac_f64_e32 v[126:127], v[98:99], v[100:101]
	s_wait_loadcnt 0x0
	s_delay_alu instid0(VALU_DEP_1) | instskip(SKIP_1) | instid1(VALU_DEP_1)
	v_fmac_f64_e32 v[126:127], v[112:113], v[102:103]
	s_wait_dscnt 0x0
	v_fmac_f64_e32 v[126:127], v[114:115], v[92:93]
	s_delay_alu instid0(VALU_DEP_1)
	v_add_f64_e64 v[90:91], v[90:91], -v[126:127]
	scratch_store_b64 off, v[90:91], off offset:72
	s_wait_xcnt 0x0
	v_cmpx_lt_u32_e32 8, v0
	s_cbranch_execz .LBB42_251
; %bb.250:
	scratch_load_b64 v[90:91], off, off offset:64
	v_mov_b64_e32 v[92:93], 0
	scratch_store_b64 off, v[92:93], off offset:64
	s_wait_loadcnt 0x0
	ds_store_b64 v1, v[90:91]
.LBB42_251:
	s_wait_xcnt 0x0
	s_or_b32 exec_lo, exec_lo, s0
	s_wait_storecnt_dscnt 0x0
	s_barrier_signal -1
	s_barrier_wait -1
	s_clause 0x5
	scratch_load_b128 v[90:93], off, off offset:64
	scratch_load_b128 v[94:97], off, off offset:80
	;; [unrolled: 1-line block ×6, first 2 shown]
	ds_load_2addr_b64 v[114:117], v2 offset0:53 offset1:54
	ds_load_2addr_b64 v[118:121], v2 offset0:55 offset1:56
	scratch_load_b128 v[122:125], off, off offset:160
	s_mov_b32 s0, exec_lo
	s_wait_loadcnt_dscnt 0x601
	v_fma_f64 v[126:127], v[92:93], v[114:115], 0
	s_wait_loadcnt 0x5
	s_delay_alu instid0(VALU_DEP_1) | instskip(SKIP_4) | instid1(VALU_DEP_1)
	v_fmac_f64_e32 v[126:127], v[94:95], v[116:117]
	scratch_load_b128 v[92:95], off, off offset:176
	s_wait_dscnt 0x0
	v_fmac_f64_e32 v[126:127], v[96:97], v[118:119]
	s_wait_loadcnt 0x5
	v_fmac_f64_e32 v[126:127], v[98:99], v[120:121]
	ds_load_2addr_b64 v[96:99], v2 offset0:57 offset1:58
	ds_load_2addr_b64 v[114:117], v2 offset0:59 offset1:60
	scratch_load_b128 v[118:121], off, off offset:192
	s_wait_dscnt 0x1
	v_fmac_f64_e32 v[126:127], v[100:101], v[96:97]
	s_wait_loadcnt 0x5
	s_delay_alu instid0(VALU_DEP_1) | instskip(SKIP_4) | instid1(VALU_DEP_1)
	v_fmac_f64_e32 v[126:127], v[102:103], v[98:99]
	scratch_load_b128 v[96:99], off, off offset:208
	s_wait_dscnt 0x0
	v_fmac_f64_e32 v[126:127], v[104:105], v[114:115]
	s_wait_loadcnt 0x5
	v_fmac_f64_e32 v[126:127], v[106:107], v[116:117]
	ds_load_2addr_b64 v[100:103], v2 offset0:61 offset1:62
	ds_load_2addr_b64 v[104:107], v2 offset0:63 offset1:64
	scratch_load_b128 v[114:117], off, off offset:224
	s_wait_dscnt 0x1
	v_fmac_f64_e32 v[126:127], v[108:109], v[100:101]
	s_wait_loadcnt 0x5
	s_delay_alu instid0(VALU_DEP_1) | instskip(SKIP_4) | instid1(VALU_DEP_1)
	v_fmac_f64_e32 v[126:127], v[110:111], v[102:103]
	scratch_load_b128 v[100:103], off, off offset:240
	s_wait_dscnt 0x0
	v_fmac_f64_e32 v[126:127], v[112:113], v[104:105]
	s_wait_loadcnt 0x5
	v_fmac_f64_e32 v[126:127], v[122:123], v[106:107]
	ds_load_2addr_b64 v[104:107], v2 offset0:65 offset1:66
	ds_load_2addr_b64 v[108:111], v2 offset0:67 offset1:68
	s_wait_dscnt 0x1
	v_fmac_f64_e32 v[126:127], v[124:125], v[104:105]
	scratch_load_b128 v[122:125], off, off offset:256
	s_wait_loadcnt 0x5
	v_fmac_f64_e32 v[126:127], v[92:93], v[106:107]
	s_wait_dscnt 0x0
	s_delay_alu instid0(VALU_DEP_1)
	v_fmac_f64_e32 v[126:127], v[94:95], v[108:109]
	scratch_load_b128 v[92:95], off, off offset:272
	s_wait_loadcnt 0x5
	v_fmac_f64_e32 v[126:127], v[118:119], v[110:111]
	ds_load_2addr_b64 v[104:107], v2 offset0:69 offset1:70
	ds_load_2addr_b64 v[108:111], v2 offset0:71 offset1:72
	s_wait_dscnt 0x1
	v_fmac_f64_e32 v[126:127], v[120:121], v[104:105]
	s_wait_loadcnt 0x4
	s_delay_alu instid0(VALU_DEP_1)
	v_fmac_f64_e32 v[126:127], v[96:97], v[106:107]
	scratch_load_b128 v[104:107], off, off offset:288
	s_wait_dscnt 0x0
	v_fmac_f64_e32 v[126:127], v[98:99], v[108:109]
	scratch_load_b128 v[96:99], off, off offset:304
	s_wait_loadcnt 0x5
	v_fmac_f64_e32 v[126:127], v[114:115], v[110:111]
	ds_load_2addr_b64 v[108:111], v2 offset0:73 offset1:74
	ds_load_2addr_b64 v[112:115], v2 offset0:75 offset1:76
	s_wait_dscnt 0x1
	v_fmac_f64_e32 v[126:127], v[116:117], v[108:109]
	scratch_load_b64 v[116:117], off, off offset:336
	s_wait_loadcnt 0x5
	v_fmac_f64_e32 v[126:127], v[100:101], v[110:111]
	scratch_load_b128 v[108:111], off, off offset:320
	s_wait_dscnt 0x0
	v_fmac_f64_e32 v[126:127], v[102:103], v[112:113]
	s_wait_loadcnt 0x5
	s_delay_alu instid0(VALU_DEP_1)
	v_fmac_f64_e32 v[126:127], v[122:123], v[114:115]
	ds_load_2addr_b64 v[100:103], v2 offset0:77 offset1:78
	ds_load_2addr_b64 v[112:115], v2 offset0:79 offset1:80
	s_wait_dscnt 0x1
	v_fmac_f64_e32 v[126:127], v[124:125], v[100:101]
	s_wait_loadcnt 0x4
	s_delay_alu instid0(VALU_DEP_1) | instskip(SKIP_1) | instid1(VALU_DEP_1)
	v_fmac_f64_e32 v[126:127], v[92:93], v[102:103]
	s_wait_dscnt 0x0
	v_fmac_f64_e32 v[126:127], v[94:95], v[112:113]
	ds_load_2addr_b64 v[92:95], v2 offset0:81 offset1:82
	ds_load_2addr_b64 v[100:103], v2 offset0:83 offset1:84
	s_wait_loadcnt 0x3
	v_fmac_f64_e32 v[126:127], v[104:105], v[114:115]
	s_wait_dscnt 0x1
	s_delay_alu instid0(VALU_DEP_1) | instskip(SKIP_1) | instid1(VALU_DEP_1)
	v_fmac_f64_e32 v[126:127], v[106:107], v[92:93]
	s_wait_loadcnt 0x2
	v_fmac_f64_e32 v[126:127], v[96:97], v[94:95]
	ds_load_2addr_b64 v[92:95], v2 offset0:85 offset1:86
	s_wait_dscnt 0x1
	v_fmac_f64_e32 v[126:127], v[98:99], v[100:101]
	s_wait_loadcnt 0x0
	s_delay_alu instid0(VALU_DEP_1) | instskip(SKIP_1) | instid1(VALU_DEP_1)
	v_fmac_f64_e32 v[126:127], v[108:109], v[102:103]
	s_wait_dscnt 0x0
	v_fmac_f64_e32 v[126:127], v[110:111], v[92:93]
	s_delay_alu instid0(VALU_DEP_1) | instskip(NEXT) | instid1(VALU_DEP_1)
	v_fmac_f64_e32 v[126:127], v[116:117], v[94:95]
	v_add_f64_e64 v[2:3], v[90:91], -v[126:127]
	scratch_store_b64 off, v[2:3], off offset:64
	s_wait_xcnt 0x0
	v_cmpx_lt_u32_e32 7, v0
	s_cbranch_execz .LBB42_253
; %bb.252:
	scratch_load_b64 v[2:3], off, off offset:56
	v_mov_b64_e32 v[90:91], 0
	scratch_store_b64 off, v[90:91], off offset:56
	s_wait_loadcnt 0x0
	ds_store_b64 v1, v[2:3]
.LBB42_253:
	s_wait_xcnt 0x0
	s_or_b32 exec_lo, exec_lo, s0
	s_wait_storecnt_dscnt 0x0
	s_barrier_signal -1
	s_barrier_wait -1
	s_clause 0x5
	scratch_load_b128 v[90:93], off, off offset:56
	scratch_load_b128 v[94:97], off, off offset:72
	scratch_load_b128 v[98:101], off, off offset:88
	scratch_load_b128 v[102:105], off, off offset:104
	scratch_load_b128 v[106:109], off, off offset:120
	scratch_load_b128 v[110:113], off, off offset:136
	v_mov_b32_e32 v2, 0
	ds_load_b128 v[114:117], v2 offset:416
	ds_load_b128 v[118:121], v2 offset:432
	scratch_load_b128 v[122:125], off, off offset:152
	s_mov_b32 s0, exec_lo
	s_wait_loadcnt_dscnt 0x601
	v_fma_f64 v[126:127], v[92:93], v[114:115], 0
	s_wait_loadcnt 0x5
	s_delay_alu instid0(VALU_DEP_1) | instskip(SKIP_4) | instid1(VALU_DEP_1)
	v_fmac_f64_e32 v[126:127], v[94:95], v[116:117]
	scratch_load_b128 v[92:95], off, off offset:168
	s_wait_dscnt 0x0
	v_fmac_f64_e32 v[126:127], v[96:97], v[118:119]
	s_wait_loadcnt 0x5
	v_fmac_f64_e32 v[126:127], v[98:99], v[120:121]
	ds_load_b128 v[96:99], v2 offset:448
	ds_load_b128 v[114:117], v2 offset:464
	scratch_load_b128 v[118:121], off, off offset:184
	s_wait_dscnt 0x1
	v_fmac_f64_e32 v[126:127], v[100:101], v[96:97]
	s_wait_loadcnt 0x5
	s_delay_alu instid0(VALU_DEP_1) | instskip(SKIP_4) | instid1(VALU_DEP_1)
	v_fmac_f64_e32 v[126:127], v[102:103], v[98:99]
	scratch_load_b128 v[96:99], off, off offset:200
	s_wait_dscnt 0x0
	v_fmac_f64_e32 v[126:127], v[104:105], v[114:115]
	s_wait_loadcnt 0x5
	v_fmac_f64_e32 v[126:127], v[106:107], v[116:117]
	ds_load_b128 v[100:103], v2 offset:480
	ds_load_b128 v[104:107], v2 offset:496
	scratch_load_b128 v[114:117], off, off offset:216
	s_wait_dscnt 0x1
	v_fmac_f64_e32 v[126:127], v[108:109], v[100:101]
	s_wait_loadcnt 0x5
	s_delay_alu instid0(VALU_DEP_1) | instskip(SKIP_4) | instid1(VALU_DEP_1)
	v_fmac_f64_e32 v[126:127], v[110:111], v[102:103]
	scratch_load_b128 v[100:103], off, off offset:232
	s_wait_dscnt 0x0
	v_fmac_f64_e32 v[126:127], v[112:113], v[104:105]
	s_wait_loadcnt 0x5
	v_fmac_f64_e32 v[126:127], v[122:123], v[106:107]
	ds_load_b128 v[104:107], v2 offset:512
	ds_load_b128 v[108:111], v2 offset:528
	s_wait_dscnt 0x1
	v_fmac_f64_e32 v[126:127], v[124:125], v[104:105]
	scratch_load_b128 v[122:125], off, off offset:248
	s_wait_loadcnt 0x5
	v_fmac_f64_e32 v[126:127], v[92:93], v[106:107]
	s_wait_dscnt 0x0
	s_delay_alu instid0(VALU_DEP_1)
	v_fmac_f64_e32 v[126:127], v[94:95], v[108:109]
	scratch_load_b128 v[92:95], off, off offset:264
	s_wait_loadcnt 0x5
	v_fmac_f64_e32 v[126:127], v[118:119], v[110:111]
	ds_load_b128 v[104:107], v2 offset:544
	ds_load_b128 v[108:111], v2 offset:560
	s_wait_dscnt 0x1
	v_fmac_f64_e32 v[126:127], v[120:121], v[104:105]
	s_wait_loadcnt 0x4
	s_delay_alu instid0(VALU_DEP_1)
	v_fmac_f64_e32 v[126:127], v[96:97], v[106:107]
	scratch_load_b128 v[104:107], off, off offset:280
	s_wait_dscnt 0x0
	v_fmac_f64_e32 v[126:127], v[98:99], v[108:109]
	scratch_load_b128 v[96:99], off, off offset:296
	s_wait_loadcnt 0x5
	v_fmac_f64_e32 v[126:127], v[114:115], v[110:111]
	ds_load_b128 v[108:111], v2 offset:576
	ds_load_b128 v[112:115], v2 offset:592
	s_wait_dscnt 0x1
	v_fmac_f64_e32 v[126:127], v[116:117], v[108:109]
	s_wait_loadcnt 0x4
	s_delay_alu instid0(VALU_DEP_1)
	v_fmac_f64_e32 v[126:127], v[100:101], v[110:111]
	scratch_load_b128 v[108:111], off, off offset:312
	s_wait_dscnt 0x0
	v_fmac_f64_e32 v[126:127], v[102:103], v[112:113]
	scratch_load_b128 v[100:103], off, off offset:328
	s_wait_loadcnt 0x5
	v_fmac_f64_e32 v[126:127], v[122:123], v[114:115]
	ds_load_b128 v[112:115], v2 offset:608
	ds_load_b128 v[116:119], v2 offset:624
	s_wait_dscnt 0x1
	v_fmac_f64_e32 v[126:127], v[124:125], v[112:113]
	s_wait_loadcnt 0x4
	s_delay_alu instid0(VALU_DEP_1) | instskip(SKIP_1) | instid1(VALU_DEP_1)
	v_fmac_f64_e32 v[126:127], v[92:93], v[114:115]
	s_wait_dscnt 0x0
	v_fmac_f64_e32 v[126:127], v[94:95], v[116:117]
	ds_load_b128 v[92:95], v2 offset:640
	ds_load_b128 v[112:115], v2 offset:656
	s_wait_loadcnt 0x3
	v_fmac_f64_e32 v[126:127], v[104:105], v[118:119]
	s_wait_dscnt 0x1
	s_delay_alu instid0(VALU_DEP_1) | instskip(SKIP_1) | instid1(VALU_DEP_1)
	v_fmac_f64_e32 v[126:127], v[106:107], v[92:93]
	s_wait_loadcnt 0x2
	v_fmac_f64_e32 v[126:127], v[96:97], v[94:95]
	ds_load_b128 v[92:95], v2 offset:672
	ds_load_b64 v[96:97], v2 offset:688
	s_wait_dscnt 0x2
	v_fmac_f64_e32 v[126:127], v[98:99], v[112:113]
	s_wait_loadcnt 0x1
	s_delay_alu instid0(VALU_DEP_1) | instskip(SKIP_1) | instid1(VALU_DEP_1)
	v_fmac_f64_e32 v[126:127], v[108:109], v[114:115]
	s_wait_dscnt 0x1
	v_fmac_f64_e32 v[126:127], v[110:111], v[92:93]
	s_wait_loadcnt 0x0
	s_delay_alu instid0(VALU_DEP_1) | instskip(SKIP_1) | instid1(VALU_DEP_1)
	v_fmac_f64_e32 v[126:127], v[100:101], v[94:95]
	s_wait_dscnt 0x0
	v_fmac_f64_e32 v[126:127], v[102:103], v[96:97]
	s_delay_alu instid0(VALU_DEP_1)
	v_add_f64_e64 v[90:91], v[90:91], -v[126:127]
	scratch_store_b64 off, v[90:91], off offset:56
	s_wait_xcnt 0x0
	v_cmpx_lt_u32_e32 6, v0
	s_cbranch_execz .LBB42_255
; %bb.254:
	scratch_load_b64 v[90:91], off, off offset:48
	v_mov_b64_e32 v[92:93], 0
	scratch_store_b64 off, v[92:93], off offset:48
	s_wait_loadcnt 0x0
	ds_store_b64 v1, v[90:91]
.LBB42_255:
	s_wait_xcnt 0x0
	s_or_b32 exec_lo, exec_lo, s0
	s_wait_storecnt_dscnt 0x0
	s_barrier_signal -1
	s_barrier_wait -1
	s_clause 0x5
	scratch_load_b128 v[90:93], off, off offset:48
	scratch_load_b128 v[94:97], off, off offset:64
	;; [unrolled: 1-line block ×6, first 2 shown]
	ds_load_2addr_b64 v[114:117], v2 offset0:51 offset1:52
	ds_load_2addr_b64 v[118:121], v2 offset0:53 offset1:54
	scratch_load_b128 v[122:125], off, off offset:144
	s_mov_b32 s0, exec_lo
	s_wait_loadcnt_dscnt 0x601
	v_fma_f64 v[126:127], v[92:93], v[114:115], 0
	s_wait_loadcnt 0x5
	s_delay_alu instid0(VALU_DEP_1) | instskip(SKIP_4) | instid1(VALU_DEP_1)
	v_fmac_f64_e32 v[126:127], v[94:95], v[116:117]
	scratch_load_b128 v[92:95], off, off offset:160
	s_wait_dscnt 0x0
	v_fmac_f64_e32 v[126:127], v[96:97], v[118:119]
	s_wait_loadcnt 0x5
	v_fmac_f64_e32 v[126:127], v[98:99], v[120:121]
	ds_load_2addr_b64 v[96:99], v2 offset0:55 offset1:56
	ds_load_2addr_b64 v[114:117], v2 offset0:57 offset1:58
	scratch_load_b128 v[118:121], off, off offset:176
	s_wait_dscnt 0x1
	v_fmac_f64_e32 v[126:127], v[100:101], v[96:97]
	s_wait_loadcnt 0x5
	s_delay_alu instid0(VALU_DEP_1) | instskip(SKIP_4) | instid1(VALU_DEP_1)
	v_fmac_f64_e32 v[126:127], v[102:103], v[98:99]
	scratch_load_b128 v[96:99], off, off offset:192
	s_wait_dscnt 0x0
	v_fmac_f64_e32 v[126:127], v[104:105], v[114:115]
	s_wait_loadcnt 0x5
	v_fmac_f64_e32 v[126:127], v[106:107], v[116:117]
	ds_load_2addr_b64 v[100:103], v2 offset0:59 offset1:60
	ds_load_2addr_b64 v[104:107], v2 offset0:61 offset1:62
	scratch_load_b128 v[114:117], off, off offset:208
	s_wait_dscnt 0x1
	v_fmac_f64_e32 v[126:127], v[108:109], v[100:101]
	s_wait_loadcnt 0x5
	s_delay_alu instid0(VALU_DEP_1) | instskip(SKIP_4) | instid1(VALU_DEP_1)
	v_fmac_f64_e32 v[126:127], v[110:111], v[102:103]
	scratch_load_b128 v[100:103], off, off offset:224
	s_wait_dscnt 0x0
	v_fmac_f64_e32 v[126:127], v[112:113], v[104:105]
	s_wait_loadcnt 0x5
	v_fmac_f64_e32 v[126:127], v[122:123], v[106:107]
	ds_load_2addr_b64 v[104:107], v2 offset0:63 offset1:64
	ds_load_2addr_b64 v[108:111], v2 offset0:65 offset1:66
	s_wait_dscnt 0x1
	v_fmac_f64_e32 v[126:127], v[124:125], v[104:105]
	scratch_load_b128 v[122:125], off, off offset:240
	s_wait_loadcnt 0x5
	v_fmac_f64_e32 v[126:127], v[92:93], v[106:107]
	s_wait_dscnt 0x0
	s_delay_alu instid0(VALU_DEP_1)
	v_fmac_f64_e32 v[126:127], v[94:95], v[108:109]
	scratch_load_b128 v[92:95], off, off offset:256
	s_wait_loadcnt 0x5
	v_fmac_f64_e32 v[126:127], v[118:119], v[110:111]
	ds_load_2addr_b64 v[104:107], v2 offset0:67 offset1:68
	ds_load_2addr_b64 v[108:111], v2 offset0:69 offset1:70
	s_wait_dscnt 0x1
	v_fmac_f64_e32 v[126:127], v[120:121], v[104:105]
	s_wait_loadcnt 0x4
	s_delay_alu instid0(VALU_DEP_1)
	v_fmac_f64_e32 v[126:127], v[96:97], v[106:107]
	scratch_load_b128 v[104:107], off, off offset:272
	s_wait_dscnt 0x0
	v_fmac_f64_e32 v[126:127], v[98:99], v[108:109]
	scratch_load_b128 v[96:99], off, off offset:288
	s_wait_loadcnt 0x5
	v_fmac_f64_e32 v[126:127], v[114:115], v[110:111]
	ds_load_2addr_b64 v[108:111], v2 offset0:71 offset1:72
	ds_load_2addr_b64 v[112:115], v2 offset0:73 offset1:74
	s_wait_dscnt 0x1
	v_fmac_f64_e32 v[126:127], v[116:117], v[108:109]
	s_wait_loadcnt 0x4
	s_delay_alu instid0(VALU_DEP_1)
	v_fmac_f64_e32 v[126:127], v[100:101], v[110:111]
	scratch_load_b128 v[108:111], off, off offset:304
	s_wait_dscnt 0x0
	v_fmac_f64_e32 v[126:127], v[102:103], v[112:113]
	scratch_load_b128 v[100:103], off, off offset:320
	s_wait_loadcnt 0x5
	v_fmac_f64_e32 v[126:127], v[122:123], v[114:115]
	ds_load_2addr_b64 v[112:115], v2 offset0:75 offset1:76
	ds_load_2addr_b64 v[116:119], v2 offset0:77 offset1:78
	scratch_load_b64 v[120:121], off, off offset:336
	s_wait_dscnt 0x1
	v_fmac_f64_e32 v[126:127], v[124:125], v[112:113]
	s_wait_loadcnt 0x5
	s_delay_alu instid0(VALU_DEP_1) | instskip(SKIP_1) | instid1(VALU_DEP_1)
	v_fmac_f64_e32 v[126:127], v[92:93], v[114:115]
	s_wait_dscnt 0x0
	v_fmac_f64_e32 v[126:127], v[94:95], v[116:117]
	ds_load_2addr_b64 v[92:95], v2 offset0:79 offset1:80
	ds_load_2addr_b64 v[112:115], v2 offset0:81 offset1:82
	s_wait_loadcnt 0x4
	v_fmac_f64_e32 v[126:127], v[104:105], v[118:119]
	s_wait_dscnt 0x1
	s_delay_alu instid0(VALU_DEP_1) | instskip(SKIP_1) | instid1(VALU_DEP_1)
	v_fmac_f64_e32 v[126:127], v[106:107], v[92:93]
	s_wait_loadcnt 0x3
	v_fmac_f64_e32 v[126:127], v[96:97], v[94:95]
	s_wait_dscnt 0x0
	s_delay_alu instid0(VALU_DEP_1)
	v_fmac_f64_e32 v[126:127], v[98:99], v[112:113]
	ds_load_2addr_b64 v[92:95], v2 offset0:83 offset1:84
	ds_load_2addr_b64 v[96:99], v2 offset0:85 offset1:86
	s_wait_loadcnt 0x2
	v_fmac_f64_e32 v[126:127], v[108:109], v[114:115]
	s_wait_dscnt 0x1
	s_delay_alu instid0(VALU_DEP_1) | instskip(SKIP_1) | instid1(VALU_DEP_1)
	v_fmac_f64_e32 v[126:127], v[110:111], v[92:93]
	s_wait_loadcnt 0x1
	v_fmac_f64_e32 v[126:127], v[100:101], v[94:95]
	s_wait_dscnt 0x0
	s_delay_alu instid0(VALU_DEP_1) | instskip(SKIP_1) | instid1(VALU_DEP_1)
	v_fmac_f64_e32 v[126:127], v[102:103], v[96:97]
	s_wait_loadcnt 0x0
	v_fmac_f64_e32 v[126:127], v[120:121], v[98:99]
	s_delay_alu instid0(VALU_DEP_1)
	v_add_f64_e64 v[2:3], v[90:91], -v[126:127]
	scratch_store_b64 off, v[2:3], off offset:48
	s_wait_xcnt 0x0
	v_cmpx_lt_u32_e32 5, v0
	s_cbranch_execz .LBB42_257
; %bb.256:
	scratch_load_b64 v[2:3], off, off offset:40
	v_mov_b64_e32 v[90:91], 0
	scratch_store_b64 off, v[90:91], off offset:40
	s_wait_loadcnt 0x0
	ds_store_b64 v1, v[2:3]
.LBB42_257:
	s_wait_xcnt 0x0
	s_or_b32 exec_lo, exec_lo, s0
	s_wait_storecnt_dscnt 0x0
	s_barrier_signal -1
	s_barrier_wait -1
	s_clause 0x5
	scratch_load_b128 v[90:93], off, off offset:40
	scratch_load_b128 v[94:97], off, off offset:56
	;; [unrolled: 1-line block ×6, first 2 shown]
	v_mov_b32_e32 v2, 0
	ds_load_b128 v[114:117], v2 offset:400
	ds_load_b128 v[118:121], v2 offset:416
	scratch_load_b128 v[122:125], off, off offset:136
	s_mov_b32 s0, exec_lo
	s_wait_loadcnt_dscnt 0x601
	v_fma_f64 v[126:127], v[92:93], v[114:115], 0
	s_wait_loadcnt 0x5
	s_delay_alu instid0(VALU_DEP_1) | instskip(SKIP_4) | instid1(VALU_DEP_1)
	v_fmac_f64_e32 v[126:127], v[94:95], v[116:117]
	scratch_load_b128 v[92:95], off, off offset:152
	s_wait_dscnt 0x0
	v_fmac_f64_e32 v[126:127], v[96:97], v[118:119]
	s_wait_loadcnt 0x5
	v_fmac_f64_e32 v[126:127], v[98:99], v[120:121]
	ds_load_b128 v[96:99], v2 offset:432
	ds_load_b128 v[114:117], v2 offset:448
	scratch_load_b128 v[118:121], off, off offset:168
	s_wait_dscnt 0x1
	v_fmac_f64_e32 v[126:127], v[100:101], v[96:97]
	s_wait_loadcnt 0x5
	s_delay_alu instid0(VALU_DEP_1) | instskip(SKIP_4) | instid1(VALU_DEP_1)
	v_fmac_f64_e32 v[126:127], v[102:103], v[98:99]
	scratch_load_b128 v[96:99], off, off offset:184
	s_wait_dscnt 0x0
	v_fmac_f64_e32 v[126:127], v[104:105], v[114:115]
	s_wait_loadcnt 0x5
	v_fmac_f64_e32 v[126:127], v[106:107], v[116:117]
	ds_load_b128 v[100:103], v2 offset:464
	ds_load_b128 v[104:107], v2 offset:480
	scratch_load_b128 v[114:117], off, off offset:200
	s_wait_dscnt 0x1
	v_fmac_f64_e32 v[126:127], v[108:109], v[100:101]
	s_wait_loadcnt 0x5
	s_delay_alu instid0(VALU_DEP_1) | instskip(SKIP_4) | instid1(VALU_DEP_1)
	v_fmac_f64_e32 v[126:127], v[110:111], v[102:103]
	scratch_load_b128 v[100:103], off, off offset:216
	s_wait_dscnt 0x0
	v_fmac_f64_e32 v[126:127], v[112:113], v[104:105]
	s_wait_loadcnt 0x5
	v_fmac_f64_e32 v[126:127], v[122:123], v[106:107]
	ds_load_b128 v[104:107], v2 offset:496
	ds_load_b128 v[108:111], v2 offset:512
	s_wait_dscnt 0x1
	v_fmac_f64_e32 v[126:127], v[124:125], v[104:105]
	scratch_load_b128 v[122:125], off, off offset:232
	s_wait_loadcnt 0x5
	v_fmac_f64_e32 v[126:127], v[92:93], v[106:107]
	s_wait_dscnt 0x0
	s_delay_alu instid0(VALU_DEP_1)
	v_fmac_f64_e32 v[126:127], v[94:95], v[108:109]
	scratch_load_b128 v[92:95], off, off offset:248
	s_wait_loadcnt 0x5
	v_fmac_f64_e32 v[126:127], v[118:119], v[110:111]
	ds_load_b128 v[104:107], v2 offset:528
	ds_load_b128 v[108:111], v2 offset:544
	s_wait_dscnt 0x1
	v_fmac_f64_e32 v[126:127], v[120:121], v[104:105]
	s_wait_loadcnt 0x4
	s_delay_alu instid0(VALU_DEP_1)
	v_fmac_f64_e32 v[126:127], v[96:97], v[106:107]
	scratch_load_b128 v[104:107], off, off offset:264
	s_wait_dscnt 0x0
	v_fmac_f64_e32 v[126:127], v[98:99], v[108:109]
	scratch_load_b128 v[96:99], off, off offset:280
	s_wait_loadcnt 0x5
	v_fmac_f64_e32 v[126:127], v[114:115], v[110:111]
	ds_load_b128 v[108:111], v2 offset:560
	ds_load_b128 v[112:115], v2 offset:576
	s_wait_dscnt 0x1
	v_fmac_f64_e32 v[126:127], v[116:117], v[108:109]
	s_wait_loadcnt 0x4
	s_delay_alu instid0(VALU_DEP_1)
	v_fmac_f64_e32 v[126:127], v[100:101], v[110:111]
	scratch_load_b128 v[108:111], off, off offset:296
	s_wait_dscnt 0x0
	v_fmac_f64_e32 v[126:127], v[102:103], v[112:113]
	scratch_load_b128 v[100:103], off, off offset:312
	s_wait_loadcnt 0x5
	v_fmac_f64_e32 v[126:127], v[122:123], v[114:115]
	ds_load_b128 v[112:115], v2 offset:592
	ds_load_b128 v[116:119], v2 offset:608
	s_wait_dscnt 0x1
	v_fmac_f64_e32 v[126:127], v[124:125], v[112:113]
	s_wait_loadcnt 0x4
	s_delay_alu instid0(VALU_DEP_1) | instskip(SKIP_4) | instid1(VALU_DEP_1)
	v_fmac_f64_e32 v[126:127], v[92:93], v[114:115]
	scratch_load_b128 v[112:115], off, off offset:328
	s_wait_dscnt 0x0
	v_fmac_f64_e32 v[126:127], v[94:95], v[116:117]
	s_wait_loadcnt 0x4
	v_fmac_f64_e32 v[126:127], v[104:105], v[118:119]
	ds_load_b128 v[92:95], v2 offset:624
	ds_load_b128 v[116:119], v2 offset:640
	s_wait_dscnt 0x1
	v_fmac_f64_e32 v[126:127], v[106:107], v[92:93]
	s_wait_loadcnt 0x3
	s_delay_alu instid0(VALU_DEP_1) | instskip(SKIP_1) | instid1(VALU_DEP_1)
	v_fmac_f64_e32 v[126:127], v[96:97], v[94:95]
	s_wait_dscnt 0x0
	v_fmac_f64_e32 v[126:127], v[98:99], v[116:117]
	ds_load_b128 v[92:95], v2 offset:656
	ds_load_b128 v[96:99], v2 offset:672
	s_wait_loadcnt 0x2
	v_fmac_f64_e32 v[126:127], v[108:109], v[118:119]
	s_wait_dscnt 0x1
	s_delay_alu instid0(VALU_DEP_1) | instskip(SKIP_4) | instid1(VALU_DEP_1)
	v_fmac_f64_e32 v[126:127], v[110:111], v[92:93]
	ds_load_b64 v[92:93], v2 offset:688
	s_wait_loadcnt 0x1
	v_fmac_f64_e32 v[126:127], v[100:101], v[94:95]
	s_wait_dscnt 0x1
	v_fmac_f64_e32 v[126:127], v[102:103], v[96:97]
	s_wait_loadcnt 0x0
	s_delay_alu instid0(VALU_DEP_1) | instskip(SKIP_1) | instid1(VALU_DEP_1)
	v_fmac_f64_e32 v[126:127], v[112:113], v[98:99]
	s_wait_dscnt 0x0
	v_fmac_f64_e32 v[126:127], v[114:115], v[92:93]
	s_delay_alu instid0(VALU_DEP_1)
	v_add_f64_e64 v[90:91], v[90:91], -v[126:127]
	scratch_store_b64 off, v[90:91], off offset:40
	s_wait_xcnt 0x0
	v_cmpx_lt_u32_e32 4, v0
	s_cbranch_execz .LBB42_259
; %bb.258:
	scratch_load_b64 v[90:91], off, off offset:32
	v_mov_b64_e32 v[92:93], 0
	scratch_store_b64 off, v[92:93], off offset:32
	s_wait_loadcnt 0x0
	ds_store_b64 v1, v[90:91]
.LBB42_259:
	s_wait_xcnt 0x0
	s_or_b32 exec_lo, exec_lo, s0
	s_wait_storecnt_dscnt 0x0
	s_barrier_signal -1
	s_barrier_wait -1
	s_clause 0x5
	scratch_load_b128 v[90:93], off, off offset:32
	scratch_load_b128 v[94:97], off, off offset:48
	;; [unrolled: 1-line block ×6, first 2 shown]
	ds_load_2addr_b64 v[114:117], v2 offset0:49 offset1:50
	ds_load_2addr_b64 v[118:121], v2 offset0:51 offset1:52
	scratch_load_b128 v[122:125], off, off offset:128
	s_mov_b32 s0, exec_lo
	s_wait_loadcnt_dscnt 0x601
	v_fma_f64 v[126:127], v[92:93], v[114:115], 0
	s_wait_loadcnt 0x5
	s_delay_alu instid0(VALU_DEP_1) | instskip(SKIP_4) | instid1(VALU_DEP_1)
	v_fmac_f64_e32 v[126:127], v[94:95], v[116:117]
	scratch_load_b128 v[92:95], off, off offset:144
	s_wait_dscnt 0x0
	v_fmac_f64_e32 v[126:127], v[96:97], v[118:119]
	s_wait_loadcnt 0x5
	v_fmac_f64_e32 v[126:127], v[98:99], v[120:121]
	ds_load_2addr_b64 v[96:99], v2 offset0:53 offset1:54
	ds_load_2addr_b64 v[114:117], v2 offset0:55 offset1:56
	scratch_load_b128 v[118:121], off, off offset:160
	s_wait_dscnt 0x1
	v_fmac_f64_e32 v[126:127], v[100:101], v[96:97]
	s_wait_loadcnt 0x5
	s_delay_alu instid0(VALU_DEP_1) | instskip(SKIP_4) | instid1(VALU_DEP_1)
	v_fmac_f64_e32 v[126:127], v[102:103], v[98:99]
	scratch_load_b128 v[96:99], off, off offset:176
	s_wait_dscnt 0x0
	v_fmac_f64_e32 v[126:127], v[104:105], v[114:115]
	s_wait_loadcnt 0x5
	v_fmac_f64_e32 v[126:127], v[106:107], v[116:117]
	ds_load_2addr_b64 v[100:103], v2 offset0:57 offset1:58
	ds_load_2addr_b64 v[104:107], v2 offset0:59 offset1:60
	scratch_load_b128 v[114:117], off, off offset:192
	s_wait_dscnt 0x1
	v_fmac_f64_e32 v[126:127], v[108:109], v[100:101]
	s_wait_loadcnt 0x5
	s_delay_alu instid0(VALU_DEP_1) | instskip(SKIP_4) | instid1(VALU_DEP_1)
	v_fmac_f64_e32 v[126:127], v[110:111], v[102:103]
	scratch_load_b128 v[100:103], off, off offset:208
	s_wait_dscnt 0x0
	v_fmac_f64_e32 v[126:127], v[112:113], v[104:105]
	s_wait_loadcnt 0x5
	v_fmac_f64_e32 v[126:127], v[122:123], v[106:107]
	ds_load_2addr_b64 v[104:107], v2 offset0:61 offset1:62
	ds_load_2addr_b64 v[108:111], v2 offset0:63 offset1:64
	s_wait_dscnt 0x1
	v_fmac_f64_e32 v[126:127], v[124:125], v[104:105]
	scratch_load_b128 v[122:125], off, off offset:224
	s_wait_loadcnt 0x5
	v_fmac_f64_e32 v[126:127], v[92:93], v[106:107]
	s_wait_dscnt 0x0
	s_delay_alu instid0(VALU_DEP_1)
	v_fmac_f64_e32 v[126:127], v[94:95], v[108:109]
	scratch_load_b128 v[92:95], off, off offset:240
	s_wait_loadcnt 0x5
	v_fmac_f64_e32 v[126:127], v[118:119], v[110:111]
	ds_load_2addr_b64 v[104:107], v2 offset0:65 offset1:66
	ds_load_2addr_b64 v[108:111], v2 offset0:67 offset1:68
	s_wait_dscnt 0x1
	v_fmac_f64_e32 v[126:127], v[120:121], v[104:105]
	scratch_load_b128 v[118:121], off, off offset:256
	s_wait_loadcnt 0x5
	v_fmac_f64_e32 v[126:127], v[96:97], v[106:107]
	s_wait_dscnt 0x0
	s_delay_alu instid0(VALU_DEP_1)
	v_fmac_f64_e32 v[126:127], v[98:99], v[108:109]
	scratch_load_b128 v[96:99], off, off offset:272
	s_wait_loadcnt 0x5
	v_fmac_f64_e32 v[126:127], v[114:115], v[110:111]
	ds_load_2addr_b64 v[104:107], v2 offset0:69 offset1:70
	ds_load_2addr_b64 v[108:111], v2 offset0:71 offset1:72
	s_wait_dscnt 0x1
	v_fmac_f64_e32 v[126:127], v[116:117], v[104:105]
	s_wait_loadcnt 0x4
	s_delay_alu instid0(VALU_DEP_1)
	v_fmac_f64_e32 v[126:127], v[100:101], v[106:107]
	scratch_load_b128 v[104:107], off, off offset:288
	s_wait_dscnt 0x0
	v_fmac_f64_e32 v[126:127], v[102:103], v[108:109]
	scratch_load_b128 v[100:103], off, off offset:304
	s_wait_loadcnt 0x5
	v_fmac_f64_e32 v[126:127], v[122:123], v[110:111]
	ds_load_2addr_b64 v[108:111], v2 offset0:73 offset1:74
	ds_load_2addr_b64 v[112:115], v2 offset0:75 offset1:76
	scratch_load_b64 v[116:117], off, off offset:336
	s_wait_dscnt 0x1
	v_fmac_f64_e32 v[126:127], v[124:125], v[108:109]
	s_wait_loadcnt 0x5
	s_delay_alu instid0(VALU_DEP_1) | instskip(SKIP_4) | instid1(VALU_DEP_1)
	v_fmac_f64_e32 v[126:127], v[92:93], v[110:111]
	scratch_load_b128 v[108:111], off, off offset:320
	s_wait_dscnt 0x0
	v_fmac_f64_e32 v[126:127], v[94:95], v[112:113]
	s_wait_loadcnt 0x5
	v_fmac_f64_e32 v[126:127], v[118:119], v[114:115]
	ds_load_2addr_b64 v[92:95], v2 offset0:77 offset1:78
	ds_load_2addr_b64 v[112:115], v2 offset0:79 offset1:80
	s_wait_dscnt 0x1
	v_fmac_f64_e32 v[126:127], v[120:121], v[92:93]
	s_wait_loadcnt 0x4
	s_delay_alu instid0(VALU_DEP_1) | instskip(SKIP_1) | instid1(VALU_DEP_1)
	v_fmac_f64_e32 v[126:127], v[96:97], v[94:95]
	s_wait_dscnt 0x0
	v_fmac_f64_e32 v[126:127], v[98:99], v[112:113]
	ds_load_2addr_b64 v[92:95], v2 offset0:81 offset1:82
	ds_load_2addr_b64 v[96:99], v2 offset0:83 offset1:84
	s_wait_loadcnt 0x3
	v_fmac_f64_e32 v[126:127], v[104:105], v[114:115]
	s_wait_dscnt 0x1
	s_delay_alu instid0(VALU_DEP_1) | instskip(SKIP_1) | instid1(VALU_DEP_1)
	v_fmac_f64_e32 v[126:127], v[106:107], v[92:93]
	s_wait_loadcnt 0x2
	v_fmac_f64_e32 v[126:127], v[100:101], v[94:95]
	ds_load_2addr_b64 v[92:95], v2 offset0:85 offset1:86
	s_wait_dscnt 0x1
	v_fmac_f64_e32 v[126:127], v[102:103], v[96:97]
	s_wait_loadcnt 0x0
	s_delay_alu instid0(VALU_DEP_1) | instskip(SKIP_1) | instid1(VALU_DEP_1)
	v_fmac_f64_e32 v[126:127], v[108:109], v[98:99]
	s_wait_dscnt 0x0
	v_fmac_f64_e32 v[126:127], v[110:111], v[92:93]
	s_delay_alu instid0(VALU_DEP_1) | instskip(NEXT) | instid1(VALU_DEP_1)
	v_fmac_f64_e32 v[126:127], v[116:117], v[94:95]
	v_add_f64_e64 v[2:3], v[90:91], -v[126:127]
	scratch_store_b64 off, v[2:3], off offset:32
	s_wait_xcnt 0x0
	v_cmpx_lt_u32_e32 3, v0
	s_cbranch_execz .LBB42_261
; %bb.260:
	scratch_load_b64 v[2:3], off, off offset:24
	v_mov_b64_e32 v[90:91], 0
	scratch_store_b64 off, v[90:91], off offset:24
	s_wait_loadcnt 0x0
	ds_store_b64 v1, v[2:3]
.LBB42_261:
	s_wait_xcnt 0x0
	s_or_b32 exec_lo, exec_lo, s0
	s_wait_storecnt_dscnt 0x0
	s_barrier_signal -1
	s_barrier_wait -1
	s_clause 0x5
	scratch_load_b128 v[90:93], off, off offset:24
	scratch_load_b128 v[94:97], off, off offset:40
	;; [unrolled: 1-line block ×6, first 2 shown]
	v_mov_b32_e32 v2, 0
	ds_load_b128 v[114:117], v2 offset:384
	ds_load_b128 v[118:121], v2 offset:400
	scratch_load_b128 v[122:125], off, off offset:120
	s_mov_b32 s0, exec_lo
	s_wait_loadcnt_dscnt 0x601
	v_fma_f64 v[126:127], v[92:93], v[114:115], 0
	s_wait_loadcnt 0x5
	s_delay_alu instid0(VALU_DEP_1) | instskip(SKIP_4) | instid1(VALU_DEP_1)
	v_fmac_f64_e32 v[126:127], v[94:95], v[116:117]
	scratch_load_b128 v[92:95], off, off offset:136
	s_wait_dscnt 0x0
	v_fmac_f64_e32 v[126:127], v[96:97], v[118:119]
	s_wait_loadcnt 0x5
	v_fmac_f64_e32 v[126:127], v[98:99], v[120:121]
	ds_load_b128 v[96:99], v2 offset:416
	ds_load_b128 v[114:117], v2 offset:432
	scratch_load_b128 v[118:121], off, off offset:152
	s_wait_dscnt 0x1
	v_fmac_f64_e32 v[126:127], v[100:101], v[96:97]
	s_wait_loadcnt 0x5
	s_delay_alu instid0(VALU_DEP_1) | instskip(SKIP_4) | instid1(VALU_DEP_1)
	v_fmac_f64_e32 v[126:127], v[102:103], v[98:99]
	scratch_load_b128 v[96:99], off, off offset:168
	s_wait_dscnt 0x0
	v_fmac_f64_e32 v[126:127], v[104:105], v[114:115]
	s_wait_loadcnt 0x5
	v_fmac_f64_e32 v[126:127], v[106:107], v[116:117]
	ds_load_b128 v[100:103], v2 offset:448
	ds_load_b128 v[104:107], v2 offset:464
	scratch_load_b128 v[114:117], off, off offset:184
	s_wait_dscnt 0x1
	v_fmac_f64_e32 v[126:127], v[108:109], v[100:101]
	s_wait_loadcnt 0x5
	s_delay_alu instid0(VALU_DEP_1) | instskip(SKIP_4) | instid1(VALU_DEP_1)
	v_fmac_f64_e32 v[126:127], v[110:111], v[102:103]
	scratch_load_b128 v[100:103], off, off offset:200
	s_wait_dscnt 0x0
	v_fmac_f64_e32 v[126:127], v[112:113], v[104:105]
	s_wait_loadcnt 0x5
	v_fmac_f64_e32 v[126:127], v[122:123], v[106:107]
	ds_load_b128 v[104:107], v2 offset:480
	ds_load_b128 v[108:111], v2 offset:496
	s_wait_dscnt 0x1
	v_fmac_f64_e32 v[126:127], v[124:125], v[104:105]
	scratch_load_b128 v[122:125], off, off offset:216
	s_wait_loadcnt 0x5
	v_fmac_f64_e32 v[126:127], v[92:93], v[106:107]
	s_wait_dscnt 0x0
	s_delay_alu instid0(VALU_DEP_1)
	v_fmac_f64_e32 v[126:127], v[94:95], v[108:109]
	scratch_load_b128 v[92:95], off, off offset:232
	s_wait_loadcnt 0x5
	v_fmac_f64_e32 v[126:127], v[118:119], v[110:111]
	ds_load_b128 v[104:107], v2 offset:512
	ds_load_b128 v[108:111], v2 offset:528
	s_wait_dscnt 0x1
	v_fmac_f64_e32 v[126:127], v[120:121], v[104:105]
	scratch_load_b128 v[118:121], off, off offset:248
	s_wait_loadcnt 0x5
	v_fmac_f64_e32 v[126:127], v[96:97], v[106:107]
	s_wait_dscnt 0x0
	s_delay_alu instid0(VALU_DEP_1)
	v_fmac_f64_e32 v[126:127], v[98:99], v[108:109]
	scratch_load_b128 v[96:99], off, off offset:264
	s_wait_loadcnt 0x5
	v_fmac_f64_e32 v[126:127], v[114:115], v[110:111]
	ds_load_b128 v[104:107], v2 offset:544
	ds_load_b128 v[108:111], v2 offset:560
	s_wait_dscnt 0x1
	v_fmac_f64_e32 v[126:127], v[116:117], v[104:105]
	s_wait_loadcnt 0x4
	s_delay_alu instid0(VALU_DEP_1)
	v_fmac_f64_e32 v[126:127], v[100:101], v[106:107]
	scratch_load_b128 v[104:107], off, off offset:280
	s_wait_dscnt 0x0
	v_fmac_f64_e32 v[126:127], v[102:103], v[108:109]
	scratch_load_b128 v[100:103], off, off offset:296
	s_wait_loadcnt 0x5
	v_fmac_f64_e32 v[126:127], v[122:123], v[110:111]
	ds_load_b128 v[108:111], v2 offset:576
	ds_load_b128 v[112:115], v2 offset:592
	s_wait_dscnt 0x1
	v_fmac_f64_e32 v[126:127], v[124:125], v[108:109]
	s_wait_loadcnt 0x4
	s_delay_alu instid0(VALU_DEP_1)
	v_fmac_f64_e32 v[126:127], v[92:93], v[110:111]
	scratch_load_b128 v[108:111], off, off offset:312
	s_wait_dscnt 0x0
	v_fmac_f64_e32 v[126:127], v[94:95], v[112:113]
	scratch_load_b128 v[92:95], off, off offset:328
	s_wait_loadcnt 0x5
	v_fmac_f64_e32 v[126:127], v[118:119], v[114:115]
	ds_load_b128 v[112:115], v2 offset:608
	ds_load_b128 v[116:119], v2 offset:624
	s_wait_dscnt 0x1
	v_fmac_f64_e32 v[126:127], v[120:121], v[112:113]
	s_wait_loadcnt 0x4
	s_delay_alu instid0(VALU_DEP_1) | instskip(SKIP_1) | instid1(VALU_DEP_1)
	v_fmac_f64_e32 v[126:127], v[96:97], v[114:115]
	s_wait_dscnt 0x0
	v_fmac_f64_e32 v[126:127], v[98:99], v[116:117]
	ds_load_b128 v[96:99], v2 offset:640
	ds_load_b128 v[112:115], v2 offset:656
	s_wait_loadcnt 0x3
	v_fmac_f64_e32 v[126:127], v[104:105], v[118:119]
	s_wait_dscnt 0x1
	s_delay_alu instid0(VALU_DEP_1) | instskip(SKIP_1) | instid1(VALU_DEP_1)
	v_fmac_f64_e32 v[126:127], v[106:107], v[96:97]
	s_wait_loadcnt 0x2
	v_fmac_f64_e32 v[126:127], v[100:101], v[98:99]
	ds_load_b128 v[96:99], v2 offset:672
	ds_load_b64 v[100:101], v2 offset:688
	s_wait_dscnt 0x2
	v_fmac_f64_e32 v[126:127], v[102:103], v[112:113]
	s_wait_loadcnt 0x1
	s_delay_alu instid0(VALU_DEP_1) | instskip(SKIP_1) | instid1(VALU_DEP_1)
	v_fmac_f64_e32 v[126:127], v[108:109], v[114:115]
	s_wait_dscnt 0x1
	v_fmac_f64_e32 v[126:127], v[110:111], v[96:97]
	s_wait_loadcnt 0x0
	s_delay_alu instid0(VALU_DEP_1) | instskip(SKIP_1) | instid1(VALU_DEP_1)
	v_fmac_f64_e32 v[126:127], v[92:93], v[98:99]
	s_wait_dscnt 0x0
	v_fmac_f64_e32 v[126:127], v[94:95], v[100:101]
	s_delay_alu instid0(VALU_DEP_1)
	v_add_f64_e64 v[90:91], v[90:91], -v[126:127]
	scratch_store_b64 off, v[90:91], off offset:24
	s_wait_xcnt 0x0
	v_cmpx_lt_u32_e32 2, v0
	s_cbranch_execz .LBB42_263
; %bb.262:
	scratch_load_b64 v[90:91], off, off offset:16
	v_mov_b64_e32 v[92:93], 0
	scratch_store_b64 off, v[92:93], off offset:16
	s_wait_loadcnt 0x0
	ds_store_b64 v1, v[90:91]
.LBB42_263:
	s_wait_xcnt 0x0
	s_or_b32 exec_lo, exec_lo, s0
	s_wait_storecnt_dscnt 0x0
	s_barrier_signal -1
	s_barrier_wait -1
	s_clause 0x5
	scratch_load_b128 v[90:93], off, off offset:16
	scratch_load_b128 v[94:97], off, off offset:32
	scratch_load_b128 v[98:101], off, off offset:48
	scratch_load_b128 v[102:105], off, off offset:64
	scratch_load_b128 v[106:109], off, off offset:80
	scratch_load_b128 v[110:113], off, off offset:96
	ds_load_2addr_b64 v[114:117], v2 offset0:47 offset1:48
	ds_load_2addr_b64 v[118:121], v2 offset0:49 offset1:50
	scratch_load_b128 v[122:125], off, off offset:112
	s_mov_b32 s0, exec_lo
	s_wait_loadcnt_dscnt 0x601
	v_fma_f64 v[126:127], v[92:93], v[114:115], 0
	s_wait_loadcnt 0x5
	s_delay_alu instid0(VALU_DEP_1) | instskip(SKIP_4) | instid1(VALU_DEP_1)
	v_fmac_f64_e32 v[126:127], v[94:95], v[116:117]
	scratch_load_b128 v[92:95], off, off offset:128
	s_wait_dscnt 0x0
	v_fmac_f64_e32 v[126:127], v[96:97], v[118:119]
	s_wait_loadcnt 0x5
	v_fmac_f64_e32 v[126:127], v[98:99], v[120:121]
	ds_load_2addr_b64 v[96:99], v2 offset0:51 offset1:52
	ds_load_2addr_b64 v[114:117], v2 offset0:53 offset1:54
	scratch_load_b128 v[118:121], off, off offset:144
	s_wait_dscnt 0x1
	v_fmac_f64_e32 v[126:127], v[100:101], v[96:97]
	s_wait_loadcnt 0x5
	s_delay_alu instid0(VALU_DEP_1) | instskip(SKIP_4) | instid1(VALU_DEP_1)
	v_fmac_f64_e32 v[126:127], v[102:103], v[98:99]
	scratch_load_b128 v[96:99], off, off offset:160
	s_wait_dscnt 0x0
	v_fmac_f64_e32 v[126:127], v[104:105], v[114:115]
	s_wait_loadcnt 0x5
	v_fmac_f64_e32 v[126:127], v[106:107], v[116:117]
	ds_load_2addr_b64 v[100:103], v2 offset0:55 offset1:56
	ds_load_2addr_b64 v[104:107], v2 offset0:57 offset1:58
	scratch_load_b128 v[114:117], off, off offset:176
	s_wait_dscnt 0x1
	v_fmac_f64_e32 v[126:127], v[108:109], v[100:101]
	s_wait_loadcnt 0x5
	s_delay_alu instid0(VALU_DEP_1) | instskip(SKIP_4) | instid1(VALU_DEP_1)
	v_fmac_f64_e32 v[126:127], v[110:111], v[102:103]
	scratch_load_b128 v[100:103], off, off offset:192
	s_wait_dscnt 0x0
	v_fmac_f64_e32 v[126:127], v[112:113], v[104:105]
	s_wait_loadcnt 0x5
	v_fmac_f64_e32 v[126:127], v[122:123], v[106:107]
	ds_load_2addr_b64 v[104:107], v2 offset0:59 offset1:60
	ds_load_2addr_b64 v[108:111], v2 offset0:61 offset1:62
	s_wait_dscnt 0x1
	v_fmac_f64_e32 v[126:127], v[124:125], v[104:105]
	scratch_load_b128 v[122:125], off, off offset:208
	s_wait_loadcnt 0x5
	v_fmac_f64_e32 v[126:127], v[92:93], v[106:107]
	s_wait_dscnt 0x0
	s_delay_alu instid0(VALU_DEP_1)
	v_fmac_f64_e32 v[126:127], v[94:95], v[108:109]
	scratch_load_b128 v[92:95], off, off offset:224
	s_wait_loadcnt 0x5
	v_fmac_f64_e32 v[126:127], v[118:119], v[110:111]
	ds_load_2addr_b64 v[104:107], v2 offset0:63 offset1:64
	ds_load_2addr_b64 v[108:111], v2 offset0:65 offset1:66
	s_wait_dscnt 0x1
	v_fmac_f64_e32 v[126:127], v[120:121], v[104:105]
	scratch_load_b128 v[118:121], off, off offset:240
	s_wait_loadcnt 0x5
	v_fmac_f64_e32 v[126:127], v[96:97], v[106:107]
	s_wait_dscnt 0x0
	s_delay_alu instid0(VALU_DEP_1)
	v_fmac_f64_e32 v[126:127], v[98:99], v[108:109]
	scratch_load_b128 v[96:99], off, off offset:256
	s_wait_loadcnt 0x5
	v_fmac_f64_e32 v[126:127], v[114:115], v[110:111]
	ds_load_2addr_b64 v[104:107], v2 offset0:67 offset1:68
	ds_load_2addr_b64 v[108:111], v2 offset0:69 offset1:70
	s_wait_dscnt 0x1
	v_fmac_f64_e32 v[126:127], v[116:117], v[104:105]
	s_wait_loadcnt 0x4
	s_delay_alu instid0(VALU_DEP_1)
	v_fmac_f64_e32 v[126:127], v[100:101], v[106:107]
	scratch_load_b128 v[104:107], off, off offset:272
	s_wait_dscnt 0x0
	v_fmac_f64_e32 v[126:127], v[102:103], v[108:109]
	scratch_load_b128 v[100:103], off, off offset:288
	s_wait_loadcnt 0x5
	v_fmac_f64_e32 v[126:127], v[122:123], v[110:111]
	ds_load_2addr_b64 v[108:111], v2 offset0:71 offset1:72
	ds_load_2addr_b64 v[112:115], v2 offset0:73 offset1:74
	s_wait_dscnt 0x1
	v_fmac_f64_e32 v[126:127], v[124:125], v[108:109]
	s_wait_loadcnt 0x4
	s_delay_alu instid0(VALU_DEP_1)
	v_fmac_f64_e32 v[126:127], v[92:93], v[110:111]
	scratch_load_b128 v[108:111], off, off offset:304
	s_wait_dscnt 0x0
	v_fmac_f64_e32 v[126:127], v[94:95], v[112:113]
	scratch_load_b128 v[92:95], off, off offset:320
	s_wait_loadcnt 0x5
	v_fmac_f64_e32 v[126:127], v[118:119], v[114:115]
	ds_load_2addr_b64 v[112:115], v2 offset0:75 offset1:76
	ds_load_2addr_b64 v[116:119], v2 offset0:77 offset1:78
	s_wait_dscnt 0x1
	v_fmac_f64_e32 v[126:127], v[120:121], v[112:113]
	scratch_load_b64 v[120:121], off, off offset:336
	s_wait_loadcnt 0x5
	v_fmac_f64_e32 v[126:127], v[96:97], v[114:115]
	s_wait_dscnt 0x0
	s_delay_alu instid0(VALU_DEP_1)
	v_fmac_f64_e32 v[126:127], v[98:99], v[116:117]
	ds_load_2addr_b64 v[96:99], v2 offset0:79 offset1:80
	ds_load_2addr_b64 v[112:115], v2 offset0:81 offset1:82
	s_wait_loadcnt 0x4
	v_fmac_f64_e32 v[126:127], v[104:105], v[118:119]
	s_wait_dscnt 0x1
	s_delay_alu instid0(VALU_DEP_1) | instskip(SKIP_1) | instid1(VALU_DEP_1)
	v_fmac_f64_e32 v[126:127], v[106:107], v[96:97]
	s_wait_loadcnt 0x3
	v_fmac_f64_e32 v[126:127], v[100:101], v[98:99]
	s_wait_dscnt 0x0
	s_delay_alu instid0(VALU_DEP_1)
	v_fmac_f64_e32 v[126:127], v[102:103], v[112:113]
	ds_load_2addr_b64 v[96:99], v2 offset0:83 offset1:84
	ds_load_2addr_b64 v[100:103], v2 offset0:85 offset1:86
	s_wait_loadcnt 0x2
	v_fmac_f64_e32 v[126:127], v[108:109], v[114:115]
	s_wait_dscnt 0x1
	s_delay_alu instid0(VALU_DEP_1) | instskip(SKIP_1) | instid1(VALU_DEP_1)
	v_fmac_f64_e32 v[126:127], v[110:111], v[96:97]
	s_wait_loadcnt 0x1
	v_fmac_f64_e32 v[126:127], v[92:93], v[98:99]
	s_wait_dscnt 0x0
	s_delay_alu instid0(VALU_DEP_1) | instskip(SKIP_1) | instid1(VALU_DEP_1)
	v_fmac_f64_e32 v[126:127], v[94:95], v[100:101]
	s_wait_loadcnt 0x0
	v_fmac_f64_e32 v[126:127], v[120:121], v[102:103]
	s_delay_alu instid0(VALU_DEP_1)
	v_add_f64_e64 v[2:3], v[90:91], -v[126:127]
	scratch_store_b64 off, v[2:3], off offset:16
	s_wait_xcnt 0x0
	v_cmpx_lt_u32_e32 1, v0
	s_cbranch_execz .LBB42_265
; %bb.264:
	scratch_load_b64 v[2:3], off, off offset:8
	v_mov_b64_e32 v[90:91], 0
	scratch_store_b64 off, v[90:91], off offset:8
	s_wait_loadcnt 0x0
	ds_store_b64 v1, v[2:3]
.LBB42_265:
	s_wait_xcnt 0x0
	s_or_b32 exec_lo, exec_lo, s0
	s_wait_storecnt_dscnt 0x0
	s_barrier_signal -1
	s_barrier_wait -1
	s_clause 0x5
	scratch_load_b128 v[92:95], off, off offset:8
	scratch_load_b128 v[96:99], off, off offset:24
	;; [unrolled: 1-line block ×6, first 2 shown]
	v_dual_mov_b32 v90, 0 :: v_dual_ashrrev_i32 v9, 31, v8
	ds_load_b128 v[116:119], v90 offset:368
	ds_load_b128 v[120:123], v90 offset:384
	scratch_load_b128 v[124:127], off, off offset:104
	v_dual_ashrrev_i32 v11, 31, v10 :: v_dual_ashrrev_i32 v13, 31, v12
	v_dual_ashrrev_i32 v15, 31, v14 :: v_dual_ashrrev_i32 v17, 31, v16
	;; [unrolled: 1-line block ×19, first 2 shown]
	v_ashrrev_i32_e32 v87, 31, v86
	s_mov_b32 s0, exec_lo
	v_ashrrev_i32_e32 v41, 31, v40
	s_wait_loadcnt_dscnt 0x601
	v_fma_f64 v[2:3], v[94:95], v[116:117], 0
	s_wait_loadcnt 0x5
	s_delay_alu instid0(VALU_DEP_1) | instskip(SKIP_4) | instid1(VALU_DEP_1)
	v_fmac_f64_e32 v[2:3], v[96:97], v[118:119]
	scratch_load_b128 v[94:97], off, off offset:120
	s_wait_dscnt 0x0
	v_fmac_f64_e32 v[2:3], v[98:99], v[120:121]
	s_wait_loadcnt 0x5
	v_fmac_f64_e32 v[2:3], v[100:101], v[122:123]
	ds_load_b128 v[98:101], v90 offset:400
	ds_load_b128 v[116:119], v90 offset:416
	scratch_load_b128 v[120:123], off, off offset:136
	s_wait_dscnt 0x1
	v_fmac_f64_e32 v[2:3], v[102:103], v[98:99]
	s_wait_loadcnt 0x5
	s_delay_alu instid0(VALU_DEP_1) | instskip(SKIP_4) | instid1(VALU_DEP_1)
	v_fmac_f64_e32 v[2:3], v[104:105], v[100:101]
	scratch_load_b128 v[98:101], off, off offset:152
	s_wait_dscnt 0x0
	v_fmac_f64_e32 v[2:3], v[106:107], v[116:117]
	s_wait_loadcnt 0x5
	v_fmac_f64_e32 v[2:3], v[108:109], v[118:119]
	ds_load_b128 v[102:105], v90 offset:432
	ds_load_b128 v[106:109], v90 offset:448
	scratch_load_b128 v[116:119], off, off offset:168
	s_wait_dscnt 0x1
	v_fmac_f64_e32 v[2:3], v[110:111], v[102:103]
	s_wait_loadcnt 0x5
	s_delay_alu instid0(VALU_DEP_1) | instskip(SKIP_4) | instid1(VALU_DEP_1)
	v_fmac_f64_e32 v[2:3], v[112:113], v[104:105]
	scratch_load_b128 v[102:105], off, off offset:184
	s_wait_dscnt 0x0
	v_fmac_f64_e32 v[2:3], v[114:115], v[106:107]
	s_wait_loadcnt 0x5
	v_fmac_f64_e32 v[2:3], v[124:125], v[108:109]
	ds_load_b128 v[106:109], v90 offset:464
	ds_load_b128 v[110:113], v90 offset:480
	s_wait_dscnt 0x1
	v_fmac_f64_e32 v[2:3], v[126:127], v[106:107]
	scratch_load_b128 v[124:127], off, off offset:200
	s_wait_loadcnt 0x5
	v_fmac_f64_e32 v[2:3], v[94:95], v[108:109]
	s_wait_dscnt 0x0
	s_delay_alu instid0(VALU_DEP_1)
	v_fmac_f64_e32 v[2:3], v[96:97], v[110:111]
	scratch_load_b128 v[94:97], off, off offset:216
	s_wait_loadcnt 0x5
	v_fmac_f64_e32 v[2:3], v[120:121], v[112:113]
	ds_load_b128 v[106:109], v90 offset:496
	ds_load_b128 v[110:113], v90 offset:512
	s_wait_dscnt 0x1
	v_fmac_f64_e32 v[2:3], v[122:123], v[106:107]
	scratch_load_b128 v[120:123], off, off offset:232
	s_wait_loadcnt 0x5
	v_fmac_f64_e32 v[2:3], v[98:99], v[108:109]
	s_wait_dscnt 0x0
	s_delay_alu instid0(VALU_DEP_1)
	v_fmac_f64_e32 v[2:3], v[100:101], v[110:111]
	scratch_load_b128 v[98:101], off, off offset:248
	s_wait_loadcnt 0x5
	v_fmac_f64_e32 v[2:3], v[116:117], v[112:113]
	ds_load_b128 v[106:109], v90 offset:528
	ds_load_b128 v[110:113], v90 offset:544
	s_wait_dscnt 0x1
	v_fmac_f64_e32 v[2:3], v[118:119], v[106:107]
	s_wait_loadcnt 0x4
	s_delay_alu instid0(VALU_DEP_1)
	v_fmac_f64_e32 v[2:3], v[102:103], v[108:109]
	scratch_load_b128 v[106:109], off, off offset:264
	s_wait_dscnt 0x0
	v_fmac_f64_e32 v[2:3], v[104:105], v[110:111]
	scratch_load_b128 v[102:105], off, off offset:280
	s_wait_loadcnt 0x5
	v_fmac_f64_e32 v[2:3], v[124:125], v[112:113]
	ds_load_b128 v[110:113], v90 offset:560
	ds_load_b128 v[114:117], v90 offset:576
	s_wait_dscnt 0x1
	v_fmac_f64_e32 v[2:3], v[126:127], v[110:111]
	s_wait_loadcnt 0x4
	s_delay_alu instid0(VALU_DEP_1)
	v_fmac_f64_e32 v[2:3], v[94:95], v[112:113]
	scratch_load_b128 v[110:113], off, off offset:296
	s_wait_dscnt 0x0
	v_fmac_f64_e32 v[2:3], v[96:97], v[114:115]
	scratch_load_b128 v[94:97], off, off offset:312
	s_wait_loadcnt 0x5
	v_fmac_f64_e32 v[2:3], v[120:121], v[116:117]
	ds_load_b128 v[114:117], v90 offset:592
	ds_load_b128 v[118:121], v90 offset:608
	s_wait_dscnt 0x1
	v_fmac_f64_e32 v[2:3], v[122:123], v[114:115]
	s_wait_loadcnt 0x4
	s_delay_alu instid0(VALU_DEP_1) | instskip(SKIP_4) | instid1(VALU_DEP_1)
	v_fmac_f64_e32 v[2:3], v[98:99], v[116:117]
	scratch_load_b128 v[114:117], off, off offset:328
	s_wait_dscnt 0x0
	v_fmac_f64_e32 v[2:3], v[100:101], v[118:119]
	s_wait_loadcnt 0x4
	v_fmac_f64_e32 v[2:3], v[106:107], v[120:121]
	ds_load_b128 v[98:101], v90 offset:624
	ds_load_b128 v[118:121], v90 offset:640
	s_wait_dscnt 0x1
	v_fmac_f64_e32 v[2:3], v[108:109], v[98:99]
	s_wait_loadcnt 0x3
	s_delay_alu instid0(VALU_DEP_1) | instskip(SKIP_1) | instid1(VALU_DEP_1)
	v_fmac_f64_e32 v[2:3], v[102:103], v[100:101]
	s_wait_dscnt 0x0
	v_fmac_f64_e32 v[2:3], v[104:105], v[118:119]
	ds_load_b128 v[98:101], v90 offset:656
	ds_load_b128 v[102:105], v90 offset:672
	s_wait_loadcnt 0x2
	v_fmac_f64_e32 v[2:3], v[110:111], v[120:121]
	s_wait_dscnt 0x1
	s_delay_alu instid0(VALU_DEP_1) | instskip(SKIP_1) | instid1(VALU_DEP_1)
	v_fmac_f64_e32 v[2:3], v[112:113], v[98:99]
	s_wait_loadcnt 0x1
	v_fmac_f64_e32 v[2:3], v[94:95], v[100:101]
	ds_load_b64 v[94:95], v90 offset:688
	s_wait_dscnt 0x1
	v_fmac_f64_e32 v[2:3], v[96:97], v[102:103]
	s_wait_loadcnt 0x0
	s_delay_alu instid0(VALU_DEP_1) | instskip(SKIP_1) | instid1(VALU_DEP_1)
	v_fmac_f64_e32 v[2:3], v[114:115], v[104:105]
	s_wait_dscnt 0x0
	v_fmac_f64_e32 v[2:3], v[116:117], v[94:95]
	s_delay_alu instid0(VALU_DEP_1)
	v_add_f64_e64 v[2:3], v[92:93], -v[2:3]
	scratch_store_b64 off, v[2:3], off offset:8
	s_wait_xcnt 0x0
	v_cmpx_ne_u32_e32 0, v0
	s_cbranch_execz .LBB42_267
; %bb.266:
	scratch_load_b64 v[2:3], off, off
	v_mov_b64_e32 v[92:93], 0
	scratch_store_b64 off, v[92:93], off
	s_wait_loadcnt 0x0
	ds_store_b64 v1, v[2:3]
.LBB42_267:
	s_wait_xcnt 0x0
	s_or_b32 exec_lo, exec_lo, s0
	s_wait_storecnt_dscnt 0x0
	s_barrier_signal -1
	s_barrier_wait -1
	s_clause 0x5
	scratch_load_b128 v[92:95], off, off
	scratch_load_b128 v[0:3], off, off offset:16
	scratch_load_b128 v[96:99], off, off offset:32
	;; [unrolled: 1-line block ×5, first 2 shown]
	ds_load_2addr_b64 v[112:115], v90 offset0:45 offset1:46
	scratch_load_b128 v[116:119], off, off offset:96
	s_and_b32 vcc_lo, exec_lo, s18
	s_wait_loadcnt_dscnt 0x600
	v_fma_f64 v[122:123], v[94:95], v[112:113], 0
	s_wait_loadcnt 0x5
	s_delay_alu instid0(VALU_DEP_1)
	v_fmac_f64_e32 v[122:123], v[0:1], v[114:115]
	ds_load_2addr_b64 v[112:115], v90 offset0:47 offset1:48
	s_wait_dscnt 0x0
	v_fmac_f64_e32 v[122:123], v[2:3], v[112:113]
	scratch_load_b128 v[0:3], off, off offset:112
	s_wait_loadcnt 0x5
	v_fmac_f64_e32 v[122:123], v[96:97], v[114:115]
	ds_load_2addr_b64 v[94:97], v90 offset0:49 offset1:50
	scratch_load_b128 v[112:115], off, off offset:128
	s_wait_dscnt 0x0
	v_fmac_f64_e32 v[122:123], v[98:99], v[94:95]
	s_wait_loadcnt 0x5
	s_delay_alu instid0(VALU_DEP_1)
	v_fmac_f64_e32 v[122:123], v[100:101], v[96:97]
	ds_load_2addr_b64 v[94:97], v90 offset0:51 offset1:52
	scratch_load_b128 v[98:101], off, off offset:144
	s_wait_dscnt 0x0
	v_fmac_f64_e32 v[122:123], v[102:103], v[94:95]
	s_wait_loadcnt 0x5
	s_delay_alu instid0(VALU_DEP_1)
	;; [unrolled: 7-line block ×4, first 2 shown]
	v_fmac_f64_e32 v[122:123], v[116:117], v[96:97]
	ds_load_2addr_b64 v[94:97], v90 offset0:57 offset1:58
	s_wait_dscnt 0x0
	v_fmac_f64_e32 v[122:123], v[118:119], v[94:95]
	scratch_load_b128 v[116:119], off, off offset:192
	s_wait_loadcnt 0x5
	v_fmac_f64_e32 v[122:123], v[0:1], v[96:97]
	ds_load_2addr_b64 v[94:97], v90 offset0:59 offset1:60
	s_wait_dscnt 0x0
	v_fmac_f64_e32 v[122:123], v[2:3], v[94:95]
	scratch_load_b128 v[0:3], off, off offset:208
	s_wait_loadcnt 0x5
	v_fmac_f64_e32 v[122:123], v[112:113], v[96:97]
	ds_load_2addr_b64 v[94:97], v90 offset0:61 offset1:62
	scratch_load_b128 v[110:113], off, off offset:224
	s_wait_dscnt 0x0
	v_fmac_f64_e32 v[122:123], v[114:115], v[94:95]
	s_wait_loadcnt 0x5
	s_delay_alu instid0(VALU_DEP_1)
	v_fmac_f64_e32 v[122:123], v[98:99], v[96:97]
	ds_load_2addr_b64 v[94:97], v90 offset0:63 offset1:64
	s_wait_dscnt 0x0
	v_fmac_f64_e32 v[122:123], v[100:101], v[94:95]
	scratch_load_b128 v[98:101], off, off offset:240
	s_wait_loadcnt 0x5
	v_fmac_f64_e32 v[122:123], v[102:103], v[96:97]
	ds_load_2addr_b64 v[94:97], v90 offset0:65 offset1:66
	s_wait_dscnt 0x0
	v_fmac_f64_e32 v[122:123], v[104:105], v[94:95]
	scratch_load_b128 v[102:105], off, off offset:256
	s_wait_loadcnt 0x5
	;; [unrolled: 6-line block ×3, first 2 shown]
	v_fmac_f64_e32 v[122:123], v[116:117], v[96:97]
	ds_load_2addr_b64 v[94:97], v90 offset0:69 offset1:70
	scratch_load_b128 v[114:117], off, off offset:288
	s_wait_dscnt 0x0
	v_fmac_f64_e32 v[122:123], v[118:119], v[94:95]
	scratch_load_b128 v[118:121], off, off offset:304
	s_wait_loadcnt 0x6
	v_fmac_f64_e32 v[122:123], v[0:1], v[96:97]
	ds_load_2addr_b64 v[94:97], v90 offset0:71 offset1:72
	s_wait_dscnt 0x0
	v_fmac_f64_e32 v[122:123], v[2:3], v[94:95]
	scratch_load_b128 v[0:3], off, off offset:320
	s_wait_loadcnt 0x6
	v_fmac_f64_e32 v[122:123], v[110:111], v[96:97]
	ds_load_2addr_b64 v[94:97], v90 offset0:73 offset1:74
	s_wait_dscnt 0x0
	v_fmac_f64_e32 v[122:123], v[112:113], v[94:95]
	s_wait_loadcnt 0x5
	s_delay_alu instid0(VALU_DEP_1)
	v_fmac_f64_e32 v[122:123], v[98:99], v[96:97]
	ds_load_2addr_b64 v[94:97], v90 offset0:75 offset1:76
	scratch_load_b64 v[98:99], off, off offset:336
	s_wait_dscnt 0x0
	v_fmac_f64_e32 v[122:123], v[100:101], v[94:95]
	s_wait_loadcnt 0x5
	s_delay_alu instid0(VALU_DEP_1) | instskip(SKIP_4) | instid1(VALU_DEP_1)
	v_fmac_f64_e32 v[122:123], v[102:103], v[96:97]
	ds_load_2addr_b64 v[94:97], v90 offset0:77 offset1:78
	s_wait_dscnt 0x0
	v_fmac_f64_e32 v[122:123], v[104:105], v[94:95]
	s_wait_loadcnt 0x4
	v_fmac_f64_e32 v[122:123], v[106:107], v[96:97]
	ds_load_2addr_b64 v[94:97], v90 offset0:79 offset1:80
	s_wait_dscnt 0x0
	v_fmac_f64_e32 v[122:123], v[108:109], v[94:95]
	s_wait_loadcnt 0x3
	s_delay_alu instid0(VALU_DEP_1) | instskip(SKIP_4) | instid1(VALU_DEP_1)
	v_fmac_f64_e32 v[122:123], v[114:115], v[96:97]
	ds_load_2addr_b64 v[94:97], v90 offset0:81 offset1:82
	s_wait_dscnt 0x0
	v_fmac_f64_e32 v[122:123], v[116:117], v[94:95]
	s_wait_loadcnt 0x2
	v_fmac_f64_e32 v[122:123], v[118:119], v[96:97]
	ds_load_2addr_b64 v[94:97], v90 offset0:83 offset1:84
	s_wait_dscnt 0x0
	v_fmac_f64_e32 v[122:123], v[120:121], v[94:95]
	s_wait_loadcnt 0x1
	s_delay_alu instid0(VALU_DEP_1) | instskip(SKIP_4) | instid1(VALU_DEP_1)
	v_fmac_f64_e32 v[122:123], v[0:1], v[96:97]
	ds_load_2addr_b64 v[94:97], v90 offset0:85 offset1:86
	s_wait_dscnt 0x0
	v_fmac_f64_e32 v[122:123], v[2:3], v[94:95]
	s_wait_loadcnt 0x0
	v_fmac_f64_e32 v[122:123], v[98:99], v[96:97]
	s_delay_alu instid0(VALU_DEP_1)
	v_add_f64_e64 v[110:111], v[92:93], -v[122:123]
	scratch_store_b64 off, v[110:111], off
	s_cbranch_vccz .LBB42_352
; %bb.268:
	v_mov_b32_e32 v0, 0
	global_load_b32 v1, v0, s[2:3] offset:164
	s_wait_loadcnt 0x0
	v_cmp_ne_u32_e32 vcc_lo, 42, v1
	s_cbranch_vccz .LBB42_270
; %bb.269:
	v_lshlrev_b32_e32 v1, 3, v1
	scratch_load_b64 v[90:91], v1, off offset:-8
	s_wait_loadcnt 0x0
	scratch_store_b64 off, v[90:91], off offset:328
	scratch_store_b64 v1, v[2:3], off offset:-8
.LBB42_270:
	global_load_b32 v0, v0, s[2:3] offset:160
	s_wait_loadcnt 0x0
	v_cmp_eq_u32_e32 vcc_lo, 41, v0
	s_cbranch_vccnz .LBB42_272
; %bb.271:
	s_wait_xcnt 0x0
	v_lshlrev_b32_e32 v0, 3, v0
	s_delay_alu instid0(VALU_DEP_1)
	v_mov_b32_e32 v90, v0
	scratch_load_b64 v[0:1], v90, off offset:-8
	scratch_load_b64 v[2:3], off, off offset:320
	s_wait_loadcnt 0x1
	scratch_store_b64 off, v[0:1], off offset:320
	s_wait_loadcnt 0x0
	scratch_store_b64 v90, v[2:3], off offset:-8
.LBB42_272:
	s_wait_xcnt 0x0
	v_mov_b32_e32 v0, 0
	global_load_b32 v1, v0, s[2:3] offset:156
	s_wait_loadcnt 0x0
	v_cmp_eq_u32_e32 vcc_lo, 40, v1
	s_cbranch_vccnz .LBB42_274
; %bb.273:
	v_lshlrev_b32_e32 v1, 3, v1
	scratch_load_b64 v[2:3], v1, off offset:-8
	scratch_load_b64 v[90:91], off, off offset:312
	s_wait_loadcnt 0x1
	scratch_store_b64 off, v[2:3], off offset:312
	s_wait_loadcnt 0x0
	scratch_store_b64 v1, v[90:91], off offset:-8
.LBB42_274:
	global_load_b32 v0, v0, s[2:3] offset:152
	s_wait_loadcnt 0x0
	v_cmp_eq_u32_e32 vcc_lo, 39, v0
	s_cbranch_vccnz .LBB42_276
; %bb.275:
	s_wait_xcnt 0x0
	v_lshlrev_b32_e32 v0, 3, v0
	s_delay_alu instid0(VALU_DEP_1)
	v_mov_b32_e32 v90, v0
	scratch_load_b64 v[0:1], v90, off offset:-8
	scratch_load_b64 v[2:3], off, off offset:304
	s_wait_loadcnt 0x1
	scratch_store_b64 off, v[0:1], off offset:304
	s_wait_loadcnt 0x0
	scratch_store_b64 v90, v[2:3], off offset:-8
.LBB42_276:
	s_wait_xcnt 0x0
	v_mov_b32_e32 v0, 0
	global_load_b32 v1, v0, s[2:3] offset:148
	s_wait_loadcnt 0x0
	v_cmp_eq_u32_e32 vcc_lo, 38, v1
	s_cbranch_vccnz .LBB42_278
; %bb.277:
	v_lshlrev_b32_e32 v1, 3, v1
	scratch_load_b64 v[2:3], v1, off offset:-8
	scratch_load_b64 v[90:91], off, off offset:296
	s_wait_loadcnt 0x1
	scratch_store_b64 off, v[2:3], off offset:296
	s_wait_loadcnt 0x0
	scratch_store_b64 v1, v[90:91], off offset:-8
.LBB42_278:
	;; [unrolled: 31-line block ×20, first 2 shown]
	global_load_b32 v0, v0, s[2:3]
	scratch_load_b64 v[110:111], off, off
	s_wait_loadcnt 0x1
	v_cmp_eq_u32_e32 vcc_lo, 1, v0
	s_cbranch_vccnz .LBB42_352
; %bb.351:
	s_wait_xcnt 0x1
	v_lshlrev_b32_e32 v0, 3, v0
	s_delay_alu instid0(VALU_DEP_1)
	v_mov_b32_e32 v2, v0
	scratch_load_b64 v[0:1], v2, off offset:-8
	s_wait_loadcnt 0x0
	scratch_store_b64 off, v[0:1], off
	scratch_store_b64 v2, v[110:111], off offset:-8
	scratch_load_b64 v[110:111], off, off
.LBB42_352:
	v_lshl_add_u64 v[112:113], v[8:9], 3, s[4:5]
	v_lshl_add_u64 v[106:107], v[10:11], 3, s[4:5]
	;; [unrolled: 1-line block ×39, first 2 shown]
	s_wait_xcnt 0x1
	v_lshl_add_u64 v[0:1], v[86:87], 3, s[4:5]
	s_clause 0x7
	scratch_load_b128 v[64:67], off, off offset:8
	scratch_load_b128 v[68:71], off, off offset:24
	;; [unrolled: 1-line block ×8, first 2 shown]
	s_wait_loadcnt 0x8
	global_store_b64 v[6:7], v[110:111], off
	s_clause 0x1
	scratch_load_b128 v[122:125], off, off offset:136
	scratch_load_b128 v[126:129], off, off offset:152
	v_lshl_add_u64 v[2:3], v[88:89], 3, s[4:5]
	s_wait_loadcnt 0x9
	s_clause 0x1
	global_store_b64 v[4:5], v[64:65], off
	global_store_b64 v[112:113], v[66:67], off
	s_clause 0x1
	scratch_load_b128 v[4:7], off, off offset:168
	scratch_load_b128 v[64:67], off, off offset:184
	s_wait_loadcnt 0xa
	s_clause 0x1
	global_store_b64 v[106:107], v[68:69], off
	global_store_b64 v[108:109], v[70:71], off
	s_clause 0x1
	scratch_load_b128 v[68:71], off, off offset:200
	scratch_load_b128 v[106:109], off, off offset:216
	;; [unrolled: 7-line block ×5, first 2 shown]
	s_wait_loadcnt 0xe
	s_clause 0x1
	global_store_b64 v[90:91], v[84:85], off
	global_store_b64 v[92:93], v[86:87], off
	scratch_load_b128 v[84:87], off, off offset:328
	s_wait_loadcnt 0xe
	s_clause 0x1
	global_store_b64 v[8:9], v[114:115], off
	global_store_b64 v[10:11], v[116:117], off
	s_wait_loadcnt 0xd
	s_clause 0x1
	global_store_b64 v[12:13], v[118:119], off
	global_store_b64 v[14:15], v[120:121], off
	;; [unrolled: 4-line block ×15, first 2 shown]
	s_sendmsg sendmsg(MSG_DEALLOC_VGPRS)
	s_endpgm
	.section	.rodata,"a",@progbits
	.p2align	6, 0x0
	.amdhsa_kernel _ZN9rocsolver6v33100L18getri_kernel_smallILi43EdPdEEvT1_iilPiilS4_bb
		.amdhsa_group_segment_fixed_size 696
		.amdhsa_private_segment_fixed_size 352
		.amdhsa_kernarg_size 60
		.amdhsa_user_sgpr_count 2
		.amdhsa_user_sgpr_dispatch_ptr 0
		.amdhsa_user_sgpr_queue_ptr 0
		.amdhsa_user_sgpr_kernarg_segment_ptr 1
		.amdhsa_user_sgpr_dispatch_id 0
		.amdhsa_user_sgpr_kernarg_preload_length 0
		.amdhsa_user_sgpr_kernarg_preload_offset 0
		.amdhsa_user_sgpr_private_segment_size 0
		.amdhsa_wavefront_size32 1
		.amdhsa_uses_dynamic_stack 0
		.amdhsa_enable_private_segment 1
		.amdhsa_system_sgpr_workgroup_id_x 1
		.amdhsa_system_sgpr_workgroup_id_y 0
		.amdhsa_system_sgpr_workgroup_id_z 0
		.amdhsa_system_sgpr_workgroup_info 0
		.amdhsa_system_vgpr_workitem_id 0
		.amdhsa_next_free_vgpr 132
		.amdhsa_next_free_sgpr 19
		.amdhsa_named_barrier_count 0
		.amdhsa_reserve_vcc 1
		.amdhsa_float_round_mode_32 0
		.amdhsa_float_round_mode_16_64 0
		.amdhsa_float_denorm_mode_32 3
		.amdhsa_float_denorm_mode_16_64 3
		.amdhsa_fp16_overflow 0
		.amdhsa_memory_ordered 1
		.amdhsa_forward_progress 1
		.amdhsa_inst_pref_size 255
		.amdhsa_round_robin_scheduling 0
		.amdhsa_exception_fp_ieee_invalid_op 0
		.amdhsa_exception_fp_denorm_src 0
		.amdhsa_exception_fp_ieee_div_zero 0
		.amdhsa_exception_fp_ieee_overflow 0
		.amdhsa_exception_fp_ieee_underflow 0
		.amdhsa_exception_fp_ieee_inexact 0
		.amdhsa_exception_int_div_zero 0
	.end_amdhsa_kernel
	.section	.text._ZN9rocsolver6v33100L18getri_kernel_smallILi43EdPdEEvT1_iilPiilS4_bb,"axG",@progbits,_ZN9rocsolver6v33100L18getri_kernel_smallILi43EdPdEEvT1_iilPiilS4_bb,comdat
.Lfunc_end42:
	.size	_ZN9rocsolver6v33100L18getri_kernel_smallILi43EdPdEEvT1_iilPiilS4_bb, .Lfunc_end42-_ZN9rocsolver6v33100L18getri_kernel_smallILi43EdPdEEvT1_iilPiilS4_bb
                                        ; -- End function
	.set _ZN9rocsolver6v33100L18getri_kernel_smallILi43EdPdEEvT1_iilPiilS4_bb.num_vgpr, 132
	.set _ZN9rocsolver6v33100L18getri_kernel_smallILi43EdPdEEvT1_iilPiilS4_bb.num_agpr, 0
	.set _ZN9rocsolver6v33100L18getri_kernel_smallILi43EdPdEEvT1_iilPiilS4_bb.numbered_sgpr, 19
	.set _ZN9rocsolver6v33100L18getri_kernel_smallILi43EdPdEEvT1_iilPiilS4_bb.num_named_barrier, 0
	.set _ZN9rocsolver6v33100L18getri_kernel_smallILi43EdPdEEvT1_iilPiilS4_bb.private_seg_size, 352
	.set _ZN9rocsolver6v33100L18getri_kernel_smallILi43EdPdEEvT1_iilPiilS4_bb.uses_vcc, 1
	.set _ZN9rocsolver6v33100L18getri_kernel_smallILi43EdPdEEvT1_iilPiilS4_bb.uses_flat_scratch, 1
	.set _ZN9rocsolver6v33100L18getri_kernel_smallILi43EdPdEEvT1_iilPiilS4_bb.has_dyn_sized_stack, 0
	.set _ZN9rocsolver6v33100L18getri_kernel_smallILi43EdPdEEvT1_iilPiilS4_bb.has_recursion, 0
	.set _ZN9rocsolver6v33100L18getri_kernel_smallILi43EdPdEEvT1_iilPiilS4_bb.has_indirect_call, 0
	.section	.AMDGPU.csdata,"",@progbits
; Kernel info:
; codeLenInByte = 38136
; TotalNumSgprs: 21
; NumVgprs: 132
; ScratchSize: 352
; MemoryBound: 0
; FloatMode: 240
; IeeeMode: 1
; LDSByteSize: 696 bytes/workgroup (compile time only)
; SGPRBlocks: 0
; VGPRBlocks: 8
; NumSGPRsForWavesPerEU: 21
; NumVGPRsForWavesPerEU: 132
; NamedBarCnt: 0
; Occupancy: 7
; WaveLimiterHint : 1
; COMPUTE_PGM_RSRC2:SCRATCH_EN: 1
; COMPUTE_PGM_RSRC2:USER_SGPR: 2
; COMPUTE_PGM_RSRC2:TRAP_HANDLER: 0
; COMPUTE_PGM_RSRC2:TGID_X_EN: 1
; COMPUTE_PGM_RSRC2:TGID_Y_EN: 0
; COMPUTE_PGM_RSRC2:TGID_Z_EN: 0
; COMPUTE_PGM_RSRC2:TIDIG_COMP_CNT: 0
	.section	.text._ZN9rocsolver6v33100L18getri_kernel_smallILi44EdPdEEvT1_iilPiilS4_bb,"axG",@progbits,_ZN9rocsolver6v33100L18getri_kernel_smallILi44EdPdEEvT1_iilPiilS4_bb,comdat
	.globl	_ZN9rocsolver6v33100L18getri_kernel_smallILi44EdPdEEvT1_iilPiilS4_bb ; -- Begin function _ZN9rocsolver6v33100L18getri_kernel_smallILi44EdPdEEvT1_iilPiilS4_bb
	.p2align	8
	.type	_ZN9rocsolver6v33100L18getri_kernel_smallILi44EdPdEEvT1_iilPiilS4_bb,@function
_ZN9rocsolver6v33100L18getri_kernel_smallILi44EdPdEEvT1_iilPiilS4_bb: ; @_ZN9rocsolver6v33100L18getri_kernel_smallILi44EdPdEEvT1_iilPiilS4_bb
; %bb.0:
	s_mov_b32 s2, exec_lo
	v_cmpx_gt_u32_e32 44, v0
	s_cbranch_execz .LBB43_186
; %bb.1:
	s_clause 0x2
	s_load_b32 s2, s[0:1], 0x38
	s_load_b128 s[12:15], s[0:1], 0x10
	s_load_b128 s[4:7], s[0:1], 0x28
	s_getreg_b32 s9, hwreg(HW_REG_IB_STS2, 6, 4)
	s_wait_kmcnt 0x0
	s_bitcmp1_b32 s2, 8
	s_cselect_b32 s18, -1, 0
	s_bfe_u32 s3, ttmp6, 0x4000c
	s_and_b32 s8, ttmp6, 15
	s_add_co_i32 s3, s3, 1
	s_delay_alu instid0(SALU_CYCLE_1) | instskip(NEXT) | instid1(SALU_CYCLE_1)
	s_mul_i32 s3, ttmp9, s3
	s_add_co_i32 s8, s8, s3
	s_cmp_eq_u32 s9, 0
	s_cselect_b32 s16, ttmp9, s8
	s_bfe_u32 s2, s2, 0x10008
	s_ashr_i32 s17, s16, 31
	s_cmp_eq_u32 s2, 0
                                        ; implicit-def: $sgpr2_sgpr3
	s_cbranch_scc1 .LBB43_3
; %bb.2:
	s_load_b32 s2, s[0:1], 0x20
	s_mul_u64 s[4:5], s[4:5], s[16:17]
	s_delay_alu instid0(SALU_CYCLE_1) | instskip(NEXT) | instid1(SALU_CYCLE_1)
	s_lshl_b64 s[4:5], s[4:5], 2
	s_add_nc_u64 s[4:5], s[14:15], s[4:5]
	s_wait_kmcnt 0x0
	s_ashr_i32 s3, s2, 31
	s_delay_alu instid0(SALU_CYCLE_1) | instskip(NEXT) | instid1(SALU_CYCLE_1)
	s_lshl_b64 s[2:3], s[2:3], 2
	s_add_nc_u64 s[2:3], s[4:5], s[2:3]
.LBB43_3:
	s_clause 0x1
	s_load_b128 s[8:11], s[0:1], 0x0
	s_load_b32 s14, s[0:1], 0x38
	s_wait_xcnt 0x0
	s_mul_u64 s[0:1], s[12:13], s[16:17]
	v_mov_b32_e32 v3, 0
	s_lshl_b64 s[0:1], s[0:1], 3
	s_wait_kmcnt 0x0
	v_add3_u32 v8, s11, s11, v0
	s_ashr_i32 s5, s10, 31
	s_mov_b32 s4, s10
	s_add_nc_u64 s[0:1], s[8:9], s[0:1]
	s_lshl_b64 s[4:5], s[4:5], 3
	v_add_nc_u32_e32 v10, s11, v8
	s_add_nc_u64 s[4:5], s[0:1], s[4:5]
	s_ashr_i32 s1, s11, 31
	s_mov_b32 s0, s11
	s_bitcmp0_b32 s14, 0
	v_add_nc_u32_e32 v12, s11, v10
	s_delay_alu instid0(VALU_DEP_1) | instskip(NEXT) | instid1(VALU_DEP_1)
	v_add_nc_u32_e32 v14, s11, v12
	v_add_nc_u32_e32 v16, s11, v14
	s_delay_alu instid0(VALU_DEP_1) | instskip(NEXT) | instid1(VALU_DEP_1)
	v_add_nc_u32_e32 v18, s11, v16
	;; [unrolled: 3-line block ×3, first 2 shown]
	v_dual_lshlrev_b32 v2, 3, v0 :: v_dual_add_nc_u32 v24, s11, v22
	s_delay_alu instid0(VALU_DEP_1) | instskip(NEXT) | instid1(VALU_DEP_2)
	v_add_nc_u64_e32 v[6:7], s[4:5], v[2:3]
	v_add_nc_u32_e32 v26, s11, v24
	s_delay_alu instid0(VALU_DEP_2) | instskip(SKIP_1) | instid1(VALU_DEP_2)
	v_lshl_add_u64 v[4:5], s[0:1], 3, v[6:7]
	s_mov_b32 s1, -1
	v_add_nc_u32_e32 v28, s11, v26
	s_clause 0x5
	global_load_b64 v[68:69], v0, s[4:5] scale_offset
	global_load_b64 v[70:71], v[4:5], off
	global_load_b64 v[72:73], v8, s[4:5] scale_offset
	global_load_b64 v[74:75], v10, s[4:5] scale_offset
	;; [unrolled: 1-line block ×4, first 2 shown]
	v_add_nc_u32_e32 v30, s11, v28
	s_clause 0x3
	global_load_b64 v[80:81], v16, s[4:5] scale_offset
	global_load_b64 v[82:83], v18, s[4:5] scale_offset
	;; [unrolled: 1-line block ×4, first 2 shown]
	v_add_nc_u32_e32 v32, s11, v30
	s_delay_alu instid0(VALU_DEP_1) | instskip(NEXT) | instid1(VALU_DEP_1)
	v_add_nc_u32_e32 v34, s11, v32
	v_add_nc_u32_e32 v36, s11, v34
	s_clause 0x3
	global_load_b64 v[88:89], v24, s[4:5] scale_offset
	global_load_b64 v[90:91], v26, s[4:5] scale_offset
	;; [unrolled: 1-line block ×4, first 2 shown]
	v_add_nc_u32_e32 v38, s11, v36
	s_delay_alu instid0(VALU_DEP_1) | instskip(NEXT) | instid1(VALU_DEP_1)
	v_add_nc_u32_e32 v40, s11, v38
	v_add_nc_u32_e32 v42, s11, v40
	s_delay_alu instid0(VALU_DEP_1)
	v_add_nc_u32_e32 v44, s11, v42
	s_clause 0x3
	global_load_b64 v[96:97], v32, s[4:5] scale_offset
	global_load_b64 v[98:99], v34, s[4:5] scale_offset
	;; [unrolled: 1-line block ×4, first 2 shown]
	v_add_nc_u32_e32 v46, s11, v44
	s_delay_alu instid0(VALU_DEP_1)
	v_add_nc_u32_e32 v48, s11, v46
	s_clause 0x3
	global_load_b64 v[104:105], v40, s[4:5] scale_offset
	global_load_b64 v[106:107], v42, s[4:5] scale_offset
	;; [unrolled: 1-line block ×4, first 2 shown]
	v_add_nc_u32_e32 v50, s11, v48
	s_delay_alu instid0(VALU_DEP_1) | instskip(NEXT) | instid1(VALU_DEP_1)
	v_add_nc_u32_e32 v52, s11, v50
	v_add_nc_u32_e32 v54, s11, v52
	s_delay_alu instid0(VALU_DEP_1) | instskip(NEXT) | instid1(VALU_DEP_1)
	v_add_nc_u32_e32 v56, s11, v54
	v_add_nc_u32_e32 v58, s11, v56
	s_delay_alu instid0(VALU_DEP_1)
	v_add_nc_u32_e32 v60, s11, v58
	s_clause 0x5
	global_load_b64 v[112:113], v48, s[4:5] scale_offset
	global_load_b64 v[114:115], v50, s[4:5] scale_offset
	;; [unrolled: 1-line block ×6, first 2 shown]
	v_add_nc_u32_e32 v62, s11, v60
	s_delay_alu instid0(VALU_DEP_1) | instskip(NEXT) | instid1(VALU_DEP_1)
	v_add_nc_u32_e32 v64, s11, v62
	v_add_nc_u32_e32 v66, s11, v64
	s_wait_loadcnt 0x1a
	scratch_store_b128 off, v[68:71], off
	s_wait_loadcnt 0x18
	scratch_store_b128 off, v[72:75], off offset:16
	s_wait_xcnt 0x1
	v_add_nc_u32_e32 v68, s11, v66
	s_wait_loadcnt 0x16
	scratch_store_b128 off, v[76:79], off offset:32
	s_wait_loadcnt 0x14
	scratch_store_b128 off, v[80:83], off offset:48
	;; [unrolled: 2-line block ×3, first 2 shown]
	v_add_nc_u32_e32 v70, s11, v68
	s_wait_xcnt 0x3
	s_delay_alu instid0(VALU_DEP_1) | instskip(NEXT) | instid1(VALU_DEP_1)
	v_add_nc_u32_e32 v72, s11, v70
	v_add_nc_u32_e32 v74, s11, v72
	s_wait_loadcnt 0x10
	scratch_store_b128 off, v[88:91], off offset:80
	s_clause 0x1
	global_load_b64 v[124:125], v60, s[4:5] scale_offset
	global_load_b64 v[126:127], v62, s[4:5] scale_offset
	s_wait_loadcnt 0x10
	scratch_store_b128 off, v[92:95], off offset:96
	s_wait_loadcnt 0xe
	scratch_store_b128 off, v[96:99], off offset:112
	s_wait_xcnt 0x7
	v_add_nc_u32_e32 v76, s11, v74
	s_clause 0x3
	global_load_b64 v[92:93], v64, s[4:5] scale_offset
	global_load_b64 v[94:95], v66, s[4:5] scale_offset
	;; [unrolled: 1-line block ×4, first 2 shown]
	s_wait_loadcnt 0x10
	scratch_store_b128 off, v[100:103], off offset:128
	s_wait_loadcnt 0xe
	scratch_store_b128 off, v[104:107], off offset:144
	;; [unrolled: 2-line block ×3, first 2 shown]
	v_add_nc_u32_e32 v78, s11, v76
	s_delay_alu instid0(VALU_DEP_1) | instskip(NEXT) | instid1(VALU_DEP_1)
	v_add_nc_u32_e32 v80, s11, v78
	v_add_nc_u32_e32 v82, s11, v80
	s_delay_alu instid0(VALU_DEP_1)
	v_add_nc_u32_e32 v84, s11, v82
	s_clause 0x3
	global_load_b64 v[100:101], v72, s[4:5] scale_offset
	global_load_b64 v[102:103], v74, s[4:5] scale_offset
	;; [unrolled: 1-line block ×4, first 2 shown]
	s_wait_loadcnt 0xe
	scratch_store_b128 off, v[112:115], off offset:176
	s_wait_loadcnt 0xc
	scratch_store_b128 off, v[116:119], off offset:192
	v_add_nc_u32_e32 v86, s11, v84
	s_clause 0x3
	global_load_b64 v[108:109], v80, s[4:5] scale_offset
	global_load_b64 v[110:111], v82, s[4:5] scale_offset
	;; [unrolled: 1-line block ×4, first 2 shown]
	s_wait_loadcnt 0xe
	scratch_store_b128 off, v[120:123], off offset:208
	v_add_nc_u32_e32 v88, s11, v86
	s_delay_alu instid0(VALU_DEP_1)
	v_add_nc_u32_e32 v90, s11, v88
	s_clause 0x1
	global_load_b64 v[116:117], v88, s[4:5] scale_offset
	global_load_b64 v[118:119], v90, s[4:5] scale_offset
	s_wait_loadcnt 0xe
	scratch_store_b128 off, v[124:127], off offset:224
	s_wait_loadcnt 0xc
	scratch_store_b128 off, v[92:95], off offset:240
	;; [unrolled: 2-line block ×8, first 2 shown]
	s_cbranch_scc1 .LBB43_184
; %bb.4:
	v_cmp_eq_u32_e64 s0, 0, v0
	s_wait_xcnt 0x0
	s_and_saveexec_b32 s1, s0
; %bb.5:
	v_mov_b32_e32 v1, 0
	ds_store_b32 v1, v1 offset:704
; %bb.6:
	s_or_b32 exec_lo, exec_lo, s1
	s_wait_storecnt_dscnt 0x0
	s_barrier_signal -1
	s_barrier_wait -1
	scratch_load_b64 v[92:93], v0, off scale_offset
	s_mov_b32 s8, exec_lo
	s_wait_loadcnt 0x0
	v_cmpx_eq_f64_e32 0, v[92:93]
	s_cbranch_execz .LBB43_10
; %bb.7:
	v_mov_b32_e32 v1, 0
	s_mov_b32 s9, 0
	ds_load_b32 v3, v1 offset:704
	s_wait_dscnt 0x0
	v_readfirstlane_b32 s1, v3
	v_add_nc_u32_e32 v3, 1, v0
	s_cmp_eq_u32 s1, 0
	s_delay_alu instid0(VALU_DEP_1) | instskip(SKIP_1) | instid1(SALU_CYCLE_1)
	v_cmp_gt_i32_e32 vcc_lo, s1, v3
	s_cselect_b32 s10, -1, 0
	s_or_b32 s10, s10, vcc_lo
	s_delay_alu instid0(SALU_CYCLE_1)
	s_and_b32 exec_lo, exec_lo, s10
	s_cbranch_execz .LBB43_10
; %bb.8:
	v_mov_b32_e32 v9, s1
.LBB43_9:                               ; =>This Inner Loop Header: Depth=1
	ds_cmpstore_rtn_b32 v9, v1, v3, v9 offset:704
	s_wait_dscnt 0x0
	v_cmp_ne_u32_e32 vcc_lo, 0, v9
	v_cmp_le_i32_e64 s1, v9, v3
	s_and_b32 s1, vcc_lo, s1
	s_delay_alu instid0(SALU_CYCLE_1) | instskip(NEXT) | instid1(SALU_CYCLE_1)
	s_and_b32 s1, exec_lo, s1
	s_or_b32 s9, s1, s9
	s_delay_alu instid0(SALU_CYCLE_1)
	s_and_not1_b32 exec_lo, exec_lo, s9
	s_cbranch_execnz .LBB43_9
.LBB43_10:
	s_or_b32 exec_lo, exec_lo, s8
	v_mov_b32_e32 v1, 0
	s_barrier_signal -1
	s_barrier_wait -1
	ds_load_b32 v3, v1 offset:704
	s_and_saveexec_b32 s1, s0
	s_cbranch_execz .LBB43_12
; %bb.11:
	s_lshl_b64 s[8:9], s[16:17], 2
	s_delay_alu instid0(SALU_CYCLE_1)
	s_add_nc_u64 s[8:9], s[6:7], s[8:9]
	s_wait_dscnt 0x0
	global_store_b32 v1, v3, s[8:9]
.LBB43_12:
	s_wait_xcnt 0x0
	s_or_b32 exec_lo, exec_lo, s1
	s_wait_dscnt 0x0
	v_cmp_ne_u32_e32 vcc_lo, 0, v3
	s_mov_b32 s1, 0
	s_cbranch_vccnz .LBB43_184
; %bb.13:
	v_lshl_add_u32 v3, v0, 3, 0
	v_add_nc_u32_e32 v1, 0x160, v2
	scratch_load_b64 v[92:93], v3, off
	s_wait_loadcnt 0x0
	v_div_scale_f64 v[94:95], null, v[92:93], v[92:93], 1.0
	v_div_scale_f64 v[100:101], vcc_lo, 1.0, v[92:93], 1.0
	s_delay_alu instid0(VALU_DEP_2) | instskip(SKIP_1) | instid1(TRANS32_DEP_1)
	v_rcp_f64_e32 v[96:97], v[94:95]
	v_nop
	v_fma_f64 v[98:99], -v[94:95], v[96:97], 1.0
	s_delay_alu instid0(VALU_DEP_1) | instskip(NEXT) | instid1(VALU_DEP_1)
	v_fmac_f64_e32 v[96:97], v[96:97], v[98:99]
	v_fma_f64 v[98:99], -v[94:95], v[96:97], 1.0
	s_delay_alu instid0(VALU_DEP_1) | instskip(NEXT) | instid1(VALU_DEP_1)
	v_fmac_f64_e32 v[96:97], v[96:97], v[98:99]
	v_mul_f64_e32 v[98:99], v[100:101], v[96:97]
	s_delay_alu instid0(VALU_DEP_1) | instskip(NEXT) | instid1(VALU_DEP_1)
	v_fma_f64 v[94:95], -v[94:95], v[98:99], v[100:101]
	v_div_fmas_f64 v[94:95], v[94:95], v[96:97], v[98:99]
	s_delay_alu instid0(VALU_DEP_1)
	v_div_fixup_f64 v[92:93], v[94:95], v[92:93], 1.0
	scratch_store_b64 v3, v[92:93], off
	scratch_load_b64 v[94:95], off, off offset:8
	s_wait_xcnt 0x1
	v_xor_b32_e32 v93, 0x80000000, v93
	s_wait_loadcnt 0x0
	ds_store_2addr_b64 v2, v[92:93], v[94:95] offset1:44
	s_wait_storecnt_dscnt 0x0
	s_barrier_signal -1
	s_barrier_wait -1
	s_wait_xcnt 0x0
	s_and_saveexec_b32 s1, s0
	s_cbranch_execz .LBB43_15
; %bb.14:
	scratch_load_b64 v[92:93], v3, off
	ds_load_b64 v[94:95], v1
	s_wait_loadcnt_dscnt 0x0
	v_fma_f64 v[92:93], v[92:93], v[94:95], 0
	v_mov_b32_e32 v9, 0
	ds_load_b64 v[96:97], v9 offset:8
	s_wait_dscnt 0x0
	v_mul_f64_e32 v[92:93], v[92:93], v[96:97]
	scratch_store_b64 off, v[92:93], off offset:8
.LBB43_15:
	s_wait_xcnt 0x0
	s_or_b32 exec_lo, exec_lo, s1
	s_wait_storecnt 0x0
	s_barrier_signal -1
	s_barrier_wait -1
	scratch_load_b64 v[92:93], off, off offset:16
	s_mov_b32 s1, exec_lo
	s_wait_loadcnt 0x0
	ds_store_b64 v1, v[92:93]
	s_wait_dscnt 0x0
	s_barrier_signal -1
	s_barrier_wait -1
	v_cmpx_gt_u32_e32 2, v0
	s_cbranch_execz .LBB43_19
; %bb.16:
	scratch_load_b64 v[92:93], v3, off
	ds_load_b64 v[94:95], v1
	s_wait_loadcnt_dscnt 0x0
	v_fma_f64 v[92:93], v[92:93], v[94:95], 0
	s_and_saveexec_b32 s8, s0
	s_cbranch_execz .LBB43_18
; %bb.17:
	scratch_load_b64 v[94:95], off, off offset:8
	v_mov_b32_e32 v3, 0
	ds_load_b64 v[96:97], v3 offset:360
	s_wait_loadcnt_dscnt 0x0
	v_fmac_f64_e32 v[92:93], v[94:95], v[96:97]
.LBB43_18:
	s_or_b32 exec_lo, exec_lo, s8
	v_mov_b32_e32 v3, 0
	ds_load_b64 v[94:95], v3 offset:16
	s_wait_dscnt 0x0
	v_mul_f64_e32 v[92:93], v[92:93], v[94:95]
	scratch_store_b64 off, v[92:93], off offset:16
.LBB43_19:
	s_wait_xcnt 0x0
	s_or_b32 exec_lo, exec_lo, s1
	s_wait_storecnt 0x0
	s_barrier_signal -1
	s_barrier_wait -1
	scratch_load_b64 v[92:93], off, off offset:24
	v_add_nc_u32_e32 v3, -1, v0
	s_mov_b32 s0, exec_lo
	s_wait_loadcnt 0x0
	ds_store_b64 v1, v[92:93]
	s_wait_dscnt 0x0
	s_barrier_signal -1
	s_barrier_wait -1
	v_cmpx_gt_u32_e32 3, v0
	s_cbranch_execz .LBB43_23
; %bb.20:
	v_mov_b64_e32 v[92:93], 0
	v_dual_add_nc_u32 v9, -1, v0 :: v_dual_mov_b32 v13, v2
	v_add_nc_u32_e32 v11, 0x160, v2
	s_mov_b32 s1, 0
.LBB43_21:                              ; =>This Inner Loop Header: Depth=1
	scratch_load_b64 v[94:95], v13, off
	ds_load_b64 v[96:97], v11
	v_dual_add_nc_u32 v9, 1, v9 :: v_dual_add_nc_u32 v11, 8, v11
	s_wait_xcnt 0x0
	v_add_nc_u32_e32 v13, 8, v13
	s_delay_alu instid0(VALU_DEP_2)
	v_cmp_lt_u32_e32 vcc_lo, 1, v9
	s_or_b32 s1, vcc_lo, s1
	s_wait_loadcnt_dscnt 0x0
	v_fmac_f64_e32 v[92:93], v[94:95], v[96:97]
	s_and_not1_b32 exec_lo, exec_lo, s1
	s_cbranch_execnz .LBB43_21
; %bb.22:
	s_or_b32 exec_lo, exec_lo, s1
	v_mov_b32_e32 v9, 0
	ds_load_b64 v[94:95], v9 offset:24
	s_wait_dscnt 0x0
	v_mul_f64_e32 v[92:93], v[92:93], v[94:95]
	scratch_store_b64 off, v[92:93], off offset:24
.LBB43_23:
	s_wait_xcnt 0x0
	s_or_b32 exec_lo, exec_lo, s0
	s_wait_storecnt 0x0
	s_barrier_signal -1
	s_barrier_wait -1
	scratch_load_b64 v[92:93], off, off offset:32
	s_mov_b32 s0, exec_lo
	s_wait_loadcnt 0x0
	ds_store_b64 v1, v[92:93]
	s_wait_dscnt 0x0
	s_barrier_signal -1
	s_barrier_wait -1
	v_cmpx_gt_u32_e32 4, v0
	s_cbranch_execz .LBB43_27
; %bb.24:
	v_mov_b64_e32 v[92:93], 0
	v_dual_add_nc_u32 v9, -1, v0 :: v_dual_mov_b32 v13, v2
	v_add_nc_u32_e32 v11, 0x160, v2
	s_mov_b32 s1, 0
.LBB43_25:                              ; =>This Inner Loop Header: Depth=1
	scratch_load_b64 v[94:95], v13, off
	ds_load_b64 v[96:97], v11
	v_dual_add_nc_u32 v9, 1, v9 :: v_dual_add_nc_u32 v11, 8, v11
	s_wait_xcnt 0x0
	v_add_nc_u32_e32 v13, 8, v13
	s_delay_alu instid0(VALU_DEP_2)
	v_cmp_lt_u32_e32 vcc_lo, 2, v9
	s_or_b32 s1, vcc_lo, s1
	s_wait_loadcnt_dscnt 0x0
	v_fmac_f64_e32 v[92:93], v[94:95], v[96:97]
	s_and_not1_b32 exec_lo, exec_lo, s1
	s_cbranch_execnz .LBB43_25
; %bb.26:
	s_or_b32 exec_lo, exec_lo, s1
	v_mov_b32_e32 v9, 0
	ds_load_b64 v[94:95], v9 offset:32
	s_wait_dscnt 0x0
	v_mul_f64_e32 v[92:93], v[92:93], v[94:95]
	scratch_store_b64 off, v[92:93], off offset:32
.LBB43_27:
	s_wait_xcnt 0x0
	s_or_b32 exec_lo, exec_lo, s0
	s_wait_storecnt 0x0
	s_barrier_signal -1
	s_barrier_wait -1
	scratch_load_b64 v[92:93], off, off offset:40
	;; [unrolled: 40-line block ×20, first 2 shown]
	s_mov_b32 s0, exec_lo
	s_wait_loadcnt 0x0
	ds_store_b64 v1, v[92:93]
	s_wait_dscnt 0x0
	s_barrier_signal -1
	s_barrier_wait -1
	v_cmpx_gt_u32_e32 23, v0
	s_cbranch_execz .LBB43_103
; %bb.100:
	v_mov_b64_e32 v[92:93], 0
	v_dual_add_nc_u32 v9, -1, v0 :: v_dual_mov_b32 v13, v2
	v_add_nc_u32_e32 v11, 0x160, v2
	s_mov_b32 s1, 0
.LBB43_101:                             ; =>This Inner Loop Header: Depth=1
	scratch_load_b64 v[94:95], v13, off
	ds_load_b64 v[96:97], v11
	v_dual_add_nc_u32 v9, 1, v9 :: v_dual_add_nc_u32 v11, 8, v11
	s_wait_xcnt 0x0
	v_add_nc_u32_e32 v13, 8, v13
	s_delay_alu instid0(VALU_DEP_2)
	v_cmp_lt_u32_e32 vcc_lo, 21, v9
	s_or_b32 s1, vcc_lo, s1
	s_wait_loadcnt_dscnt 0x0
	v_fmac_f64_e32 v[92:93], v[94:95], v[96:97]
	s_and_not1_b32 exec_lo, exec_lo, s1
	s_cbranch_execnz .LBB43_101
; %bb.102:
	s_or_b32 exec_lo, exec_lo, s1
	v_mov_b32_e32 v9, 0
	ds_load_b64 v[94:95], v9 offset:184
	s_wait_dscnt 0x0
	v_mul_f64_e32 v[92:93], v[92:93], v[94:95]
	scratch_store_b64 off, v[92:93], off offset:184
.LBB43_103:
	s_wait_xcnt 0x0
	s_or_b32 exec_lo, exec_lo, s0
	s_wait_storecnt 0x0
	s_barrier_signal -1
	s_barrier_wait -1
	scratch_load_b64 v[92:93], off, off offset:192
	s_mov_b32 s0, exec_lo
	s_wait_loadcnt 0x0
	ds_store_b64 v1, v[92:93]
	s_wait_dscnt 0x0
	s_barrier_signal -1
	s_barrier_wait -1
	v_cmpx_gt_u32_e32 24, v0
	s_cbranch_execz .LBB43_107
; %bb.104:
	v_mov_b64_e32 v[92:93], 0
	v_dual_add_nc_u32 v9, -1, v0 :: v_dual_mov_b32 v13, v2
	v_add_nc_u32_e32 v11, 0x160, v2
	s_mov_b32 s1, 0
.LBB43_105:                             ; =>This Inner Loop Header: Depth=1
	scratch_load_b64 v[94:95], v13, off
	ds_load_b64 v[96:97], v11
	v_dual_add_nc_u32 v9, 1, v9 :: v_dual_add_nc_u32 v11, 8, v11
	s_wait_xcnt 0x0
	v_add_nc_u32_e32 v13, 8, v13
	s_delay_alu instid0(VALU_DEP_2)
	v_cmp_lt_u32_e32 vcc_lo, 22, v9
	s_or_b32 s1, vcc_lo, s1
	s_wait_loadcnt_dscnt 0x0
	v_fmac_f64_e32 v[92:93], v[94:95], v[96:97]
	s_and_not1_b32 exec_lo, exec_lo, s1
	s_cbranch_execnz .LBB43_105
; %bb.106:
	s_or_b32 exec_lo, exec_lo, s1
	v_mov_b32_e32 v9, 0
	ds_load_b64 v[94:95], v9 offset:192
	s_wait_dscnt 0x0
	v_mul_f64_e32 v[92:93], v[92:93], v[94:95]
	scratch_store_b64 off, v[92:93], off offset:192
.LBB43_107:
	s_wait_xcnt 0x0
	s_or_b32 exec_lo, exec_lo, s0
	s_wait_storecnt 0x0
	s_barrier_signal -1
	s_barrier_wait -1
	scratch_load_b64 v[92:93], off, off offset:200
	;; [unrolled: 40-line block ×20, first 2 shown]
	s_mov_b32 s0, exec_lo
	s_wait_loadcnt 0x0
	ds_store_b64 v1, v[92:93]
	s_wait_dscnt 0x0
	s_barrier_signal -1
	s_barrier_wait -1
	v_cmpx_ne_u32_e32 43, v0
	s_cbranch_execz .LBB43_183
; %bb.180:
	v_mov_b64_e32 v[92:93], 0
	s_mov_b32 s1, 0
.LBB43_181:                             ; =>This Inner Loop Header: Depth=1
	scratch_load_b64 v[94:95], v2, off
	ds_load_b64 v[96:97], v1
	v_dual_add_nc_u32 v3, 1, v3 :: v_dual_add_nc_u32 v1, 8, v1
	s_wait_xcnt 0x0
	v_add_nc_u32_e32 v2, 8, v2
	s_delay_alu instid0(VALU_DEP_2)
	v_cmp_lt_u32_e32 vcc_lo, 41, v3
	s_or_b32 s1, vcc_lo, s1
	s_wait_loadcnt_dscnt 0x0
	v_fmac_f64_e32 v[92:93], v[94:95], v[96:97]
	s_and_not1_b32 exec_lo, exec_lo, s1
	s_cbranch_execnz .LBB43_181
; %bb.182:
	s_or_b32 exec_lo, exec_lo, s1
	v_mov_b32_e32 v1, 0
	ds_load_b64 v[2:3], v1 offset:344
	s_wait_dscnt 0x0
	v_mul_f64_e32 v[2:3], v[92:93], v[2:3]
	scratch_store_b64 off, v[2:3], off offset:344
.LBB43_183:
	s_wait_xcnt 0x0
	s_or_b32 exec_lo, exec_lo, s0
	s_mov_b32 s1, -1
	s_wait_storecnt 0x0
	s_barrier_signal -1
	s_barrier_wait -1
.LBB43_184:
	s_and_b32 vcc_lo, exec_lo, s1
	s_cbranch_vccz .LBB43_186
; %bb.185:
	v_mov_b32_e32 v1, 0
	s_lshl_b64 s[0:1], s[16:17], 2
	s_delay_alu instid0(SALU_CYCLE_1)
	s_add_nc_u64 s[0:1], s[6:7], s[0:1]
	global_load_b32 v1, v1, s[0:1]
	s_wait_loadcnt 0x0
	v_cmp_ne_u32_e32 vcc_lo, 0, v1
	s_cbranch_vccz .LBB43_187
.LBB43_186:
	s_sendmsg sendmsg(MSG_DEALLOC_VGPRS)
	s_endpgm
.LBB43_187:
	s_wait_xcnt 0x0
	v_lshl_add_u32 v1, v0, 3, 0x160
	s_mov_b32 s0, exec_lo
	v_cmpx_eq_u32_e32 43, v0
	s_cbranch_execz .LBB43_189
; %bb.188:
	scratch_load_b64 v[2:3], off, off offset:336
	v_mov_b64_e32 v[92:93], 0
	scratch_store_b64 off, v[92:93], off offset:336
	s_wait_loadcnt 0x0
	ds_store_b64 v1, v[2:3]
.LBB43_189:
	s_wait_xcnt 0x0
	s_or_b32 exec_lo, exec_lo, s0
	s_wait_storecnt_dscnt 0x0
	s_barrier_signal -1
	s_barrier_wait -1
	scratch_load_b128 v[92:95], off, off offset:336
	v_mov_b32_e32 v2, 0
	s_mov_b32 s0, exec_lo
	ds_load_b64 v[96:97], v2 offset:696
	s_wait_loadcnt_dscnt 0x0
	v_fma_f64 v[94:95], v[94:95], v[96:97], 0
	s_delay_alu instid0(VALU_DEP_1)
	v_add_f64_e64 v[92:93], v[92:93], -v[94:95]
	scratch_store_b64 off, v[92:93], off offset:336
	s_wait_xcnt 0x0
	v_cmpx_lt_u32_e32 41, v0
	s_cbranch_execz .LBB43_191
; %bb.190:
	scratch_load_b64 v[92:93], off, off offset:328
	v_mov_b64_e32 v[94:95], 0
	scratch_store_b64 off, v[94:95], off offset:328
	s_wait_loadcnt 0x0
	ds_store_b64 v1, v[92:93]
.LBB43_191:
	s_wait_xcnt 0x0
	s_or_b32 exec_lo, exec_lo, s0
	s_wait_storecnt_dscnt 0x0
	s_barrier_signal -1
	s_barrier_wait -1
	s_clause 0x1
	scratch_load_b128 v[92:95], off, off offset:328
	scratch_load_b64 v[100:101], off, off offset:344
	ds_load_b128 v[96:99], v2 offset:688
	s_mov_b32 s0, exec_lo
	s_wait_loadcnt_dscnt 0x100
	v_fma_f64 v[2:3], v[94:95], v[96:97], 0
	s_wait_loadcnt 0x0
	s_delay_alu instid0(VALU_DEP_1) | instskip(NEXT) | instid1(VALU_DEP_1)
	v_fmac_f64_e32 v[2:3], v[100:101], v[98:99]
	v_add_f64_e64 v[2:3], v[92:93], -v[2:3]
	scratch_store_b64 off, v[2:3], off offset:328
	s_wait_xcnt 0x0
	v_cmpx_lt_u32_e32 40, v0
	s_cbranch_execz .LBB43_193
; %bb.192:
	scratch_load_b64 v[2:3], off, off offset:320
	v_mov_b64_e32 v[92:93], 0
	scratch_store_b64 off, v[92:93], off offset:320
	s_wait_loadcnt 0x0
	ds_store_b64 v1, v[2:3]
.LBB43_193:
	s_wait_xcnt 0x0
	s_or_b32 exec_lo, exec_lo, s0
	s_wait_storecnt_dscnt 0x0
	s_barrier_signal -1
	s_barrier_wait -1
	s_clause 0x1
	scratch_load_b128 v[92:95], off, off offset:320
	scratch_load_b128 v[96:99], off, off offset:336
	v_mov_b32_e32 v2, 0
	ds_load_2addr_b64 v[100:103], v2 offset0:85 offset1:86
	ds_load_b64 v[104:105], v2 offset:696
	s_mov_b32 s0, exec_lo
	s_wait_loadcnt_dscnt 0x101
	v_fma_f64 v[94:95], v[94:95], v[100:101], 0
	s_wait_loadcnt 0x0
	s_delay_alu instid0(VALU_DEP_1) | instskip(SKIP_1) | instid1(VALU_DEP_1)
	v_fmac_f64_e32 v[94:95], v[96:97], v[102:103]
	s_wait_dscnt 0x0
	v_fmac_f64_e32 v[94:95], v[98:99], v[104:105]
	s_delay_alu instid0(VALU_DEP_1)
	v_add_f64_e64 v[92:93], v[92:93], -v[94:95]
	scratch_store_b64 off, v[92:93], off offset:320
	s_wait_xcnt 0x0
	v_cmpx_lt_u32_e32 39, v0
	s_cbranch_execz .LBB43_195
; %bb.194:
	scratch_load_b64 v[92:93], off, off offset:312
	v_mov_b64_e32 v[94:95], 0
	scratch_store_b64 off, v[94:95], off offset:312
	s_wait_loadcnt 0x0
	ds_store_b64 v1, v[92:93]
.LBB43_195:
	s_wait_xcnt 0x0
	s_or_b32 exec_lo, exec_lo, s0
	s_wait_storecnt_dscnt 0x0
	s_barrier_signal -1
	s_barrier_wait -1
	s_clause 0x2
	scratch_load_b128 v[92:95], off, off offset:312
	scratch_load_b128 v[96:99], off, off offset:328
	scratch_load_b64 v[108:109], off, off offset:344
	ds_load_b128 v[100:103], v2 offset:672
	ds_load_b128 v[104:107], v2 offset:688
	s_mov_b32 s0, exec_lo
	s_wait_loadcnt_dscnt 0x201
	v_fma_f64 v[2:3], v[94:95], v[100:101], 0
	s_wait_loadcnt 0x1
	s_delay_alu instid0(VALU_DEP_1) | instskip(SKIP_1) | instid1(VALU_DEP_1)
	v_fmac_f64_e32 v[2:3], v[96:97], v[102:103]
	s_wait_dscnt 0x0
	v_fmac_f64_e32 v[2:3], v[98:99], v[104:105]
	s_wait_loadcnt 0x0
	s_delay_alu instid0(VALU_DEP_1) | instskip(NEXT) | instid1(VALU_DEP_1)
	v_fmac_f64_e32 v[2:3], v[108:109], v[106:107]
	v_add_f64_e64 v[2:3], v[92:93], -v[2:3]
	scratch_store_b64 off, v[2:3], off offset:312
	s_wait_xcnt 0x0
	v_cmpx_lt_u32_e32 38, v0
	s_cbranch_execz .LBB43_197
; %bb.196:
	scratch_load_b64 v[2:3], off, off offset:304
	v_mov_b64_e32 v[92:93], 0
	scratch_store_b64 off, v[92:93], off offset:304
	s_wait_loadcnt 0x0
	ds_store_b64 v1, v[2:3]
.LBB43_197:
	s_wait_xcnt 0x0
	s_or_b32 exec_lo, exec_lo, s0
	s_wait_storecnt_dscnt 0x0
	s_barrier_signal -1
	s_barrier_wait -1
	s_clause 0x2
	scratch_load_b128 v[92:95], off, off offset:304
	scratch_load_b128 v[96:99], off, off offset:320
	scratch_load_b128 v[100:103], off, off offset:336
	v_mov_b32_e32 v2, 0
	ds_load_2addr_b64 v[104:107], v2 offset0:83 offset1:84
	ds_load_2addr_b64 v[108:111], v2 offset0:85 offset1:86
	s_mov_b32 s0, exec_lo
	s_wait_loadcnt_dscnt 0x201
	v_fma_f64 v[94:95], v[94:95], v[104:105], 0
	s_wait_loadcnt 0x1
	s_delay_alu instid0(VALU_DEP_1) | instskip(SKIP_4) | instid1(VALU_DEP_1)
	v_fmac_f64_e32 v[94:95], v[96:97], v[106:107]
	ds_load_b64 v[96:97], v2 offset:696
	s_wait_dscnt 0x1
	v_fmac_f64_e32 v[94:95], v[98:99], v[108:109]
	s_wait_loadcnt 0x0
	v_fmac_f64_e32 v[94:95], v[100:101], v[110:111]
	s_wait_dscnt 0x0
	s_delay_alu instid0(VALU_DEP_1) | instskip(NEXT) | instid1(VALU_DEP_1)
	v_fmac_f64_e32 v[94:95], v[102:103], v[96:97]
	v_add_f64_e64 v[92:93], v[92:93], -v[94:95]
	scratch_store_b64 off, v[92:93], off offset:304
	s_wait_xcnt 0x0
	v_cmpx_lt_u32_e32 37, v0
	s_cbranch_execz .LBB43_199
; %bb.198:
	scratch_load_b64 v[92:93], off, off offset:296
	v_mov_b64_e32 v[94:95], 0
	scratch_store_b64 off, v[94:95], off offset:296
	s_wait_loadcnt 0x0
	ds_store_b64 v1, v[92:93]
.LBB43_199:
	s_wait_xcnt 0x0
	s_or_b32 exec_lo, exec_lo, s0
	s_wait_storecnt_dscnt 0x0
	s_barrier_signal -1
	s_barrier_wait -1
	s_clause 0x3
	scratch_load_b128 v[92:95], off, off offset:296
	scratch_load_b128 v[96:99], off, off offset:312
	;; [unrolled: 1-line block ×3, first 2 shown]
	scratch_load_b64 v[112:113], off, off offset:344
	ds_load_b128 v[104:107], v2 offset:656
	ds_load_b128 v[108:111], v2 offset:672
	s_mov_b32 s0, exec_lo
	s_wait_loadcnt_dscnt 0x301
	v_fma_f64 v[104:105], v[94:95], v[104:105], 0
	s_wait_loadcnt 0x2
	s_delay_alu instid0(VALU_DEP_1) | instskip(SKIP_4) | instid1(VALU_DEP_1)
	v_fmac_f64_e32 v[104:105], v[96:97], v[106:107]
	ds_load_b128 v[94:97], v2 offset:688
	s_wait_dscnt 0x1
	v_fmac_f64_e32 v[104:105], v[98:99], v[108:109]
	s_wait_loadcnt 0x1
	v_fmac_f64_e32 v[104:105], v[100:101], v[110:111]
	s_wait_dscnt 0x0
	s_delay_alu instid0(VALU_DEP_1) | instskip(SKIP_1) | instid1(VALU_DEP_1)
	v_fmac_f64_e32 v[104:105], v[102:103], v[94:95]
	s_wait_loadcnt 0x0
	v_fmac_f64_e32 v[104:105], v[112:113], v[96:97]
	s_delay_alu instid0(VALU_DEP_1)
	v_add_f64_e64 v[2:3], v[92:93], -v[104:105]
	scratch_store_b64 off, v[2:3], off offset:296
	s_wait_xcnt 0x0
	v_cmpx_lt_u32_e32 36, v0
	s_cbranch_execz .LBB43_201
; %bb.200:
	scratch_load_b64 v[2:3], off, off offset:288
	v_mov_b64_e32 v[92:93], 0
	scratch_store_b64 off, v[92:93], off offset:288
	s_wait_loadcnt 0x0
	ds_store_b64 v1, v[2:3]
.LBB43_201:
	s_wait_xcnt 0x0
	s_or_b32 exec_lo, exec_lo, s0
	s_wait_storecnt_dscnt 0x0
	s_barrier_signal -1
	s_barrier_wait -1
	s_clause 0x3
	scratch_load_b128 v[92:95], off, off offset:288
	scratch_load_b128 v[96:99], off, off offset:304
	;; [unrolled: 1-line block ×4, first 2 shown]
	v_mov_b32_e32 v2, 0
	ds_load_2addr_b64 v[108:111], v2 offset0:81 offset1:82
	ds_load_2addr_b64 v[112:115], v2 offset0:83 offset1:84
	s_mov_b32 s0, exec_lo
	s_wait_loadcnt_dscnt 0x301
	v_fma_f64 v[108:109], v[94:95], v[108:109], 0
	s_wait_loadcnt 0x2
	s_delay_alu instid0(VALU_DEP_1) | instskip(SKIP_1) | instid1(VALU_DEP_1)
	v_fmac_f64_e32 v[108:109], v[96:97], v[110:111]
	s_wait_dscnt 0x0
	v_fmac_f64_e32 v[108:109], v[98:99], v[112:113]
	ds_load_2addr_b64 v[94:97], v2 offset0:85 offset1:86
	ds_load_b64 v[98:99], v2 offset:696
	s_wait_loadcnt 0x1
	v_fmac_f64_e32 v[108:109], v[100:101], v[114:115]
	s_wait_dscnt 0x1
	s_delay_alu instid0(VALU_DEP_1) | instskip(SKIP_1) | instid1(VALU_DEP_1)
	v_fmac_f64_e32 v[108:109], v[102:103], v[94:95]
	s_wait_loadcnt 0x0
	v_fmac_f64_e32 v[108:109], v[104:105], v[96:97]
	s_wait_dscnt 0x0
	s_delay_alu instid0(VALU_DEP_1) | instskip(NEXT) | instid1(VALU_DEP_1)
	v_fmac_f64_e32 v[108:109], v[106:107], v[98:99]
	v_add_f64_e64 v[92:93], v[92:93], -v[108:109]
	scratch_store_b64 off, v[92:93], off offset:288
	s_wait_xcnt 0x0
	v_cmpx_lt_u32_e32 35, v0
	s_cbranch_execz .LBB43_203
; %bb.202:
	scratch_load_b64 v[92:93], off, off offset:280
	v_mov_b64_e32 v[94:95], 0
	scratch_store_b64 off, v[94:95], off offset:280
	s_wait_loadcnt 0x0
	ds_store_b64 v1, v[92:93]
.LBB43_203:
	s_wait_xcnt 0x0
	s_or_b32 exec_lo, exec_lo, s0
	s_wait_storecnt_dscnt 0x0
	s_barrier_signal -1
	s_barrier_wait -1
	s_clause 0x4
	scratch_load_b128 v[92:95], off, off offset:280
	scratch_load_b128 v[96:99], off, off offset:296
	;; [unrolled: 1-line block ×4, first 2 shown]
	scratch_load_b64 v[116:117], off, off offset:344
	ds_load_b128 v[108:111], v2 offset:640
	ds_load_b128 v[112:115], v2 offset:656
	s_mov_b32 s0, exec_lo
	s_wait_loadcnt_dscnt 0x401
	v_fma_f64 v[108:109], v[94:95], v[108:109], 0
	s_wait_loadcnt 0x3
	s_delay_alu instid0(VALU_DEP_1) | instskip(SKIP_1) | instid1(VALU_DEP_1)
	v_fmac_f64_e32 v[108:109], v[96:97], v[110:111]
	s_wait_dscnt 0x0
	v_fmac_f64_e32 v[108:109], v[98:99], v[112:113]
	s_wait_loadcnt 0x2
	s_delay_alu instid0(VALU_DEP_1)
	v_fmac_f64_e32 v[108:109], v[100:101], v[114:115]
	ds_load_b128 v[94:97], v2 offset:672
	ds_load_b128 v[98:101], v2 offset:688
	s_wait_dscnt 0x1
	v_fmac_f64_e32 v[108:109], v[102:103], v[94:95]
	s_wait_loadcnt 0x1
	s_delay_alu instid0(VALU_DEP_1) | instskip(SKIP_1) | instid1(VALU_DEP_1)
	v_fmac_f64_e32 v[108:109], v[104:105], v[96:97]
	s_wait_dscnt 0x0
	v_fmac_f64_e32 v[108:109], v[106:107], v[98:99]
	s_wait_loadcnt 0x0
	s_delay_alu instid0(VALU_DEP_1) | instskip(NEXT) | instid1(VALU_DEP_1)
	v_fmac_f64_e32 v[108:109], v[116:117], v[100:101]
	v_add_f64_e64 v[2:3], v[92:93], -v[108:109]
	scratch_store_b64 off, v[2:3], off offset:280
	s_wait_xcnt 0x0
	v_cmpx_lt_u32_e32 34, v0
	s_cbranch_execz .LBB43_205
; %bb.204:
	scratch_load_b64 v[2:3], off, off offset:272
	v_mov_b64_e32 v[92:93], 0
	scratch_store_b64 off, v[92:93], off offset:272
	s_wait_loadcnt 0x0
	ds_store_b64 v1, v[2:3]
.LBB43_205:
	s_wait_xcnt 0x0
	s_or_b32 exec_lo, exec_lo, s0
	s_wait_storecnt_dscnt 0x0
	s_barrier_signal -1
	s_barrier_wait -1
	s_clause 0x4
	scratch_load_b128 v[92:95], off, off offset:272
	scratch_load_b128 v[96:99], off, off offset:288
	scratch_load_b128 v[100:103], off, off offset:304
	scratch_load_b128 v[104:107], off, off offset:320
	scratch_load_b128 v[108:111], off, off offset:336
	v_mov_b32_e32 v2, 0
	ds_load_2addr_b64 v[112:115], v2 offset0:79 offset1:80
	ds_load_2addr_b64 v[116:119], v2 offset0:81 offset1:82
	s_mov_b32 s0, exec_lo
	s_wait_loadcnt_dscnt 0x401
	v_fma_f64 v[112:113], v[94:95], v[112:113], 0
	s_wait_loadcnt 0x3
	s_delay_alu instid0(VALU_DEP_1) | instskip(SKIP_1) | instid1(VALU_DEP_1)
	v_fmac_f64_e32 v[112:113], v[96:97], v[114:115]
	s_wait_dscnt 0x0
	v_fmac_f64_e32 v[112:113], v[98:99], v[116:117]
	s_wait_loadcnt 0x2
	s_delay_alu instid0(VALU_DEP_1)
	v_fmac_f64_e32 v[112:113], v[100:101], v[118:119]
	ds_load_2addr_b64 v[94:97], v2 offset0:83 offset1:84
	ds_load_2addr_b64 v[98:101], v2 offset0:85 offset1:86
	s_wait_dscnt 0x1
	v_fmac_f64_e32 v[112:113], v[102:103], v[94:95]
	ds_load_b64 v[94:95], v2 offset:696
	s_wait_loadcnt 0x1
	v_fmac_f64_e32 v[112:113], v[104:105], v[96:97]
	s_wait_dscnt 0x1
	s_delay_alu instid0(VALU_DEP_1) | instskip(SKIP_1) | instid1(VALU_DEP_1)
	v_fmac_f64_e32 v[112:113], v[106:107], v[98:99]
	s_wait_loadcnt 0x0
	v_fmac_f64_e32 v[112:113], v[108:109], v[100:101]
	s_wait_dscnt 0x0
	s_delay_alu instid0(VALU_DEP_1) | instskip(NEXT) | instid1(VALU_DEP_1)
	v_fmac_f64_e32 v[112:113], v[110:111], v[94:95]
	v_add_f64_e64 v[92:93], v[92:93], -v[112:113]
	scratch_store_b64 off, v[92:93], off offset:272
	s_wait_xcnt 0x0
	v_cmpx_lt_u32_e32 33, v0
	s_cbranch_execz .LBB43_207
; %bb.206:
	scratch_load_b64 v[92:93], off, off offset:264
	v_mov_b64_e32 v[94:95], 0
	scratch_store_b64 off, v[94:95], off offset:264
	s_wait_loadcnt 0x0
	ds_store_b64 v1, v[92:93]
.LBB43_207:
	s_wait_xcnt 0x0
	s_or_b32 exec_lo, exec_lo, s0
	s_wait_storecnt_dscnt 0x0
	s_barrier_signal -1
	s_barrier_wait -1
	s_clause 0x5
	scratch_load_b128 v[92:95], off, off offset:264
	scratch_load_b128 v[96:99], off, off offset:280
	;; [unrolled: 1-line block ×5, first 2 shown]
	scratch_load_b64 v[120:121], off, off offset:344
	ds_load_b128 v[112:115], v2 offset:624
	ds_load_b128 v[116:119], v2 offset:640
	s_mov_b32 s0, exec_lo
	s_wait_loadcnt_dscnt 0x501
	v_fma_f64 v[112:113], v[94:95], v[112:113], 0
	s_wait_loadcnt 0x4
	s_delay_alu instid0(VALU_DEP_1) | instskip(SKIP_1) | instid1(VALU_DEP_1)
	v_fmac_f64_e32 v[112:113], v[96:97], v[114:115]
	s_wait_dscnt 0x0
	v_fmac_f64_e32 v[112:113], v[98:99], v[116:117]
	s_wait_loadcnt 0x3
	s_delay_alu instid0(VALU_DEP_1)
	v_fmac_f64_e32 v[112:113], v[100:101], v[118:119]
	ds_load_b128 v[94:97], v2 offset:656
	ds_load_b128 v[98:101], v2 offset:672
	s_wait_dscnt 0x1
	v_fmac_f64_e32 v[112:113], v[102:103], v[94:95]
	s_wait_loadcnt 0x2
	s_delay_alu instid0(VALU_DEP_1) | instskip(SKIP_4) | instid1(VALU_DEP_1)
	v_fmac_f64_e32 v[112:113], v[104:105], v[96:97]
	ds_load_b128 v[94:97], v2 offset:688
	s_wait_dscnt 0x1
	v_fmac_f64_e32 v[112:113], v[106:107], v[98:99]
	s_wait_loadcnt 0x1
	v_fmac_f64_e32 v[112:113], v[108:109], v[100:101]
	s_wait_dscnt 0x0
	s_delay_alu instid0(VALU_DEP_1) | instskip(SKIP_1) | instid1(VALU_DEP_1)
	v_fmac_f64_e32 v[112:113], v[110:111], v[94:95]
	s_wait_loadcnt 0x0
	v_fmac_f64_e32 v[112:113], v[120:121], v[96:97]
	s_delay_alu instid0(VALU_DEP_1)
	v_add_f64_e64 v[2:3], v[92:93], -v[112:113]
	scratch_store_b64 off, v[2:3], off offset:264
	s_wait_xcnt 0x0
	v_cmpx_lt_u32_e32 32, v0
	s_cbranch_execz .LBB43_209
; %bb.208:
	scratch_load_b64 v[2:3], off, off offset:256
	v_mov_b64_e32 v[92:93], 0
	scratch_store_b64 off, v[92:93], off offset:256
	s_wait_loadcnt 0x0
	ds_store_b64 v1, v[2:3]
.LBB43_209:
	s_wait_xcnt 0x0
	s_or_b32 exec_lo, exec_lo, s0
	s_wait_storecnt_dscnt 0x0
	s_barrier_signal -1
	s_barrier_wait -1
	s_clause 0x5
	scratch_load_b128 v[92:95], off, off offset:256
	scratch_load_b128 v[96:99], off, off offset:272
	;; [unrolled: 1-line block ×6, first 2 shown]
	v_mov_b32_e32 v2, 0
	ds_load_2addr_b64 v[116:119], v2 offset0:77 offset1:78
	ds_load_2addr_b64 v[120:123], v2 offset0:79 offset1:80
	s_mov_b32 s0, exec_lo
	s_wait_loadcnt_dscnt 0x501
	v_fma_f64 v[116:117], v[94:95], v[116:117], 0
	s_wait_loadcnt 0x4
	s_delay_alu instid0(VALU_DEP_1) | instskip(SKIP_1) | instid1(VALU_DEP_1)
	v_fmac_f64_e32 v[116:117], v[96:97], v[118:119]
	s_wait_dscnt 0x0
	v_fmac_f64_e32 v[116:117], v[98:99], v[120:121]
	s_wait_loadcnt 0x3
	s_delay_alu instid0(VALU_DEP_1)
	v_fmac_f64_e32 v[116:117], v[100:101], v[122:123]
	ds_load_2addr_b64 v[94:97], v2 offset0:81 offset1:82
	ds_load_2addr_b64 v[98:101], v2 offset0:83 offset1:84
	s_wait_dscnt 0x1
	v_fmac_f64_e32 v[116:117], v[102:103], v[94:95]
	s_wait_loadcnt 0x2
	s_delay_alu instid0(VALU_DEP_1) | instskip(SKIP_1) | instid1(VALU_DEP_1)
	v_fmac_f64_e32 v[116:117], v[104:105], v[96:97]
	s_wait_dscnt 0x0
	v_fmac_f64_e32 v[116:117], v[106:107], v[98:99]
	ds_load_2addr_b64 v[94:97], v2 offset0:85 offset1:86
	ds_load_b64 v[98:99], v2 offset:696
	s_wait_loadcnt 0x1
	v_fmac_f64_e32 v[116:117], v[108:109], v[100:101]
	s_wait_dscnt 0x1
	s_delay_alu instid0(VALU_DEP_1) | instskip(SKIP_1) | instid1(VALU_DEP_1)
	v_fmac_f64_e32 v[116:117], v[110:111], v[94:95]
	s_wait_loadcnt 0x0
	v_fmac_f64_e32 v[116:117], v[112:113], v[96:97]
	s_wait_dscnt 0x0
	s_delay_alu instid0(VALU_DEP_1) | instskip(NEXT) | instid1(VALU_DEP_1)
	v_fmac_f64_e32 v[116:117], v[114:115], v[98:99]
	v_add_f64_e64 v[92:93], v[92:93], -v[116:117]
	scratch_store_b64 off, v[92:93], off offset:256
	s_wait_xcnt 0x0
	v_cmpx_lt_u32_e32 31, v0
	s_cbranch_execz .LBB43_211
; %bb.210:
	scratch_load_b64 v[92:93], off, off offset:248
	v_mov_b64_e32 v[94:95], 0
	scratch_store_b64 off, v[94:95], off offset:248
	s_wait_loadcnt 0x0
	ds_store_b64 v1, v[92:93]
.LBB43_211:
	s_wait_xcnt 0x0
	s_or_b32 exec_lo, exec_lo, s0
	s_wait_storecnt_dscnt 0x0
	s_barrier_signal -1
	s_barrier_wait -1
	s_clause 0x5
	scratch_load_b128 v[92:95], off, off offset:248
	scratch_load_b128 v[96:99], off, off offset:264
	;; [unrolled: 1-line block ×6, first 2 shown]
	ds_load_b128 v[116:119], v2 offset:608
	ds_load_b128 v[120:123], v2 offset:624
	s_mov_b32 s0, exec_lo
	s_wait_loadcnt_dscnt 0x501
	v_fma_f64 v[116:117], v[94:95], v[116:117], 0
	s_wait_loadcnt 0x4
	s_delay_alu instid0(VALU_DEP_1) | instskip(SKIP_4) | instid1(VALU_DEP_1)
	v_fmac_f64_e32 v[116:117], v[96:97], v[118:119]
	scratch_load_b64 v[118:119], off, off offset:344
	s_wait_dscnt 0x0
	v_fmac_f64_e32 v[116:117], v[98:99], v[120:121]
	s_wait_loadcnt 0x4
	v_fmac_f64_e32 v[116:117], v[100:101], v[122:123]
	ds_load_b128 v[94:97], v2 offset:640
	ds_load_b128 v[98:101], v2 offset:656
	s_wait_dscnt 0x1
	v_fmac_f64_e32 v[116:117], v[102:103], v[94:95]
	s_wait_loadcnt 0x3
	s_delay_alu instid0(VALU_DEP_1) | instskip(SKIP_1) | instid1(VALU_DEP_1)
	v_fmac_f64_e32 v[116:117], v[104:105], v[96:97]
	s_wait_dscnt 0x0
	v_fmac_f64_e32 v[116:117], v[106:107], v[98:99]
	s_wait_loadcnt 0x2
	s_delay_alu instid0(VALU_DEP_1)
	v_fmac_f64_e32 v[116:117], v[108:109], v[100:101]
	ds_load_b128 v[94:97], v2 offset:672
	ds_load_b128 v[98:101], v2 offset:688
	s_wait_dscnt 0x1
	v_fmac_f64_e32 v[116:117], v[110:111], v[94:95]
	s_wait_loadcnt 0x1
	s_delay_alu instid0(VALU_DEP_1) | instskip(SKIP_1) | instid1(VALU_DEP_1)
	v_fmac_f64_e32 v[116:117], v[112:113], v[96:97]
	s_wait_dscnt 0x0
	v_fmac_f64_e32 v[116:117], v[114:115], v[98:99]
	s_wait_loadcnt 0x0
	s_delay_alu instid0(VALU_DEP_1) | instskip(NEXT) | instid1(VALU_DEP_1)
	v_fmac_f64_e32 v[116:117], v[118:119], v[100:101]
	v_add_f64_e64 v[2:3], v[92:93], -v[116:117]
	scratch_store_b64 off, v[2:3], off offset:248
	s_wait_xcnt 0x0
	v_cmpx_lt_u32_e32 30, v0
	s_cbranch_execz .LBB43_213
; %bb.212:
	scratch_load_b64 v[2:3], off, off offset:240
	v_mov_b64_e32 v[92:93], 0
	scratch_store_b64 off, v[92:93], off offset:240
	s_wait_loadcnt 0x0
	ds_store_b64 v1, v[2:3]
.LBB43_213:
	s_wait_xcnt 0x0
	s_or_b32 exec_lo, exec_lo, s0
	s_wait_storecnt_dscnt 0x0
	s_barrier_signal -1
	s_barrier_wait -1
	s_clause 0x5
	scratch_load_b128 v[92:95], off, off offset:240
	scratch_load_b128 v[96:99], off, off offset:256
	;; [unrolled: 1-line block ×6, first 2 shown]
	v_mov_b32_e32 v2, 0
	ds_load_2addr_b64 v[116:119], v2 offset0:75 offset1:76
	ds_load_2addr_b64 v[120:123], v2 offset0:77 offset1:78
	s_mov_b32 s0, exec_lo
	s_wait_loadcnt_dscnt 0x501
	v_fma_f64 v[124:125], v[94:95], v[116:117], 0
	s_wait_loadcnt 0x4
	s_delay_alu instid0(VALU_DEP_1) | instskip(SKIP_4) | instid1(VALU_DEP_1)
	v_fmac_f64_e32 v[124:125], v[96:97], v[118:119]
	scratch_load_b128 v[94:97], off, off offset:336
	s_wait_dscnt 0x0
	v_fmac_f64_e32 v[124:125], v[98:99], v[120:121]
	s_wait_loadcnt 0x4
	v_fmac_f64_e32 v[124:125], v[100:101], v[122:123]
	ds_load_2addr_b64 v[98:101], v2 offset0:79 offset1:80
	ds_load_2addr_b64 v[116:119], v2 offset0:81 offset1:82
	s_wait_dscnt 0x1
	v_fmac_f64_e32 v[124:125], v[102:103], v[98:99]
	s_wait_loadcnt 0x3
	s_delay_alu instid0(VALU_DEP_1)
	v_fmac_f64_e32 v[124:125], v[104:105], v[100:101]
	ds_load_2addr_b64 v[98:101], v2 offset0:83 offset1:84
	ds_load_2addr_b64 v[102:105], v2 offset0:85 offset1:86
	s_wait_dscnt 0x2
	v_fmac_f64_e32 v[124:125], v[106:107], v[116:117]
	s_wait_loadcnt 0x2
	s_delay_alu instid0(VALU_DEP_1) | instskip(SKIP_1) | instid1(VALU_DEP_1)
	v_fmac_f64_e32 v[124:125], v[108:109], v[118:119]
	s_wait_dscnt 0x1
	v_fmac_f64_e32 v[124:125], v[110:111], v[98:99]
	s_wait_loadcnt 0x1
	s_delay_alu instid0(VALU_DEP_1) | instskip(SKIP_1) | instid1(VALU_DEP_1)
	v_fmac_f64_e32 v[124:125], v[112:113], v[100:101]
	s_wait_dscnt 0x0
	v_fmac_f64_e32 v[124:125], v[114:115], v[102:103]
	s_wait_loadcnt 0x0
	s_delay_alu instid0(VALU_DEP_1) | instskip(SKIP_3) | instid1(VALU_DEP_1)
	v_fmac_f64_e32 v[124:125], v[94:95], v[104:105]
	ds_load_b64 v[94:95], v2 offset:696
	s_wait_dscnt 0x0
	v_fmac_f64_e32 v[124:125], v[96:97], v[94:95]
	v_add_f64_e64 v[92:93], v[92:93], -v[124:125]
	scratch_store_b64 off, v[92:93], off offset:240
	s_wait_xcnt 0x0
	v_cmpx_lt_u32_e32 29, v0
	s_cbranch_execz .LBB43_215
; %bb.214:
	scratch_load_b64 v[92:93], off, off offset:232
	v_mov_b64_e32 v[94:95], 0
	scratch_store_b64 off, v[94:95], off offset:232
	s_wait_loadcnt 0x0
	ds_store_b64 v1, v[92:93]
.LBB43_215:
	s_wait_xcnt 0x0
	s_or_b32 exec_lo, exec_lo, s0
	s_wait_storecnt_dscnt 0x0
	s_barrier_signal -1
	s_barrier_wait -1
	s_clause 0x5
	scratch_load_b128 v[92:95], off, off offset:232
	scratch_load_b128 v[96:99], off, off offset:248
	;; [unrolled: 1-line block ×6, first 2 shown]
	ds_load_b128 v[116:119], v2 offset:592
	ds_load_b128 v[120:123], v2 offset:608
	s_mov_b32 s0, exec_lo
	s_wait_loadcnt_dscnt 0x501
	v_fma_f64 v[124:125], v[94:95], v[116:117], 0
	s_wait_loadcnt 0x4
	s_delay_alu instid0(VALU_DEP_1)
	v_fmac_f64_e32 v[124:125], v[96:97], v[118:119]
	scratch_load_b128 v[94:97], off, off offset:328
	s_wait_dscnt 0x0
	v_fmac_f64_e32 v[124:125], v[98:99], v[120:121]
	scratch_load_b64 v[120:121], off, off offset:344
	s_wait_loadcnt 0x5
	v_fmac_f64_e32 v[124:125], v[100:101], v[122:123]
	ds_load_b128 v[98:101], v2 offset:624
	ds_load_b128 v[116:119], v2 offset:640
	s_wait_dscnt 0x1
	v_fmac_f64_e32 v[124:125], v[102:103], v[98:99]
	s_wait_loadcnt 0x4
	s_delay_alu instid0(VALU_DEP_1)
	v_fmac_f64_e32 v[124:125], v[104:105], v[100:101]
	ds_load_b128 v[98:101], v2 offset:656
	ds_load_b128 v[102:105], v2 offset:672
	s_wait_dscnt 0x2
	v_fmac_f64_e32 v[124:125], v[106:107], v[116:117]
	s_wait_loadcnt 0x3
	s_delay_alu instid0(VALU_DEP_1) | instskip(SKIP_1) | instid1(VALU_DEP_1)
	v_fmac_f64_e32 v[124:125], v[108:109], v[118:119]
	s_wait_dscnt 0x1
	v_fmac_f64_e32 v[124:125], v[110:111], v[98:99]
	s_wait_loadcnt 0x2
	s_delay_alu instid0(VALU_DEP_1) | instskip(SKIP_4) | instid1(VALU_DEP_1)
	v_fmac_f64_e32 v[124:125], v[112:113], v[100:101]
	ds_load_b128 v[98:101], v2 offset:688
	s_wait_dscnt 0x1
	v_fmac_f64_e32 v[124:125], v[114:115], v[102:103]
	s_wait_loadcnt 0x1
	v_fmac_f64_e32 v[124:125], v[94:95], v[104:105]
	s_wait_dscnt 0x0
	s_delay_alu instid0(VALU_DEP_1) | instskip(SKIP_1) | instid1(VALU_DEP_1)
	v_fmac_f64_e32 v[124:125], v[96:97], v[98:99]
	s_wait_loadcnt 0x0
	v_fmac_f64_e32 v[124:125], v[120:121], v[100:101]
	s_delay_alu instid0(VALU_DEP_1)
	v_add_f64_e64 v[2:3], v[92:93], -v[124:125]
	scratch_store_b64 off, v[2:3], off offset:232
	s_wait_xcnt 0x0
	v_cmpx_lt_u32_e32 28, v0
	s_cbranch_execz .LBB43_217
; %bb.216:
	scratch_load_b64 v[2:3], off, off offset:224
	v_mov_b64_e32 v[92:93], 0
	scratch_store_b64 off, v[92:93], off offset:224
	s_wait_loadcnt 0x0
	ds_store_b64 v1, v[2:3]
.LBB43_217:
	s_wait_xcnt 0x0
	s_or_b32 exec_lo, exec_lo, s0
	s_wait_storecnt_dscnt 0x0
	s_barrier_signal -1
	s_barrier_wait -1
	s_clause 0x5
	scratch_load_b128 v[92:95], off, off offset:224
	scratch_load_b128 v[96:99], off, off offset:240
	;; [unrolled: 1-line block ×6, first 2 shown]
	v_mov_b32_e32 v2, 0
	ds_load_2addr_b64 v[116:119], v2 offset0:73 offset1:74
	ds_load_2addr_b64 v[120:123], v2 offset0:75 offset1:76
	s_mov_b32 s0, exec_lo
	s_wait_loadcnt_dscnt 0x501
	v_fma_f64 v[124:125], v[94:95], v[116:117], 0
	s_wait_loadcnt 0x4
	s_delay_alu instid0(VALU_DEP_1) | instskip(SKIP_4) | instid1(VALU_DEP_1)
	v_fmac_f64_e32 v[124:125], v[96:97], v[118:119]
	scratch_load_b128 v[94:97], off, off offset:320
	s_wait_dscnt 0x0
	v_fmac_f64_e32 v[124:125], v[98:99], v[120:121]
	s_wait_loadcnt 0x4
	v_fmac_f64_e32 v[124:125], v[100:101], v[122:123]
	scratch_load_b128 v[98:101], off, off offset:336
	ds_load_2addr_b64 v[116:119], v2 offset0:77 offset1:78
	ds_load_2addr_b64 v[120:123], v2 offset0:79 offset1:80
	s_wait_dscnt 0x1
	v_fmac_f64_e32 v[124:125], v[102:103], v[116:117]
	s_wait_loadcnt 0x4
	s_delay_alu instid0(VALU_DEP_1) | instskip(SKIP_1) | instid1(VALU_DEP_1)
	v_fmac_f64_e32 v[124:125], v[104:105], v[118:119]
	s_wait_dscnt 0x0
	v_fmac_f64_e32 v[124:125], v[106:107], v[120:121]
	s_wait_loadcnt 0x3
	s_delay_alu instid0(VALU_DEP_1)
	v_fmac_f64_e32 v[124:125], v[108:109], v[122:123]
	ds_load_2addr_b64 v[102:105], v2 offset0:81 offset1:82
	ds_load_2addr_b64 v[106:109], v2 offset0:83 offset1:84
	s_wait_dscnt 0x1
	v_fmac_f64_e32 v[124:125], v[110:111], v[102:103]
	s_wait_loadcnt 0x2
	s_delay_alu instid0(VALU_DEP_1) | instskip(SKIP_1) | instid1(VALU_DEP_1)
	v_fmac_f64_e32 v[124:125], v[112:113], v[104:105]
	s_wait_dscnt 0x0
	v_fmac_f64_e32 v[124:125], v[114:115], v[106:107]
	s_wait_loadcnt 0x1
	s_delay_alu instid0(VALU_DEP_1)
	v_fmac_f64_e32 v[124:125], v[94:95], v[108:109]
	ds_load_2addr_b64 v[102:105], v2 offset0:85 offset1:86
	ds_load_b64 v[94:95], v2 offset:696
	s_wait_dscnt 0x1
	v_fmac_f64_e32 v[124:125], v[96:97], v[102:103]
	s_wait_loadcnt 0x0
	s_delay_alu instid0(VALU_DEP_1) | instskip(SKIP_1) | instid1(VALU_DEP_1)
	v_fmac_f64_e32 v[124:125], v[98:99], v[104:105]
	s_wait_dscnt 0x0
	v_fmac_f64_e32 v[124:125], v[100:101], v[94:95]
	s_delay_alu instid0(VALU_DEP_1)
	v_add_f64_e64 v[92:93], v[92:93], -v[124:125]
	scratch_store_b64 off, v[92:93], off offset:224
	s_wait_xcnt 0x0
	v_cmpx_lt_u32_e32 27, v0
	s_cbranch_execz .LBB43_219
; %bb.218:
	scratch_load_b64 v[92:93], off, off offset:216
	v_mov_b64_e32 v[94:95], 0
	scratch_store_b64 off, v[94:95], off offset:216
	s_wait_loadcnt 0x0
	ds_store_b64 v1, v[92:93]
.LBB43_219:
	s_wait_xcnt 0x0
	s_or_b32 exec_lo, exec_lo, s0
	s_wait_storecnt_dscnt 0x0
	s_barrier_signal -1
	s_barrier_wait -1
	s_clause 0x5
	scratch_load_b128 v[92:95], off, off offset:216
	scratch_load_b128 v[96:99], off, off offset:232
	;; [unrolled: 1-line block ×6, first 2 shown]
	ds_load_b128 v[116:119], v2 offset:576
	ds_load_b128 v[120:123], v2 offset:592
	s_mov_b32 s0, exec_lo
	s_wait_loadcnt_dscnt 0x501
	v_fma_f64 v[124:125], v[94:95], v[116:117], 0
	s_wait_loadcnt 0x4
	s_delay_alu instid0(VALU_DEP_1) | instskip(SKIP_4) | instid1(VALU_DEP_1)
	v_fmac_f64_e32 v[124:125], v[96:97], v[118:119]
	scratch_load_b128 v[94:97], off, off offset:312
	s_wait_dscnt 0x0
	v_fmac_f64_e32 v[124:125], v[98:99], v[120:121]
	s_wait_loadcnt 0x4
	v_fmac_f64_e32 v[124:125], v[100:101], v[122:123]
	scratch_load_b128 v[98:101], off, off offset:328
	ds_load_b128 v[116:119], v2 offset:608
	ds_load_b128 v[120:123], v2 offset:624
	s_wait_dscnt 0x1
	v_fmac_f64_e32 v[124:125], v[102:103], v[116:117]
	scratch_load_b64 v[116:117], off, off offset:344
	s_wait_loadcnt 0x5
	v_fmac_f64_e32 v[124:125], v[104:105], v[118:119]
	s_wait_dscnt 0x0
	s_delay_alu instid0(VALU_DEP_1) | instskip(SKIP_1) | instid1(VALU_DEP_1)
	v_fmac_f64_e32 v[124:125], v[106:107], v[120:121]
	s_wait_loadcnt 0x4
	v_fmac_f64_e32 v[124:125], v[108:109], v[122:123]
	ds_load_b128 v[102:105], v2 offset:640
	ds_load_b128 v[106:109], v2 offset:656
	s_wait_dscnt 0x1
	v_fmac_f64_e32 v[124:125], v[110:111], v[102:103]
	s_wait_loadcnt 0x3
	s_delay_alu instid0(VALU_DEP_1) | instskip(SKIP_1) | instid1(VALU_DEP_1)
	v_fmac_f64_e32 v[124:125], v[112:113], v[104:105]
	s_wait_dscnt 0x0
	v_fmac_f64_e32 v[124:125], v[114:115], v[106:107]
	s_wait_loadcnt 0x2
	s_delay_alu instid0(VALU_DEP_1)
	v_fmac_f64_e32 v[124:125], v[94:95], v[108:109]
	ds_load_b128 v[102:105], v2 offset:672
	ds_load_b128 v[106:109], v2 offset:688
	s_wait_dscnt 0x1
	v_fmac_f64_e32 v[124:125], v[96:97], v[102:103]
	s_wait_loadcnt 0x1
	s_delay_alu instid0(VALU_DEP_1) | instskip(SKIP_1) | instid1(VALU_DEP_1)
	v_fmac_f64_e32 v[124:125], v[98:99], v[104:105]
	s_wait_dscnt 0x0
	v_fmac_f64_e32 v[124:125], v[100:101], v[106:107]
	s_wait_loadcnt 0x0
	s_delay_alu instid0(VALU_DEP_1) | instskip(NEXT) | instid1(VALU_DEP_1)
	v_fmac_f64_e32 v[124:125], v[116:117], v[108:109]
	v_add_f64_e64 v[2:3], v[92:93], -v[124:125]
	scratch_store_b64 off, v[2:3], off offset:216
	s_wait_xcnt 0x0
	v_cmpx_lt_u32_e32 26, v0
	s_cbranch_execz .LBB43_221
; %bb.220:
	scratch_load_b64 v[2:3], off, off offset:208
	v_mov_b64_e32 v[92:93], 0
	scratch_store_b64 off, v[92:93], off offset:208
	s_wait_loadcnt 0x0
	ds_store_b64 v1, v[2:3]
.LBB43_221:
	s_wait_xcnt 0x0
	s_or_b32 exec_lo, exec_lo, s0
	s_wait_storecnt_dscnt 0x0
	s_barrier_signal -1
	s_barrier_wait -1
	s_clause 0x5
	scratch_load_b128 v[92:95], off, off offset:208
	scratch_load_b128 v[96:99], off, off offset:224
	;; [unrolled: 1-line block ×6, first 2 shown]
	v_mov_b32_e32 v2, 0
	ds_load_2addr_b64 v[116:119], v2 offset0:71 offset1:72
	ds_load_2addr_b64 v[120:123], v2 offset0:73 offset1:74
	s_mov_b32 s0, exec_lo
	s_wait_loadcnt_dscnt 0x501
	v_fma_f64 v[124:125], v[94:95], v[116:117], 0
	s_wait_loadcnt 0x4
	s_delay_alu instid0(VALU_DEP_1) | instskip(SKIP_4) | instid1(VALU_DEP_1)
	v_fmac_f64_e32 v[124:125], v[96:97], v[118:119]
	scratch_load_b128 v[94:97], off, off offset:304
	s_wait_dscnt 0x0
	v_fmac_f64_e32 v[124:125], v[98:99], v[120:121]
	s_wait_loadcnt 0x4
	v_fmac_f64_e32 v[124:125], v[100:101], v[122:123]
	scratch_load_b128 v[98:101], off, off offset:320
	ds_load_2addr_b64 v[116:119], v2 offset0:75 offset1:76
	ds_load_2addr_b64 v[120:123], v2 offset0:77 offset1:78
	s_wait_dscnt 0x1
	v_fmac_f64_e32 v[124:125], v[102:103], v[116:117]
	s_wait_loadcnt 0x4
	s_delay_alu instid0(VALU_DEP_1) | instskip(SKIP_4) | instid1(VALU_DEP_1)
	v_fmac_f64_e32 v[124:125], v[104:105], v[118:119]
	scratch_load_b128 v[102:105], off, off offset:336
	s_wait_dscnt 0x0
	v_fmac_f64_e32 v[124:125], v[106:107], v[120:121]
	s_wait_loadcnt 0x4
	v_fmac_f64_e32 v[124:125], v[108:109], v[122:123]
	ds_load_2addr_b64 v[106:109], v2 offset0:79 offset1:80
	ds_load_2addr_b64 v[116:119], v2 offset0:81 offset1:82
	s_wait_dscnt 0x1
	v_fmac_f64_e32 v[124:125], v[110:111], v[106:107]
	s_wait_loadcnt 0x3
	s_delay_alu instid0(VALU_DEP_1)
	v_fmac_f64_e32 v[124:125], v[112:113], v[108:109]
	ds_load_2addr_b64 v[106:109], v2 offset0:83 offset1:84
	ds_load_2addr_b64 v[110:113], v2 offset0:85 offset1:86
	s_wait_dscnt 0x2
	v_fmac_f64_e32 v[124:125], v[114:115], v[116:117]
	s_wait_loadcnt 0x2
	s_delay_alu instid0(VALU_DEP_1) | instskip(SKIP_4) | instid1(VALU_DEP_1)
	v_fmac_f64_e32 v[124:125], v[94:95], v[118:119]
	ds_load_b64 v[94:95], v2 offset:696
	s_wait_dscnt 0x2
	v_fmac_f64_e32 v[124:125], v[96:97], v[106:107]
	s_wait_loadcnt 0x1
	v_fmac_f64_e32 v[124:125], v[98:99], v[108:109]
	s_wait_dscnt 0x1
	s_delay_alu instid0(VALU_DEP_1) | instskip(SKIP_1) | instid1(VALU_DEP_1)
	v_fmac_f64_e32 v[124:125], v[100:101], v[110:111]
	s_wait_loadcnt 0x0
	v_fmac_f64_e32 v[124:125], v[102:103], v[112:113]
	s_wait_dscnt 0x0
	s_delay_alu instid0(VALU_DEP_1) | instskip(NEXT) | instid1(VALU_DEP_1)
	v_fmac_f64_e32 v[124:125], v[104:105], v[94:95]
	v_add_f64_e64 v[92:93], v[92:93], -v[124:125]
	scratch_store_b64 off, v[92:93], off offset:208
	s_wait_xcnt 0x0
	v_cmpx_lt_u32_e32 25, v0
	s_cbranch_execz .LBB43_223
; %bb.222:
	scratch_load_b64 v[92:93], off, off offset:200
	v_mov_b64_e32 v[94:95], 0
	scratch_store_b64 off, v[94:95], off offset:200
	s_wait_loadcnt 0x0
	ds_store_b64 v1, v[92:93]
.LBB43_223:
	s_wait_xcnt 0x0
	s_or_b32 exec_lo, exec_lo, s0
	s_wait_storecnt_dscnt 0x0
	s_barrier_signal -1
	s_barrier_wait -1
	s_clause 0x5
	scratch_load_b128 v[92:95], off, off offset:200
	scratch_load_b128 v[96:99], off, off offset:216
	scratch_load_b128 v[100:103], off, off offset:232
	scratch_load_b128 v[104:107], off, off offset:248
	scratch_load_b128 v[108:111], off, off offset:264
	scratch_load_b128 v[112:115], off, off offset:280
	ds_load_b128 v[116:119], v2 offset:560
	ds_load_b128 v[120:123], v2 offset:576
	s_mov_b32 s0, exec_lo
	s_wait_loadcnt_dscnt 0x501
	v_fma_f64 v[124:125], v[94:95], v[116:117], 0
	s_wait_loadcnt 0x4
	s_delay_alu instid0(VALU_DEP_1) | instskip(SKIP_4) | instid1(VALU_DEP_1)
	v_fmac_f64_e32 v[124:125], v[96:97], v[118:119]
	scratch_load_b128 v[94:97], off, off offset:296
	s_wait_dscnt 0x0
	v_fmac_f64_e32 v[124:125], v[98:99], v[120:121]
	s_wait_loadcnt 0x4
	v_fmac_f64_e32 v[124:125], v[100:101], v[122:123]
	scratch_load_b128 v[98:101], off, off offset:312
	ds_load_b128 v[116:119], v2 offset:592
	ds_load_b128 v[120:123], v2 offset:608
	s_wait_dscnt 0x1
	v_fmac_f64_e32 v[124:125], v[102:103], v[116:117]
	s_wait_loadcnt 0x4
	s_delay_alu instid0(VALU_DEP_1)
	v_fmac_f64_e32 v[124:125], v[104:105], v[118:119]
	scratch_load_b128 v[102:105], off, off offset:328
	s_wait_dscnt 0x0
	v_fmac_f64_e32 v[124:125], v[106:107], v[120:121]
	scratch_load_b64 v[120:121], off, off offset:344
	s_wait_loadcnt 0x5
	v_fmac_f64_e32 v[124:125], v[108:109], v[122:123]
	ds_load_b128 v[106:109], v2 offset:624
	ds_load_b128 v[116:119], v2 offset:640
	s_wait_dscnt 0x1
	v_fmac_f64_e32 v[124:125], v[110:111], v[106:107]
	s_wait_loadcnt 0x4
	s_delay_alu instid0(VALU_DEP_1)
	v_fmac_f64_e32 v[124:125], v[112:113], v[108:109]
	ds_load_b128 v[106:109], v2 offset:656
	ds_load_b128 v[110:113], v2 offset:672
	s_wait_dscnt 0x2
	v_fmac_f64_e32 v[124:125], v[114:115], v[116:117]
	s_wait_loadcnt 0x3
	s_delay_alu instid0(VALU_DEP_1) | instskip(SKIP_1) | instid1(VALU_DEP_1)
	v_fmac_f64_e32 v[124:125], v[94:95], v[118:119]
	s_wait_dscnt 0x1
	v_fmac_f64_e32 v[124:125], v[96:97], v[106:107]
	ds_load_b128 v[94:97], v2 offset:688
	s_wait_loadcnt 0x2
	v_fmac_f64_e32 v[124:125], v[98:99], v[108:109]
	s_wait_dscnt 0x1
	s_delay_alu instid0(VALU_DEP_1) | instskip(SKIP_1) | instid1(VALU_DEP_1)
	v_fmac_f64_e32 v[124:125], v[100:101], v[110:111]
	s_wait_loadcnt 0x1
	v_fmac_f64_e32 v[124:125], v[102:103], v[112:113]
	s_wait_dscnt 0x0
	s_delay_alu instid0(VALU_DEP_1) | instskip(SKIP_1) | instid1(VALU_DEP_1)
	v_fmac_f64_e32 v[124:125], v[104:105], v[94:95]
	s_wait_loadcnt 0x0
	v_fmac_f64_e32 v[124:125], v[120:121], v[96:97]
	s_delay_alu instid0(VALU_DEP_1)
	v_add_f64_e64 v[2:3], v[92:93], -v[124:125]
	scratch_store_b64 off, v[2:3], off offset:200
	s_wait_xcnt 0x0
	v_cmpx_lt_u32_e32 24, v0
	s_cbranch_execz .LBB43_225
; %bb.224:
	scratch_load_b64 v[2:3], off, off offset:192
	v_mov_b64_e32 v[92:93], 0
	scratch_store_b64 off, v[92:93], off offset:192
	s_wait_loadcnt 0x0
	ds_store_b64 v1, v[2:3]
.LBB43_225:
	s_wait_xcnt 0x0
	s_or_b32 exec_lo, exec_lo, s0
	s_wait_storecnt_dscnt 0x0
	s_barrier_signal -1
	s_barrier_wait -1
	s_clause 0x5
	scratch_load_b128 v[92:95], off, off offset:192
	scratch_load_b128 v[96:99], off, off offset:208
	;; [unrolled: 1-line block ×6, first 2 shown]
	v_mov_b32_e32 v2, 0
	ds_load_2addr_b64 v[116:119], v2 offset0:69 offset1:70
	ds_load_2addr_b64 v[120:123], v2 offset0:71 offset1:72
	s_mov_b32 s0, exec_lo
	s_wait_loadcnt_dscnt 0x501
	v_fma_f64 v[124:125], v[94:95], v[116:117], 0
	s_wait_loadcnt 0x4
	s_delay_alu instid0(VALU_DEP_1) | instskip(SKIP_4) | instid1(VALU_DEP_1)
	v_fmac_f64_e32 v[124:125], v[96:97], v[118:119]
	scratch_load_b128 v[94:97], off, off offset:288
	s_wait_dscnt 0x0
	v_fmac_f64_e32 v[124:125], v[98:99], v[120:121]
	s_wait_loadcnt 0x4
	v_fmac_f64_e32 v[124:125], v[100:101], v[122:123]
	scratch_load_b128 v[98:101], off, off offset:304
	ds_load_2addr_b64 v[116:119], v2 offset0:73 offset1:74
	ds_load_2addr_b64 v[120:123], v2 offset0:75 offset1:76
	s_wait_dscnt 0x1
	v_fmac_f64_e32 v[124:125], v[102:103], v[116:117]
	s_wait_loadcnt 0x4
	s_delay_alu instid0(VALU_DEP_1) | instskip(SKIP_4) | instid1(VALU_DEP_1)
	v_fmac_f64_e32 v[124:125], v[104:105], v[118:119]
	scratch_load_b128 v[102:105], off, off offset:320
	s_wait_dscnt 0x0
	v_fmac_f64_e32 v[124:125], v[106:107], v[120:121]
	s_wait_loadcnt 0x4
	v_fmac_f64_e32 v[124:125], v[108:109], v[122:123]
	scratch_load_b128 v[106:109], off, off offset:336
	ds_load_2addr_b64 v[116:119], v2 offset0:77 offset1:78
	ds_load_2addr_b64 v[120:123], v2 offset0:79 offset1:80
	s_wait_dscnt 0x1
	v_fmac_f64_e32 v[124:125], v[110:111], v[116:117]
	s_wait_loadcnt 0x4
	s_delay_alu instid0(VALU_DEP_1) | instskip(SKIP_1) | instid1(VALU_DEP_1)
	v_fmac_f64_e32 v[124:125], v[112:113], v[118:119]
	s_wait_dscnt 0x0
	v_fmac_f64_e32 v[124:125], v[114:115], v[120:121]
	ds_load_2addr_b64 v[110:113], v2 offset0:81 offset1:82
	ds_load_2addr_b64 v[114:117], v2 offset0:83 offset1:84
	s_wait_loadcnt 0x3
	v_fmac_f64_e32 v[124:125], v[94:95], v[122:123]
	s_wait_dscnt 0x1
	s_delay_alu instid0(VALU_DEP_1) | instskip(SKIP_1) | instid1(VALU_DEP_1)
	v_fmac_f64_e32 v[124:125], v[96:97], v[110:111]
	s_wait_loadcnt 0x2
	v_fmac_f64_e32 v[124:125], v[98:99], v[112:113]
	ds_load_2addr_b64 v[94:97], v2 offset0:85 offset1:86
	ds_load_b64 v[98:99], v2 offset:696
	s_wait_dscnt 0x2
	v_fmac_f64_e32 v[124:125], v[100:101], v[114:115]
	s_wait_loadcnt 0x1
	s_delay_alu instid0(VALU_DEP_1) | instskip(SKIP_1) | instid1(VALU_DEP_1)
	v_fmac_f64_e32 v[124:125], v[102:103], v[116:117]
	s_wait_dscnt 0x1
	v_fmac_f64_e32 v[124:125], v[104:105], v[94:95]
	s_wait_loadcnt 0x0
	s_delay_alu instid0(VALU_DEP_1) | instskip(SKIP_1) | instid1(VALU_DEP_1)
	v_fmac_f64_e32 v[124:125], v[106:107], v[96:97]
	s_wait_dscnt 0x0
	v_fmac_f64_e32 v[124:125], v[108:109], v[98:99]
	s_delay_alu instid0(VALU_DEP_1)
	v_add_f64_e64 v[92:93], v[92:93], -v[124:125]
	scratch_store_b64 off, v[92:93], off offset:192
	s_wait_xcnt 0x0
	v_cmpx_lt_u32_e32 23, v0
	s_cbranch_execz .LBB43_227
; %bb.226:
	scratch_load_b64 v[92:93], off, off offset:184
	v_mov_b64_e32 v[94:95], 0
	scratch_store_b64 off, v[94:95], off offset:184
	s_wait_loadcnt 0x0
	ds_store_b64 v1, v[92:93]
.LBB43_227:
	s_wait_xcnt 0x0
	s_or_b32 exec_lo, exec_lo, s0
	s_wait_storecnt_dscnt 0x0
	s_barrier_signal -1
	s_barrier_wait -1
	s_clause 0x5
	scratch_load_b128 v[92:95], off, off offset:184
	scratch_load_b128 v[96:99], off, off offset:200
	;; [unrolled: 1-line block ×6, first 2 shown]
	ds_load_b128 v[116:119], v2 offset:544
	ds_load_b128 v[120:123], v2 offset:560
	s_mov_b32 s0, exec_lo
	s_wait_loadcnt_dscnt 0x501
	v_fma_f64 v[124:125], v[94:95], v[116:117], 0
	s_wait_loadcnt 0x4
	s_delay_alu instid0(VALU_DEP_1) | instskip(SKIP_4) | instid1(VALU_DEP_1)
	v_fmac_f64_e32 v[124:125], v[96:97], v[118:119]
	scratch_load_b128 v[94:97], off, off offset:280
	s_wait_dscnt 0x0
	v_fmac_f64_e32 v[124:125], v[98:99], v[120:121]
	s_wait_loadcnt 0x4
	v_fmac_f64_e32 v[124:125], v[100:101], v[122:123]
	scratch_load_b128 v[98:101], off, off offset:296
	ds_load_b128 v[116:119], v2 offset:576
	ds_load_b128 v[120:123], v2 offset:592
	s_wait_dscnt 0x1
	v_fmac_f64_e32 v[124:125], v[102:103], v[116:117]
	s_wait_loadcnt 0x4
	s_delay_alu instid0(VALU_DEP_1) | instskip(SKIP_4) | instid1(VALU_DEP_1)
	v_fmac_f64_e32 v[124:125], v[104:105], v[118:119]
	scratch_load_b128 v[102:105], off, off offset:312
	s_wait_dscnt 0x0
	v_fmac_f64_e32 v[124:125], v[106:107], v[120:121]
	s_wait_loadcnt 0x4
	v_fmac_f64_e32 v[124:125], v[108:109], v[122:123]
	scratch_load_b128 v[106:109], off, off offset:328
	ds_load_b128 v[116:119], v2 offset:608
	ds_load_b128 v[120:123], v2 offset:624
	s_wait_dscnt 0x1
	v_fmac_f64_e32 v[124:125], v[110:111], v[116:117]
	s_wait_loadcnt 0x4
	s_delay_alu instid0(VALU_DEP_1)
	v_fmac_f64_e32 v[124:125], v[112:113], v[118:119]
	scratch_load_b64 v[118:119], off, off offset:344
	s_wait_dscnt 0x0
	v_fmac_f64_e32 v[124:125], v[114:115], v[120:121]
	ds_load_b128 v[110:113], v2 offset:640
	ds_load_b128 v[114:117], v2 offset:656
	s_wait_loadcnt 0x4
	v_fmac_f64_e32 v[124:125], v[94:95], v[122:123]
	s_wait_dscnt 0x1
	s_delay_alu instid0(VALU_DEP_1) | instskip(SKIP_1) | instid1(VALU_DEP_1)
	v_fmac_f64_e32 v[124:125], v[96:97], v[110:111]
	s_wait_loadcnt 0x3
	v_fmac_f64_e32 v[124:125], v[98:99], v[112:113]
	s_wait_dscnt 0x0
	s_delay_alu instid0(VALU_DEP_1)
	v_fmac_f64_e32 v[124:125], v[100:101], v[114:115]
	ds_load_b128 v[94:97], v2 offset:672
	ds_load_b128 v[98:101], v2 offset:688
	s_wait_loadcnt 0x2
	v_fmac_f64_e32 v[124:125], v[102:103], v[116:117]
	s_wait_dscnt 0x1
	s_delay_alu instid0(VALU_DEP_1) | instskip(SKIP_1) | instid1(VALU_DEP_1)
	v_fmac_f64_e32 v[124:125], v[104:105], v[94:95]
	s_wait_loadcnt 0x1
	v_fmac_f64_e32 v[124:125], v[106:107], v[96:97]
	s_wait_dscnt 0x0
	s_delay_alu instid0(VALU_DEP_1) | instskip(SKIP_1) | instid1(VALU_DEP_1)
	v_fmac_f64_e32 v[124:125], v[108:109], v[98:99]
	s_wait_loadcnt 0x0
	v_fmac_f64_e32 v[124:125], v[118:119], v[100:101]
	s_delay_alu instid0(VALU_DEP_1)
	v_add_f64_e64 v[2:3], v[92:93], -v[124:125]
	scratch_store_b64 off, v[2:3], off offset:184
	s_wait_xcnt 0x0
	v_cmpx_lt_u32_e32 22, v0
	s_cbranch_execz .LBB43_229
; %bb.228:
	scratch_load_b64 v[2:3], off, off offset:176
	v_mov_b64_e32 v[92:93], 0
	scratch_store_b64 off, v[92:93], off offset:176
	s_wait_loadcnt 0x0
	ds_store_b64 v1, v[2:3]
.LBB43_229:
	s_wait_xcnt 0x0
	s_or_b32 exec_lo, exec_lo, s0
	s_wait_storecnt_dscnt 0x0
	s_barrier_signal -1
	s_barrier_wait -1
	s_clause 0x5
	scratch_load_b128 v[92:95], off, off offset:176
	scratch_load_b128 v[96:99], off, off offset:192
	;; [unrolled: 1-line block ×6, first 2 shown]
	v_mov_b32_e32 v2, 0
	ds_load_2addr_b64 v[116:119], v2 offset0:67 offset1:68
	ds_load_2addr_b64 v[120:123], v2 offset0:69 offset1:70
	s_mov_b32 s0, exec_lo
	s_wait_loadcnt_dscnt 0x501
	v_fma_f64 v[124:125], v[94:95], v[116:117], 0
	s_wait_loadcnt 0x4
	s_delay_alu instid0(VALU_DEP_1) | instskip(SKIP_4) | instid1(VALU_DEP_1)
	v_fmac_f64_e32 v[124:125], v[96:97], v[118:119]
	scratch_load_b128 v[94:97], off, off offset:272
	s_wait_dscnt 0x0
	v_fmac_f64_e32 v[124:125], v[98:99], v[120:121]
	s_wait_loadcnt 0x4
	v_fmac_f64_e32 v[124:125], v[100:101], v[122:123]
	scratch_load_b128 v[98:101], off, off offset:288
	ds_load_2addr_b64 v[116:119], v2 offset0:71 offset1:72
	ds_load_2addr_b64 v[120:123], v2 offset0:73 offset1:74
	s_wait_dscnt 0x1
	v_fmac_f64_e32 v[124:125], v[102:103], v[116:117]
	s_wait_loadcnt 0x4
	s_delay_alu instid0(VALU_DEP_1) | instskip(SKIP_4) | instid1(VALU_DEP_1)
	v_fmac_f64_e32 v[124:125], v[104:105], v[118:119]
	scratch_load_b128 v[102:105], off, off offset:304
	s_wait_dscnt 0x0
	v_fmac_f64_e32 v[124:125], v[106:107], v[120:121]
	s_wait_loadcnt 0x4
	v_fmac_f64_e32 v[124:125], v[108:109], v[122:123]
	scratch_load_b128 v[106:109], off, off offset:320
	ds_load_2addr_b64 v[116:119], v2 offset0:75 offset1:76
	ds_load_2addr_b64 v[120:123], v2 offset0:77 offset1:78
	s_wait_dscnt 0x1
	v_fmac_f64_e32 v[124:125], v[110:111], v[116:117]
	s_wait_loadcnt 0x4
	s_delay_alu instid0(VALU_DEP_1)
	v_fmac_f64_e32 v[124:125], v[112:113], v[118:119]
	scratch_load_b128 v[110:113], off, off offset:336
	s_wait_dscnt 0x0
	v_fmac_f64_e32 v[124:125], v[114:115], v[120:121]
	ds_load_2addr_b64 v[114:117], v2 offset0:79 offset1:80
	ds_load_2addr_b64 v[118:121], v2 offset0:81 offset1:82
	s_wait_loadcnt 0x4
	v_fmac_f64_e32 v[124:125], v[94:95], v[122:123]
	s_wait_dscnt 0x1
	s_delay_alu instid0(VALU_DEP_1) | instskip(SKIP_1) | instid1(VALU_DEP_1)
	v_fmac_f64_e32 v[124:125], v[96:97], v[114:115]
	s_wait_loadcnt 0x3
	v_fmac_f64_e32 v[124:125], v[98:99], v[116:117]
	s_wait_dscnt 0x0
	s_delay_alu instid0(VALU_DEP_1)
	v_fmac_f64_e32 v[124:125], v[100:101], v[118:119]
	ds_load_2addr_b64 v[94:97], v2 offset0:83 offset1:84
	ds_load_2addr_b64 v[98:101], v2 offset0:85 offset1:86
	s_wait_loadcnt 0x2
	v_fmac_f64_e32 v[124:125], v[102:103], v[120:121]
	s_wait_dscnt 0x1
	s_delay_alu instid0(VALU_DEP_1) | instskip(SKIP_4) | instid1(VALU_DEP_1)
	v_fmac_f64_e32 v[124:125], v[104:105], v[94:95]
	ds_load_b64 v[94:95], v2 offset:696
	s_wait_loadcnt 0x1
	v_fmac_f64_e32 v[124:125], v[106:107], v[96:97]
	s_wait_dscnt 0x1
	v_fmac_f64_e32 v[124:125], v[108:109], v[98:99]
	s_wait_loadcnt 0x0
	s_delay_alu instid0(VALU_DEP_1) | instskip(SKIP_1) | instid1(VALU_DEP_1)
	v_fmac_f64_e32 v[124:125], v[110:111], v[100:101]
	s_wait_dscnt 0x0
	v_fmac_f64_e32 v[124:125], v[112:113], v[94:95]
	s_delay_alu instid0(VALU_DEP_1)
	v_add_f64_e64 v[92:93], v[92:93], -v[124:125]
	scratch_store_b64 off, v[92:93], off offset:176
	s_wait_xcnt 0x0
	v_cmpx_lt_u32_e32 21, v0
	s_cbranch_execz .LBB43_231
; %bb.230:
	scratch_load_b64 v[92:93], off, off offset:168
	v_mov_b64_e32 v[94:95], 0
	scratch_store_b64 off, v[94:95], off offset:168
	s_wait_loadcnt 0x0
	ds_store_b64 v1, v[92:93]
.LBB43_231:
	s_wait_xcnt 0x0
	s_or_b32 exec_lo, exec_lo, s0
	s_wait_storecnt_dscnt 0x0
	s_barrier_signal -1
	s_barrier_wait -1
	s_clause 0x5
	scratch_load_b128 v[92:95], off, off offset:168
	scratch_load_b128 v[96:99], off, off offset:184
	;; [unrolled: 1-line block ×6, first 2 shown]
	ds_load_b128 v[116:119], v2 offset:528
	ds_load_b128 v[120:123], v2 offset:544
	scratch_load_b128 v[124:127], off, off offset:264
	s_mov_b32 s0, exec_lo
	s_wait_loadcnt_dscnt 0x601
	v_fma_f64 v[128:129], v[94:95], v[116:117], 0
	s_wait_loadcnt 0x5
	s_delay_alu instid0(VALU_DEP_1) | instskip(SKIP_4) | instid1(VALU_DEP_1)
	v_fmac_f64_e32 v[128:129], v[96:97], v[118:119]
	scratch_load_b128 v[94:97], off, off offset:280
	s_wait_dscnt 0x0
	v_fmac_f64_e32 v[128:129], v[98:99], v[120:121]
	s_wait_loadcnt 0x5
	v_fmac_f64_e32 v[128:129], v[100:101], v[122:123]
	ds_load_b128 v[98:101], v2 offset:560
	ds_load_b128 v[116:119], v2 offset:576
	s_wait_dscnt 0x1
	v_fmac_f64_e32 v[128:129], v[102:103], v[98:99]
	s_wait_loadcnt 0x4
	s_delay_alu instid0(VALU_DEP_1)
	v_fmac_f64_e32 v[128:129], v[104:105], v[100:101]
	s_clause 0x1
	scratch_load_b128 v[98:101], off, off offset:296
	scratch_load_b128 v[102:105], off, off offset:312
	s_wait_dscnt 0x0
	v_fmac_f64_e32 v[128:129], v[106:107], v[116:117]
	s_wait_loadcnt 0x5
	s_delay_alu instid0(VALU_DEP_1)
	v_fmac_f64_e32 v[128:129], v[108:109], v[118:119]
	ds_load_b128 v[106:109], v2 offset:592
	ds_load_b128 v[116:119], v2 offset:608
	s_wait_dscnt 0x1
	v_fmac_f64_e32 v[128:129], v[110:111], v[106:107]
	s_wait_loadcnt 0x4
	s_delay_alu instid0(VALU_DEP_1) | instskip(SKIP_4) | instid1(VALU_DEP_1)
	v_fmac_f64_e32 v[128:129], v[112:113], v[108:109]
	scratch_load_b128 v[106:109], off, off offset:328
	s_wait_dscnt 0x0
	v_fmac_f64_e32 v[128:129], v[114:115], v[116:117]
	s_wait_loadcnt 0x4
	v_fmac_f64_e32 v[128:129], v[124:125], v[118:119]
	scratch_load_b64 v[118:119], off, off offset:344
	ds_load_b128 v[110:113], v2 offset:624
	ds_load_b128 v[114:117], v2 offset:640
	s_wait_dscnt 0x1
	v_fmac_f64_e32 v[128:129], v[126:127], v[110:111]
	s_wait_loadcnt 0x4
	s_delay_alu instid0(VALU_DEP_1) | instskip(SKIP_1) | instid1(VALU_DEP_1)
	v_fmac_f64_e32 v[128:129], v[94:95], v[112:113]
	s_wait_dscnt 0x0
	v_fmac_f64_e32 v[128:129], v[96:97], v[114:115]
	ds_load_b128 v[94:97], v2 offset:656
	ds_load_b128 v[110:113], v2 offset:672
	s_wait_loadcnt 0x3
	v_fmac_f64_e32 v[128:129], v[98:99], v[116:117]
	s_wait_dscnt 0x1
	s_delay_alu instid0(VALU_DEP_1) | instskip(SKIP_1) | instid1(VALU_DEP_1)
	v_fmac_f64_e32 v[128:129], v[100:101], v[94:95]
	s_wait_loadcnt 0x2
	v_fmac_f64_e32 v[128:129], v[102:103], v[96:97]
	ds_load_b128 v[94:97], v2 offset:688
	s_wait_dscnt 0x1
	v_fmac_f64_e32 v[128:129], v[104:105], v[110:111]
	s_wait_loadcnt 0x1
	s_delay_alu instid0(VALU_DEP_1) | instskip(SKIP_1) | instid1(VALU_DEP_1)
	v_fmac_f64_e32 v[128:129], v[106:107], v[112:113]
	s_wait_dscnt 0x0
	v_fmac_f64_e32 v[128:129], v[108:109], v[94:95]
	s_wait_loadcnt 0x0
	s_delay_alu instid0(VALU_DEP_1) | instskip(NEXT) | instid1(VALU_DEP_1)
	v_fmac_f64_e32 v[128:129], v[118:119], v[96:97]
	v_add_f64_e64 v[2:3], v[92:93], -v[128:129]
	scratch_store_b64 off, v[2:3], off offset:168
	s_wait_xcnt 0x0
	v_cmpx_lt_u32_e32 20, v0
	s_cbranch_execz .LBB43_233
; %bb.232:
	scratch_load_b64 v[2:3], off, off offset:160
	v_mov_b64_e32 v[92:93], 0
	scratch_store_b64 off, v[92:93], off offset:160
	s_wait_loadcnt 0x0
	ds_store_b64 v1, v[2:3]
.LBB43_233:
	s_wait_xcnt 0x0
	s_or_b32 exec_lo, exec_lo, s0
	s_wait_storecnt_dscnt 0x0
	s_barrier_signal -1
	s_barrier_wait -1
	s_clause 0x5
	scratch_load_b128 v[92:95], off, off offset:160
	scratch_load_b128 v[96:99], off, off offset:176
	;; [unrolled: 1-line block ×6, first 2 shown]
	v_mov_b32_e32 v2, 0
	ds_load_2addr_b64 v[116:119], v2 offset0:65 offset1:66
	ds_load_2addr_b64 v[120:123], v2 offset0:67 offset1:68
	scratch_load_b128 v[124:127], off, off offset:256
	s_mov_b32 s0, exec_lo
	s_wait_loadcnt_dscnt 0x601
	v_fma_f64 v[128:129], v[94:95], v[116:117], 0
	s_wait_loadcnt 0x5
	s_delay_alu instid0(VALU_DEP_1) | instskip(SKIP_4) | instid1(VALU_DEP_1)
	v_fmac_f64_e32 v[128:129], v[96:97], v[118:119]
	scratch_load_b128 v[94:97], off, off offset:272
	s_wait_dscnt 0x0
	v_fmac_f64_e32 v[128:129], v[98:99], v[120:121]
	s_wait_loadcnt 0x5
	v_fmac_f64_e32 v[128:129], v[100:101], v[122:123]
	ds_load_2addr_b64 v[98:101], v2 offset0:69 offset1:70
	ds_load_2addr_b64 v[116:119], v2 offset0:71 offset1:72
	s_wait_dscnt 0x1
	v_fmac_f64_e32 v[128:129], v[102:103], v[98:99]
	s_wait_loadcnt 0x4
	s_delay_alu instid0(VALU_DEP_1)
	v_fmac_f64_e32 v[128:129], v[104:105], v[100:101]
	s_clause 0x1
	scratch_load_b128 v[98:101], off, off offset:288
	scratch_load_b128 v[102:105], off, off offset:304
	s_wait_dscnt 0x0
	v_fmac_f64_e32 v[128:129], v[106:107], v[116:117]
	s_wait_loadcnt 0x5
	s_delay_alu instid0(VALU_DEP_1)
	v_fmac_f64_e32 v[128:129], v[108:109], v[118:119]
	ds_load_2addr_b64 v[106:109], v2 offset0:73 offset1:74
	ds_load_2addr_b64 v[116:119], v2 offset0:75 offset1:76
	s_wait_dscnt 0x1
	v_fmac_f64_e32 v[128:129], v[110:111], v[106:107]
	s_wait_loadcnt 0x4
	s_delay_alu instid0(VALU_DEP_1)
	v_fmac_f64_e32 v[128:129], v[112:113], v[108:109]
	s_clause 0x1
	scratch_load_b128 v[106:109], off, off offset:320
	scratch_load_b128 v[110:113], off, off offset:336
	s_wait_dscnt 0x0
	v_fmac_f64_e32 v[128:129], v[114:115], v[116:117]
	s_wait_loadcnt 0x5
	s_delay_alu instid0(VALU_DEP_1)
	v_fmac_f64_e32 v[128:129], v[124:125], v[118:119]
	ds_load_2addr_b64 v[114:117], v2 offset0:77 offset1:78
	ds_load_2addr_b64 v[118:121], v2 offset0:79 offset1:80
	s_wait_dscnt 0x1
	v_fmac_f64_e32 v[128:129], v[126:127], v[114:115]
	s_wait_loadcnt 0x4
	s_delay_alu instid0(VALU_DEP_1) | instskip(SKIP_1) | instid1(VALU_DEP_1)
	v_fmac_f64_e32 v[128:129], v[94:95], v[116:117]
	s_wait_dscnt 0x0
	v_fmac_f64_e32 v[128:129], v[96:97], v[118:119]
	ds_load_2addr_b64 v[94:97], v2 offset0:81 offset1:82
	ds_load_2addr_b64 v[114:117], v2 offset0:83 offset1:84
	s_wait_loadcnt 0x3
	v_fmac_f64_e32 v[128:129], v[98:99], v[120:121]
	s_wait_dscnt 0x1
	s_delay_alu instid0(VALU_DEP_1) | instskip(SKIP_1) | instid1(VALU_DEP_1)
	v_fmac_f64_e32 v[128:129], v[100:101], v[94:95]
	s_wait_loadcnt 0x2
	v_fmac_f64_e32 v[128:129], v[102:103], v[96:97]
	ds_load_2addr_b64 v[94:97], v2 offset0:85 offset1:86
	ds_load_b64 v[98:99], v2 offset:696
	s_wait_dscnt 0x2
	v_fmac_f64_e32 v[128:129], v[104:105], v[114:115]
	s_wait_loadcnt 0x1
	s_delay_alu instid0(VALU_DEP_1) | instskip(SKIP_1) | instid1(VALU_DEP_1)
	v_fmac_f64_e32 v[128:129], v[106:107], v[116:117]
	s_wait_dscnt 0x1
	v_fmac_f64_e32 v[128:129], v[108:109], v[94:95]
	s_wait_loadcnt 0x0
	s_delay_alu instid0(VALU_DEP_1) | instskip(SKIP_1) | instid1(VALU_DEP_1)
	v_fmac_f64_e32 v[128:129], v[110:111], v[96:97]
	s_wait_dscnt 0x0
	v_fmac_f64_e32 v[128:129], v[112:113], v[98:99]
	s_delay_alu instid0(VALU_DEP_1)
	v_add_f64_e64 v[92:93], v[92:93], -v[128:129]
	scratch_store_b64 off, v[92:93], off offset:160
	s_wait_xcnt 0x0
	v_cmpx_lt_u32_e32 19, v0
	s_cbranch_execz .LBB43_235
; %bb.234:
	scratch_load_b64 v[92:93], off, off offset:152
	v_mov_b64_e32 v[94:95], 0
	scratch_store_b64 off, v[94:95], off offset:152
	s_wait_loadcnt 0x0
	ds_store_b64 v1, v[92:93]
.LBB43_235:
	s_wait_xcnt 0x0
	s_or_b32 exec_lo, exec_lo, s0
	s_wait_storecnt_dscnt 0x0
	s_barrier_signal -1
	s_barrier_wait -1
	s_clause 0x5
	scratch_load_b128 v[92:95], off, off offset:152
	scratch_load_b128 v[96:99], off, off offset:168
	;; [unrolled: 1-line block ×6, first 2 shown]
	ds_load_b128 v[116:119], v2 offset:512
	ds_load_b128 v[120:123], v2 offset:528
	scratch_load_b128 v[124:127], off, off offset:248
	s_mov_b32 s0, exec_lo
	s_wait_loadcnt_dscnt 0x601
	v_fma_f64 v[128:129], v[94:95], v[116:117], 0
	s_wait_loadcnt 0x5
	s_delay_alu instid0(VALU_DEP_1) | instskip(SKIP_4) | instid1(VALU_DEP_1)
	v_fmac_f64_e32 v[128:129], v[96:97], v[118:119]
	scratch_load_b128 v[94:97], off, off offset:264
	s_wait_dscnt 0x0
	v_fmac_f64_e32 v[128:129], v[98:99], v[120:121]
	s_wait_loadcnt 0x5
	v_fmac_f64_e32 v[128:129], v[100:101], v[122:123]
	ds_load_b128 v[98:101], v2 offset:544
	ds_load_b128 v[116:119], v2 offset:560
	s_wait_dscnt 0x1
	v_fmac_f64_e32 v[128:129], v[102:103], v[98:99]
	s_wait_loadcnt 0x4
	s_delay_alu instid0(VALU_DEP_1)
	v_fmac_f64_e32 v[128:129], v[104:105], v[100:101]
	s_clause 0x1
	scratch_load_b128 v[98:101], off, off offset:280
	scratch_load_b128 v[102:105], off, off offset:296
	s_wait_dscnt 0x0
	v_fmac_f64_e32 v[128:129], v[106:107], v[116:117]
	s_wait_loadcnt 0x5
	s_delay_alu instid0(VALU_DEP_1)
	v_fmac_f64_e32 v[128:129], v[108:109], v[118:119]
	ds_load_b128 v[106:109], v2 offset:576
	ds_load_b128 v[116:119], v2 offset:592
	s_wait_dscnt 0x1
	v_fmac_f64_e32 v[128:129], v[110:111], v[106:107]
	s_wait_loadcnt 0x4
	s_delay_alu instid0(VALU_DEP_1)
	v_fmac_f64_e32 v[128:129], v[112:113], v[108:109]
	s_clause 0x1
	scratch_load_b128 v[106:109], off, off offset:312
	scratch_load_b128 v[110:113], off, off offset:328
	s_wait_dscnt 0x0
	v_fmac_f64_e32 v[128:129], v[114:115], v[116:117]
	s_wait_loadcnt 0x5
	s_delay_alu instid0(VALU_DEP_1)
	v_fmac_f64_e32 v[128:129], v[124:125], v[118:119]
	ds_load_b128 v[114:117], v2 offset:608
	ds_load_b128 v[118:121], v2 offset:624
	scratch_load_b64 v[122:123], off, off offset:344
	s_wait_dscnt 0x1
	v_fmac_f64_e32 v[128:129], v[126:127], v[114:115]
	s_wait_loadcnt 0x5
	s_delay_alu instid0(VALU_DEP_1) | instskip(SKIP_1) | instid1(VALU_DEP_1)
	v_fmac_f64_e32 v[128:129], v[94:95], v[116:117]
	s_wait_dscnt 0x0
	v_fmac_f64_e32 v[128:129], v[96:97], v[118:119]
	ds_load_b128 v[94:97], v2 offset:640
	ds_load_b128 v[114:117], v2 offset:656
	s_wait_loadcnt 0x4
	v_fmac_f64_e32 v[128:129], v[98:99], v[120:121]
	s_wait_dscnt 0x1
	s_delay_alu instid0(VALU_DEP_1) | instskip(SKIP_1) | instid1(VALU_DEP_1)
	v_fmac_f64_e32 v[128:129], v[100:101], v[94:95]
	s_wait_loadcnt 0x3
	v_fmac_f64_e32 v[128:129], v[102:103], v[96:97]
	ds_load_b128 v[94:97], v2 offset:672
	ds_load_b128 v[98:101], v2 offset:688
	s_wait_dscnt 0x2
	v_fmac_f64_e32 v[128:129], v[104:105], v[114:115]
	s_wait_loadcnt 0x2
	s_delay_alu instid0(VALU_DEP_1) | instskip(SKIP_1) | instid1(VALU_DEP_1)
	v_fmac_f64_e32 v[128:129], v[106:107], v[116:117]
	s_wait_dscnt 0x1
	v_fmac_f64_e32 v[128:129], v[108:109], v[94:95]
	s_wait_loadcnt 0x1
	s_delay_alu instid0(VALU_DEP_1) | instskip(SKIP_1) | instid1(VALU_DEP_1)
	v_fmac_f64_e32 v[128:129], v[110:111], v[96:97]
	s_wait_dscnt 0x0
	v_fmac_f64_e32 v[128:129], v[112:113], v[98:99]
	s_wait_loadcnt 0x0
	s_delay_alu instid0(VALU_DEP_1) | instskip(NEXT) | instid1(VALU_DEP_1)
	v_fmac_f64_e32 v[128:129], v[122:123], v[100:101]
	v_add_f64_e64 v[2:3], v[92:93], -v[128:129]
	scratch_store_b64 off, v[2:3], off offset:152
	s_wait_xcnt 0x0
	v_cmpx_lt_u32_e32 18, v0
	s_cbranch_execz .LBB43_237
; %bb.236:
	scratch_load_b64 v[2:3], off, off offset:144
	v_mov_b64_e32 v[92:93], 0
	scratch_store_b64 off, v[92:93], off offset:144
	s_wait_loadcnt 0x0
	ds_store_b64 v1, v[2:3]
.LBB43_237:
	s_wait_xcnt 0x0
	s_or_b32 exec_lo, exec_lo, s0
	s_wait_storecnt_dscnt 0x0
	s_barrier_signal -1
	s_barrier_wait -1
	s_clause 0x5
	scratch_load_b128 v[92:95], off, off offset:144
	scratch_load_b128 v[96:99], off, off offset:160
	;; [unrolled: 1-line block ×6, first 2 shown]
	v_mov_b32_e32 v2, 0
	ds_load_2addr_b64 v[116:119], v2 offset0:63 offset1:64
	ds_load_2addr_b64 v[120:123], v2 offset0:65 offset1:66
	scratch_load_b128 v[124:127], off, off offset:240
	s_mov_b32 s0, exec_lo
	s_wait_loadcnt_dscnt 0x601
	v_fma_f64 v[128:129], v[94:95], v[116:117], 0
	s_wait_loadcnt 0x5
	s_delay_alu instid0(VALU_DEP_1) | instskip(SKIP_4) | instid1(VALU_DEP_1)
	v_fmac_f64_e32 v[128:129], v[96:97], v[118:119]
	scratch_load_b128 v[94:97], off, off offset:256
	s_wait_dscnt 0x0
	v_fmac_f64_e32 v[128:129], v[98:99], v[120:121]
	s_wait_loadcnt 0x5
	v_fmac_f64_e32 v[128:129], v[100:101], v[122:123]
	ds_load_2addr_b64 v[98:101], v2 offset0:67 offset1:68
	ds_load_2addr_b64 v[116:119], v2 offset0:69 offset1:70
	s_wait_dscnt 0x1
	v_fmac_f64_e32 v[128:129], v[102:103], v[98:99]
	s_wait_loadcnt 0x4
	s_delay_alu instid0(VALU_DEP_1)
	v_fmac_f64_e32 v[128:129], v[104:105], v[100:101]
	s_clause 0x1
	scratch_load_b128 v[98:101], off, off offset:272
	scratch_load_b128 v[102:105], off, off offset:288
	s_wait_dscnt 0x0
	v_fmac_f64_e32 v[128:129], v[106:107], v[116:117]
	s_wait_loadcnt 0x5
	s_delay_alu instid0(VALU_DEP_1)
	v_fmac_f64_e32 v[128:129], v[108:109], v[118:119]
	ds_load_2addr_b64 v[106:109], v2 offset0:71 offset1:72
	ds_load_2addr_b64 v[116:119], v2 offset0:73 offset1:74
	s_wait_dscnt 0x1
	v_fmac_f64_e32 v[128:129], v[110:111], v[106:107]
	s_wait_loadcnt 0x4
	s_delay_alu instid0(VALU_DEP_1)
	v_fmac_f64_e32 v[128:129], v[112:113], v[108:109]
	s_clause 0x1
	scratch_load_b128 v[106:109], off, off offset:304
	scratch_load_b128 v[110:113], off, off offset:320
	s_wait_dscnt 0x0
	v_fmac_f64_e32 v[128:129], v[114:115], v[116:117]
	s_wait_loadcnt 0x5
	s_delay_alu instid0(VALU_DEP_1)
	v_fmac_f64_e32 v[128:129], v[124:125], v[118:119]
	ds_load_2addr_b64 v[114:117], v2 offset0:75 offset1:76
	ds_load_2addr_b64 v[118:121], v2 offset0:77 offset1:78
	s_wait_dscnt 0x1
	v_fmac_f64_e32 v[128:129], v[126:127], v[114:115]
	s_wait_loadcnt 0x4
	s_delay_alu instid0(VALU_DEP_1) | instskip(SKIP_4) | instid1(VALU_DEP_1)
	v_fmac_f64_e32 v[128:129], v[94:95], v[116:117]
	scratch_load_b128 v[114:117], off, off offset:336
	s_wait_dscnt 0x0
	v_fmac_f64_e32 v[128:129], v[96:97], v[118:119]
	s_wait_loadcnt 0x4
	v_fmac_f64_e32 v[128:129], v[98:99], v[120:121]
	ds_load_2addr_b64 v[94:97], v2 offset0:79 offset1:80
	ds_load_2addr_b64 v[118:121], v2 offset0:81 offset1:82
	s_wait_dscnt 0x1
	v_fmac_f64_e32 v[128:129], v[100:101], v[94:95]
	s_wait_loadcnt 0x3
	s_delay_alu instid0(VALU_DEP_1)
	v_fmac_f64_e32 v[128:129], v[102:103], v[96:97]
	ds_load_2addr_b64 v[94:97], v2 offset0:83 offset1:84
	ds_load_2addr_b64 v[98:101], v2 offset0:85 offset1:86
	s_wait_dscnt 0x2
	v_fmac_f64_e32 v[128:129], v[104:105], v[118:119]
	s_wait_loadcnt 0x2
	s_delay_alu instid0(VALU_DEP_1) | instskip(SKIP_1) | instid1(VALU_DEP_1)
	v_fmac_f64_e32 v[128:129], v[106:107], v[120:121]
	s_wait_dscnt 0x1
	v_fmac_f64_e32 v[128:129], v[108:109], v[94:95]
	ds_load_b64 v[94:95], v2 offset:696
	s_wait_loadcnt 0x1
	v_fmac_f64_e32 v[128:129], v[110:111], v[96:97]
	s_wait_dscnt 0x1
	s_delay_alu instid0(VALU_DEP_1) | instskip(SKIP_1) | instid1(VALU_DEP_1)
	v_fmac_f64_e32 v[128:129], v[112:113], v[98:99]
	s_wait_loadcnt 0x0
	v_fmac_f64_e32 v[128:129], v[114:115], v[100:101]
	s_wait_dscnt 0x0
	s_delay_alu instid0(VALU_DEP_1) | instskip(NEXT) | instid1(VALU_DEP_1)
	v_fmac_f64_e32 v[128:129], v[116:117], v[94:95]
	v_add_f64_e64 v[92:93], v[92:93], -v[128:129]
	scratch_store_b64 off, v[92:93], off offset:144
	s_wait_xcnt 0x0
	v_cmpx_lt_u32_e32 17, v0
	s_cbranch_execz .LBB43_239
; %bb.238:
	scratch_load_b64 v[92:93], off, off offset:136
	v_mov_b64_e32 v[94:95], 0
	scratch_store_b64 off, v[94:95], off offset:136
	s_wait_loadcnt 0x0
	ds_store_b64 v1, v[92:93]
.LBB43_239:
	s_wait_xcnt 0x0
	s_or_b32 exec_lo, exec_lo, s0
	s_wait_storecnt_dscnt 0x0
	s_barrier_signal -1
	s_barrier_wait -1
	s_clause 0x5
	scratch_load_b128 v[92:95], off, off offset:136
	scratch_load_b128 v[96:99], off, off offset:152
	;; [unrolled: 1-line block ×6, first 2 shown]
	ds_load_b128 v[116:119], v2 offset:496
	ds_load_b128 v[120:123], v2 offset:512
	scratch_load_b128 v[124:127], off, off offset:232
	s_mov_b32 s0, exec_lo
	s_wait_loadcnt_dscnt 0x601
	v_fma_f64 v[128:129], v[94:95], v[116:117], 0
	s_wait_loadcnt 0x5
	s_delay_alu instid0(VALU_DEP_1) | instskip(SKIP_4) | instid1(VALU_DEP_1)
	v_fmac_f64_e32 v[128:129], v[96:97], v[118:119]
	scratch_load_b128 v[94:97], off, off offset:248
	s_wait_dscnt 0x0
	v_fmac_f64_e32 v[128:129], v[98:99], v[120:121]
	s_wait_loadcnt 0x5
	v_fmac_f64_e32 v[128:129], v[100:101], v[122:123]
	ds_load_b128 v[98:101], v2 offset:528
	ds_load_b128 v[116:119], v2 offset:544
	scratch_load_b128 v[120:123], off, off offset:264
	s_wait_dscnt 0x1
	v_fmac_f64_e32 v[128:129], v[102:103], v[98:99]
	s_wait_loadcnt 0x5
	s_delay_alu instid0(VALU_DEP_1) | instskip(SKIP_4) | instid1(VALU_DEP_1)
	v_fmac_f64_e32 v[128:129], v[104:105], v[100:101]
	scratch_load_b128 v[98:101], off, off offset:280
	s_wait_dscnt 0x0
	v_fmac_f64_e32 v[128:129], v[106:107], v[116:117]
	s_wait_loadcnt 0x5
	v_fmac_f64_e32 v[128:129], v[108:109], v[118:119]
	ds_load_b128 v[102:105], v2 offset:560
	ds_load_b128 v[106:109], v2 offset:576
	s_wait_dscnt 0x1
	v_fmac_f64_e32 v[128:129], v[110:111], v[102:103]
	s_wait_loadcnt 0x4
	s_delay_alu instid0(VALU_DEP_1) | instskip(SKIP_4) | instid1(VALU_DEP_1)
	v_fmac_f64_e32 v[128:129], v[112:113], v[104:105]
	scratch_load_b128 v[102:105], off, off offset:296
	s_wait_dscnt 0x0
	v_fmac_f64_e32 v[128:129], v[114:115], v[106:107]
	s_wait_loadcnt 0x4
	v_fmac_f64_e32 v[128:129], v[124:125], v[108:109]
	scratch_load_b128 v[106:109], off, off offset:312
	ds_load_b128 v[110:113], v2 offset:592
	ds_load_b128 v[114:117], v2 offset:608
	scratch_load_b64 v[118:119], off, off offset:344
	s_wait_dscnt 0x1
	v_fmac_f64_e32 v[128:129], v[126:127], v[110:111]
	s_wait_loadcnt 0x5
	s_delay_alu instid0(VALU_DEP_1) | instskip(SKIP_4) | instid1(VALU_DEP_1)
	v_fmac_f64_e32 v[128:129], v[94:95], v[112:113]
	scratch_load_b128 v[110:113], off, off offset:328
	s_wait_dscnt 0x0
	v_fmac_f64_e32 v[128:129], v[96:97], v[114:115]
	s_wait_loadcnt 0x5
	v_fmac_f64_e32 v[128:129], v[120:121], v[116:117]
	ds_load_b128 v[94:97], v2 offset:624
	ds_load_b128 v[114:117], v2 offset:640
	s_wait_dscnt 0x1
	v_fmac_f64_e32 v[128:129], v[122:123], v[94:95]
	s_wait_loadcnt 0x4
	s_delay_alu instid0(VALU_DEP_1) | instskip(SKIP_1) | instid1(VALU_DEP_1)
	v_fmac_f64_e32 v[128:129], v[98:99], v[96:97]
	s_wait_dscnt 0x0
	v_fmac_f64_e32 v[128:129], v[100:101], v[114:115]
	ds_load_b128 v[94:97], v2 offset:656
	ds_load_b128 v[98:101], v2 offset:672
	s_wait_loadcnt 0x3
	v_fmac_f64_e32 v[128:129], v[102:103], v[116:117]
	s_wait_dscnt 0x1
	s_delay_alu instid0(VALU_DEP_1) | instskip(SKIP_1) | instid1(VALU_DEP_1)
	v_fmac_f64_e32 v[128:129], v[104:105], v[94:95]
	s_wait_loadcnt 0x2
	v_fmac_f64_e32 v[128:129], v[106:107], v[96:97]
	ds_load_b128 v[94:97], v2 offset:688
	s_wait_dscnt 0x1
	v_fmac_f64_e32 v[128:129], v[108:109], v[98:99]
	s_wait_loadcnt 0x0
	s_delay_alu instid0(VALU_DEP_1) | instskip(SKIP_1) | instid1(VALU_DEP_1)
	v_fmac_f64_e32 v[128:129], v[110:111], v[100:101]
	s_wait_dscnt 0x0
	v_fmac_f64_e32 v[128:129], v[112:113], v[94:95]
	s_delay_alu instid0(VALU_DEP_1) | instskip(NEXT) | instid1(VALU_DEP_1)
	v_fmac_f64_e32 v[128:129], v[118:119], v[96:97]
	v_add_f64_e64 v[2:3], v[92:93], -v[128:129]
	scratch_store_b64 off, v[2:3], off offset:136
	s_wait_xcnt 0x0
	v_cmpx_lt_u32_e32 16, v0
	s_cbranch_execz .LBB43_241
; %bb.240:
	scratch_load_b64 v[2:3], off, off offset:128
	v_mov_b64_e32 v[92:93], 0
	scratch_store_b64 off, v[92:93], off offset:128
	s_wait_loadcnt 0x0
	ds_store_b64 v1, v[2:3]
.LBB43_241:
	s_wait_xcnt 0x0
	s_or_b32 exec_lo, exec_lo, s0
	s_wait_storecnt_dscnt 0x0
	s_barrier_signal -1
	s_barrier_wait -1
	s_clause 0x5
	scratch_load_b128 v[92:95], off, off offset:128
	scratch_load_b128 v[96:99], off, off offset:144
	;; [unrolled: 1-line block ×6, first 2 shown]
	v_mov_b32_e32 v2, 0
	ds_load_2addr_b64 v[116:119], v2 offset0:61 offset1:62
	ds_load_2addr_b64 v[120:123], v2 offset0:63 offset1:64
	scratch_load_b128 v[124:127], off, off offset:224
	s_mov_b32 s0, exec_lo
	s_wait_loadcnt_dscnt 0x601
	v_fma_f64 v[128:129], v[94:95], v[116:117], 0
	s_wait_loadcnt 0x5
	s_delay_alu instid0(VALU_DEP_1) | instskip(SKIP_4) | instid1(VALU_DEP_1)
	v_fmac_f64_e32 v[128:129], v[96:97], v[118:119]
	scratch_load_b128 v[94:97], off, off offset:240
	s_wait_dscnt 0x0
	v_fmac_f64_e32 v[128:129], v[98:99], v[120:121]
	s_wait_loadcnt 0x5
	v_fmac_f64_e32 v[128:129], v[100:101], v[122:123]
	ds_load_2addr_b64 v[98:101], v2 offset0:65 offset1:66
	ds_load_2addr_b64 v[116:119], v2 offset0:67 offset1:68
	scratch_load_b128 v[120:123], off, off offset:256
	s_wait_dscnt 0x1
	v_fmac_f64_e32 v[128:129], v[102:103], v[98:99]
	s_wait_loadcnt 0x5
	s_delay_alu instid0(VALU_DEP_1) | instskip(SKIP_4) | instid1(VALU_DEP_1)
	v_fmac_f64_e32 v[128:129], v[104:105], v[100:101]
	scratch_load_b128 v[98:101], off, off offset:272
	s_wait_dscnt 0x0
	v_fmac_f64_e32 v[128:129], v[106:107], v[116:117]
	s_wait_loadcnt 0x5
	v_fmac_f64_e32 v[128:129], v[108:109], v[118:119]
	ds_load_2addr_b64 v[102:105], v2 offset0:69 offset1:70
	ds_load_2addr_b64 v[106:109], v2 offset0:71 offset1:72
	s_wait_dscnt 0x1
	v_fmac_f64_e32 v[128:129], v[110:111], v[102:103]
	s_wait_loadcnt 0x4
	s_delay_alu instid0(VALU_DEP_1) | instskip(SKIP_4) | instid1(VALU_DEP_1)
	v_fmac_f64_e32 v[128:129], v[112:113], v[104:105]
	scratch_load_b128 v[102:105], off, off offset:288
	s_wait_dscnt 0x0
	v_fmac_f64_e32 v[128:129], v[114:115], v[106:107]
	s_wait_loadcnt 0x4
	v_fmac_f64_e32 v[128:129], v[124:125], v[108:109]
	scratch_load_b128 v[106:109], off, off offset:304
	ds_load_2addr_b64 v[110:113], v2 offset0:73 offset1:74
	ds_load_2addr_b64 v[114:117], v2 offset0:75 offset1:76
	s_wait_dscnt 0x1
	v_fmac_f64_e32 v[128:129], v[126:127], v[110:111]
	s_wait_loadcnt 0x4
	s_delay_alu instid0(VALU_DEP_1)
	v_fmac_f64_e32 v[128:129], v[94:95], v[112:113]
	scratch_load_b128 v[110:113], off, off offset:320
	s_wait_dscnt 0x0
	v_fmac_f64_e32 v[128:129], v[96:97], v[114:115]
	scratch_load_b128 v[94:97], off, off offset:336
	s_wait_loadcnt 0x5
	v_fmac_f64_e32 v[128:129], v[120:121], v[116:117]
	ds_load_2addr_b64 v[114:117], v2 offset0:77 offset1:78
	ds_load_2addr_b64 v[118:121], v2 offset0:79 offset1:80
	s_wait_dscnt 0x1
	v_fmac_f64_e32 v[128:129], v[122:123], v[114:115]
	s_wait_loadcnt 0x4
	s_delay_alu instid0(VALU_DEP_1) | instskip(SKIP_1) | instid1(VALU_DEP_1)
	v_fmac_f64_e32 v[128:129], v[98:99], v[116:117]
	s_wait_dscnt 0x0
	v_fmac_f64_e32 v[128:129], v[100:101], v[118:119]
	ds_load_2addr_b64 v[98:101], v2 offset0:81 offset1:82
	ds_load_2addr_b64 v[114:117], v2 offset0:83 offset1:84
	s_wait_loadcnt 0x3
	v_fmac_f64_e32 v[128:129], v[102:103], v[120:121]
	s_wait_dscnt 0x1
	s_delay_alu instid0(VALU_DEP_1) | instskip(SKIP_1) | instid1(VALU_DEP_1)
	v_fmac_f64_e32 v[128:129], v[104:105], v[98:99]
	s_wait_loadcnt 0x2
	v_fmac_f64_e32 v[128:129], v[106:107], v[100:101]
	ds_load_2addr_b64 v[98:101], v2 offset0:85 offset1:86
	ds_load_b64 v[102:103], v2 offset:696
	s_wait_dscnt 0x2
	v_fmac_f64_e32 v[128:129], v[108:109], v[114:115]
	s_wait_loadcnt 0x1
	s_delay_alu instid0(VALU_DEP_1) | instskip(SKIP_1) | instid1(VALU_DEP_1)
	v_fmac_f64_e32 v[128:129], v[110:111], v[116:117]
	s_wait_dscnt 0x1
	v_fmac_f64_e32 v[128:129], v[112:113], v[98:99]
	s_wait_loadcnt 0x0
	s_delay_alu instid0(VALU_DEP_1) | instskip(SKIP_1) | instid1(VALU_DEP_1)
	v_fmac_f64_e32 v[128:129], v[94:95], v[100:101]
	s_wait_dscnt 0x0
	v_fmac_f64_e32 v[128:129], v[96:97], v[102:103]
	s_delay_alu instid0(VALU_DEP_1)
	v_add_f64_e64 v[92:93], v[92:93], -v[128:129]
	scratch_store_b64 off, v[92:93], off offset:128
	s_wait_xcnt 0x0
	v_cmpx_lt_u32_e32 15, v0
	s_cbranch_execz .LBB43_243
; %bb.242:
	scratch_load_b64 v[92:93], off, off offset:120
	v_mov_b64_e32 v[94:95], 0
	scratch_store_b64 off, v[94:95], off offset:120
	s_wait_loadcnt 0x0
	ds_store_b64 v1, v[92:93]
.LBB43_243:
	s_wait_xcnt 0x0
	s_or_b32 exec_lo, exec_lo, s0
	s_wait_storecnt_dscnt 0x0
	s_barrier_signal -1
	s_barrier_wait -1
	s_clause 0x5
	scratch_load_b128 v[92:95], off, off offset:120
	scratch_load_b128 v[96:99], off, off offset:136
	;; [unrolled: 1-line block ×6, first 2 shown]
	ds_load_b128 v[116:119], v2 offset:480
	ds_load_b128 v[120:123], v2 offset:496
	scratch_load_b128 v[124:127], off, off offset:216
	s_mov_b32 s0, exec_lo
	s_wait_loadcnt_dscnt 0x601
	v_fma_f64 v[128:129], v[94:95], v[116:117], 0
	s_wait_loadcnt 0x5
	s_delay_alu instid0(VALU_DEP_1) | instskip(SKIP_4) | instid1(VALU_DEP_1)
	v_fmac_f64_e32 v[128:129], v[96:97], v[118:119]
	scratch_load_b128 v[94:97], off, off offset:232
	s_wait_dscnt 0x0
	v_fmac_f64_e32 v[128:129], v[98:99], v[120:121]
	s_wait_loadcnt 0x5
	v_fmac_f64_e32 v[128:129], v[100:101], v[122:123]
	ds_load_b128 v[98:101], v2 offset:512
	ds_load_b128 v[116:119], v2 offset:528
	scratch_load_b128 v[120:123], off, off offset:248
	s_wait_dscnt 0x1
	v_fmac_f64_e32 v[128:129], v[102:103], v[98:99]
	s_wait_loadcnt 0x5
	s_delay_alu instid0(VALU_DEP_1) | instskip(SKIP_4) | instid1(VALU_DEP_1)
	v_fmac_f64_e32 v[128:129], v[104:105], v[100:101]
	scratch_load_b128 v[98:101], off, off offset:264
	s_wait_dscnt 0x0
	v_fmac_f64_e32 v[128:129], v[106:107], v[116:117]
	s_wait_loadcnt 0x5
	v_fmac_f64_e32 v[128:129], v[108:109], v[118:119]
	ds_load_b128 v[102:105], v2 offset:544
	ds_load_b128 v[106:109], v2 offset:560
	s_wait_dscnt 0x1
	v_fmac_f64_e32 v[128:129], v[110:111], v[102:103]
	s_wait_loadcnt 0x4
	s_delay_alu instid0(VALU_DEP_1) | instskip(SKIP_4) | instid1(VALU_DEP_1)
	v_fmac_f64_e32 v[128:129], v[112:113], v[104:105]
	scratch_load_b128 v[102:105], off, off offset:280
	s_wait_dscnt 0x0
	v_fmac_f64_e32 v[128:129], v[114:115], v[106:107]
	s_wait_loadcnt 0x4
	v_fmac_f64_e32 v[128:129], v[124:125], v[108:109]
	scratch_load_b128 v[106:109], off, off offset:296
	ds_load_b128 v[110:113], v2 offset:576
	ds_load_b128 v[114:117], v2 offset:592
	s_wait_dscnt 0x1
	v_fmac_f64_e32 v[128:129], v[126:127], v[110:111]
	s_wait_loadcnt 0x4
	s_delay_alu instid0(VALU_DEP_1)
	v_fmac_f64_e32 v[128:129], v[94:95], v[112:113]
	scratch_load_b128 v[110:113], off, off offset:312
	s_wait_dscnt 0x0
	v_fmac_f64_e32 v[128:129], v[96:97], v[114:115]
	scratch_load_b128 v[94:97], off, off offset:328
	s_wait_loadcnt 0x5
	v_fmac_f64_e32 v[128:129], v[120:121], v[116:117]
	ds_load_b128 v[114:117], v2 offset:608
	ds_load_b128 v[118:121], v2 offset:624
	s_wait_dscnt 0x1
	v_fmac_f64_e32 v[128:129], v[122:123], v[114:115]
	scratch_load_b64 v[122:123], off, off offset:344
	s_wait_loadcnt 0x5
	v_fmac_f64_e32 v[128:129], v[98:99], v[116:117]
	s_wait_dscnt 0x0
	s_delay_alu instid0(VALU_DEP_1)
	v_fmac_f64_e32 v[128:129], v[100:101], v[118:119]
	ds_load_b128 v[98:101], v2 offset:640
	ds_load_b128 v[114:117], v2 offset:656
	s_wait_loadcnt 0x4
	v_fmac_f64_e32 v[128:129], v[102:103], v[120:121]
	s_wait_dscnt 0x1
	s_delay_alu instid0(VALU_DEP_1) | instskip(SKIP_1) | instid1(VALU_DEP_1)
	v_fmac_f64_e32 v[128:129], v[104:105], v[98:99]
	s_wait_loadcnt 0x3
	v_fmac_f64_e32 v[128:129], v[106:107], v[100:101]
	ds_load_b128 v[98:101], v2 offset:672
	ds_load_b128 v[102:105], v2 offset:688
	s_wait_dscnt 0x2
	v_fmac_f64_e32 v[128:129], v[108:109], v[114:115]
	s_wait_loadcnt 0x2
	s_delay_alu instid0(VALU_DEP_1) | instskip(SKIP_1) | instid1(VALU_DEP_1)
	v_fmac_f64_e32 v[128:129], v[110:111], v[116:117]
	s_wait_dscnt 0x1
	v_fmac_f64_e32 v[128:129], v[112:113], v[98:99]
	s_wait_loadcnt 0x1
	s_delay_alu instid0(VALU_DEP_1) | instskip(SKIP_1) | instid1(VALU_DEP_1)
	v_fmac_f64_e32 v[128:129], v[94:95], v[100:101]
	s_wait_dscnt 0x0
	v_fmac_f64_e32 v[128:129], v[96:97], v[102:103]
	s_wait_loadcnt 0x0
	s_delay_alu instid0(VALU_DEP_1) | instskip(NEXT) | instid1(VALU_DEP_1)
	v_fmac_f64_e32 v[128:129], v[122:123], v[104:105]
	v_add_f64_e64 v[2:3], v[92:93], -v[128:129]
	scratch_store_b64 off, v[2:3], off offset:120
	s_wait_xcnt 0x0
	v_cmpx_lt_u32_e32 14, v0
	s_cbranch_execz .LBB43_245
; %bb.244:
	scratch_load_b64 v[2:3], off, off offset:112
	v_mov_b64_e32 v[92:93], 0
	scratch_store_b64 off, v[92:93], off offset:112
	s_wait_loadcnt 0x0
	ds_store_b64 v1, v[2:3]
.LBB43_245:
	s_wait_xcnt 0x0
	s_or_b32 exec_lo, exec_lo, s0
	s_wait_storecnt_dscnt 0x0
	s_barrier_signal -1
	s_barrier_wait -1
	s_clause 0x5
	scratch_load_b128 v[92:95], off, off offset:112
	scratch_load_b128 v[96:99], off, off offset:128
	;; [unrolled: 1-line block ×6, first 2 shown]
	v_mov_b32_e32 v2, 0
	ds_load_2addr_b64 v[116:119], v2 offset0:59 offset1:60
	ds_load_2addr_b64 v[120:123], v2 offset0:61 offset1:62
	scratch_load_b128 v[124:127], off, off offset:208
	s_mov_b32 s0, exec_lo
	s_wait_loadcnt_dscnt 0x601
	v_fma_f64 v[128:129], v[94:95], v[116:117], 0
	s_wait_loadcnt 0x5
	s_delay_alu instid0(VALU_DEP_1) | instskip(SKIP_4) | instid1(VALU_DEP_1)
	v_fmac_f64_e32 v[128:129], v[96:97], v[118:119]
	scratch_load_b128 v[94:97], off, off offset:224
	s_wait_dscnt 0x0
	v_fmac_f64_e32 v[128:129], v[98:99], v[120:121]
	s_wait_loadcnt 0x5
	v_fmac_f64_e32 v[128:129], v[100:101], v[122:123]
	ds_load_2addr_b64 v[98:101], v2 offset0:63 offset1:64
	ds_load_2addr_b64 v[116:119], v2 offset0:65 offset1:66
	scratch_load_b128 v[120:123], off, off offset:240
	s_wait_dscnt 0x1
	v_fmac_f64_e32 v[128:129], v[102:103], v[98:99]
	s_wait_loadcnt 0x5
	s_delay_alu instid0(VALU_DEP_1) | instskip(SKIP_4) | instid1(VALU_DEP_1)
	v_fmac_f64_e32 v[128:129], v[104:105], v[100:101]
	scratch_load_b128 v[98:101], off, off offset:256
	s_wait_dscnt 0x0
	v_fmac_f64_e32 v[128:129], v[106:107], v[116:117]
	s_wait_loadcnt 0x5
	v_fmac_f64_e32 v[128:129], v[108:109], v[118:119]
	ds_load_2addr_b64 v[102:105], v2 offset0:67 offset1:68
	ds_load_2addr_b64 v[106:109], v2 offset0:69 offset1:70
	s_wait_dscnt 0x1
	v_fmac_f64_e32 v[128:129], v[110:111], v[102:103]
	s_wait_loadcnt 0x4
	s_delay_alu instid0(VALU_DEP_1) | instskip(SKIP_4) | instid1(VALU_DEP_1)
	v_fmac_f64_e32 v[128:129], v[112:113], v[104:105]
	scratch_load_b128 v[102:105], off, off offset:272
	s_wait_dscnt 0x0
	v_fmac_f64_e32 v[128:129], v[114:115], v[106:107]
	s_wait_loadcnt 0x4
	v_fmac_f64_e32 v[128:129], v[124:125], v[108:109]
	scratch_load_b128 v[106:109], off, off offset:288
	ds_load_2addr_b64 v[110:113], v2 offset0:71 offset1:72
	ds_load_2addr_b64 v[114:117], v2 offset0:73 offset1:74
	s_wait_dscnt 0x1
	v_fmac_f64_e32 v[128:129], v[126:127], v[110:111]
	s_wait_loadcnt 0x4
	s_delay_alu instid0(VALU_DEP_1)
	v_fmac_f64_e32 v[128:129], v[94:95], v[112:113]
	scratch_load_b128 v[110:113], off, off offset:304
	s_wait_dscnt 0x0
	v_fmac_f64_e32 v[128:129], v[96:97], v[114:115]
	scratch_load_b128 v[94:97], off, off offset:320
	s_wait_loadcnt 0x5
	v_fmac_f64_e32 v[128:129], v[120:121], v[116:117]
	ds_load_2addr_b64 v[114:117], v2 offset0:75 offset1:76
	ds_load_2addr_b64 v[118:121], v2 offset0:77 offset1:78
	s_wait_dscnt 0x1
	v_fmac_f64_e32 v[128:129], v[122:123], v[114:115]
	s_wait_loadcnt 0x4
	s_delay_alu instid0(VALU_DEP_1) | instskip(SKIP_4) | instid1(VALU_DEP_1)
	v_fmac_f64_e32 v[128:129], v[98:99], v[116:117]
	scratch_load_b128 v[114:117], off, off offset:336
	s_wait_dscnt 0x0
	v_fmac_f64_e32 v[128:129], v[100:101], v[118:119]
	s_wait_loadcnt 0x4
	v_fmac_f64_e32 v[128:129], v[102:103], v[120:121]
	ds_load_2addr_b64 v[98:101], v2 offset0:79 offset1:80
	ds_load_2addr_b64 v[118:121], v2 offset0:81 offset1:82
	s_wait_dscnt 0x1
	v_fmac_f64_e32 v[128:129], v[104:105], v[98:99]
	s_wait_loadcnt 0x3
	s_delay_alu instid0(VALU_DEP_1)
	v_fmac_f64_e32 v[128:129], v[106:107], v[100:101]
	ds_load_2addr_b64 v[98:101], v2 offset0:83 offset1:84
	ds_load_2addr_b64 v[102:105], v2 offset0:85 offset1:86
	s_wait_dscnt 0x2
	v_fmac_f64_e32 v[128:129], v[108:109], v[118:119]
	s_wait_loadcnt 0x2
	s_delay_alu instid0(VALU_DEP_1) | instskip(SKIP_1) | instid1(VALU_DEP_1)
	v_fmac_f64_e32 v[128:129], v[110:111], v[120:121]
	s_wait_dscnt 0x1
	v_fmac_f64_e32 v[128:129], v[112:113], v[98:99]
	s_wait_loadcnt 0x1
	s_delay_alu instid0(VALU_DEP_1) | instskip(SKIP_4) | instid1(VALU_DEP_1)
	v_fmac_f64_e32 v[128:129], v[94:95], v[100:101]
	ds_load_b64 v[94:95], v2 offset:696
	s_wait_dscnt 0x1
	v_fmac_f64_e32 v[128:129], v[96:97], v[102:103]
	s_wait_loadcnt 0x0
	v_fmac_f64_e32 v[128:129], v[114:115], v[104:105]
	s_wait_dscnt 0x0
	s_delay_alu instid0(VALU_DEP_1) | instskip(NEXT) | instid1(VALU_DEP_1)
	v_fmac_f64_e32 v[128:129], v[116:117], v[94:95]
	v_add_f64_e64 v[92:93], v[92:93], -v[128:129]
	scratch_store_b64 off, v[92:93], off offset:112
	s_wait_xcnt 0x0
	v_cmpx_lt_u32_e32 13, v0
	s_cbranch_execz .LBB43_247
; %bb.246:
	scratch_load_b64 v[92:93], off, off offset:104
	v_mov_b64_e32 v[94:95], 0
	scratch_store_b64 off, v[94:95], off offset:104
	s_wait_loadcnt 0x0
	ds_store_b64 v1, v[92:93]
.LBB43_247:
	s_wait_xcnt 0x0
	s_or_b32 exec_lo, exec_lo, s0
	s_wait_storecnt_dscnt 0x0
	s_barrier_signal -1
	s_barrier_wait -1
	s_clause 0x5
	scratch_load_b128 v[92:95], off, off offset:104
	scratch_load_b128 v[96:99], off, off offset:120
	;; [unrolled: 1-line block ×6, first 2 shown]
	ds_load_b128 v[116:119], v2 offset:464
	ds_load_b128 v[120:123], v2 offset:480
	scratch_load_b128 v[124:127], off, off offset:200
	s_mov_b32 s0, exec_lo
	s_wait_loadcnt_dscnt 0x601
	v_fma_f64 v[128:129], v[94:95], v[116:117], 0
	s_wait_loadcnt 0x5
	s_delay_alu instid0(VALU_DEP_1) | instskip(SKIP_4) | instid1(VALU_DEP_1)
	v_fmac_f64_e32 v[128:129], v[96:97], v[118:119]
	scratch_load_b128 v[94:97], off, off offset:216
	s_wait_dscnt 0x0
	v_fmac_f64_e32 v[128:129], v[98:99], v[120:121]
	s_wait_loadcnt 0x5
	v_fmac_f64_e32 v[128:129], v[100:101], v[122:123]
	ds_load_b128 v[98:101], v2 offset:496
	ds_load_b128 v[116:119], v2 offset:512
	scratch_load_b128 v[120:123], off, off offset:232
	s_wait_dscnt 0x1
	v_fmac_f64_e32 v[128:129], v[102:103], v[98:99]
	s_wait_loadcnt 0x5
	s_delay_alu instid0(VALU_DEP_1) | instskip(SKIP_4) | instid1(VALU_DEP_1)
	v_fmac_f64_e32 v[128:129], v[104:105], v[100:101]
	scratch_load_b128 v[98:101], off, off offset:248
	s_wait_dscnt 0x0
	v_fmac_f64_e32 v[128:129], v[106:107], v[116:117]
	s_wait_loadcnt 0x5
	v_fmac_f64_e32 v[128:129], v[108:109], v[118:119]
	ds_load_b128 v[102:105], v2 offset:528
	ds_load_b128 v[106:109], v2 offset:544
	scratch_load_b128 v[116:119], off, off offset:264
	s_wait_dscnt 0x1
	v_fmac_f64_e32 v[128:129], v[110:111], v[102:103]
	s_wait_loadcnt 0x5
	s_delay_alu instid0(VALU_DEP_1) | instskip(SKIP_4) | instid1(VALU_DEP_1)
	v_fmac_f64_e32 v[128:129], v[112:113], v[104:105]
	scratch_load_b128 v[102:105], off, off offset:280
	s_wait_dscnt 0x0
	v_fmac_f64_e32 v[128:129], v[114:115], v[106:107]
	s_wait_loadcnt 0x5
	v_fmac_f64_e32 v[128:129], v[124:125], v[108:109]
	ds_load_b128 v[106:109], v2 offset:560
	ds_load_b128 v[110:113], v2 offset:576
	s_wait_dscnt 0x1
	v_fmac_f64_e32 v[128:129], v[126:127], v[106:107]
	s_wait_loadcnt 0x4
	s_delay_alu instid0(VALU_DEP_1)
	v_fmac_f64_e32 v[128:129], v[94:95], v[108:109]
	scratch_load_b128 v[106:109], off, off offset:296
	s_wait_dscnt 0x0
	v_fmac_f64_e32 v[128:129], v[96:97], v[110:111]
	scratch_load_b128 v[94:97], off, off offset:312
	s_wait_loadcnt 0x5
	v_fmac_f64_e32 v[128:129], v[120:121], v[112:113]
	ds_load_b128 v[110:113], v2 offset:592
	ds_load_b128 v[124:127], v2 offset:608
	scratch_load_b64 v[120:121], off, off offset:344
	s_wait_dscnt 0x1
	v_fmac_f64_e32 v[128:129], v[122:123], v[110:111]
	s_wait_loadcnt 0x5
	s_delay_alu instid0(VALU_DEP_1) | instskip(SKIP_4) | instid1(VALU_DEP_1)
	v_fmac_f64_e32 v[128:129], v[98:99], v[112:113]
	scratch_load_b128 v[110:113], off, off offset:328
	s_wait_dscnt 0x0
	v_fmac_f64_e32 v[128:129], v[100:101], v[124:125]
	s_wait_loadcnt 0x5
	v_fmac_f64_e32 v[128:129], v[116:117], v[126:127]
	ds_load_b128 v[98:101], v2 offset:624
	ds_load_b128 v[114:117], v2 offset:640
	s_wait_dscnt 0x1
	v_fmac_f64_e32 v[128:129], v[118:119], v[98:99]
	s_wait_loadcnt 0x4
	s_delay_alu instid0(VALU_DEP_1) | instskip(SKIP_1) | instid1(VALU_DEP_1)
	v_fmac_f64_e32 v[128:129], v[102:103], v[100:101]
	s_wait_dscnt 0x0
	v_fmac_f64_e32 v[128:129], v[104:105], v[114:115]
	ds_load_b128 v[98:101], v2 offset:656
	ds_load_b128 v[102:105], v2 offset:672
	s_wait_loadcnt 0x3
	v_fmac_f64_e32 v[128:129], v[106:107], v[116:117]
	s_wait_dscnt 0x1
	s_delay_alu instid0(VALU_DEP_1) | instskip(SKIP_1) | instid1(VALU_DEP_1)
	v_fmac_f64_e32 v[128:129], v[108:109], v[98:99]
	s_wait_loadcnt 0x2
	v_fmac_f64_e32 v[128:129], v[94:95], v[100:101]
	s_wait_dscnt 0x0
	s_delay_alu instid0(VALU_DEP_1) | instskip(SKIP_4) | instid1(VALU_DEP_1)
	v_fmac_f64_e32 v[128:129], v[96:97], v[102:103]
	ds_load_b128 v[94:97], v2 offset:688
	s_wait_loadcnt 0x0
	v_fmac_f64_e32 v[128:129], v[110:111], v[104:105]
	s_wait_dscnt 0x0
	v_fmac_f64_e32 v[128:129], v[112:113], v[94:95]
	s_delay_alu instid0(VALU_DEP_1) | instskip(NEXT) | instid1(VALU_DEP_1)
	v_fmac_f64_e32 v[128:129], v[120:121], v[96:97]
	v_add_f64_e64 v[2:3], v[92:93], -v[128:129]
	scratch_store_b64 off, v[2:3], off offset:104
	s_wait_xcnt 0x0
	v_cmpx_lt_u32_e32 12, v0
	s_cbranch_execz .LBB43_249
; %bb.248:
	scratch_load_b64 v[2:3], off, off offset:96
	v_mov_b64_e32 v[92:93], 0
	scratch_store_b64 off, v[92:93], off offset:96
	s_wait_loadcnt 0x0
	ds_store_b64 v1, v[2:3]
.LBB43_249:
	s_wait_xcnt 0x0
	s_or_b32 exec_lo, exec_lo, s0
	s_wait_storecnt_dscnt 0x0
	s_barrier_signal -1
	s_barrier_wait -1
	s_clause 0x5
	scratch_load_b128 v[92:95], off, off offset:96
	scratch_load_b128 v[96:99], off, off offset:112
	;; [unrolled: 1-line block ×6, first 2 shown]
	v_mov_b32_e32 v2, 0
	ds_load_2addr_b64 v[116:119], v2 offset0:57 offset1:58
	ds_load_2addr_b64 v[120:123], v2 offset0:59 offset1:60
	scratch_load_b128 v[124:127], off, off offset:192
	s_mov_b32 s0, exec_lo
	s_wait_loadcnt_dscnt 0x601
	v_fma_f64 v[128:129], v[94:95], v[116:117], 0
	s_wait_loadcnt 0x5
	s_delay_alu instid0(VALU_DEP_1) | instskip(SKIP_4) | instid1(VALU_DEP_1)
	v_fmac_f64_e32 v[128:129], v[96:97], v[118:119]
	scratch_load_b128 v[94:97], off, off offset:208
	s_wait_dscnt 0x0
	v_fmac_f64_e32 v[128:129], v[98:99], v[120:121]
	s_wait_loadcnt 0x5
	v_fmac_f64_e32 v[128:129], v[100:101], v[122:123]
	ds_load_2addr_b64 v[98:101], v2 offset0:61 offset1:62
	ds_load_2addr_b64 v[116:119], v2 offset0:63 offset1:64
	scratch_load_b128 v[120:123], off, off offset:224
	s_wait_dscnt 0x1
	v_fmac_f64_e32 v[128:129], v[102:103], v[98:99]
	s_wait_loadcnt 0x5
	s_delay_alu instid0(VALU_DEP_1) | instskip(SKIP_4) | instid1(VALU_DEP_1)
	v_fmac_f64_e32 v[128:129], v[104:105], v[100:101]
	scratch_load_b128 v[98:101], off, off offset:240
	s_wait_dscnt 0x0
	v_fmac_f64_e32 v[128:129], v[106:107], v[116:117]
	s_wait_loadcnt 0x5
	v_fmac_f64_e32 v[128:129], v[108:109], v[118:119]
	ds_load_2addr_b64 v[102:105], v2 offset0:65 offset1:66
	ds_load_2addr_b64 v[106:109], v2 offset0:67 offset1:68
	scratch_load_b128 v[116:119], off, off offset:256
	s_wait_dscnt 0x1
	v_fmac_f64_e32 v[128:129], v[110:111], v[102:103]
	s_wait_loadcnt 0x5
	s_delay_alu instid0(VALU_DEP_1) | instskip(SKIP_4) | instid1(VALU_DEP_1)
	v_fmac_f64_e32 v[128:129], v[112:113], v[104:105]
	scratch_load_b128 v[102:105], off, off offset:272
	s_wait_dscnt 0x0
	v_fmac_f64_e32 v[128:129], v[114:115], v[106:107]
	s_wait_loadcnt 0x5
	v_fmac_f64_e32 v[128:129], v[124:125], v[108:109]
	ds_load_2addr_b64 v[106:109], v2 offset0:69 offset1:70
	ds_load_2addr_b64 v[110:113], v2 offset0:71 offset1:72
	s_wait_dscnt 0x1
	v_fmac_f64_e32 v[128:129], v[126:127], v[106:107]
	s_wait_loadcnt 0x4
	s_delay_alu instid0(VALU_DEP_1)
	v_fmac_f64_e32 v[128:129], v[94:95], v[108:109]
	scratch_load_b128 v[106:109], off, off offset:288
	s_wait_dscnt 0x0
	v_fmac_f64_e32 v[128:129], v[96:97], v[110:111]
	scratch_load_b128 v[94:97], off, off offset:304
	s_wait_loadcnt 0x5
	v_fmac_f64_e32 v[128:129], v[120:121], v[112:113]
	ds_load_2addr_b64 v[110:113], v2 offset0:73 offset1:74
	ds_load_2addr_b64 v[124:127], v2 offset0:75 offset1:76
	s_wait_dscnt 0x1
	v_fmac_f64_e32 v[128:129], v[122:123], v[110:111]
	s_wait_loadcnt 0x4
	s_delay_alu instid0(VALU_DEP_1)
	v_fmac_f64_e32 v[128:129], v[98:99], v[112:113]
	scratch_load_b128 v[110:113], off, off offset:320
	s_wait_dscnt 0x0
	v_fmac_f64_e32 v[128:129], v[100:101], v[124:125]
	scratch_load_b128 v[98:101], off, off offset:336
	s_wait_loadcnt 0x5
	v_fmac_f64_e32 v[128:129], v[116:117], v[126:127]
	ds_load_2addr_b64 v[114:117], v2 offset0:77 offset1:78
	ds_load_2addr_b64 v[120:123], v2 offset0:79 offset1:80
	s_wait_dscnt 0x1
	v_fmac_f64_e32 v[128:129], v[118:119], v[114:115]
	s_wait_loadcnt 0x4
	s_delay_alu instid0(VALU_DEP_1) | instskip(SKIP_1) | instid1(VALU_DEP_1)
	v_fmac_f64_e32 v[128:129], v[102:103], v[116:117]
	s_wait_dscnt 0x0
	v_fmac_f64_e32 v[128:129], v[104:105], v[120:121]
	ds_load_2addr_b64 v[102:105], v2 offset0:81 offset1:82
	ds_load_2addr_b64 v[114:117], v2 offset0:83 offset1:84
	s_wait_loadcnt 0x3
	v_fmac_f64_e32 v[128:129], v[106:107], v[122:123]
	s_wait_dscnt 0x1
	s_delay_alu instid0(VALU_DEP_1) | instskip(SKIP_1) | instid1(VALU_DEP_1)
	v_fmac_f64_e32 v[128:129], v[108:109], v[102:103]
	s_wait_loadcnt 0x2
	v_fmac_f64_e32 v[128:129], v[94:95], v[104:105]
	s_wait_dscnt 0x0
	s_delay_alu instid0(VALU_DEP_1)
	v_fmac_f64_e32 v[128:129], v[96:97], v[114:115]
	ds_load_2addr_b64 v[94:97], v2 offset0:85 offset1:86
	ds_load_b64 v[102:103], v2 offset:696
	s_wait_loadcnt 0x1
	v_fmac_f64_e32 v[128:129], v[110:111], v[116:117]
	s_wait_dscnt 0x1
	s_delay_alu instid0(VALU_DEP_1) | instskip(SKIP_1) | instid1(VALU_DEP_1)
	v_fmac_f64_e32 v[128:129], v[112:113], v[94:95]
	s_wait_loadcnt 0x0
	v_fmac_f64_e32 v[128:129], v[98:99], v[96:97]
	s_wait_dscnt 0x0
	s_delay_alu instid0(VALU_DEP_1) | instskip(NEXT) | instid1(VALU_DEP_1)
	v_fmac_f64_e32 v[128:129], v[100:101], v[102:103]
	v_add_f64_e64 v[92:93], v[92:93], -v[128:129]
	scratch_store_b64 off, v[92:93], off offset:96
	s_wait_xcnt 0x0
	v_cmpx_lt_u32_e32 11, v0
	s_cbranch_execz .LBB43_251
; %bb.250:
	scratch_load_b64 v[92:93], off, off offset:88
	v_mov_b64_e32 v[94:95], 0
	scratch_store_b64 off, v[94:95], off offset:88
	s_wait_loadcnt 0x0
	ds_store_b64 v1, v[92:93]
.LBB43_251:
	s_wait_xcnt 0x0
	s_or_b32 exec_lo, exec_lo, s0
	s_wait_storecnt_dscnt 0x0
	s_barrier_signal -1
	s_barrier_wait -1
	s_clause 0x5
	scratch_load_b128 v[92:95], off, off offset:88
	scratch_load_b128 v[96:99], off, off offset:104
	;; [unrolled: 1-line block ×6, first 2 shown]
	ds_load_b128 v[116:119], v2 offset:448
	ds_load_b128 v[120:123], v2 offset:464
	scratch_load_b128 v[124:127], off, off offset:184
	s_mov_b32 s0, exec_lo
	s_wait_loadcnt_dscnt 0x601
	v_fma_f64 v[128:129], v[94:95], v[116:117], 0
	s_wait_loadcnt 0x5
	s_delay_alu instid0(VALU_DEP_1) | instskip(SKIP_4) | instid1(VALU_DEP_1)
	v_fmac_f64_e32 v[128:129], v[96:97], v[118:119]
	scratch_load_b128 v[94:97], off, off offset:200
	s_wait_dscnt 0x0
	v_fmac_f64_e32 v[128:129], v[98:99], v[120:121]
	s_wait_loadcnt 0x5
	v_fmac_f64_e32 v[128:129], v[100:101], v[122:123]
	ds_load_b128 v[98:101], v2 offset:480
	ds_load_b128 v[116:119], v2 offset:496
	scratch_load_b128 v[120:123], off, off offset:216
	s_wait_dscnt 0x1
	v_fmac_f64_e32 v[128:129], v[102:103], v[98:99]
	s_wait_loadcnt 0x5
	s_delay_alu instid0(VALU_DEP_1) | instskip(SKIP_4) | instid1(VALU_DEP_1)
	v_fmac_f64_e32 v[128:129], v[104:105], v[100:101]
	scratch_load_b128 v[98:101], off, off offset:232
	s_wait_dscnt 0x0
	v_fmac_f64_e32 v[128:129], v[106:107], v[116:117]
	s_wait_loadcnt 0x5
	v_fmac_f64_e32 v[128:129], v[108:109], v[118:119]
	ds_load_b128 v[102:105], v2 offset:512
	ds_load_b128 v[106:109], v2 offset:528
	scratch_load_b128 v[116:119], off, off offset:248
	s_wait_dscnt 0x1
	v_fmac_f64_e32 v[128:129], v[110:111], v[102:103]
	s_wait_loadcnt 0x5
	s_delay_alu instid0(VALU_DEP_1) | instskip(SKIP_4) | instid1(VALU_DEP_1)
	v_fmac_f64_e32 v[128:129], v[112:113], v[104:105]
	scratch_load_b128 v[102:105], off, off offset:264
	s_wait_dscnt 0x0
	v_fmac_f64_e32 v[128:129], v[114:115], v[106:107]
	s_wait_loadcnt 0x5
	v_fmac_f64_e32 v[128:129], v[124:125], v[108:109]
	ds_load_b128 v[106:109], v2 offset:544
	ds_load_b128 v[110:113], v2 offset:560
	s_wait_dscnt 0x1
	v_fmac_f64_e32 v[128:129], v[126:127], v[106:107]
	s_wait_loadcnt 0x4
	s_delay_alu instid0(VALU_DEP_1)
	v_fmac_f64_e32 v[128:129], v[94:95], v[108:109]
	scratch_load_b128 v[106:109], off, off offset:280
	s_wait_dscnt 0x0
	v_fmac_f64_e32 v[128:129], v[96:97], v[110:111]
	scratch_load_b128 v[94:97], off, off offset:296
	s_wait_loadcnt 0x5
	v_fmac_f64_e32 v[128:129], v[120:121], v[112:113]
	ds_load_b128 v[110:113], v2 offset:576
	ds_load_b128 v[124:127], v2 offset:592
	s_wait_dscnt 0x1
	v_fmac_f64_e32 v[128:129], v[122:123], v[110:111]
	s_wait_loadcnt 0x4
	s_delay_alu instid0(VALU_DEP_1)
	v_fmac_f64_e32 v[128:129], v[98:99], v[112:113]
	scratch_load_b128 v[110:113], off, off offset:312
	s_wait_dscnt 0x0
	v_fmac_f64_e32 v[128:129], v[100:101], v[124:125]
	scratch_load_b128 v[98:101], off, off offset:328
	s_wait_loadcnt 0x5
	v_fmac_f64_e32 v[128:129], v[116:117], v[126:127]
	ds_load_b128 v[114:117], v2 offset:608
	ds_load_b128 v[120:123], v2 offset:624
	s_wait_dscnt 0x1
	v_fmac_f64_e32 v[128:129], v[118:119], v[114:115]
	scratch_load_b64 v[118:119], off, off offset:344
	s_wait_loadcnt 0x5
	v_fmac_f64_e32 v[128:129], v[102:103], v[116:117]
	s_wait_dscnt 0x0
	s_delay_alu instid0(VALU_DEP_1)
	v_fmac_f64_e32 v[128:129], v[104:105], v[120:121]
	ds_load_b128 v[102:105], v2 offset:640
	ds_load_b128 v[114:117], v2 offset:656
	s_wait_loadcnt 0x4
	v_fmac_f64_e32 v[128:129], v[106:107], v[122:123]
	s_wait_dscnt 0x1
	s_delay_alu instid0(VALU_DEP_1) | instskip(SKIP_1) | instid1(VALU_DEP_1)
	v_fmac_f64_e32 v[128:129], v[108:109], v[102:103]
	s_wait_loadcnt 0x3
	v_fmac_f64_e32 v[128:129], v[94:95], v[104:105]
	s_wait_dscnt 0x0
	s_delay_alu instid0(VALU_DEP_1)
	v_fmac_f64_e32 v[128:129], v[96:97], v[114:115]
	ds_load_b128 v[94:97], v2 offset:672
	ds_load_b128 v[102:105], v2 offset:688
	s_wait_loadcnt 0x2
	v_fmac_f64_e32 v[128:129], v[110:111], v[116:117]
	s_wait_dscnt 0x1
	s_delay_alu instid0(VALU_DEP_1) | instskip(SKIP_1) | instid1(VALU_DEP_1)
	v_fmac_f64_e32 v[128:129], v[112:113], v[94:95]
	s_wait_loadcnt 0x1
	v_fmac_f64_e32 v[128:129], v[98:99], v[96:97]
	s_wait_dscnt 0x0
	s_delay_alu instid0(VALU_DEP_1) | instskip(SKIP_1) | instid1(VALU_DEP_1)
	v_fmac_f64_e32 v[128:129], v[100:101], v[102:103]
	s_wait_loadcnt 0x0
	v_fmac_f64_e32 v[128:129], v[118:119], v[104:105]
	s_delay_alu instid0(VALU_DEP_1)
	v_add_f64_e64 v[2:3], v[92:93], -v[128:129]
	scratch_store_b64 off, v[2:3], off offset:88
	s_wait_xcnt 0x0
	v_cmpx_lt_u32_e32 10, v0
	s_cbranch_execz .LBB43_253
; %bb.252:
	scratch_load_b64 v[2:3], off, off offset:80
	v_mov_b64_e32 v[92:93], 0
	scratch_store_b64 off, v[92:93], off offset:80
	s_wait_loadcnt 0x0
	ds_store_b64 v1, v[2:3]
.LBB43_253:
	s_wait_xcnt 0x0
	s_or_b32 exec_lo, exec_lo, s0
	s_wait_storecnt_dscnt 0x0
	s_barrier_signal -1
	s_barrier_wait -1
	s_clause 0x5
	scratch_load_b128 v[92:95], off, off offset:80
	scratch_load_b128 v[96:99], off, off offset:96
	;; [unrolled: 1-line block ×6, first 2 shown]
	v_mov_b32_e32 v2, 0
	ds_load_2addr_b64 v[116:119], v2 offset0:55 offset1:56
	ds_load_2addr_b64 v[120:123], v2 offset0:57 offset1:58
	scratch_load_b128 v[124:127], off, off offset:176
	s_mov_b32 s0, exec_lo
	s_wait_loadcnt_dscnt 0x601
	v_fma_f64 v[128:129], v[94:95], v[116:117], 0
	s_wait_loadcnt 0x5
	s_delay_alu instid0(VALU_DEP_1) | instskip(SKIP_4) | instid1(VALU_DEP_1)
	v_fmac_f64_e32 v[128:129], v[96:97], v[118:119]
	scratch_load_b128 v[94:97], off, off offset:192
	s_wait_dscnt 0x0
	v_fmac_f64_e32 v[128:129], v[98:99], v[120:121]
	s_wait_loadcnt 0x5
	v_fmac_f64_e32 v[128:129], v[100:101], v[122:123]
	ds_load_2addr_b64 v[98:101], v2 offset0:59 offset1:60
	ds_load_2addr_b64 v[116:119], v2 offset0:61 offset1:62
	scratch_load_b128 v[120:123], off, off offset:208
	s_wait_dscnt 0x1
	v_fmac_f64_e32 v[128:129], v[102:103], v[98:99]
	s_wait_loadcnt 0x5
	s_delay_alu instid0(VALU_DEP_1) | instskip(SKIP_4) | instid1(VALU_DEP_1)
	v_fmac_f64_e32 v[128:129], v[104:105], v[100:101]
	scratch_load_b128 v[98:101], off, off offset:224
	s_wait_dscnt 0x0
	v_fmac_f64_e32 v[128:129], v[106:107], v[116:117]
	s_wait_loadcnt 0x5
	v_fmac_f64_e32 v[128:129], v[108:109], v[118:119]
	ds_load_2addr_b64 v[102:105], v2 offset0:63 offset1:64
	ds_load_2addr_b64 v[106:109], v2 offset0:65 offset1:66
	scratch_load_b128 v[116:119], off, off offset:240
	s_wait_dscnt 0x1
	v_fmac_f64_e32 v[128:129], v[110:111], v[102:103]
	s_wait_loadcnt 0x5
	s_delay_alu instid0(VALU_DEP_1) | instskip(SKIP_4) | instid1(VALU_DEP_1)
	v_fmac_f64_e32 v[128:129], v[112:113], v[104:105]
	scratch_load_b128 v[102:105], off, off offset:256
	s_wait_dscnt 0x0
	v_fmac_f64_e32 v[128:129], v[114:115], v[106:107]
	s_wait_loadcnt 0x5
	v_fmac_f64_e32 v[128:129], v[124:125], v[108:109]
	ds_load_2addr_b64 v[106:109], v2 offset0:67 offset1:68
	ds_load_2addr_b64 v[110:113], v2 offset0:69 offset1:70
	s_wait_dscnt 0x1
	v_fmac_f64_e32 v[128:129], v[126:127], v[106:107]
	s_wait_loadcnt 0x4
	s_delay_alu instid0(VALU_DEP_1)
	v_fmac_f64_e32 v[128:129], v[94:95], v[108:109]
	scratch_load_b128 v[106:109], off, off offset:272
	s_wait_dscnt 0x0
	v_fmac_f64_e32 v[128:129], v[96:97], v[110:111]
	scratch_load_b128 v[94:97], off, off offset:288
	s_wait_loadcnt 0x5
	v_fmac_f64_e32 v[128:129], v[120:121], v[112:113]
	ds_load_2addr_b64 v[110:113], v2 offset0:71 offset1:72
	ds_load_2addr_b64 v[124:127], v2 offset0:73 offset1:74
	s_wait_dscnt 0x1
	v_fmac_f64_e32 v[128:129], v[122:123], v[110:111]
	s_wait_loadcnt 0x4
	s_delay_alu instid0(VALU_DEP_1)
	v_fmac_f64_e32 v[128:129], v[98:99], v[112:113]
	scratch_load_b128 v[110:113], off, off offset:304
	s_wait_dscnt 0x0
	v_fmac_f64_e32 v[128:129], v[100:101], v[124:125]
	scratch_load_b128 v[98:101], off, off offset:320
	s_wait_loadcnt 0x5
	v_fmac_f64_e32 v[128:129], v[116:117], v[126:127]
	ds_load_2addr_b64 v[114:117], v2 offset0:75 offset1:76
	ds_load_2addr_b64 v[120:123], v2 offset0:77 offset1:78
	s_wait_dscnt 0x1
	v_fmac_f64_e32 v[128:129], v[118:119], v[114:115]
	s_wait_loadcnt 0x4
	s_delay_alu instid0(VALU_DEP_1)
	v_fmac_f64_e32 v[128:129], v[102:103], v[116:117]
	scratch_load_b128 v[114:117], off, off offset:336
	s_wait_dscnt 0x0
	v_fmac_f64_e32 v[128:129], v[104:105], v[120:121]
	ds_load_2addr_b64 v[102:105], v2 offset0:79 offset1:80
	ds_load_2addr_b64 v[118:121], v2 offset0:81 offset1:82
	s_wait_loadcnt 0x4
	v_fmac_f64_e32 v[128:129], v[106:107], v[122:123]
	s_wait_dscnt 0x1
	s_delay_alu instid0(VALU_DEP_1) | instskip(SKIP_1) | instid1(VALU_DEP_1)
	v_fmac_f64_e32 v[128:129], v[108:109], v[102:103]
	s_wait_loadcnt 0x3
	v_fmac_f64_e32 v[128:129], v[94:95], v[104:105]
	s_wait_dscnt 0x0
	s_delay_alu instid0(VALU_DEP_1)
	v_fmac_f64_e32 v[128:129], v[96:97], v[118:119]
	ds_load_2addr_b64 v[94:97], v2 offset0:83 offset1:84
	ds_load_2addr_b64 v[102:105], v2 offset0:85 offset1:86
	s_wait_loadcnt 0x2
	v_fmac_f64_e32 v[128:129], v[110:111], v[120:121]
	s_wait_dscnt 0x1
	s_delay_alu instid0(VALU_DEP_1) | instskip(SKIP_4) | instid1(VALU_DEP_1)
	v_fmac_f64_e32 v[128:129], v[112:113], v[94:95]
	ds_load_b64 v[94:95], v2 offset:696
	s_wait_loadcnt 0x1
	v_fmac_f64_e32 v[128:129], v[98:99], v[96:97]
	s_wait_dscnt 0x1
	v_fmac_f64_e32 v[128:129], v[100:101], v[102:103]
	s_wait_loadcnt 0x0
	s_delay_alu instid0(VALU_DEP_1) | instskip(SKIP_1) | instid1(VALU_DEP_1)
	v_fmac_f64_e32 v[128:129], v[114:115], v[104:105]
	s_wait_dscnt 0x0
	v_fmac_f64_e32 v[128:129], v[116:117], v[94:95]
	s_delay_alu instid0(VALU_DEP_1)
	v_add_f64_e64 v[92:93], v[92:93], -v[128:129]
	scratch_store_b64 off, v[92:93], off offset:80
	s_wait_xcnt 0x0
	v_cmpx_lt_u32_e32 9, v0
	s_cbranch_execz .LBB43_255
; %bb.254:
	scratch_load_b64 v[92:93], off, off offset:72
	v_mov_b64_e32 v[94:95], 0
	scratch_store_b64 off, v[94:95], off offset:72
	s_wait_loadcnt 0x0
	ds_store_b64 v1, v[92:93]
.LBB43_255:
	s_wait_xcnt 0x0
	s_or_b32 exec_lo, exec_lo, s0
	s_wait_storecnt_dscnt 0x0
	s_barrier_signal -1
	s_barrier_wait -1
	s_clause 0x5
	scratch_load_b128 v[92:95], off, off offset:72
	scratch_load_b128 v[96:99], off, off offset:88
	;; [unrolled: 1-line block ×6, first 2 shown]
	ds_load_b128 v[116:119], v2 offset:432
	ds_load_b128 v[120:123], v2 offset:448
	scratch_load_b128 v[124:127], off, off offset:168
	s_mov_b32 s0, exec_lo
	s_wait_loadcnt_dscnt 0x601
	v_fma_f64 v[128:129], v[94:95], v[116:117], 0
	s_wait_loadcnt 0x5
	s_delay_alu instid0(VALU_DEP_1) | instskip(SKIP_4) | instid1(VALU_DEP_1)
	v_fmac_f64_e32 v[128:129], v[96:97], v[118:119]
	scratch_load_b128 v[94:97], off, off offset:184
	s_wait_dscnt 0x0
	v_fmac_f64_e32 v[128:129], v[98:99], v[120:121]
	s_wait_loadcnt 0x5
	v_fmac_f64_e32 v[128:129], v[100:101], v[122:123]
	ds_load_b128 v[98:101], v2 offset:464
	ds_load_b128 v[116:119], v2 offset:480
	scratch_load_b128 v[120:123], off, off offset:200
	s_wait_dscnt 0x1
	v_fmac_f64_e32 v[128:129], v[102:103], v[98:99]
	s_wait_loadcnt 0x5
	s_delay_alu instid0(VALU_DEP_1) | instskip(SKIP_4) | instid1(VALU_DEP_1)
	v_fmac_f64_e32 v[128:129], v[104:105], v[100:101]
	scratch_load_b128 v[98:101], off, off offset:216
	s_wait_dscnt 0x0
	v_fmac_f64_e32 v[128:129], v[106:107], v[116:117]
	s_wait_loadcnt 0x5
	v_fmac_f64_e32 v[128:129], v[108:109], v[118:119]
	ds_load_b128 v[102:105], v2 offset:496
	ds_load_b128 v[106:109], v2 offset:512
	scratch_load_b128 v[116:119], off, off offset:232
	s_wait_dscnt 0x1
	v_fmac_f64_e32 v[128:129], v[110:111], v[102:103]
	s_wait_loadcnt 0x5
	s_delay_alu instid0(VALU_DEP_1) | instskip(SKIP_4) | instid1(VALU_DEP_1)
	v_fmac_f64_e32 v[128:129], v[112:113], v[104:105]
	scratch_load_b128 v[102:105], off, off offset:248
	s_wait_dscnt 0x0
	v_fmac_f64_e32 v[128:129], v[114:115], v[106:107]
	s_wait_loadcnt 0x5
	v_fmac_f64_e32 v[128:129], v[124:125], v[108:109]
	ds_load_b128 v[106:109], v2 offset:528
	ds_load_b128 v[110:113], v2 offset:544
	s_wait_dscnt 0x1
	v_fmac_f64_e32 v[128:129], v[126:127], v[106:107]
	scratch_load_b128 v[124:127], off, off offset:264
	s_wait_loadcnt 0x5
	v_fmac_f64_e32 v[128:129], v[94:95], v[108:109]
	s_wait_dscnt 0x0
	s_delay_alu instid0(VALU_DEP_1)
	v_fmac_f64_e32 v[128:129], v[96:97], v[110:111]
	scratch_load_b128 v[94:97], off, off offset:280
	s_wait_loadcnt 0x5
	v_fmac_f64_e32 v[128:129], v[120:121], v[112:113]
	ds_load_b128 v[106:109], v2 offset:560
	ds_load_b128 v[110:113], v2 offset:576
	s_wait_dscnt 0x1
	v_fmac_f64_e32 v[128:129], v[122:123], v[106:107]
	s_wait_loadcnt 0x4
	s_delay_alu instid0(VALU_DEP_1)
	v_fmac_f64_e32 v[128:129], v[98:99], v[108:109]
	scratch_load_b128 v[106:109], off, off offset:296
	s_wait_dscnt 0x0
	v_fmac_f64_e32 v[128:129], v[100:101], v[110:111]
	scratch_load_b128 v[98:101], off, off offset:312
	s_wait_loadcnt 0x5
	v_fmac_f64_e32 v[128:129], v[116:117], v[112:113]
	ds_load_b128 v[110:113], v2 offset:592
	ds_load_b128 v[114:117], v2 offset:608
	s_wait_dscnt 0x1
	v_fmac_f64_e32 v[128:129], v[118:119], v[110:111]
	scratch_load_b64 v[118:119], off, off offset:344
	s_wait_loadcnt 0x5
	v_fmac_f64_e32 v[128:129], v[102:103], v[112:113]
	scratch_load_b128 v[110:113], off, off offset:328
	s_wait_dscnt 0x0
	v_fmac_f64_e32 v[128:129], v[104:105], v[114:115]
	s_wait_loadcnt 0x5
	s_delay_alu instid0(VALU_DEP_1)
	v_fmac_f64_e32 v[128:129], v[124:125], v[116:117]
	ds_load_b128 v[102:105], v2 offset:624
	ds_load_b128 v[114:117], v2 offset:640
	s_wait_dscnt 0x1
	v_fmac_f64_e32 v[128:129], v[126:127], v[102:103]
	s_wait_loadcnt 0x4
	s_delay_alu instid0(VALU_DEP_1) | instskip(SKIP_1) | instid1(VALU_DEP_1)
	v_fmac_f64_e32 v[128:129], v[94:95], v[104:105]
	s_wait_dscnt 0x0
	v_fmac_f64_e32 v[128:129], v[96:97], v[114:115]
	ds_load_b128 v[94:97], v2 offset:656
	ds_load_b128 v[102:105], v2 offset:672
	s_wait_loadcnt 0x3
	v_fmac_f64_e32 v[128:129], v[106:107], v[116:117]
	s_wait_dscnt 0x1
	s_delay_alu instid0(VALU_DEP_1) | instskip(SKIP_1) | instid1(VALU_DEP_1)
	v_fmac_f64_e32 v[128:129], v[108:109], v[94:95]
	s_wait_loadcnt 0x2
	v_fmac_f64_e32 v[128:129], v[98:99], v[96:97]
	ds_load_b128 v[94:97], v2 offset:688
	s_wait_dscnt 0x1
	v_fmac_f64_e32 v[128:129], v[100:101], v[102:103]
	s_wait_loadcnt 0x0
	s_delay_alu instid0(VALU_DEP_1) | instskip(SKIP_1) | instid1(VALU_DEP_1)
	v_fmac_f64_e32 v[128:129], v[110:111], v[104:105]
	s_wait_dscnt 0x0
	v_fmac_f64_e32 v[128:129], v[112:113], v[94:95]
	s_delay_alu instid0(VALU_DEP_1) | instskip(NEXT) | instid1(VALU_DEP_1)
	v_fmac_f64_e32 v[128:129], v[118:119], v[96:97]
	v_add_f64_e64 v[2:3], v[92:93], -v[128:129]
	scratch_store_b64 off, v[2:3], off offset:72
	s_wait_xcnt 0x0
	v_cmpx_lt_u32_e32 8, v0
	s_cbranch_execz .LBB43_257
; %bb.256:
	scratch_load_b64 v[2:3], off, off offset:64
	v_mov_b64_e32 v[92:93], 0
	scratch_store_b64 off, v[92:93], off offset:64
	s_wait_loadcnt 0x0
	ds_store_b64 v1, v[2:3]
.LBB43_257:
	s_wait_xcnt 0x0
	s_or_b32 exec_lo, exec_lo, s0
	s_wait_storecnt_dscnt 0x0
	s_barrier_signal -1
	s_barrier_wait -1
	s_clause 0x5
	scratch_load_b128 v[92:95], off, off offset:64
	scratch_load_b128 v[96:99], off, off offset:80
	;; [unrolled: 1-line block ×6, first 2 shown]
	v_mov_b32_e32 v2, 0
	ds_load_2addr_b64 v[116:119], v2 offset0:53 offset1:54
	ds_load_2addr_b64 v[120:123], v2 offset0:55 offset1:56
	scratch_load_b128 v[124:127], off, off offset:160
	s_mov_b32 s0, exec_lo
	s_wait_loadcnt_dscnt 0x601
	v_fma_f64 v[128:129], v[94:95], v[116:117], 0
	s_wait_loadcnt 0x5
	s_delay_alu instid0(VALU_DEP_1) | instskip(SKIP_4) | instid1(VALU_DEP_1)
	v_fmac_f64_e32 v[128:129], v[96:97], v[118:119]
	scratch_load_b128 v[94:97], off, off offset:176
	s_wait_dscnt 0x0
	v_fmac_f64_e32 v[128:129], v[98:99], v[120:121]
	s_wait_loadcnt 0x5
	v_fmac_f64_e32 v[128:129], v[100:101], v[122:123]
	ds_load_2addr_b64 v[98:101], v2 offset0:57 offset1:58
	ds_load_2addr_b64 v[116:119], v2 offset0:59 offset1:60
	scratch_load_b128 v[120:123], off, off offset:192
	s_wait_dscnt 0x1
	v_fmac_f64_e32 v[128:129], v[102:103], v[98:99]
	s_wait_loadcnt 0x5
	s_delay_alu instid0(VALU_DEP_1) | instskip(SKIP_4) | instid1(VALU_DEP_1)
	v_fmac_f64_e32 v[128:129], v[104:105], v[100:101]
	scratch_load_b128 v[98:101], off, off offset:208
	s_wait_dscnt 0x0
	v_fmac_f64_e32 v[128:129], v[106:107], v[116:117]
	s_wait_loadcnt 0x5
	v_fmac_f64_e32 v[128:129], v[108:109], v[118:119]
	ds_load_2addr_b64 v[102:105], v2 offset0:61 offset1:62
	ds_load_2addr_b64 v[106:109], v2 offset0:63 offset1:64
	scratch_load_b128 v[116:119], off, off offset:224
	s_wait_dscnt 0x1
	v_fmac_f64_e32 v[128:129], v[110:111], v[102:103]
	s_wait_loadcnt 0x5
	s_delay_alu instid0(VALU_DEP_1) | instskip(SKIP_4) | instid1(VALU_DEP_1)
	v_fmac_f64_e32 v[128:129], v[112:113], v[104:105]
	scratch_load_b128 v[102:105], off, off offset:240
	s_wait_dscnt 0x0
	v_fmac_f64_e32 v[128:129], v[114:115], v[106:107]
	s_wait_loadcnt 0x5
	v_fmac_f64_e32 v[128:129], v[124:125], v[108:109]
	ds_load_2addr_b64 v[106:109], v2 offset0:65 offset1:66
	ds_load_2addr_b64 v[110:113], v2 offset0:67 offset1:68
	s_wait_dscnt 0x1
	v_fmac_f64_e32 v[128:129], v[126:127], v[106:107]
	scratch_load_b128 v[124:127], off, off offset:256
	s_wait_loadcnt 0x5
	v_fmac_f64_e32 v[128:129], v[94:95], v[108:109]
	s_wait_dscnt 0x0
	s_delay_alu instid0(VALU_DEP_1)
	v_fmac_f64_e32 v[128:129], v[96:97], v[110:111]
	scratch_load_b128 v[94:97], off, off offset:272
	s_wait_loadcnt 0x5
	v_fmac_f64_e32 v[128:129], v[120:121], v[112:113]
	ds_load_2addr_b64 v[106:109], v2 offset0:69 offset1:70
	ds_load_2addr_b64 v[110:113], v2 offset0:71 offset1:72
	s_wait_dscnt 0x1
	v_fmac_f64_e32 v[128:129], v[122:123], v[106:107]
	s_wait_loadcnt 0x4
	s_delay_alu instid0(VALU_DEP_1)
	v_fmac_f64_e32 v[128:129], v[98:99], v[108:109]
	scratch_load_b128 v[106:109], off, off offset:288
	s_wait_dscnt 0x0
	v_fmac_f64_e32 v[128:129], v[100:101], v[110:111]
	scratch_load_b128 v[98:101], off, off offset:304
	s_wait_loadcnt 0x5
	v_fmac_f64_e32 v[128:129], v[116:117], v[112:113]
	ds_load_2addr_b64 v[110:113], v2 offset0:73 offset1:74
	ds_load_2addr_b64 v[114:117], v2 offset0:75 offset1:76
	s_wait_dscnt 0x1
	v_fmac_f64_e32 v[128:129], v[118:119], v[110:111]
	s_wait_loadcnt 0x4
	s_delay_alu instid0(VALU_DEP_1)
	v_fmac_f64_e32 v[128:129], v[102:103], v[112:113]
	scratch_load_b128 v[110:113], off, off offset:320
	s_wait_dscnt 0x0
	v_fmac_f64_e32 v[128:129], v[104:105], v[114:115]
	scratch_load_b128 v[102:105], off, off offset:336
	s_wait_loadcnt 0x5
	v_fmac_f64_e32 v[128:129], v[124:125], v[116:117]
	ds_load_2addr_b64 v[114:117], v2 offset0:77 offset1:78
	ds_load_2addr_b64 v[118:121], v2 offset0:79 offset1:80
	s_wait_dscnt 0x1
	v_fmac_f64_e32 v[128:129], v[126:127], v[114:115]
	s_wait_loadcnt 0x4
	s_delay_alu instid0(VALU_DEP_1) | instskip(SKIP_1) | instid1(VALU_DEP_1)
	v_fmac_f64_e32 v[128:129], v[94:95], v[116:117]
	s_wait_dscnt 0x0
	v_fmac_f64_e32 v[128:129], v[96:97], v[118:119]
	ds_load_2addr_b64 v[94:97], v2 offset0:81 offset1:82
	ds_load_2addr_b64 v[114:117], v2 offset0:83 offset1:84
	s_wait_loadcnt 0x3
	v_fmac_f64_e32 v[128:129], v[106:107], v[120:121]
	s_wait_dscnt 0x1
	s_delay_alu instid0(VALU_DEP_1) | instskip(SKIP_1) | instid1(VALU_DEP_1)
	v_fmac_f64_e32 v[128:129], v[108:109], v[94:95]
	s_wait_loadcnt 0x2
	v_fmac_f64_e32 v[128:129], v[98:99], v[96:97]
	ds_load_2addr_b64 v[94:97], v2 offset0:85 offset1:86
	ds_load_b64 v[98:99], v2 offset:696
	s_wait_dscnt 0x2
	v_fmac_f64_e32 v[128:129], v[100:101], v[114:115]
	s_wait_loadcnt 0x1
	s_delay_alu instid0(VALU_DEP_1) | instskip(SKIP_1) | instid1(VALU_DEP_1)
	v_fmac_f64_e32 v[128:129], v[110:111], v[116:117]
	s_wait_dscnt 0x1
	v_fmac_f64_e32 v[128:129], v[112:113], v[94:95]
	s_wait_loadcnt 0x0
	s_delay_alu instid0(VALU_DEP_1) | instskip(SKIP_1) | instid1(VALU_DEP_1)
	v_fmac_f64_e32 v[128:129], v[102:103], v[96:97]
	s_wait_dscnt 0x0
	v_fmac_f64_e32 v[128:129], v[104:105], v[98:99]
	s_delay_alu instid0(VALU_DEP_1)
	v_add_f64_e64 v[92:93], v[92:93], -v[128:129]
	scratch_store_b64 off, v[92:93], off offset:64
	s_wait_xcnt 0x0
	v_cmpx_lt_u32_e32 7, v0
	s_cbranch_execz .LBB43_259
; %bb.258:
	scratch_load_b64 v[92:93], off, off offset:56
	v_mov_b64_e32 v[94:95], 0
	scratch_store_b64 off, v[94:95], off offset:56
	s_wait_loadcnt 0x0
	ds_store_b64 v1, v[92:93]
.LBB43_259:
	s_wait_xcnt 0x0
	s_or_b32 exec_lo, exec_lo, s0
	s_wait_storecnt_dscnt 0x0
	s_barrier_signal -1
	s_barrier_wait -1
	s_clause 0x5
	scratch_load_b128 v[92:95], off, off offset:56
	scratch_load_b128 v[96:99], off, off offset:72
	;; [unrolled: 1-line block ×6, first 2 shown]
	ds_load_b128 v[116:119], v2 offset:416
	ds_load_b128 v[120:123], v2 offset:432
	scratch_load_b128 v[124:127], off, off offset:152
	s_mov_b32 s0, exec_lo
	s_wait_loadcnt_dscnt 0x601
	v_fma_f64 v[128:129], v[94:95], v[116:117], 0
	s_wait_loadcnt 0x5
	s_delay_alu instid0(VALU_DEP_1) | instskip(SKIP_4) | instid1(VALU_DEP_1)
	v_fmac_f64_e32 v[128:129], v[96:97], v[118:119]
	scratch_load_b128 v[94:97], off, off offset:168
	s_wait_dscnt 0x0
	v_fmac_f64_e32 v[128:129], v[98:99], v[120:121]
	s_wait_loadcnt 0x5
	v_fmac_f64_e32 v[128:129], v[100:101], v[122:123]
	ds_load_b128 v[98:101], v2 offset:448
	ds_load_b128 v[116:119], v2 offset:464
	scratch_load_b128 v[120:123], off, off offset:184
	s_wait_dscnt 0x1
	v_fmac_f64_e32 v[128:129], v[102:103], v[98:99]
	s_wait_loadcnt 0x5
	s_delay_alu instid0(VALU_DEP_1) | instskip(SKIP_4) | instid1(VALU_DEP_1)
	v_fmac_f64_e32 v[128:129], v[104:105], v[100:101]
	scratch_load_b128 v[98:101], off, off offset:200
	s_wait_dscnt 0x0
	v_fmac_f64_e32 v[128:129], v[106:107], v[116:117]
	s_wait_loadcnt 0x5
	v_fmac_f64_e32 v[128:129], v[108:109], v[118:119]
	ds_load_b128 v[102:105], v2 offset:480
	ds_load_b128 v[106:109], v2 offset:496
	scratch_load_b128 v[116:119], off, off offset:216
	s_wait_dscnt 0x1
	v_fmac_f64_e32 v[128:129], v[110:111], v[102:103]
	s_wait_loadcnt 0x5
	s_delay_alu instid0(VALU_DEP_1) | instskip(SKIP_4) | instid1(VALU_DEP_1)
	v_fmac_f64_e32 v[128:129], v[112:113], v[104:105]
	scratch_load_b128 v[102:105], off, off offset:232
	s_wait_dscnt 0x0
	v_fmac_f64_e32 v[128:129], v[114:115], v[106:107]
	s_wait_loadcnt 0x5
	v_fmac_f64_e32 v[128:129], v[124:125], v[108:109]
	ds_load_b128 v[106:109], v2 offset:512
	ds_load_b128 v[110:113], v2 offset:528
	s_wait_dscnt 0x1
	v_fmac_f64_e32 v[128:129], v[126:127], v[106:107]
	scratch_load_b128 v[124:127], off, off offset:248
	s_wait_loadcnt 0x5
	v_fmac_f64_e32 v[128:129], v[94:95], v[108:109]
	s_wait_dscnt 0x0
	s_delay_alu instid0(VALU_DEP_1)
	v_fmac_f64_e32 v[128:129], v[96:97], v[110:111]
	scratch_load_b128 v[94:97], off, off offset:264
	s_wait_loadcnt 0x5
	v_fmac_f64_e32 v[128:129], v[120:121], v[112:113]
	ds_load_b128 v[106:109], v2 offset:544
	ds_load_b128 v[110:113], v2 offset:560
	s_wait_dscnt 0x1
	v_fmac_f64_e32 v[128:129], v[122:123], v[106:107]
	s_wait_loadcnt 0x4
	s_delay_alu instid0(VALU_DEP_1)
	v_fmac_f64_e32 v[128:129], v[98:99], v[108:109]
	scratch_load_b128 v[106:109], off, off offset:280
	s_wait_dscnt 0x0
	v_fmac_f64_e32 v[128:129], v[100:101], v[110:111]
	scratch_load_b128 v[98:101], off, off offset:296
	s_wait_loadcnt 0x5
	v_fmac_f64_e32 v[128:129], v[116:117], v[112:113]
	ds_load_b128 v[110:113], v2 offset:576
	ds_load_b128 v[114:117], v2 offset:592
	s_wait_dscnt 0x1
	v_fmac_f64_e32 v[128:129], v[118:119], v[110:111]
	s_wait_loadcnt 0x4
	s_delay_alu instid0(VALU_DEP_1)
	v_fmac_f64_e32 v[128:129], v[102:103], v[112:113]
	scratch_load_b128 v[110:113], off, off offset:312
	s_wait_dscnt 0x0
	v_fmac_f64_e32 v[128:129], v[104:105], v[114:115]
	scratch_load_b128 v[102:105], off, off offset:328
	s_wait_loadcnt 0x5
	v_fmac_f64_e32 v[128:129], v[124:125], v[116:117]
	ds_load_b128 v[114:117], v2 offset:608
	ds_load_b128 v[118:121], v2 offset:624
	scratch_load_b64 v[122:123], off, off offset:344
	s_wait_dscnt 0x1
	v_fmac_f64_e32 v[128:129], v[126:127], v[114:115]
	s_wait_loadcnt 0x5
	s_delay_alu instid0(VALU_DEP_1) | instskip(SKIP_1) | instid1(VALU_DEP_1)
	v_fmac_f64_e32 v[128:129], v[94:95], v[116:117]
	s_wait_dscnt 0x0
	v_fmac_f64_e32 v[128:129], v[96:97], v[118:119]
	ds_load_b128 v[94:97], v2 offset:640
	ds_load_b128 v[114:117], v2 offset:656
	s_wait_loadcnt 0x4
	v_fmac_f64_e32 v[128:129], v[106:107], v[120:121]
	s_wait_dscnt 0x1
	s_delay_alu instid0(VALU_DEP_1) | instskip(SKIP_1) | instid1(VALU_DEP_1)
	v_fmac_f64_e32 v[128:129], v[108:109], v[94:95]
	s_wait_loadcnt 0x3
	v_fmac_f64_e32 v[128:129], v[98:99], v[96:97]
	s_wait_dscnt 0x0
	s_delay_alu instid0(VALU_DEP_1)
	v_fmac_f64_e32 v[128:129], v[100:101], v[114:115]
	ds_load_b128 v[94:97], v2 offset:672
	ds_load_b128 v[98:101], v2 offset:688
	s_wait_loadcnt 0x2
	v_fmac_f64_e32 v[128:129], v[110:111], v[116:117]
	s_wait_dscnt 0x1
	s_delay_alu instid0(VALU_DEP_1) | instskip(SKIP_1) | instid1(VALU_DEP_1)
	v_fmac_f64_e32 v[128:129], v[112:113], v[94:95]
	s_wait_loadcnt 0x1
	v_fmac_f64_e32 v[128:129], v[102:103], v[96:97]
	s_wait_dscnt 0x0
	s_delay_alu instid0(VALU_DEP_1) | instskip(SKIP_1) | instid1(VALU_DEP_1)
	v_fmac_f64_e32 v[128:129], v[104:105], v[98:99]
	s_wait_loadcnt 0x0
	v_fmac_f64_e32 v[128:129], v[122:123], v[100:101]
	s_delay_alu instid0(VALU_DEP_1)
	v_add_f64_e64 v[2:3], v[92:93], -v[128:129]
	scratch_store_b64 off, v[2:3], off offset:56
	s_wait_xcnt 0x0
	v_cmpx_lt_u32_e32 6, v0
	s_cbranch_execz .LBB43_261
; %bb.260:
	scratch_load_b64 v[2:3], off, off offset:48
	v_mov_b64_e32 v[92:93], 0
	scratch_store_b64 off, v[92:93], off offset:48
	s_wait_loadcnt 0x0
	ds_store_b64 v1, v[2:3]
.LBB43_261:
	s_wait_xcnt 0x0
	s_or_b32 exec_lo, exec_lo, s0
	s_wait_storecnt_dscnt 0x0
	s_barrier_signal -1
	s_barrier_wait -1
	s_clause 0x5
	scratch_load_b128 v[92:95], off, off offset:48
	scratch_load_b128 v[96:99], off, off offset:64
	;; [unrolled: 1-line block ×6, first 2 shown]
	v_mov_b32_e32 v2, 0
	ds_load_2addr_b64 v[116:119], v2 offset0:51 offset1:52
	ds_load_2addr_b64 v[120:123], v2 offset0:53 offset1:54
	scratch_load_b128 v[124:127], off, off offset:144
	s_mov_b32 s0, exec_lo
	s_wait_loadcnt_dscnt 0x601
	v_fma_f64 v[128:129], v[94:95], v[116:117], 0
	s_wait_loadcnt 0x5
	s_delay_alu instid0(VALU_DEP_1) | instskip(SKIP_4) | instid1(VALU_DEP_1)
	v_fmac_f64_e32 v[128:129], v[96:97], v[118:119]
	scratch_load_b128 v[94:97], off, off offset:160
	s_wait_dscnt 0x0
	v_fmac_f64_e32 v[128:129], v[98:99], v[120:121]
	s_wait_loadcnt 0x5
	v_fmac_f64_e32 v[128:129], v[100:101], v[122:123]
	ds_load_2addr_b64 v[98:101], v2 offset0:55 offset1:56
	ds_load_2addr_b64 v[116:119], v2 offset0:57 offset1:58
	scratch_load_b128 v[120:123], off, off offset:176
	s_wait_dscnt 0x1
	v_fmac_f64_e32 v[128:129], v[102:103], v[98:99]
	s_wait_loadcnt 0x5
	s_delay_alu instid0(VALU_DEP_1) | instskip(SKIP_4) | instid1(VALU_DEP_1)
	v_fmac_f64_e32 v[128:129], v[104:105], v[100:101]
	scratch_load_b128 v[98:101], off, off offset:192
	s_wait_dscnt 0x0
	v_fmac_f64_e32 v[128:129], v[106:107], v[116:117]
	s_wait_loadcnt 0x5
	v_fmac_f64_e32 v[128:129], v[108:109], v[118:119]
	ds_load_2addr_b64 v[102:105], v2 offset0:59 offset1:60
	ds_load_2addr_b64 v[106:109], v2 offset0:61 offset1:62
	scratch_load_b128 v[116:119], off, off offset:208
	s_wait_dscnt 0x1
	v_fmac_f64_e32 v[128:129], v[110:111], v[102:103]
	s_wait_loadcnt 0x5
	s_delay_alu instid0(VALU_DEP_1) | instskip(SKIP_4) | instid1(VALU_DEP_1)
	v_fmac_f64_e32 v[128:129], v[112:113], v[104:105]
	scratch_load_b128 v[102:105], off, off offset:224
	s_wait_dscnt 0x0
	v_fmac_f64_e32 v[128:129], v[114:115], v[106:107]
	s_wait_loadcnt 0x5
	v_fmac_f64_e32 v[128:129], v[124:125], v[108:109]
	ds_load_2addr_b64 v[106:109], v2 offset0:63 offset1:64
	ds_load_2addr_b64 v[110:113], v2 offset0:65 offset1:66
	s_wait_dscnt 0x1
	v_fmac_f64_e32 v[128:129], v[126:127], v[106:107]
	scratch_load_b128 v[124:127], off, off offset:240
	s_wait_loadcnt 0x5
	v_fmac_f64_e32 v[128:129], v[94:95], v[108:109]
	s_wait_dscnt 0x0
	s_delay_alu instid0(VALU_DEP_1)
	v_fmac_f64_e32 v[128:129], v[96:97], v[110:111]
	scratch_load_b128 v[94:97], off, off offset:256
	s_wait_loadcnt 0x5
	v_fmac_f64_e32 v[128:129], v[120:121], v[112:113]
	ds_load_2addr_b64 v[106:109], v2 offset0:67 offset1:68
	ds_load_2addr_b64 v[110:113], v2 offset0:69 offset1:70
	s_wait_dscnt 0x1
	v_fmac_f64_e32 v[128:129], v[122:123], v[106:107]
	s_wait_loadcnt 0x4
	s_delay_alu instid0(VALU_DEP_1)
	v_fmac_f64_e32 v[128:129], v[98:99], v[108:109]
	scratch_load_b128 v[106:109], off, off offset:272
	s_wait_dscnt 0x0
	v_fmac_f64_e32 v[128:129], v[100:101], v[110:111]
	scratch_load_b128 v[98:101], off, off offset:288
	s_wait_loadcnt 0x5
	v_fmac_f64_e32 v[128:129], v[116:117], v[112:113]
	ds_load_2addr_b64 v[110:113], v2 offset0:71 offset1:72
	ds_load_2addr_b64 v[114:117], v2 offset0:73 offset1:74
	s_wait_dscnt 0x1
	v_fmac_f64_e32 v[128:129], v[118:119], v[110:111]
	s_wait_loadcnt 0x4
	s_delay_alu instid0(VALU_DEP_1)
	v_fmac_f64_e32 v[128:129], v[102:103], v[112:113]
	scratch_load_b128 v[110:113], off, off offset:304
	s_wait_dscnt 0x0
	v_fmac_f64_e32 v[128:129], v[104:105], v[114:115]
	scratch_load_b128 v[102:105], off, off offset:320
	s_wait_loadcnt 0x5
	v_fmac_f64_e32 v[128:129], v[124:125], v[116:117]
	ds_load_2addr_b64 v[114:117], v2 offset0:75 offset1:76
	ds_load_2addr_b64 v[118:121], v2 offset0:77 offset1:78
	s_wait_dscnt 0x1
	v_fmac_f64_e32 v[128:129], v[126:127], v[114:115]
	s_wait_loadcnt 0x4
	s_delay_alu instid0(VALU_DEP_1) | instskip(SKIP_4) | instid1(VALU_DEP_1)
	v_fmac_f64_e32 v[128:129], v[94:95], v[116:117]
	scratch_load_b128 v[114:117], off, off offset:336
	s_wait_dscnt 0x0
	v_fmac_f64_e32 v[128:129], v[96:97], v[118:119]
	s_wait_loadcnt 0x4
	v_fmac_f64_e32 v[128:129], v[106:107], v[120:121]
	ds_load_2addr_b64 v[94:97], v2 offset0:79 offset1:80
	ds_load_2addr_b64 v[118:121], v2 offset0:81 offset1:82
	s_wait_dscnt 0x1
	v_fmac_f64_e32 v[128:129], v[108:109], v[94:95]
	s_wait_loadcnt 0x3
	s_delay_alu instid0(VALU_DEP_1) | instskip(SKIP_1) | instid1(VALU_DEP_1)
	v_fmac_f64_e32 v[128:129], v[98:99], v[96:97]
	s_wait_dscnt 0x0
	v_fmac_f64_e32 v[128:129], v[100:101], v[118:119]
	ds_load_2addr_b64 v[94:97], v2 offset0:83 offset1:84
	ds_load_2addr_b64 v[98:101], v2 offset0:85 offset1:86
	s_wait_loadcnt 0x2
	v_fmac_f64_e32 v[128:129], v[110:111], v[120:121]
	s_wait_dscnt 0x1
	s_delay_alu instid0(VALU_DEP_1) | instskip(SKIP_4) | instid1(VALU_DEP_1)
	v_fmac_f64_e32 v[128:129], v[112:113], v[94:95]
	ds_load_b64 v[94:95], v2 offset:696
	s_wait_loadcnt 0x1
	v_fmac_f64_e32 v[128:129], v[102:103], v[96:97]
	s_wait_dscnt 0x1
	v_fmac_f64_e32 v[128:129], v[104:105], v[98:99]
	s_wait_loadcnt 0x0
	s_delay_alu instid0(VALU_DEP_1) | instskip(SKIP_1) | instid1(VALU_DEP_1)
	v_fmac_f64_e32 v[128:129], v[114:115], v[100:101]
	s_wait_dscnt 0x0
	v_fmac_f64_e32 v[128:129], v[116:117], v[94:95]
	s_delay_alu instid0(VALU_DEP_1)
	v_add_f64_e64 v[92:93], v[92:93], -v[128:129]
	scratch_store_b64 off, v[92:93], off offset:48
	s_wait_xcnt 0x0
	v_cmpx_lt_u32_e32 5, v0
	s_cbranch_execz .LBB43_263
; %bb.262:
	scratch_load_b64 v[92:93], off, off offset:40
	v_mov_b64_e32 v[94:95], 0
	scratch_store_b64 off, v[94:95], off offset:40
	s_wait_loadcnt 0x0
	ds_store_b64 v1, v[92:93]
.LBB43_263:
	s_wait_xcnt 0x0
	s_or_b32 exec_lo, exec_lo, s0
	s_wait_storecnt_dscnt 0x0
	s_barrier_signal -1
	s_barrier_wait -1
	s_clause 0x5
	scratch_load_b128 v[92:95], off, off offset:40
	scratch_load_b128 v[96:99], off, off offset:56
	;; [unrolled: 1-line block ×6, first 2 shown]
	ds_load_b128 v[116:119], v2 offset:400
	ds_load_b128 v[120:123], v2 offset:416
	scratch_load_b128 v[124:127], off, off offset:136
	s_mov_b32 s0, exec_lo
	s_wait_loadcnt_dscnt 0x601
	v_fma_f64 v[128:129], v[94:95], v[116:117], 0
	s_wait_loadcnt 0x5
	s_delay_alu instid0(VALU_DEP_1) | instskip(SKIP_4) | instid1(VALU_DEP_1)
	v_fmac_f64_e32 v[128:129], v[96:97], v[118:119]
	scratch_load_b128 v[94:97], off, off offset:152
	s_wait_dscnt 0x0
	v_fmac_f64_e32 v[128:129], v[98:99], v[120:121]
	s_wait_loadcnt 0x5
	v_fmac_f64_e32 v[128:129], v[100:101], v[122:123]
	ds_load_b128 v[98:101], v2 offset:432
	ds_load_b128 v[116:119], v2 offset:448
	scratch_load_b128 v[120:123], off, off offset:168
	s_wait_dscnt 0x1
	v_fmac_f64_e32 v[128:129], v[102:103], v[98:99]
	s_wait_loadcnt 0x5
	s_delay_alu instid0(VALU_DEP_1) | instskip(SKIP_4) | instid1(VALU_DEP_1)
	v_fmac_f64_e32 v[128:129], v[104:105], v[100:101]
	scratch_load_b128 v[98:101], off, off offset:184
	s_wait_dscnt 0x0
	v_fmac_f64_e32 v[128:129], v[106:107], v[116:117]
	s_wait_loadcnt 0x5
	v_fmac_f64_e32 v[128:129], v[108:109], v[118:119]
	ds_load_b128 v[102:105], v2 offset:464
	ds_load_b128 v[106:109], v2 offset:480
	scratch_load_b128 v[116:119], off, off offset:200
	s_wait_dscnt 0x1
	v_fmac_f64_e32 v[128:129], v[110:111], v[102:103]
	s_wait_loadcnt 0x5
	s_delay_alu instid0(VALU_DEP_1) | instskip(SKIP_4) | instid1(VALU_DEP_1)
	v_fmac_f64_e32 v[128:129], v[112:113], v[104:105]
	scratch_load_b128 v[102:105], off, off offset:216
	s_wait_dscnt 0x0
	v_fmac_f64_e32 v[128:129], v[114:115], v[106:107]
	s_wait_loadcnt 0x5
	v_fmac_f64_e32 v[128:129], v[124:125], v[108:109]
	ds_load_b128 v[106:109], v2 offset:496
	ds_load_b128 v[110:113], v2 offset:512
	s_wait_dscnt 0x1
	v_fmac_f64_e32 v[128:129], v[126:127], v[106:107]
	scratch_load_b128 v[124:127], off, off offset:232
	s_wait_loadcnt 0x5
	v_fmac_f64_e32 v[128:129], v[94:95], v[108:109]
	s_wait_dscnt 0x0
	s_delay_alu instid0(VALU_DEP_1)
	v_fmac_f64_e32 v[128:129], v[96:97], v[110:111]
	scratch_load_b128 v[94:97], off, off offset:248
	s_wait_loadcnt 0x5
	v_fmac_f64_e32 v[128:129], v[120:121], v[112:113]
	ds_load_b128 v[106:109], v2 offset:528
	ds_load_b128 v[110:113], v2 offset:544
	s_wait_dscnt 0x1
	v_fmac_f64_e32 v[128:129], v[122:123], v[106:107]
	scratch_load_b128 v[120:123], off, off offset:264
	s_wait_loadcnt 0x5
	v_fmac_f64_e32 v[128:129], v[98:99], v[108:109]
	s_wait_dscnt 0x0
	s_delay_alu instid0(VALU_DEP_1)
	v_fmac_f64_e32 v[128:129], v[100:101], v[110:111]
	scratch_load_b128 v[98:101], off, off offset:280
	s_wait_loadcnt 0x5
	v_fmac_f64_e32 v[128:129], v[116:117], v[112:113]
	ds_load_b128 v[106:109], v2 offset:560
	ds_load_b128 v[110:113], v2 offset:576
	s_wait_dscnt 0x1
	v_fmac_f64_e32 v[128:129], v[118:119], v[106:107]
	s_wait_loadcnt 0x4
	s_delay_alu instid0(VALU_DEP_1)
	v_fmac_f64_e32 v[128:129], v[102:103], v[108:109]
	scratch_load_b128 v[106:109], off, off offset:296
	s_wait_dscnt 0x0
	v_fmac_f64_e32 v[128:129], v[104:105], v[110:111]
	scratch_load_b128 v[102:105], off, off offset:312
	s_wait_loadcnt 0x5
	v_fmac_f64_e32 v[128:129], v[124:125], v[112:113]
	ds_load_b128 v[110:113], v2 offset:592
	ds_load_b128 v[114:117], v2 offset:608
	scratch_load_b64 v[118:119], off, off offset:344
	s_wait_dscnt 0x1
	v_fmac_f64_e32 v[128:129], v[126:127], v[110:111]
	s_wait_loadcnt 0x5
	s_delay_alu instid0(VALU_DEP_1) | instskip(SKIP_4) | instid1(VALU_DEP_1)
	v_fmac_f64_e32 v[128:129], v[94:95], v[112:113]
	scratch_load_b128 v[110:113], off, off offset:328
	s_wait_dscnt 0x0
	v_fmac_f64_e32 v[128:129], v[96:97], v[114:115]
	s_wait_loadcnt 0x5
	v_fmac_f64_e32 v[128:129], v[120:121], v[116:117]
	ds_load_b128 v[94:97], v2 offset:624
	ds_load_b128 v[114:117], v2 offset:640
	s_wait_dscnt 0x1
	v_fmac_f64_e32 v[128:129], v[122:123], v[94:95]
	s_wait_loadcnt 0x4
	s_delay_alu instid0(VALU_DEP_1) | instskip(SKIP_1) | instid1(VALU_DEP_1)
	v_fmac_f64_e32 v[128:129], v[98:99], v[96:97]
	s_wait_dscnt 0x0
	v_fmac_f64_e32 v[128:129], v[100:101], v[114:115]
	ds_load_b128 v[94:97], v2 offset:656
	ds_load_b128 v[98:101], v2 offset:672
	s_wait_loadcnt 0x3
	v_fmac_f64_e32 v[128:129], v[106:107], v[116:117]
	s_wait_dscnt 0x1
	s_delay_alu instid0(VALU_DEP_1) | instskip(SKIP_1) | instid1(VALU_DEP_1)
	v_fmac_f64_e32 v[128:129], v[108:109], v[94:95]
	s_wait_loadcnt 0x2
	v_fmac_f64_e32 v[128:129], v[102:103], v[96:97]
	ds_load_b128 v[94:97], v2 offset:688
	s_wait_dscnt 0x1
	v_fmac_f64_e32 v[128:129], v[104:105], v[98:99]
	s_wait_loadcnt 0x0
	s_delay_alu instid0(VALU_DEP_1) | instskip(SKIP_1) | instid1(VALU_DEP_1)
	v_fmac_f64_e32 v[128:129], v[110:111], v[100:101]
	s_wait_dscnt 0x0
	v_fmac_f64_e32 v[128:129], v[112:113], v[94:95]
	s_delay_alu instid0(VALU_DEP_1) | instskip(NEXT) | instid1(VALU_DEP_1)
	v_fmac_f64_e32 v[128:129], v[118:119], v[96:97]
	v_add_f64_e64 v[2:3], v[92:93], -v[128:129]
	scratch_store_b64 off, v[2:3], off offset:40
	s_wait_xcnt 0x0
	v_cmpx_lt_u32_e32 4, v0
	s_cbranch_execz .LBB43_265
; %bb.264:
	scratch_load_b64 v[2:3], off, off offset:32
	v_mov_b64_e32 v[92:93], 0
	scratch_store_b64 off, v[92:93], off offset:32
	s_wait_loadcnt 0x0
	ds_store_b64 v1, v[2:3]
.LBB43_265:
	s_wait_xcnt 0x0
	s_or_b32 exec_lo, exec_lo, s0
	s_wait_storecnt_dscnt 0x0
	s_barrier_signal -1
	s_barrier_wait -1
	s_clause 0x5
	scratch_load_b128 v[92:95], off, off offset:32
	scratch_load_b128 v[96:99], off, off offset:48
	;; [unrolled: 1-line block ×6, first 2 shown]
	v_mov_b32_e32 v2, 0
	ds_load_2addr_b64 v[116:119], v2 offset0:49 offset1:50
	ds_load_2addr_b64 v[120:123], v2 offset0:51 offset1:52
	scratch_load_b128 v[124:127], off, off offset:128
	s_mov_b32 s0, exec_lo
	s_wait_loadcnt_dscnt 0x601
	v_fma_f64 v[128:129], v[94:95], v[116:117], 0
	s_wait_loadcnt 0x5
	s_delay_alu instid0(VALU_DEP_1) | instskip(SKIP_4) | instid1(VALU_DEP_1)
	v_fmac_f64_e32 v[128:129], v[96:97], v[118:119]
	scratch_load_b128 v[94:97], off, off offset:144
	s_wait_dscnt 0x0
	v_fmac_f64_e32 v[128:129], v[98:99], v[120:121]
	s_wait_loadcnt 0x5
	v_fmac_f64_e32 v[128:129], v[100:101], v[122:123]
	ds_load_2addr_b64 v[98:101], v2 offset0:53 offset1:54
	ds_load_2addr_b64 v[116:119], v2 offset0:55 offset1:56
	scratch_load_b128 v[120:123], off, off offset:160
	s_wait_dscnt 0x1
	v_fmac_f64_e32 v[128:129], v[102:103], v[98:99]
	s_wait_loadcnt 0x5
	s_delay_alu instid0(VALU_DEP_1) | instskip(SKIP_4) | instid1(VALU_DEP_1)
	v_fmac_f64_e32 v[128:129], v[104:105], v[100:101]
	scratch_load_b128 v[98:101], off, off offset:176
	s_wait_dscnt 0x0
	v_fmac_f64_e32 v[128:129], v[106:107], v[116:117]
	s_wait_loadcnt 0x5
	v_fmac_f64_e32 v[128:129], v[108:109], v[118:119]
	ds_load_2addr_b64 v[102:105], v2 offset0:57 offset1:58
	ds_load_2addr_b64 v[106:109], v2 offset0:59 offset1:60
	scratch_load_b128 v[116:119], off, off offset:192
	s_wait_dscnt 0x1
	v_fmac_f64_e32 v[128:129], v[110:111], v[102:103]
	s_wait_loadcnt 0x5
	s_delay_alu instid0(VALU_DEP_1) | instskip(SKIP_4) | instid1(VALU_DEP_1)
	v_fmac_f64_e32 v[128:129], v[112:113], v[104:105]
	scratch_load_b128 v[102:105], off, off offset:208
	s_wait_dscnt 0x0
	v_fmac_f64_e32 v[128:129], v[114:115], v[106:107]
	s_wait_loadcnt 0x5
	v_fmac_f64_e32 v[128:129], v[124:125], v[108:109]
	ds_load_2addr_b64 v[106:109], v2 offset0:61 offset1:62
	ds_load_2addr_b64 v[110:113], v2 offset0:63 offset1:64
	s_wait_dscnt 0x1
	v_fmac_f64_e32 v[128:129], v[126:127], v[106:107]
	scratch_load_b128 v[124:127], off, off offset:224
	s_wait_loadcnt 0x5
	v_fmac_f64_e32 v[128:129], v[94:95], v[108:109]
	s_wait_dscnt 0x0
	s_delay_alu instid0(VALU_DEP_1)
	v_fmac_f64_e32 v[128:129], v[96:97], v[110:111]
	scratch_load_b128 v[94:97], off, off offset:240
	s_wait_loadcnt 0x5
	v_fmac_f64_e32 v[128:129], v[120:121], v[112:113]
	ds_load_2addr_b64 v[106:109], v2 offset0:65 offset1:66
	ds_load_2addr_b64 v[110:113], v2 offset0:67 offset1:68
	s_wait_dscnt 0x1
	v_fmac_f64_e32 v[128:129], v[122:123], v[106:107]
	scratch_load_b128 v[120:123], off, off offset:256
	s_wait_loadcnt 0x5
	v_fmac_f64_e32 v[128:129], v[98:99], v[108:109]
	s_wait_dscnt 0x0
	s_delay_alu instid0(VALU_DEP_1)
	v_fmac_f64_e32 v[128:129], v[100:101], v[110:111]
	scratch_load_b128 v[98:101], off, off offset:272
	s_wait_loadcnt 0x5
	v_fmac_f64_e32 v[128:129], v[116:117], v[112:113]
	ds_load_2addr_b64 v[106:109], v2 offset0:69 offset1:70
	ds_load_2addr_b64 v[110:113], v2 offset0:71 offset1:72
	s_wait_dscnt 0x1
	v_fmac_f64_e32 v[128:129], v[118:119], v[106:107]
	s_wait_loadcnt 0x4
	s_delay_alu instid0(VALU_DEP_1)
	v_fmac_f64_e32 v[128:129], v[102:103], v[108:109]
	scratch_load_b128 v[106:109], off, off offset:288
	s_wait_dscnt 0x0
	v_fmac_f64_e32 v[128:129], v[104:105], v[110:111]
	scratch_load_b128 v[102:105], off, off offset:304
	s_wait_loadcnt 0x5
	v_fmac_f64_e32 v[128:129], v[124:125], v[112:113]
	ds_load_2addr_b64 v[110:113], v2 offset0:73 offset1:74
	ds_load_2addr_b64 v[114:117], v2 offset0:75 offset1:76
	s_wait_dscnt 0x1
	v_fmac_f64_e32 v[128:129], v[126:127], v[110:111]
	s_wait_loadcnt 0x4
	s_delay_alu instid0(VALU_DEP_1)
	v_fmac_f64_e32 v[128:129], v[94:95], v[112:113]
	scratch_load_b128 v[110:113], off, off offset:320
	s_wait_dscnt 0x0
	v_fmac_f64_e32 v[128:129], v[96:97], v[114:115]
	scratch_load_b128 v[94:97], off, off offset:336
	s_wait_loadcnt 0x5
	v_fmac_f64_e32 v[128:129], v[120:121], v[116:117]
	ds_load_2addr_b64 v[114:117], v2 offset0:77 offset1:78
	ds_load_2addr_b64 v[118:121], v2 offset0:79 offset1:80
	s_wait_dscnt 0x1
	v_fmac_f64_e32 v[128:129], v[122:123], v[114:115]
	s_wait_loadcnt 0x4
	s_delay_alu instid0(VALU_DEP_1) | instskip(SKIP_1) | instid1(VALU_DEP_1)
	v_fmac_f64_e32 v[128:129], v[98:99], v[116:117]
	s_wait_dscnt 0x0
	v_fmac_f64_e32 v[128:129], v[100:101], v[118:119]
	ds_load_2addr_b64 v[98:101], v2 offset0:81 offset1:82
	ds_load_2addr_b64 v[114:117], v2 offset0:83 offset1:84
	s_wait_loadcnt 0x3
	v_fmac_f64_e32 v[128:129], v[106:107], v[120:121]
	s_wait_dscnt 0x1
	s_delay_alu instid0(VALU_DEP_1) | instskip(SKIP_1) | instid1(VALU_DEP_1)
	v_fmac_f64_e32 v[128:129], v[108:109], v[98:99]
	s_wait_loadcnt 0x2
	v_fmac_f64_e32 v[128:129], v[102:103], v[100:101]
	ds_load_2addr_b64 v[98:101], v2 offset0:85 offset1:86
	ds_load_b64 v[102:103], v2 offset:696
	s_wait_dscnt 0x2
	v_fmac_f64_e32 v[128:129], v[104:105], v[114:115]
	s_wait_loadcnt 0x1
	s_delay_alu instid0(VALU_DEP_1) | instskip(SKIP_1) | instid1(VALU_DEP_1)
	v_fmac_f64_e32 v[128:129], v[110:111], v[116:117]
	s_wait_dscnt 0x1
	v_fmac_f64_e32 v[128:129], v[112:113], v[98:99]
	s_wait_loadcnt 0x0
	s_delay_alu instid0(VALU_DEP_1) | instskip(SKIP_1) | instid1(VALU_DEP_1)
	v_fmac_f64_e32 v[128:129], v[94:95], v[100:101]
	s_wait_dscnt 0x0
	v_fmac_f64_e32 v[128:129], v[96:97], v[102:103]
	s_delay_alu instid0(VALU_DEP_1)
	v_add_f64_e64 v[92:93], v[92:93], -v[128:129]
	scratch_store_b64 off, v[92:93], off offset:32
	s_wait_xcnt 0x0
	v_cmpx_lt_u32_e32 3, v0
	s_cbranch_execz .LBB43_267
; %bb.266:
	scratch_load_b64 v[92:93], off, off offset:24
	v_mov_b64_e32 v[94:95], 0
	scratch_store_b64 off, v[94:95], off offset:24
	s_wait_loadcnt 0x0
	ds_store_b64 v1, v[92:93]
.LBB43_267:
	s_wait_xcnt 0x0
	s_or_b32 exec_lo, exec_lo, s0
	s_wait_storecnt_dscnt 0x0
	s_barrier_signal -1
	s_barrier_wait -1
	s_clause 0x5
	scratch_load_b128 v[92:95], off, off offset:24
	scratch_load_b128 v[96:99], off, off offset:40
	;; [unrolled: 1-line block ×6, first 2 shown]
	ds_load_b128 v[116:119], v2 offset:384
	ds_load_b128 v[120:123], v2 offset:400
	scratch_load_b128 v[124:127], off, off offset:120
	s_mov_b32 s0, exec_lo
	s_wait_loadcnt_dscnt 0x601
	v_fma_f64 v[128:129], v[94:95], v[116:117], 0
	s_wait_loadcnt 0x5
	s_delay_alu instid0(VALU_DEP_1) | instskip(SKIP_4) | instid1(VALU_DEP_1)
	v_fmac_f64_e32 v[128:129], v[96:97], v[118:119]
	scratch_load_b128 v[94:97], off, off offset:136
	s_wait_dscnt 0x0
	v_fmac_f64_e32 v[128:129], v[98:99], v[120:121]
	s_wait_loadcnt 0x5
	v_fmac_f64_e32 v[128:129], v[100:101], v[122:123]
	ds_load_b128 v[98:101], v2 offset:416
	ds_load_b128 v[116:119], v2 offset:432
	scratch_load_b128 v[120:123], off, off offset:152
	s_wait_dscnt 0x1
	v_fmac_f64_e32 v[128:129], v[102:103], v[98:99]
	s_wait_loadcnt 0x5
	s_delay_alu instid0(VALU_DEP_1) | instskip(SKIP_4) | instid1(VALU_DEP_1)
	v_fmac_f64_e32 v[128:129], v[104:105], v[100:101]
	scratch_load_b128 v[98:101], off, off offset:168
	s_wait_dscnt 0x0
	v_fmac_f64_e32 v[128:129], v[106:107], v[116:117]
	s_wait_loadcnt 0x5
	v_fmac_f64_e32 v[128:129], v[108:109], v[118:119]
	ds_load_b128 v[102:105], v2 offset:448
	ds_load_b128 v[106:109], v2 offset:464
	scratch_load_b128 v[116:119], off, off offset:184
	s_wait_dscnt 0x1
	v_fmac_f64_e32 v[128:129], v[110:111], v[102:103]
	s_wait_loadcnt 0x5
	s_delay_alu instid0(VALU_DEP_1) | instskip(SKIP_4) | instid1(VALU_DEP_1)
	v_fmac_f64_e32 v[128:129], v[112:113], v[104:105]
	scratch_load_b128 v[102:105], off, off offset:200
	s_wait_dscnt 0x0
	v_fmac_f64_e32 v[128:129], v[114:115], v[106:107]
	s_wait_loadcnt 0x5
	v_fmac_f64_e32 v[128:129], v[124:125], v[108:109]
	ds_load_b128 v[106:109], v2 offset:480
	ds_load_b128 v[110:113], v2 offset:496
	s_wait_dscnt 0x1
	v_fmac_f64_e32 v[128:129], v[126:127], v[106:107]
	scratch_load_b128 v[124:127], off, off offset:216
	s_wait_loadcnt 0x5
	v_fmac_f64_e32 v[128:129], v[94:95], v[108:109]
	s_wait_dscnt 0x0
	s_delay_alu instid0(VALU_DEP_1)
	v_fmac_f64_e32 v[128:129], v[96:97], v[110:111]
	scratch_load_b128 v[94:97], off, off offset:232
	s_wait_loadcnt 0x5
	v_fmac_f64_e32 v[128:129], v[120:121], v[112:113]
	ds_load_b128 v[106:109], v2 offset:512
	ds_load_b128 v[110:113], v2 offset:528
	s_wait_dscnt 0x1
	v_fmac_f64_e32 v[128:129], v[122:123], v[106:107]
	scratch_load_b128 v[120:123], off, off offset:248
	s_wait_loadcnt 0x5
	v_fmac_f64_e32 v[128:129], v[98:99], v[108:109]
	s_wait_dscnt 0x0
	s_delay_alu instid0(VALU_DEP_1)
	v_fmac_f64_e32 v[128:129], v[100:101], v[110:111]
	scratch_load_b128 v[98:101], off, off offset:264
	s_wait_loadcnt 0x5
	v_fmac_f64_e32 v[128:129], v[116:117], v[112:113]
	ds_load_b128 v[106:109], v2 offset:544
	ds_load_b128 v[110:113], v2 offset:560
	s_wait_dscnt 0x1
	v_fmac_f64_e32 v[128:129], v[118:119], v[106:107]
	s_wait_loadcnt 0x4
	s_delay_alu instid0(VALU_DEP_1)
	v_fmac_f64_e32 v[128:129], v[102:103], v[108:109]
	scratch_load_b128 v[106:109], off, off offset:280
	s_wait_dscnt 0x0
	v_fmac_f64_e32 v[128:129], v[104:105], v[110:111]
	scratch_load_b128 v[102:105], off, off offset:296
	s_wait_loadcnt 0x5
	v_fmac_f64_e32 v[128:129], v[124:125], v[112:113]
	ds_load_b128 v[110:113], v2 offset:576
	ds_load_b128 v[114:117], v2 offset:592
	s_wait_dscnt 0x1
	v_fmac_f64_e32 v[128:129], v[126:127], v[110:111]
	s_wait_loadcnt 0x4
	s_delay_alu instid0(VALU_DEP_1)
	v_fmac_f64_e32 v[128:129], v[94:95], v[112:113]
	scratch_load_b128 v[110:113], off, off offset:312
	s_wait_dscnt 0x0
	v_fmac_f64_e32 v[128:129], v[96:97], v[114:115]
	scratch_load_b128 v[94:97], off, off offset:328
	s_wait_loadcnt 0x5
	v_fmac_f64_e32 v[128:129], v[120:121], v[116:117]
	ds_load_b128 v[114:117], v2 offset:608
	ds_load_b128 v[118:121], v2 offset:624
	s_wait_dscnt 0x1
	v_fmac_f64_e32 v[128:129], v[122:123], v[114:115]
	scratch_load_b64 v[122:123], off, off offset:344
	s_wait_loadcnt 0x5
	v_fmac_f64_e32 v[128:129], v[98:99], v[116:117]
	s_wait_dscnt 0x0
	s_delay_alu instid0(VALU_DEP_1)
	v_fmac_f64_e32 v[128:129], v[100:101], v[118:119]
	ds_load_b128 v[98:101], v2 offset:640
	ds_load_b128 v[114:117], v2 offset:656
	s_wait_loadcnt 0x4
	v_fmac_f64_e32 v[128:129], v[106:107], v[120:121]
	s_wait_dscnt 0x1
	s_delay_alu instid0(VALU_DEP_1) | instskip(SKIP_1) | instid1(VALU_DEP_1)
	v_fmac_f64_e32 v[128:129], v[108:109], v[98:99]
	s_wait_loadcnt 0x3
	v_fmac_f64_e32 v[128:129], v[102:103], v[100:101]
	s_wait_dscnt 0x0
	s_delay_alu instid0(VALU_DEP_1)
	v_fmac_f64_e32 v[128:129], v[104:105], v[114:115]
	ds_load_b128 v[98:101], v2 offset:672
	ds_load_b128 v[102:105], v2 offset:688
	s_wait_loadcnt 0x2
	v_fmac_f64_e32 v[128:129], v[110:111], v[116:117]
	s_wait_dscnt 0x1
	s_delay_alu instid0(VALU_DEP_1) | instskip(SKIP_1) | instid1(VALU_DEP_1)
	v_fmac_f64_e32 v[128:129], v[112:113], v[98:99]
	s_wait_loadcnt 0x1
	v_fmac_f64_e32 v[128:129], v[94:95], v[100:101]
	s_wait_dscnt 0x0
	s_delay_alu instid0(VALU_DEP_1) | instskip(SKIP_1) | instid1(VALU_DEP_1)
	v_fmac_f64_e32 v[128:129], v[96:97], v[102:103]
	s_wait_loadcnt 0x0
	v_fmac_f64_e32 v[128:129], v[122:123], v[104:105]
	s_delay_alu instid0(VALU_DEP_1)
	v_add_f64_e64 v[2:3], v[92:93], -v[128:129]
	scratch_store_b64 off, v[2:3], off offset:24
	s_wait_xcnt 0x0
	v_cmpx_lt_u32_e32 2, v0
	s_cbranch_execz .LBB43_269
; %bb.268:
	scratch_load_b64 v[2:3], off, off offset:16
	v_mov_b64_e32 v[92:93], 0
	scratch_store_b64 off, v[92:93], off offset:16
	s_wait_loadcnt 0x0
	ds_store_b64 v1, v[2:3]
.LBB43_269:
	s_wait_xcnt 0x0
	s_or_b32 exec_lo, exec_lo, s0
	s_wait_storecnt_dscnt 0x0
	s_barrier_signal -1
	s_barrier_wait -1
	s_clause 0x5
	scratch_load_b128 v[92:95], off, off offset:16
	scratch_load_b128 v[96:99], off, off offset:32
	;; [unrolled: 1-line block ×6, first 2 shown]
	v_mov_b32_e32 v2, 0
	ds_load_2addr_b64 v[116:119], v2 offset0:47 offset1:48
	ds_load_2addr_b64 v[120:123], v2 offset0:49 offset1:50
	scratch_load_b128 v[124:127], off, off offset:112
	s_mov_b32 s0, exec_lo
	s_wait_loadcnt_dscnt 0x601
	v_fma_f64 v[128:129], v[94:95], v[116:117], 0
	s_wait_loadcnt 0x5
	s_delay_alu instid0(VALU_DEP_1) | instskip(SKIP_4) | instid1(VALU_DEP_1)
	v_fmac_f64_e32 v[128:129], v[96:97], v[118:119]
	scratch_load_b128 v[94:97], off, off offset:128
	s_wait_dscnt 0x0
	v_fmac_f64_e32 v[128:129], v[98:99], v[120:121]
	s_wait_loadcnt 0x5
	v_fmac_f64_e32 v[128:129], v[100:101], v[122:123]
	ds_load_2addr_b64 v[98:101], v2 offset0:51 offset1:52
	ds_load_2addr_b64 v[116:119], v2 offset0:53 offset1:54
	scratch_load_b128 v[120:123], off, off offset:144
	s_wait_dscnt 0x1
	v_fmac_f64_e32 v[128:129], v[102:103], v[98:99]
	s_wait_loadcnt 0x5
	s_delay_alu instid0(VALU_DEP_1) | instskip(SKIP_4) | instid1(VALU_DEP_1)
	v_fmac_f64_e32 v[128:129], v[104:105], v[100:101]
	scratch_load_b128 v[98:101], off, off offset:160
	s_wait_dscnt 0x0
	v_fmac_f64_e32 v[128:129], v[106:107], v[116:117]
	s_wait_loadcnt 0x5
	v_fmac_f64_e32 v[128:129], v[108:109], v[118:119]
	ds_load_2addr_b64 v[102:105], v2 offset0:55 offset1:56
	ds_load_2addr_b64 v[106:109], v2 offset0:57 offset1:58
	scratch_load_b128 v[116:119], off, off offset:176
	s_wait_dscnt 0x1
	v_fmac_f64_e32 v[128:129], v[110:111], v[102:103]
	s_wait_loadcnt 0x5
	s_delay_alu instid0(VALU_DEP_1) | instskip(SKIP_4) | instid1(VALU_DEP_1)
	v_fmac_f64_e32 v[128:129], v[112:113], v[104:105]
	scratch_load_b128 v[102:105], off, off offset:192
	s_wait_dscnt 0x0
	v_fmac_f64_e32 v[128:129], v[114:115], v[106:107]
	s_wait_loadcnt 0x5
	v_fmac_f64_e32 v[128:129], v[124:125], v[108:109]
	ds_load_2addr_b64 v[106:109], v2 offset0:59 offset1:60
	ds_load_2addr_b64 v[110:113], v2 offset0:61 offset1:62
	s_wait_dscnt 0x1
	v_fmac_f64_e32 v[128:129], v[126:127], v[106:107]
	scratch_load_b128 v[124:127], off, off offset:208
	s_wait_loadcnt 0x5
	v_fmac_f64_e32 v[128:129], v[94:95], v[108:109]
	s_wait_dscnt 0x0
	s_delay_alu instid0(VALU_DEP_1)
	v_fmac_f64_e32 v[128:129], v[96:97], v[110:111]
	scratch_load_b128 v[94:97], off, off offset:224
	s_wait_loadcnt 0x5
	v_fmac_f64_e32 v[128:129], v[120:121], v[112:113]
	ds_load_2addr_b64 v[106:109], v2 offset0:63 offset1:64
	ds_load_2addr_b64 v[110:113], v2 offset0:65 offset1:66
	s_wait_dscnt 0x1
	v_fmac_f64_e32 v[128:129], v[122:123], v[106:107]
	scratch_load_b128 v[120:123], off, off offset:240
	s_wait_loadcnt 0x5
	v_fmac_f64_e32 v[128:129], v[98:99], v[108:109]
	s_wait_dscnt 0x0
	s_delay_alu instid0(VALU_DEP_1)
	v_fmac_f64_e32 v[128:129], v[100:101], v[110:111]
	scratch_load_b128 v[98:101], off, off offset:256
	s_wait_loadcnt 0x5
	v_fmac_f64_e32 v[128:129], v[116:117], v[112:113]
	ds_load_2addr_b64 v[106:109], v2 offset0:67 offset1:68
	ds_load_2addr_b64 v[110:113], v2 offset0:69 offset1:70
	s_wait_dscnt 0x1
	v_fmac_f64_e32 v[128:129], v[118:119], v[106:107]
	s_wait_loadcnt 0x4
	s_delay_alu instid0(VALU_DEP_1)
	v_fmac_f64_e32 v[128:129], v[102:103], v[108:109]
	scratch_load_b128 v[106:109], off, off offset:272
	s_wait_dscnt 0x0
	v_fmac_f64_e32 v[128:129], v[104:105], v[110:111]
	scratch_load_b128 v[102:105], off, off offset:288
	s_wait_loadcnt 0x5
	v_fmac_f64_e32 v[128:129], v[124:125], v[112:113]
	ds_load_2addr_b64 v[110:113], v2 offset0:71 offset1:72
	ds_load_2addr_b64 v[114:117], v2 offset0:73 offset1:74
	s_wait_dscnt 0x1
	v_fmac_f64_e32 v[128:129], v[126:127], v[110:111]
	s_wait_loadcnt 0x4
	s_delay_alu instid0(VALU_DEP_1)
	v_fmac_f64_e32 v[128:129], v[94:95], v[112:113]
	scratch_load_b128 v[110:113], off, off offset:304
	s_wait_dscnt 0x0
	v_fmac_f64_e32 v[128:129], v[96:97], v[114:115]
	scratch_load_b128 v[94:97], off, off offset:320
	s_wait_loadcnt 0x5
	v_fmac_f64_e32 v[128:129], v[120:121], v[116:117]
	ds_load_2addr_b64 v[114:117], v2 offset0:75 offset1:76
	ds_load_2addr_b64 v[118:121], v2 offset0:77 offset1:78
	s_wait_dscnt 0x1
	v_fmac_f64_e32 v[128:129], v[122:123], v[114:115]
	s_wait_loadcnt 0x4
	s_delay_alu instid0(VALU_DEP_1) | instskip(SKIP_4) | instid1(VALU_DEP_1)
	v_fmac_f64_e32 v[128:129], v[98:99], v[116:117]
	scratch_load_b128 v[114:117], off, off offset:336
	s_wait_dscnt 0x0
	v_fmac_f64_e32 v[128:129], v[100:101], v[118:119]
	s_wait_loadcnt 0x4
	v_fmac_f64_e32 v[128:129], v[106:107], v[120:121]
	ds_load_2addr_b64 v[98:101], v2 offset0:79 offset1:80
	ds_load_2addr_b64 v[118:121], v2 offset0:81 offset1:82
	s_wait_dscnt 0x1
	v_fmac_f64_e32 v[128:129], v[108:109], v[98:99]
	s_wait_loadcnt 0x3
	s_delay_alu instid0(VALU_DEP_1) | instskip(SKIP_1) | instid1(VALU_DEP_1)
	v_fmac_f64_e32 v[128:129], v[102:103], v[100:101]
	s_wait_dscnt 0x0
	v_fmac_f64_e32 v[128:129], v[104:105], v[118:119]
	ds_load_2addr_b64 v[98:101], v2 offset0:83 offset1:84
	ds_load_2addr_b64 v[102:105], v2 offset0:85 offset1:86
	s_wait_loadcnt 0x2
	v_fmac_f64_e32 v[128:129], v[110:111], v[120:121]
	s_wait_dscnt 0x1
	s_delay_alu instid0(VALU_DEP_1) | instskip(SKIP_1) | instid1(VALU_DEP_1)
	v_fmac_f64_e32 v[128:129], v[112:113], v[98:99]
	s_wait_loadcnt 0x1
	v_fmac_f64_e32 v[128:129], v[94:95], v[100:101]
	ds_load_b64 v[94:95], v2 offset:696
	s_wait_dscnt 0x1
	v_fmac_f64_e32 v[128:129], v[96:97], v[102:103]
	s_wait_loadcnt 0x0
	s_delay_alu instid0(VALU_DEP_1) | instskip(SKIP_1) | instid1(VALU_DEP_1)
	v_fmac_f64_e32 v[128:129], v[114:115], v[104:105]
	s_wait_dscnt 0x0
	v_fmac_f64_e32 v[128:129], v[116:117], v[94:95]
	s_delay_alu instid0(VALU_DEP_1)
	v_add_f64_e64 v[92:93], v[92:93], -v[128:129]
	scratch_store_b64 off, v[92:93], off offset:16
	s_wait_xcnt 0x0
	v_cmpx_lt_u32_e32 1, v0
	s_cbranch_execz .LBB43_271
; %bb.270:
	scratch_load_b64 v[92:93], off, off offset:8
	v_mov_b64_e32 v[94:95], 0
	scratch_store_b64 off, v[94:95], off offset:8
	s_wait_loadcnt 0x0
	ds_store_b64 v1, v[92:93]
.LBB43_271:
	s_wait_xcnt 0x0
	s_or_b32 exec_lo, exec_lo, s0
	s_wait_storecnt_dscnt 0x0
	s_barrier_signal -1
	s_barrier_wait -1
	s_clause 0x5
	scratch_load_b128 v[92:95], off, off offset:8
	scratch_load_b128 v[96:99], off, off offset:24
	;; [unrolled: 1-line block ×6, first 2 shown]
	ds_load_b128 v[116:119], v2 offset:368
	ds_load_b128 v[120:123], v2 offset:384
	scratch_load_b128 v[124:127], off, off offset:104
	v_dual_ashrrev_i32 v9, 31, v8 :: v_dual_ashrrev_i32 v11, 31, v10
	v_dual_ashrrev_i32 v13, 31, v12 :: v_dual_ashrrev_i32 v15, 31, v14
	;; [unrolled: 1-line block ×20, first 2 shown]
	v_ashrrev_i32_e32 v89, 31, v88
	s_mov_b32 s0, exec_lo
	v_ashrrev_i32_e32 v43, 31, v42
	s_wait_loadcnt_dscnt 0x601
	v_fma_f64 v[128:129], v[94:95], v[116:117], 0
	s_wait_loadcnt 0x5
	s_delay_alu instid0(VALU_DEP_1) | instskip(SKIP_4) | instid1(VALU_DEP_1)
	v_fmac_f64_e32 v[128:129], v[96:97], v[118:119]
	scratch_load_b128 v[94:97], off, off offset:120
	s_wait_dscnt 0x0
	v_fmac_f64_e32 v[128:129], v[98:99], v[120:121]
	s_wait_loadcnt 0x5
	v_fmac_f64_e32 v[128:129], v[100:101], v[122:123]
	ds_load_b128 v[98:101], v2 offset:400
	ds_load_b128 v[116:119], v2 offset:416
	scratch_load_b128 v[120:123], off, off offset:136
	s_wait_dscnt 0x1
	v_fmac_f64_e32 v[128:129], v[102:103], v[98:99]
	s_wait_loadcnt 0x5
	s_delay_alu instid0(VALU_DEP_1) | instskip(SKIP_4) | instid1(VALU_DEP_1)
	v_fmac_f64_e32 v[128:129], v[104:105], v[100:101]
	scratch_load_b128 v[98:101], off, off offset:152
	s_wait_dscnt 0x0
	v_fmac_f64_e32 v[128:129], v[106:107], v[116:117]
	s_wait_loadcnt 0x5
	v_fmac_f64_e32 v[128:129], v[108:109], v[118:119]
	ds_load_b128 v[102:105], v2 offset:432
	ds_load_b128 v[106:109], v2 offset:448
	scratch_load_b128 v[116:119], off, off offset:168
	s_wait_dscnt 0x1
	v_fmac_f64_e32 v[128:129], v[110:111], v[102:103]
	s_wait_loadcnt 0x5
	s_delay_alu instid0(VALU_DEP_1) | instskip(SKIP_4) | instid1(VALU_DEP_1)
	v_fmac_f64_e32 v[128:129], v[112:113], v[104:105]
	scratch_load_b128 v[102:105], off, off offset:184
	s_wait_dscnt 0x0
	v_fmac_f64_e32 v[128:129], v[114:115], v[106:107]
	s_wait_loadcnt 0x5
	v_fmac_f64_e32 v[128:129], v[124:125], v[108:109]
	ds_load_b128 v[106:109], v2 offset:464
	ds_load_b128 v[110:113], v2 offset:480
	s_wait_dscnt 0x1
	v_fmac_f64_e32 v[128:129], v[126:127], v[106:107]
	scratch_load_b128 v[124:127], off, off offset:200
	s_wait_loadcnt 0x5
	v_fmac_f64_e32 v[128:129], v[94:95], v[108:109]
	s_wait_dscnt 0x0
	s_delay_alu instid0(VALU_DEP_1)
	v_fmac_f64_e32 v[128:129], v[96:97], v[110:111]
	scratch_load_b128 v[94:97], off, off offset:216
	s_wait_loadcnt 0x5
	v_fmac_f64_e32 v[128:129], v[120:121], v[112:113]
	ds_load_b128 v[106:109], v2 offset:496
	ds_load_b128 v[110:113], v2 offset:512
	s_wait_dscnt 0x1
	v_fmac_f64_e32 v[128:129], v[122:123], v[106:107]
	scratch_load_b128 v[120:123], off, off offset:232
	s_wait_loadcnt 0x5
	v_fmac_f64_e32 v[128:129], v[98:99], v[108:109]
	s_wait_dscnt 0x0
	s_delay_alu instid0(VALU_DEP_1)
	v_fmac_f64_e32 v[128:129], v[100:101], v[110:111]
	scratch_load_b128 v[98:101], off, off offset:248
	s_wait_loadcnt 0x5
	v_fmac_f64_e32 v[128:129], v[116:117], v[112:113]
	ds_load_b128 v[106:109], v2 offset:528
	ds_load_b128 v[110:113], v2 offset:544
	s_wait_dscnt 0x1
	v_fmac_f64_e32 v[128:129], v[118:119], v[106:107]
	s_wait_loadcnt 0x4
	s_delay_alu instid0(VALU_DEP_1)
	v_fmac_f64_e32 v[128:129], v[102:103], v[108:109]
	scratch_load_b128 v[106:109], off, off offset:264
	s_wait_dscnt 0x0
	v_fmac_f64_e32 v[128:129], v[104:105], v[110:111]
	scratch_load_b128 v[102:105], off, off offset:280
	s_wait_loadcnt 0x5
	v_fmac_f64_e32 v[128:129], v[124:125], v[112:113]
	ds_load_b128 v[110:113], v2 offset:560
	ds_load_b128 v[114:117], v2 offset:576
	s_wait_dscnt 0x1
	v_fmac_f64_e32 v[128:129], v[126:127], v[110:111]
	s_wait_loadcnt 0x4
	s_delay_alu instid0(VALU_DEP_1)
	v_fmac_f64_e32 v[128:129], v[94:95], v[112:113]
	scratch_load_b128 v[110:113], off, off offset:296
	s_wait_dscnt 0x0
	v_fmac_f64_e32 v[128:129], v[96:97], v[114:115]
	scratch_load_b128 v[94:97], off, off offset:312
	s_wait_loadcnt 0x5
	v_fmac_f64_e32 v[128:129], v[120:121], v[116:117]
	ds_load_b128 v[114:117], v2 offset:592
	ds_load_b128 v[118:121], v2 offset:608
	s_wait_dscnt 0x1
	v_fmac_f64_e32 v[128:129], v[122:123], v[114:115]
	scratch_load_b64 v[122:123], off, off offset:344
	s_wait_loadcnt 0x5
	v_fmac_f64_e32 v[128:129], v[98:99], v[116:117]
	scratch_load_b128 v[114:117], off, off offset:328
	s_wait_dscnt 0x0
	v_fmac_f64_e32 v[128:129], v[100:101], v[118:119]
	s_wait_loadcnt 0x5
	s_delay_alu instid0(VALU_DEP_1)
	v_fmac_f64_e32 v[128:129], v[106:107], v[120:121]
	ds_load_b128 v[98:101], v2 offset:624
	ds_load_b128 v[118:121], v2 offset:640
	s_wait_dscnt 0x1
	v_fmac_f64_e32 v[128:129], v[108:109], v[98:99]
	s_wait_loadcnt 0x4
	s_delay_alu instid0(VALU_DEP_1) | instskip(SKIP_1) | instid1(VALU_DEP_1)
	v_fmac_f64_e32 v[128:129], v[102:103], v[100:101]
	s_wait_dscnt 0x0
	v_fmac_f64_e32 v[128:129], v[104:105], v[118:119]
	ds_load_b128 v[98:101], v2 offset:656
	ds_load_b128 v[102:105], v2 offset:672
	s_wait_loadcnt 0x3
	v_fmac_f64_e32 v[128:129], v[110:111], v[120:121]
	s_wait_dscnt 0x1
	s_delay_alu instid0(VALU_DEP_1) | instskip(SKIP_1) | instid1(VALU_DEP_1)
	v_fmac_f64_e32 v[128:129], v[112:113], v[98:99]
	s_wait_loadcnt 0x2
	v_fmac_f64_e32 v[128:129], v[94:95], v[100:101]
	s_wait_dscnt 0x0
	s_delay_alu instid0(VALU_DEP_1) | instskip(SKIP_4) | instid1(VALU_DEP_1)
	v_fmac_f64_e32 v[128:129], v[96:97], v[102:103]
	ds_load_b128 v[94:97], v2 offset:688
	s_wait_loadcnt 0x0
	v_fmac_f64_e32 v[128:129], v[114:115], v[104:105]
	s_wait_dscnt 0x0
	v_fmac_f64_e32 v[128:129], v[116:117], v[94:95]
	s_delay_alu instid0(VALU_DEP_1) | instskip(NEXT) | instid1(VALU_DEP_1)
	v_fmac_f64_e32 v[128:129], v[122:123], v[96:97]
	v_add_f64_e64 v[2:3], v[92:93], -v[128:129]
	scratch_store_b64 off, v[2:3], off offset:8
	s_wait_xcnt 0x0
	v_cmpx_ne_u32_e32 0, v0
	s_cbranch_execz .LBB43_273
; %bb.272:
	scratch_load_b64 v[2:3], off, off
	v_mov_b64_e32 v[92:93], 0
	scratch_store_b64 off, v[92:93], off
	s_wait_loadcnt 0x0
	ds_store_b64 v1, v[2:3]
.LBB43_273:
	s_wait_xcnt 0x0
	s_or_b32 exec_lo, exec_lo, s0
	s_wait_storecnt_dscnt 0x0
	s_barrier_signal -1
	s_barrier_wait -1
	s_clause 0x5
	scratch_load_b128 v[94:97], off, off
	scratch_load_b128 v[0:3], off, off offset:16
	scratch_load_b128 v[98:101], off, off offset:32
	;; [unrolled: 1-line block ×5, first 2 shown]
	v_mov_b32_e32 v92, 0
	scratch_load_b128 v[118:121], off, off offset:96
	s_and_b32 vcc_lo, exec_lo, s18
	ds_load_2addr_b64 v[114:117], v92 offset0:45 offset1:46
	s_wait_loadcnt_dscnt 0x600
	v_fma_f64 v[124:125], v[96:97], v[114:115], 0
	s_wait_loadcnt 0x5
	s_delay_alu instid0(VALU_DEP_1)
	v_fmac_f64_e32 v[124:125], v[0:1], v[116:117]
	ds_load_2addr_b64 v[114:117], v92 offset0:47 offset1:48
	s_wait_dscnt 0x0
	v_fmac_f64_e32 v[124:125], v[2:3], v[114:115]
	scratch_load_b128 v[0:3], off, off offset:112
	s_wait_loadcnt 0x5
	v_fmac_f64_e32 v[124:125], v[98:99], v[116:117]
	ds_load_2addr_b64 v[96:99], v92 offset0:49 offset1:50
	scratch_load_b128 v[114:117], off, off offset:128
	s_wait_dscnt 0x0
	v_fmac_f64_e32 v[124:125], v[100:101], v[96:97]
	s_wait_loadcnt 0x5
	s_delay_alu instid0(VALU_DEP_1)
	v_fmac_f64_e32 v[124:125], v[102:103], v[98:99]
	ds_load_2addr_b64 v[96:99], v92 offset0:51 offset1:52
	scratch_load_b128 v[100:103], off, off offset:144
	s_wait_dscnt 0x0
	v_fmac_f64_e32 v[124:125], v[104:105], v[96:97]
	s_wait_loadcnt 0x5
	s_delay_alu instid0(VALU_DEP_1)
	;; [unrolled: 7-line block ×4, first 2 shown]
	v_fmac_f64_e32 v[124:125], v[118:119], v[98:99]
	ds_load_2addr_b64 v[96:99], v92 offset0:57 offset1:58
	s_wait_dscnt 0x0
	v_fmac_f64_e32 v[124:125], v[120:121], v[96:97]
	scratch_load_b128 v[118:121], off, off offset:192
	s_wait_loadcnt 0x5
	v_fmac_f64_e32 v[124:125], v[0:1], v[98:99]
	ds_load_2addr_b64 v[96:99], v92 offset0:59 offset1:60
	s_wait_dscnt 0x0
	v_fmac_f64_e32 v[124:125], v[2:3], v[96:97]
	scratch_load_b128 v[0:3], off, off offset:208
	s_wait_loadcnt 0x5
	v_fmac_f64_e32 v[124:125], v[114:115], v[98:99]
	ds_load_2addr_b64 v[96:99], v92 offset0:61 offset1:62
	scratch_load_b128 v[112:115], off, off offset:224
	s_wait_dscnt 0x0
	v_fmac_f64_e32 v[124:125], v[116:117], v[96:97]
	s_wait_loadcnt 0x5
	s_delay_alu instid0(VALU_DEP_1)
	v_fmac_f64_e32 v[124:125], v[100:101], v[98:99]
	ds_load_2addr_b64 v[96:99], v92 offset0:63 offset1:64
	s_wait_dscnt 0x0
	v_fmac_f64_e32 v[124:125], v[102:103], v[96:97]
	scratch_load_b128 v[100:103], off, off offset:240
	s_wait_loadcnt 0x5
	v_fmac_f64_e32 v[124:125], v[104:105], v[98:99]
	ds_load_2addr_b64 v[96:99], v92 offset0:65 offset1:66
	s_wait_dscnt 0x0
	v_fmac_f64_e32 v[124:125], v[106:107], v[96:97]
	scratch_load_b128 v[104:107], off, off offset:256
	s_wait_loadcnt 0x5
	;; [unrolled: 6-line block ×3, first 2 shown]
	v_fmac_f64_e32 v[124:125], v[118:119], v[98:99]
	ds_load_2addr_b64 v[96:99], v92 offset0:69 offset1:70
	scratch_load_b128 v[116:119], off, off offset:288
	s_wait_dscnt 0x0
	v_fmac_f64_e32 v[124:125], v[120:121], v[96:97]
	scratch_load_b128 v[120:123], off, off offset:304
	s_wait_loadcnt 0x6
	v_fmac_f64_e32 v[124:125], v[0:1], v[98:99]
	ds_load_2addr_b64 v[96:99], v92 offset0:71 offset1:72
	s_wait_dscnt 0x0
	v_fmac_f64_e32 v[124:125], v[2:3], v[96:97]
	ds_load_2addr_b64 v[0:3], v92 offset0:73 offset1:74
	s_wait_loadcnt 0x5
	v_fmac_f64_e32 v[124:125], v[112:113], v[98:99]
	scratch_load_b128 v[96:99], off, off offset:320
	s_wait_dscnt 0x0
	v_fmac_f64_e32 v[124:125], v[114:115], v[0:1]
	ds_load_2addr_b64 v[112:115], v92 offset0:75 offset1:76
	s_wait_loadcnt 0x5
	v_fmac_f64_e32 v[124:125], v[100:101], v[2:3]
	scratch_load_b128 v[0:3], off, off offset:336
	s_wait_dscnt 0x0
	v_fmac_f64_e32 v[124:125], v[102:103], v[112:113]
	ds_load_2addr_b64 v[100:103], v92 offset0:77 offset1:78
	s_wait_loadcnt 0x5
	v_fmac_f64_e32 v[124:125], v[104:105], v[114:115]
	s_wait_dscnt 0x0
	s_delay_alu instid0(VALU_DEP_1) | instskip(SKIP_1) | instid1(VALU_DEP_1)
	v_fmac_f64_e32 v[124:125], v[106:107], v[100:101]
	s_wait_loadcnt 0x4
	v_fmac_f64_e32 v[124:125], v[108:109], v[102:103]
	ds_load_2addr_b64 v[100:103], v92 offset0:79 offset1:80
	s_wait_dscnt 0x0
	v_fmac_f64_e32 v[124:125], v[110:111], v[100:101]
	s_wait_loadcnt 0x3
	s_delay_alu instid0(VALU_DEP_1) | instskip(SKIP_4) | instid1(VALU_DEP_1)
	v_fmac_f64_e32 v[124:125], v[116:117], v[102:103]
	ds_load_2addr_b64 v[100:103], v92 offset0:81 offset1:82
	s_wait_dscnt 0x0
	v_fmac_f64_e32 v[124:125], v[118:119], v[100:101]
	s_wait_loadcnt 0x2
	v_fmac_f64_e32 v[124:125], v[120:121], v[102:103]
	ds_load_2addr_b64 v[100:103], v92 offset0:83 offset1:84
	s_wait_dscnt 0x0
	v_fmac_f64_e32 v[124:125], v[122:123], v[100:101]
	s_wait_loadcnt 0x1
	s_delay_alu instid0(VALU_DEP_1)
	v_fmac_f64_e32 v[124:125], v[96:97], v[102:103]
	ds_load_2addr_b64 v[100:103], v92 offset0:85 offset1:86
	ds_load_b64 v[96:97], v92 offset:696
	s_wait_dscnt 0x1
	v_fmac_f64_e32 v[124:125], v[98:99], v[100:101]
	s_wait_loadcnt 0x0
	s_delay_alu instid0(VALU_DEP_1) | instskip(SKIP_1) | instid1(VALU_DEP_1)
	v_fmac_f64_e32 v[124:125], v[0:1], v[102:103]
	s_wait_dscnt 0x0
	v_fmac_f64_e32 v[124:125], v[2:3], v[96:97]
	s_delay_alu instid0(VALU_DEP_1)
	v_add_f64_e64 v[110:111], v[94:95], -v[124:125]
	scratch_store_b64 off, v[110:111], off
	s_cbranch_vccz .LBB43_360
; %bb.274:
	global_load_b32 v2, v92, s[2:3] offset:168
	s_wait_loadcnt 0x0
	v_cmp_ne_u32_e32 vcc_lo, 43, v2
	s_cbranch_vccz .LBB43_276
; %bb.275:
	v_lshlrev_b32_e32 v2, 3, v2
	s_wait_xcnt 0x0
	s_delay_alu instid0(VALU_DEP_1)
	v_mov_b32_e32 v92, v2
	scratch_load_b64 v[2:3], v92, off offset:-8
	s_wait_loadcnt 0x0
	scratch_store_b64 off, v[2:3], off offset:336
	scratch_store_b64 v92, v[0:1], off offset:-8
.LBB43_276:
	s_wait_xcnt 0x0
	v_mov_b32_e32 v0, 0
	global_load_b32 v1, v0, s[2:3] offset:164
	s_wait_loadcnt 0x0
	v_cmp_eq_u32_e32 vcc_lo, 42, v1
	s_cbranch_vccnz .LBB43_278
; %bb.277:
	v_lshlrev_b32_e32 v1, 3, v1
	scratch_load_b64 v[2:3], v1, off offset:-8
	scratch_load_b64 v[92:93], off, off offset:328
	s_wait_loadcnt 0x1
	scratch_store_b64 off, v[2:3], off offset:328
	s_wait_loadcnt 0x0
	scratch_store_b64 v1, v[92:93], off offset:-8
.LBB43_278:
	global_load_b32 v0, v0, s[2:3] offset:160
	s_wait_loadcnt 0x0
	v_cmp_eq_u32_e32 vcc_lo, 41, v0
	s_cbranch_vccnz .LBB43_280
; %bb.279:
	s_wait_xcnt 0x0
	v_lshlrev_b32_e32 v0, 3, v0
	s_delay_alu instid0(VALU_DEP_1)
	v_mov_b32_e32 v92, v0
	scratch_load_b64 v[0:1], v92, off offset:-8
	scratch_load_b64 v[2:3], off, off offset:320
	s_wait_loadcnt 0x1
	scratch_store_b64 off, v[0:1], off offset:320
	s_wait_loadcnt 0x0
	scratch_store_b64 v92, v[2:3], off offset:-8
.LBB43_280:
	s_wait_xcnt 0x0
	v_mov_b32_e32 v0, 0
	global_load_b32 v1, v0, s[2:3] offset:156
	s_wait_loadcnt 0x0
	v_cmp_eq_u32_e32 vcc_lo, 40, v1
	s_cbranch_vccnz .LBB43_282
; %bb.281:
	v_lshlrev_b32_e32 v1, 3, v1
	scratch_load_b64 v[2:3], v1, off offset:-8
	scratch_load_b64 v[92:93], off, off offset:312
	s_wait_loadcnt 0x1
	scratch_store_b64 off, v[2:3], off offset:312
	s_wait_loadcnt 0x0
	scratch_store_b64 v1, v[92:93], off offset:-8
.LBB43_282:
	global_load_b32 v0, v0, s[2:3] offset:152
	s_wait_loadcnt 0x0
	v_cmp_eq_u32_e32 vcc_lo, 39, v0
	s_cbranch_vccnz .LBB43_284
; %bb.283:
	s_wait_xcnt 0x0
	v_lshlrev_b32_e32 v0, 3, v0
	s_delay_alu instid0(VALU_DEP_1)
	v_mov_b32_e32 v92, v0
	scratch_load_b64 v[0:1], v92, off offset:-8
	scratch_load_b64 v[2:3], off, off offset:304
	s_wait_loadcnt 0x1
	scratch_store_b64 off, v[0:1], off offset:304
	s_wait_loadcnt 0x0
	scratch_store_b64 v92, v[2:3], off offset:-8
.LBB43_284:
	;; [unrolled: 31-line block ×20, first 2 shown]
	s_wait_xcnt 0x0
	v_mov_b32_e32 v0, 0
	global_load_b32 v1, v0, s[2:3] offset:4
	s_wait_loadcnt 0x0
	v_cmp_eq_u32_e32 vcc_lo, 2, v1
	s_cbranch_vccnz .LBB43_358
; %bb.357:
	v_lshlrev_b32_e32 v1, 3, v1
	scratch_load_b64 v[2:3], v1, off offset:-8
	scratch_load_b64 v[92:93], off, off offset:8
	s_wait_loadcnt 0x1
	scratch_store_b64 off, v[2:3], off offset:8
	s_wait_loadcnt 0x0
	scratch_store_b64 v1, v[92:93], off offset:-8
.LBB43_358:
	global_load_b32 v0, v0, s[2:3]
	scratch_load_b64 v[110:111], off, off
	s_wait_loadcnt 0x1
	v_cmp_eq_u32_e32 vcc_lo, 1, v0
	s_cbranch_vccnz .LBB43_360
; %bb.359:
	s_wait_xcnt 0x1
	v_lshlrev_b32_e32 v0, 3, v0
	s_delay_alu instid0(VALU_DEP_1)
	v_mov_b32_e32 v2, v0
	scratch_load_b64 v[0:1], v2, off offset:-8
	s_wait_loadcnt 0x0
	scratch_store_b64 off, v[0:1], off
	scratch_store_b64 v2, v[110:111], off offset:-8
	scratch_load_b64 v[110:111], off, off
.LBB43_360:
	v_lshl_add_u64 v[114:115], v[8:9], 3, s[4:5]
	v_lshl_add_u64 v[112:113], v[10:11], 3, s[4:5]
	;; [unrolled: 1-line block ×10, first 2 shown]
	s_wait_xcnt 0x1
	v_lshl_add_u64 v[0:1], v[30:31], 3, s[4:5]
	v_lshl_add_u64 v[2:3], v[32:33], 3, s[4:5]
	;; [unrolled: 1-line block ×28, first 2 shown]
	s_clause 0x7
	scratch_load_b128 v[66:69], off, off offset:8
	scratch_load_b128 v[70:73], off, off offset:24
	;; [unrolled: 1-line block ×8, first 2 shown]
	v_lshl_add_u64 v[108:109], v[12:13], 3, s[4:5]
	s_wait_loadcnt 0x8
	global_store_b64 v[6:7], v[110:111], off
	v_lshl_add_u64 v[12:13], v[38:39], 3, s[4:5]
	v_lshl_add_u64 v[38:39], v[64:65], 3, s[4:5]
	;; [unrolled: 1-line block ×3, first 2 shown]
	scratch_load_b128 v[124:127], off, off offset:136
	s_wait_loadcnt 0x8
	s_clause 0x1
	global_store_b64 v[4:5], v[66:67], off
	global_store_b64 v[114:115], v[68:69], off
	s_wait_loadcnt 0x7
	s_clause 0x1
	global_store_b64 v[112:113], v[70:71], off
	global_store_b64 v[108:109], v[72:73], off
	;; [unrolled: 4-line block ×6, first 2 shown]
	s_clause 0xc
	scratch_load_b128 v[4:7], off, off offset:152
	scratch_load_b128 v[66:69], off, off offset:168
	;; [unrolled: 1-line block ×12, first 2 shown]
	scratch_load_b64 v[90:91], off, off offset:344
	s_wait_loadcnt 0xf
	s_clause 0x1
	global_store_b64 v[0:1], v[116:117], off
	global_store_b64 v[2:3], v[118:119], off
	s_wait_loadcnt 0xe
	s_clause 0x1
	global_store_b64 v[8:9], v[120:121], off
	global_store_b64 v[10:11], v[122:123], off
	;; [unrolled: 4-line block ×15, first 2 shown]
	s_wait_loadcnt 0x0
	global_store_b64 v[64:65], v[90:91], off
	s_sendmsg sendmsg(MSG_DEALLOC_VGPRS)
	s_endpgm
	.section	.rodata,"a",@progbits
	.p2align	6, 0x0
	.amdhsa_kernel _ZN9rocsolver6v33100L18getri_kernel_smallILi44EdPdEEvT1_iilPiilS4_bb
		.amdhsa_group_segment_fixed_size 712
		.amdhsa_private_segment_fixed_size 368
		.amdhsa_kernarg_size 60
		.amdhsa_user_sgpr_count 2
		.amdhsa_user_sgpr_dispatch_ptr 0
		.amdhsa_user_sgpr_queue_ptr 0
		.amdhsa_user_sgpr_kernarg_segment_ptr 1
		.amdhsa_user_sgpr_dispatch_id 0
		.amdhsa_user_sgpr_kernarg_preload_length 0
		.amdhsa_user_sgpr_kernarg_preload_offset 0
		.amdhsa_user_sgpr_private_segment_size 0
		.amdhsa_wavefront_size32 1
		.amdhsa_uses_dynamic_stack 0
		.amdhsa_enable_private_segment 1
		.amdhsa_system_sgpr_workgroup_id_x 1
		.amdhsa_system_sgpr_workgroup_id_y 0
		.amdhsa_system_sgpr_workgroup_id_z 0
		.amdhsa_system_sgpr_workgroup_info 0
		.amdhsa_system_vgpr_workitem_id 0
		.amdhsa_next_free_vgpr 130
		.amdhsa_next_free_sgpr 19
		.amdhsa_named_barrier_count 0
		.amdhsa_reserve_vcc 1
		.amdhsa_float_round_mode_32 0
		.amdhsa_float_round_mode_16_64 0
		.amdhsa_float_denorm_mode_32 3
		.amdhsa_float_denorm_mode_16_64 3
		.amdhsa_fp16_overflow 0
		.amdhsa_memory_ordered 1
		.amdhsa_forward_progress 1
		.amdhsa_inst_pref_size 255
		.amdhsa_round_robin_scheduling 0
		.amdhsa_exception_fp_ieee_invalid_op 0
		.amdhsa_exception_fp_denorm_src 0
		.amdhsa_exception_fp_ieee_div_zero 0
		.amdhsa_exception_fp_ieee_overflow 0
		.amdhsa_exception_fp_ieee_underflow 0
		.amdhsa_exception_fp_ieee_inexact 0
		.amdhsa_exception_int_div_zero 0
	.end_amdhsa_kernel
	.section	.text._ZN9rocsolver6v33100L18getri_kernel_smallILi44EdPdEEvT1_iilPiilS4_bb,"axG",@progbits,_ZN9rocsolver6v33100L18getri_kernel_smallILi44EdPdEEvT1_iilPiilS4_bb,comdat
.Lfunc_end43:
	.size	_ZN9rocsolver6v33100L18getri_kernel_smallILi44EdPdEEvT1_iilPiilS4_bb, .Lfunc_end43-_ZN9rocsolver6v33100L18getri_kernel_smallILi44EdPdEEvT1_iilPiilS4_bb
                                        ; -- End function
	.set _ZN9rocsolver6v33100L18getri_kernel_smallILi44EdPdEEvT1_iilPiilS4_bb.num_vgpr, 130
	.set _ZN9rocsolver6v33100L18getri_kernel_smallILi44EdPdEEvT1_iilPiilS4_bb.num_agpr, 0
	.set _ZN9rocsolver6v33100L18getri_kernel_smallILi44EdPdEEvT1_iilPiilS4_bb.numbered_sgpr, 19
	.set _ZN9rocsolver6v33100L18getri_kernel_smallILi44EdPdEEvT1_iilPiilS4_bb.num_named_barrier, 0
	.set _ZN9rocsolver6v33100L18getri_kernel_smallILi44EdPdEEvT1_iilPiilS4_bb.private_seg_size, 368
	.set _ZN9rocsolver6v33100L18getri_kernel_smallILi44EdPdEEvT1_iilPiilS4_bb.uses_vcc, 1
	.set _ZN9rocsolver6v33100L18getri_kernel_smallILi44EdPdEEvT1_iilPiilS4_bb.uses_flat_scratch, 1
	.set _ZN9rocsolver6v33100L18getri_kernel_smallILi44EdPdEEvT1_iilPiilS4_bb.has_dyn_sized_stack, 0
	.set _ZN9rocsolver6v33100L18getri_kernel_smallILi44EdPdEEvT1_iilPiilS4_bb.has_recursion, 0
	.set _ZN9rocsolver6v33100L18getri_kernel_smallILi44EdPdEEvT1_iilPiilS4_bb.has_indirect_call, 0
	.section	.AMDGPU.csdata,"",@progbits
; Kernel info:
; codeLenInByte = 39404
; TotalNumSgprs: 21
; NumVgprs: 130
; ScratchSize: 368
; MemoryBound: 0
; FloatMode: 240
; IeeeMode: 1
; LDSByteSize: 712 bytes/workgroup (compile time only)
; SGPRBlocks: 0
; VGPRBlocks: 8
; NumSGPRsForWavesPerEU: 21
; NumVGPRsForWavesPerEU: 130
; NamedBarCnt: 0
; Occupancy: 7
; WaveLimiterHint : 1
; COMPUTE_PGM_RSRC2:SCRATCH_EN: 1
; COMPUTE_PGM_RSRC2:USER_SGPR: 2
; COMPUTE_PGM_RSRC2:TRAP_HANDLER: 0
; COMPUTE_PGM_RSRC2:TGID_X_EN: 1
; COMPUTE_PGM_RSRC2:TGID_Y_EN: 0
; COMPUTE_PGM_RSRC2:TGID_Z_EN: 0
; COMPUTE_PGM_RSRC2:TIDIG_COMP_CNT: 0
	.section	.text._ZN9rocsolver6v33100L18getri_kernel_smallILi45EdPdEEvT1_iilPiilS4_bb,"axG",@progbits,_ZN9rocsolver6v33100L18getri_kernel_smallILi45EdPdEEvT1_iilPiilS4_bb,comdat
	.globl	_ZN9rocsolver6v33100L18getri_kernel_smallILi45EdPdEEvT1_iilPiilS4_bb ; -- Begin function _ZN9rocsolver6v33100L18getri_kernel_smallILi45EdPdEEvT1_iilPiilS4_bb
	.p2align	8
	.type	_ZN9rocsolver6v33100L18getri_kernel_smallILi45EdPdEEvT1_iilPiilS4_bb,@function
_ZN9rocsolver6v33100L18getri_kernel_smallILi45EdPdEEvT1_iilPiilS4_bb: ; @_ZN9rocsolver6v33100L18getri_kernel_smallILi45EdPdEEvT1_iilPiilS4_bb
; %bb.0:
	s_mov_b32 s2, exec_lo
	v_cmpx_gt_u32_e32 45, v0
	s_cbranch_execz .LBB44_190
; %bb.1:
	s_clause 0x2
	s_load_b32 s2, s[0:1], 0x38
	s_load_b128 s[12:15], s[0:1], 0x10
	s_load_b128 s[4:7], s[0:1], 0x28
	s_getreg_b32 s9, hwreg(HW_REG_IB_STS2, 6, 4)
	s_wait_kmcnt 0x0
	s_bitcmp1_b32 s2, 8
	s_cselect_b32 s18, -1, 0
	s_bfe_u32 s3, ttmp6, 0x4000c
	s_and_b32 s8, ttmp6, 15
	s_add_co_i32 s3, s3, 1
	s_delay_alu instid0(SALU_CYCLE_1) | instskip(NEXT) | instid1(SALU_CYCLE_1)
	s_mul_i32 s3, ttmp9, s3
	s_add_co_i32 s8, s8, s3
	s_cmp_eq_u32 s9, 0
	s_cselect_b32 s16, ttmp9, s8
	s_bfe_u32 s2, s2, 0x10008
	s_ashr_i32 s17, s16, 31
	s_cmp_eq_u32 s2, 0
                                        ; implicit-def: $sgpr2_sgpr3
	s_cbranch_scc1 .LBB44_3
; %bb.2:
	s_load_b32 s2, s[0:1], 0x20
	s_mul_u64 s[4:5], s[4:5], s[16:17]
	s_delay_alu instid0(SALU_CYCLE_1) | instskip(NEXT) | instid1(SALU_CYCLE_1)
	s_lshl_b64 s[4:5], s[4:5], 2
	s_add_nc_u64 s[4:5], s[14:15], s[4:5]
	s_wait_kmcnt 0x0
	s_ashr_i32 s3, s2, 31
	s_delay_alu instid0(SALU_CYCLE_1) | instskip(NEXT) | instid1(SALU_CYCLE_1)
	s_lshl_b64 s[2:3], s[2:3], 2
	s_add_nc_u64 s[2:3], s[4:5], s[2:3]
.LBB44_3:
	s_clause 0x1
	s_load_b128 s[8:11], s[0:1], 0x0
	s_load_b32 s14, s[0:1], 0x38
	s_wait_xcnt 0x0
	s_mul_u64 s[0:1], s[12:13], s[16:17]
	v_mov_b32_e32 v3, 0
	s_lshl_b64 s[0:1], s[0:1], 3
	s_wait_kmcnt 0x0
	v_add3_u32 v8, s11, s11, v0
	s_ashr_i32 s5, s10, 31
	s_mov_b32 s4, s10
	s_add_nc_u64 s[0:1], s[8:9], s[0:1]
	s_lshl_b64 s[4:5], s[4:5], 3
	v_add_nc_u32_e32 v10, s11, v8
	s_add_nc_u64 s[4:5], s[0:1], s[4:5]
	s_ashr_i32 s1, s11, 31
	s_mov_b32 s0, s11
	s_bitcmp0_b32 s14, 0
	v_add_nc_u32_e32 v12, s11, v10
	s_delay_alu instid0(VALU_DEP_1) | instskip(NEXT) | instid1(VALU_DEP_1)
	v_add_nc_u32_e32 v14, s11, v12
	v_add_nc_u32_e32 v16, s11, v14
	s_delay_alu instid0(VALU_DEP_1) | instskip(NEXT) | instid1(VALU_DEP_1)
	v_add_nc_u32_e32 v18, s11, v16
	;; [unrolled: 3-line block ×3, first 2 shown]
	v_dual_lshlrev_b32 v2, 3, v0 :: v_dual_add_nc_u32 v24, s11, v22
	s_delay_alu instid0(VALU_DEP_1) | instskip(NEXT) | instid1(VALU_DEP_2)
	v_add_nc_u64_e32 v[6:7], s[4:5], v[2:3]
	v_add_nc_u32_e32 v26, s11, v24
	s_delay_alu instid0(VALU_DEP_2) | instskip(SKIP_1) | instid1(VALU_DEP_2)
	v_lshl_add_u64 v[4:5], s[0:1], 3, v[6:7]
	s_mov_b32 s1, -1
	v_add_nc_u32_e32 v28, s11, v26
	s_clause 0x5
	global_load_b64 v[64:65], v0, s[4:5] scale_offset
	global_load_b64 v[66:67], v[4:5], off
	global_load_b64 v[68:69], v8, s[4:5] scale_offset
	global_load_b64 v[70:71], v10, s[4:5] scale_offset
	;; [unrolled: 1-line block ×4, first 2 shown]
	v_add_nc_u32_e32 v30, s11, v28
	s_clause 0x3
	global_load_b64 v[76:77], v16, s[4:5] scale_offset
	global_load_b64 v[78:79], v18, s[4:5] scale_offset
	;; [unrolled: 1-line block ×4, first 2 shown]
	v_add_nc_u32_e32 v32, s11, v30
	s_clause 0x1
	global_load_b64 v[84:85], v24, s[4:5] scale_offset
	global_load_b64 v[86:87], v26, s[4:5] scale_offset
	v_add_nc_u32_e32 v34, s11, v32
	s_delay_alu instid0(VALU_DEP_1) | instskip(SKIP_4) | instid1(VALU_DEP_1)
	v_add_nc_u32_e32 v36, s11, v34
	s_clause 0x1
	global_load_b64 v[88:89], v28, s[4:5] scale_offset
	global_load_b64 v[90:91], v30, s[4:5] scale_offset
	v_add_nc_u32_e32 v38, s11, v36
	v_add_nc_u32_e32 v40, s11, v38
	s_delay_alu instid0(VALU_DEP_1) | instskip(NEXT) | instid1(VALU_DEP_1)
	v_add_nc_u32_e32 v42, s11, v40
	v_add_nc_u32_e32 v44, s11, v42
	s_clause 0x3
	global_load_b64 v[92:93], v32, s[4:5] scale_offset
	global_load_b64 v[94:95], v34, s[4:5] scale_offset
	;; [unrolled: 1-line block ×4, first 2 shown]
	v_add_nc_u32_e32 v46, s11, v44
	s_delay_alu instid0(VALU_DEP_1)
	v_add_nc_u32_e32 v48, s11, v46
	s_clause 0x3
	global_load_b64 v[100:101], v40, s[4:5] scale_offset
	global_load_b64 v[102:103], v42, s[4:5] scale_offset
	;; [unrolled: 1-line block ×4, first 2 shown]
	v_add_nc_u32_e32 v50, s11, v48
	s_delay_alu instid0(VALU_DEP_1) | instskip(NEXT) | instid1(VALU_DEP_1)
	v_add_nc_u32_e32 v52, s11, v50
	v_add_nc_u32_e32 v54, s11, v52
	s_delay_alu instid0(VALU_DEP_1) | instskip(NEXT) | instid1(VALU_DEP_1)
	v_add_nc_u32_e32 v56, s11, v54
	v_add_nc_u32_e32 v58, s11, v56
	s_delay_alu instid0(VALU_DEP_1)
	v_add_nc_u32_e32 v60, s11, v58
	s_clause 0x3
	global_load_b64 v[108:109], v48, s[4:5] scale_offset
	global_load_b64 v[110:111], v50, s[4:5] scale_offset
	;; [unrolled: 1-line block ×4, first 2 shown]
	v_add_nc_u32_e32 v62, s11, v60
	s_clause 0x3
	global_load_b64 v[116:117], v56, s[4:5] scale_offset
	global_load_b64 v[118:119], v58, s[4:5] scale_offset
	;; [unrolled: 1-line block ×4, first 2 shown]
	s_wait_loadcnt 0x1c
	scratch_store_b128 off, v[64:67], off
	s_wait_loadcnt 0x1a
	scratch_store_b128 off, v[68:71], off offset:16
	s_wait_xcnt 0x1
	v_add_nc_u32_e32 v64, s11, v62
	s_wait_loadcnt 0x18
	scratch_store_b128 off, v[72:75], off offset:32
	s_wait_loadcnt 0x16
	scratch_store_b128 off, v[76:79], off offset:48
	;; [unrolled: 2-line block ×3, first 2 shown]
	v_add_nc_u32_e32 v66, s11, v64
	s_wait_loadcnt 0x12
	scratch_store_b128 off, v[84:87], off offset:80
	s_wait_loadcnt 0x10
	scratch_store_b128 off, v[88:91], off offset:96
	;; [unrolled: 2-line block ×3, first 2 shown]
	s_wait_xcnt 0x6
	v_add_nc_u32_e32 v68, s11, v66
	s_delay_alu instid0(VALU_DEP_1) | instskip(SKIP_1) | instid1(VALU_DEP_1)
	v_add_nc_u32_e32 v70, s11, v68
	s_wait_xcnt 0x5
	v_add_nc_u32_e32 v72, s11, v70
	s_clause 0x3
	global_load_b64 v[124:125], v64, s[4:5] scale_offset
	global_load_b64 v[126:127], v66, s[4:5] scale_offset
	;; [unrolled: 1-line block ×4, first 2 shown]
	s_wait_loadcnt 0x10
	scratch_store_b128 off, v[96:99], off offset:128
	s_wait_loadcnt 0xe
	scratch_store_b128 off, v[100:103], off offset:144
	s_wait_loadcnt 0xc
	scratch_store_b128 off, v[104:107], off offset:160
	v_add_nc_u32_e32 v74, s11, v72
	s_wait_xcnt 0xb
	s_delay_alu instid0(VALU_DEP_1) | instskip(NEXT) | instid1(VALU_DEP_1)
	v_add_nc_u32_e32 v76, s11, v74
	v_add_nc_u32_e32 v78, s11, v76
	s_wait_xcnt 0xa
	s_delay_alu instid0(VALU_DEP_1) | instskip(NEXT) | instid1(VALU_DEP_1)
	v_add_nc_u32_e32 v80, s11, v78
	v_add_nc_u32_e32 v82, s11, v80
	s_wait_xcnt 0x9
	s_delay_alu instid0(VALU_DEP_1)
	v_add_nc_u32_e32 v84, s11, v82
	s_clause 0x3
	global_load_b64 v[94:95], v72, s[4:5] scale_offset
	global_load_b64 v[96:97], v74, s[4:5] scale_offset
	;; [unrolled: 1-line block ×4, first 2 shown]
	s_wait_loadcnt 0xe
	scratch_store_b128 off, v[108:111], off offset:176
	s_wait_loadcnt 0xc
	scratch_store_b128 off, v[112:115], off offset:192
	v_add_nc_u32_e32 v86, s11, v84
	s_delay_alu instid0(VALU_DEP_1) | instskip(NEXT) | instid1(VALU_DEP_1)
	v_add_nc_u32_e32 v88, s11, v86
	v_add_nc_u32_e32 v90, s11, v88
	s_delay_alu instid0(VALU_DEP_1)
	v_add_nc_u32_e32 v92, s11, v90
	s_clause 0x3
	global_load_b64 v[102:103], v80, s[4:5] scale_offset
	global_load_b64 v[104:105], v82, s[4:5] scale_offset
	;; [unrolled: 1-line block ×4, first 2 shown]
	s_wait_loadcnt 0xe
	scratch_store_b128 off, v[116:119], off offset:208
	s_wait_loadcnt 0xc
	scratch_store_b128 off, v[120:123], off offset:224
	s_clause 0x2
	global_load_b64 v[110:111], v88, s[4:5] scale_offset
	global_load_b64 v[112:113], v90, s[4:5] scale_offset
	global_load_b64 v[114:115], v92, s[4:5] scale_offset
	s_wait_loadcnt 0xd
	scratch_store_b128 off, v[124:127], off offset:240
	s_wait_loadcnt 0xb
	scratch_store_b128 off, v[128:131], off offset:256
	;; [unrolled: 2-line block ×7, first 2 shown]
	s_wait_loadcnt 0x0
	scratch_store_b64 off, v[114:115], off offset:352
	s_cbranch_scc1 .LBB44_188
; %bb.4:
	v_cmp_eq_u32_e64 s0, 0, v0
	s_wait_xcnt 0x0
	s_and_saveexec_b32 s1, s0
; %bb.5:
	v_mov_b32_e32 v1, 0
	ds_store_b32 v1, v1 offset:360
; %bb.6:
	s_or_b32 exec_lo, exec_lo, s1
	s_wait_storecnt_dscnt 0x0
	s_barrier_signal -1
	s_barrier_wait -1
	scratch_load_b64 v[94:95], v0, off scale_offset
	s_mov_b32 s8, exec_lo
	s_wait_loadcnt 0x0
	v_cmpx_eq_f64_e32 0, v[94:95]
	s_cbranch_execz .LBB44_10
; %bb.7:
	v_mov_b32_e32 v1, 0
	s_mov_b32 s9, 0
	ds_load_b32 v3, v1 offset:360
	s_wait_dscnt 0x0
	v_readfirstlane_b32 s1, v3
	v_add_nc_u32_e32 v3, 1, v0
	s_cmp_eq_u32 s1, 0
	s_delay_alu instid0(VALU_DEP_1) | instskip(SKIP_1) | instid1(SALU_CYCLE_1)
	v_cmp_gt_i32_e32 vcc_lo, s1, v3
	s_cselect_b32 s10, -1, 0
	s_or_b32 s10, s10, vcc_lo
	s_delay_alu instid0(SALU_CYCLE_1)
	s_and_b32 exec_lo, exec_lo, s10
	s_cbranch_execz .LBB44_10
; %bb.8:
	v_mov_b32_e32 v9, s1
.LBB44_9:                               ; =>This Inner Loop Header: Depth=1
	ds_cmpstore_rtn_b32 v9, v1, v3, v9 offset:360
	s_wait_dscnt 0x0
	v_cmp_ne_u32_e32 vcc_lo, 0, v9
	v_cmp_le_i32_e64 s1, v9, v3
	s_and_b32 s1, vcc_lo, s1
	s_delay_alu instid0(SALU_CYCLE_1) | instskip(NEXT) | instid1(SALU_CYCLE_1)
	s_and_b32 s1, exec_lo, s1
	s_or_b32 s9, s1, s9
	s_delay_alu instid0(SALU_CYCLE_1)
	s_and_not1_b32 exec_lo, exec_lo, s9
	s_cbranch_execnz .LBB44_9
.LBB44_10:
	s_or_b32 exec_lo, exec_lo, s8
	v_mov_b32_e32 v1, 0
	s_barrier_signal -1
	s_barrier_wait -1
	ds_load_b32 v3, v1 offset:360
	s_and_saveexec_b32 s1, s0
	s_cbranch_execz .LBB44_12
; %bb.11:
	s_lshl_b64 s[8:9], s[16:17], 2
	s_delay_alu instid0(SALU_CYCLE_1)
	s_add_nc_u64 s[8:9], s[6:7], s[8:9]
	s_wait_dscnt 0x0
	global_store_b32 v1, v3, s[8:9]
.LBB44_12:
	s_wait_xcnt 0x0
	s_or_b32 exec_lo, exec_lo, s1
	s_wait_dscnt 0x0
	v_cmp_ne_u32_e32 vcc_lo, 0, v3
	s_mov_b32 s1, 0
	s_cbranch_vccnz .LBB44_188
; %bb.13:
	v_lshl_add_u32 v3, v0, 3, 0
	v_add_nc_u32_e32 v1, 0x170, v2
	scratch_load_b64 v[94:95], v3, off
	s_wait_loadcnt 0x0
	v_div_scale_f64 v[96:97], null, v[94:95], v[94:95], 1.0
	v_div_scale_f64 v[102:103], vcc_lo, 1.0, v[94:95], 1.0
	s_delay_alu instid0(VALU_DEP_2) | instskip(SKIP_1) | instid1(TRANS32_DEP_1)
	v_rcp_f64_e32 v[98:99], v[96:97]
	v_nop
	v_fma_f64 v[100:101], -v[96:97], v[98:99], 1.0
	s_delay_alu instid0(VALU_DEP_1) | instskip(NEXT) | instid1(VALU_DEP_1)
	v_fmac_f64_e32 v[98:99], v[98:99], v[100:101]
	v_fma_f64 v[100:101], -v[96:97], v[98:99], 1.0
	s_delay_alu instid0(VALU_DEP_1) | instskip(NEXT) | instid1(VALU_DEP_1)
	v_fmac_f64_e32 v[98:99], v[98:99], v[100:101]
	v_mul_f64_e32 v[100:101], v[102:103], v[98:99]
	s_delay_alu instid0(VALU_DEP_1) | instskip(NEXT) | instid1(VALU_DEP_1)
	v_fma_f64 v[96:97], -v[96:97], v[100:101], v[102:103]
	v_div_fmas_f64 v[96:97], v[96:97], v[98:99], v[100:101]
	s_delay_alu instid0(VALU_DEP_1)
	v_div_fixup_f64 v[94:95], v[96:97], v[94:95], 1.0
	scratch_store_b64 v3, v[94:95], off
	scratch_load_b64 v[96:97], off, off offset:8
	s_wait_xcnt 0x1
	v_xor_b32_e32 v95, 0x80000000, v95
	s_wait_loadcnt 0x0
	ds_store_2addr_b64 v2, v[94:95], v[96:97] offset1:46
	s_wait_storecnt_dscnt 0x0
	s_barrier_signal -1
	s_barrier_wait -1
	s_wait_xcnt 0x0
	s_and_saveexec_b32 s1, s0
	s_cbranch_execz .LBB44_15
; %bb.14:
	scratch_load_b64 v[94:95], v3, off
	ds_load_b64 v[96:97], v1
	s_wait_loadcnt_dscnt 0x0
	v_fma_f64 v[94:95], v[94:95], v[96:97], 0
	v_mov_b32_e32 v9, 0
	ds_load_b64 v[98:99], v9 offset:8
	s_wait_dscnt 0x0
	v_mul_f64_e32 v[94:95], v[94:95], v[98:99]
	scratch_store_b64 off, v[94:95], off offset:8
.LBB44_15:
	s_wait_xcnt 0x0
	s_or_b32 exec_lo, exec_lo, s1
	s_wait_storecnt 0x0
	s_barrier_signal -1
	s_barrier_wait -1
	scratch_load_b64 v[94:95], off, off offset:16
	s_mov_b32 s1, exec_lo
	s_wait_loadcnt 0x0
	ds_store_b64 v1, v[94:95]
	s_wait_dscnt 0x0
	s_barrier_signal -1
	s_barrier_wait -1
	v_cmpx_gt_u32_e32 2, v0
	s_cbranch_execz .LBB44_19
; %bb.16:
	scratch_load_b64 v[94:95], v3, off
	ds_load_b64 v[96:97], v1
	s_wait_loadcnt_dscnt 0x0
	v_fma_f64 v[94:95], v[94:95], v[96:97], 0
	s_and_saveexec_b32 s8, s0
	s_cbranch_execz .LBB44_18
; %bb.17:
	scratch_load_b64 v[96:97], off, off offset:8
	v_mov_b32_e32 v3, 0
	ds_load_b64 v[98:99], v3 offset:376
	s_wait_loadcnt_dscnt 0x0
	v_fmac_f64_e32 v[94:95], v[96:97], v[98:99]
.LBB44_18:
	s_or_b32 exec_lo, exec_lo, s8
	v_mov_b32_e32 v3, 0
	ds_load_b64 v[96:97], v3 offset:16
	s_wait_dscnt 0x0
	v_mul_f64_e32 v[94:95], v[94:95], v[96:97]
	scratch_store_b64 off, v[94:95], off offset:16
.LBB44_19:
	s_wait_xcnt 0x0
	s_or_b32 exec_lo, exec_lo, s1
	s_wait_storecnt 0x0
	s_barrier_signal -1
	s_barrier_wait -1
	scratch_load_b64 v[94:95], off, off offset:24
	v_add_nc_u32_e32 v3, -1, v0
	s_mov_b32 s0, exec_lo
	s_wait_loadcnt 0x0
	ds_store_b64 v1, v[94:95]
	s_wait_dscnt 0x0
	s_barrier_signal -1
	s_barrier_wait -1
	v_cmpx_gt_u32_e32 3, v0
	s_cbranch_execz .LBB44_23
; %bb.20:
	v_mov_b64_e32 v[94:95], 0
	v_dual_add_nc_u32 v9, -1, v0 :: v_dual_mov_b32 v13, v2
	v_add_nc_u32_e32 v11, 0x170, v2
	s_mov_b32 s1, 0
.LBB44_21:                              ; =>This Inner Loop Header: Depth=1
	scratch_load_b64 v[96:97], v13, off
	ds_load_b64 v[98:99], v11
	v_dual_add_nc_u32 v9, 1, v9 :: v_dual_add_nc_u32 v11, 8, v11
	s_wait_xcnt 0x0
	v_add_nc_u32_e32 v13, 8, v13
	s_delay_alu instid0(VALU_DEP_2)
	v_cmp_lt_u32_e32 vcc_lo, 1, v9
	s_or_b32 s1, vcc_lo, s1
	s_wait_loadcnt_dscnt 0x0
	v_fmac_f64_e32 v[94:95], v[96:97], v[98:99]
	s_and_not1_b32 exec_lo, exec_lo, s1
	s_cbranch_execnz .LBB44_21
; %bb.22:
	s_or_b32 exec_lo, exec_lo, s1
	v_mov_b32_e32 v9, 0
	ds_load_b64 v[96:97], v9 offset:24
	s_wait_dscnt 0x0
	v_mul_f64_e32 v[94:95], v[94:95], v[96:97]
	scratch_store_b64 off, v[94:95], off offset:24
.LBB44_23:
	s_wait_xcnt 0x0
	s_or_b32 exec_lo, exec_lo, s0
	s_wait_storecnt 0x0
	s_barrier_signal -1
	s_barrier_wait -1
	scratch_load_b64 v[94:95], off, off offset:32
	s_mov_b32 s0, exec_lo
	s_wait_loadcnt 0x0
	ds_store_b64 v1, v[94:95]
	s_wait_dscnt 0x0
	s_barrier_signal -1
	s_barrier_wait -1
	v_cmpx_gt_u32_e32 4, v0
	s_cbranch_execz .LBB44_27
; %bb.24:
	v_mov_b64_e32 v[94:95], 0
	v_dual_add_nc_u32 v9, -1, v0 :: v_dual_mov_b32 v13, v2
	v_add_nc_u32_e32 v11, 0x170, v2
	s_mov_b32 s1, 0
.LBB44_25:                              ; =>This Inner Loop Header: Depth=1
	scratch_load_b64 v[96:97], v13, off
	ds_load_b64 v[98:99], v11
	v_dual_add_nc_u32 v9, 1, v9 :: v_dual_add_nc_u32 v11, 8, v11
	s_wait_xcnt 0x0
	v_add_nc_u32_e32 v13, 8, v13
	s_delay_alu instid0(VALU_DEP_2)
	v_cmp_lt_u32_e32 vcc_lo, 2, v9
	s_or_b32 s1, vcc_lo, s1
	s_wait_loadcnt_dscnt 0x0
	v_fmac_f64_e32 v[94:95], v[96:97], v[98:99]
	s_and_not1_b32 exec_lo, exec_lo, s1
	s_cbranch_execnz .LBB44_25
; %bb.26:
	s_or_b32 exec_lo, exec_lo, s1
	v_mov_b32_e32 v9, 0
	ds_load_b64 v[96:97], v9 offset:32
	s_wait_dscnt 0x0
	v_mul_f64_e32 v[94:95], v[94:95], v[96:97]
	scratch_store_b64 off, v[94:95], off offset:32
.LBB44_27:
	s_wait_xcnt 0x0
	s_or_b32 exec_lo, exec_lo, s0
	s_wait_storecnt 0x0
	s_barrier_signal -1
	s_barrier_wait -1
	scratch_load_b64 v[94:95], off, off offset:40
	;; [unrolled: 40-line block ×20, first 2 shown]
	s_mov_b32 s0, exec_lo
	s_wait_loadcnt 0x0
	ds_store_b64 v1, v[94:95]
	s_wait_dscnt 0x0
	s_barrier_signal -1
	s_barrier_wait -1
	v_cmpx_gt_u32_e32 23, v0
	s_cbranch_execz .LBB44_103
; %bb.100:
	v_mov_b64_e32 v[94:95], 0
	v_dual_add_nc_u32 v9, -1, v0 :: v_dual_mov_b32 v13, v2
	v_add_nc_u32_e32 v11, 0x170, v2
	s_mov_b32 s1, 0
.LBB44_101:                             ; =>This Inner Loop Header: Depth=1
	scratch_load_b64 v[96:97], v13, off
	ds_load_b64 v[98:99], v11
	v_dual_add_nc_u32 v9, 1, v9 :: v_dual_add_nc_u32 v11, 8, v11
	s_wait_xcnt 0x0
	v_add_nc_u32_e32 v13, 8, v13
	s_delay_alu instid0(VALU_DEP_2)
	v_cmp_lt_u32_e32 vcc_lo, 21, v9
	s_or_b32 s1, vcc_lo, s1
	s_wait_loadcnt_dscnt 0x0
	v_fmac_f64_e32 v[94:95], v[96:97], v[98:99]
	s_and_not1_b32 exec_lo, exec_lo, s1
	s_cbranch_execnz .LBB44_101
; %bb.102:
	s_or_b32 exec_lo, exec_lo, s1
	v_mov_b32_e32 v9, 0
	ds_load_b64 v[96:97], v9 offset:184
	s_wait_dscnt 0x0
	v_mul_f64_e32 v[94:95], v[94:95], v[96:97]
	scratch_store_b64 off, v[94:95], off offset:184
.LBB44_103:
	s_wait_xcnt 0x0
	s_or_b32 exec_lo, exec_lo, s0
	s_wait_storecnt 0x0
	s_barrier_signal -1
	s_barrier_wait -1
	scratch_load_b64 v[94:95], off, off offset:192
	s_mov_b32 s0, exec_lo
	s_wait_loadcnt 0x0
	ds_store_b64 v1, v[94:95]
	s_wait_dscnt 0x0
	s_barrier_signal -1
	s_barrier_wait -1
	v_cmpx_gt_u32_e32 24, v0
	s_cbranch_execz .LBB44_107
; %bb.104:
	v_mov_b64_e32 v[94:95], 0
	v_dual_add_nc_u32 v9, -1, v0 :: v_dual_mov_b32 v13, v2
	v_add_nc_u32_e32 v11, 0x170, v2
	s_mov_b32 s1, 0
.LBB44_105:                             ; =>This Inner Loop Header: Depth=1
	scratch_load_b64 v[96:97], v13, off
	ds_load_b64 v[98:99], v11
	v_dual_add_nc_u32 v9, 1, v9 :: v_dual_add_nc_u32 v11, 8, v11
	s_wait_xcnt 0x0
	v_add_nc_u32_e32 v13, 8, v13
	s_delay_alu instid0(VALU_DEP_2)
	v_cmp_lt_u32_e32 vcc_lo, 22, v9
	s_or_b32 s1, vcc_lo, s1
	s_wait_loadcnt_dscnt 0x0
	v_fmac_f64_e32 v[94:95], v[96:97], v[98:99]
	s_and_not1_b32 exec_lo, exec_lo, s1
	s_cbranch_execnz .LBB44_105
; %bb.106:
	s_or_b32 exec_lo, exec_lo, s1
	v_mov_b32_e32 v9, 0
	ds_load_b64 v[96:97], v9 offset:192
	s_wait_dscnt 0x0
	v_mul_f64_e32 v[94:95], v[94:95], v[96:97]
	scratch_store_b64 off, v[94:95], off offset:192
.LBB44_107:
	s_wait_xcnt 0x0
	s_or_b32 exec_lo, exec_lo, s0
	s_wait_storecnt 0x0
	s_barrier_signal -1
	s_barrier_wait -1
	scratch_load_b64 v[94:95], off, off offset:200
	;; [unrolled: 40-line block ×21, first 2 shown]
	s_mov_b32 s0, exec_lo
	s_wait_loadcnt 0x0
	ds_store_b64 v1, v[94:95]
	s_wait_dscnt 0x0
	s_barrier_signal -1
	s_barrier_wait -1
	v_cmpx_ne_u32_e32 44, v0
	s_cbranch_execz .LBB44_187
; %bb.184:
	v_mov_b64_e32 v[94:95], 0
	s_mov_b32 s1, 0
.LBB44_185:                             ; =>This Inner Loop Header: Depth=1
	scratch_load_b64 v[96:97], v2, off
	ds_load_b64 v[98:99], v1
	v_dual_add_nc_u32 v3, 1, v3 :: v_dual_add_nc_u32 v1, 8, v1
	s_wait_xcnt 0x0
	v_add_nc_u32_e32 v2, 8, v2
	s_delay_alu instid0(VALU_DEP_2)
	v_cmp_lt_u32_e32 vcc_lo, 42, v3
	s_or_b32 s1, vcc_lo, s1
	s_wait_loadcnt_dscnt 0x0
	v_fmac_f64_e32 v[94:95], v[96:97], v[98:99]
	s_and_not1_b32 exec_lo, exec_lo, s1
	s_cbranch_execnz .LBB44_185
; %bb.186:
	s_or_b32 exec_lo, exec_lo, s1
	v_mov_b32_e32 v1, 0
	ds_load_b64 v[2:3], v1 offset:352
	s_wait_dscnt 0x0
	v_mul_f64_e32 v[2:3], v[94:95], v[2:3]
	scratch_store_b64 off, v[2:3], off offset:352
.LBB44_187:
	s_wait_xcnt 0x0
	s_or_b32 exec_lo, exec_lo, s0
	s_mov_b32 s1, -1
	s_wait_storecnt 0x0
	s_barrier_signal -1
	s_barrier_wait -1
.LBB44_188:
	s_and_b32 vcc_lo, exec_lo, s1
	s_cbranch_vccz .LBB44_190
; %bb.189:
	v_mov_b32_e32 v1, 0
	s_lshl_b64 s[0:1], s[16:17], 2
	s_delay_alu instid0(SALU_CYCLE_1)
	s_add_nc_u64 s[0:1], s[6:7], s[0:1]
	global_load_b32 v1, v1, s[0:1]
	s_wait_loadcnt 0x0
	v_cmp_ne_u32_e32 vcc_lo, 0, v1
	s_cbranch_vccz .LBB44_191
.LBB44_190:
	s_sendmsg sendmsg(MSG_DEALLOC_VGPRS)
	s_endpgm
.LBB44_191:
	s_wait_xcnt 0x0
	v_lshl_add_u32 v1, v0, 3, 0x170
	s_mov_b32 s0, exec_lo
	v_cmpx_eq_u32_e32 44, v0
	s_cbranch_execz .LBB44_193
; %bb.192:
	scratch_load_b64 v[2:3], off, off offset:344
	v_mov_b64_e32 v[94:95], 0
	scratch_store_b64 off, v[94:95], off offset:344
	s_wait_loadcnt 0x0
	ds_store_b64 v1, v[2:3]
.LBB44_193:
	s_wait_xcnt 0x0
	s_or_b32 exec_lo, exec_lo, s0
	s_wait_storecnt_dscnt 0x0
	s_barrier_signal -1
	s_barrier_wait -1
	scratch_load_b128 v[94:97], off, off offset:344
	v_mov_b32_e32 v2, 0
	s_mov_b32 s0, exec_lo
	ds_load_b64 v[98:99], v2 offset:720
	s_wait_loadcnt_dscnt 0x0
	v_fma_f64 v[96:97], v[96:97], v[98:99], 0
	s_delay_alu instid0(VALU_DEP_1)
	v_add_f64_e64 v[94:95], v[94:95], -v[96:97]
	scratch_store_b64 off, v[94:95], off offset:344
	s_wait_xcnt 0x0
	v_cmpx_lt_u32_e32 42, v0
	s_cbranch_execz .LBB44_195
; %bb.194:
	scratch_load_b64 v[94:95], off, off offset:336
	v_mov_b64_e32 v[96:97], 0
	scratch_store_b64 off, v[96:97], off offset:336
	s_wait_loadcnt 0x0
	ds_store_b64 v1, v[94:95]
.LBB44_195:
	s_wait_xcnt 0x0
	s_or_b32 exec_lo, exec_lo, s0
	s_wait_storecnt_dscnt 0x0
	s_barrier_signal -1
	s_barrier_wait -1
	s_clause 0x1
	scratch_load_b128 v[94:97], off, off offset:336
	scratch_load_b64 v[102:103], off, off offset:352
	ds_load_2addr_b64 v[98:101], v2 offset0:89 offset1:90
	s_mov_b32 s0, exec_lo
	s_wait_loadcnt_dscnt 0x100
	v_fma_f64 v[2:3], v[96:97], v[98:99], 0
	s_wait_loadcnt 0x0
	s_delay_alu instid0(VALU_DEP_1) | instskip(NEXT) | instid1(VALU_DEP_1)
	v_fmac_f64_e32 v[2:3], v[102:103], v[100:101]
	v_add_f64_e64 v[2:3], v[94:95], -v[2:3]
	scratch_store_b64 off, v[2:3], off offset:336
	s_wait_xcnt 0x0
	v_cmpx_lt_u32_e32 41, v0
	s_cbranch_execz .LBB44_197
; %bb.196:
	scratch_load_b64 v[2:3], off, off offset:328
	v_mov_b64_e32 v[94:95], 0
	scratch_store_b64 off, v[94:95], off offset:328
	s_wait_loadcnt 0x0
	ds_store_b64 v1, v[2:3]
.LBB44_197:
	s_wait_xcnt 0x0
	s_or_b32 exec_lo, exec_lo, s0
	s_wait_storecnt_dscnt 0x0
	s_barrier_signal -1
	s_barrier_wait -1
	s_clause 0x1
	scratch_load_b128 v[94:97], off, off offset:328
	scratch_load_b128 v[98:101], off, off offset:344
	v_mov_b32_e32 v2, 0
	ds_load_b128 v[102:105], v2 offset:704
	ds_load_b64 v[106:107], v2 offset:720
	s_mov_b32 s0, exec_lo
	s_wait_loadcnt_dscnt 0x101
	v_fma_f64 v[96:97], v[96:97], v[102:103], 0
	s_wait_loadcnt 0x0
	s_delay_alu instid0(VALU_DEP_1) | instskip(SKIP_1) | instid1(VALU_DEP_1)
	v_fmac_f64_e32 v[96:97], v[98:99], v[104:105]
	s_wait_dscnt 0x0
	v_fmac_f64_e32 v[96:97], v[100:101], v[106:107]
	s_delay_alu instid0(VALU_DEP_1)
	v_add_f64_e64 v[94:95], v[94:95], -v[96:97]
	scratch_store_b64 off, v[94:95], off offset:328
	s_wait_xcnt 0x0
	v_cmpx_lt_u32_e32 40, v0
	s_cbranch_execz .LBB44_199
; %bb.198:
	scratch_load_b64 v[94:95], off, off offset:320
	v_mov_b64_e32 v[96:97], 0
	scratch_store_b64 off, v[96:97], off offset:320
	s_wait_loadcnt 0x0
	ds_store_b64 v1, v[94:95]
.LBB44_199:
	s_wait_xcnt 0x0
	s_or_b32 exec_lo, exec_lo, s0
	s_wait_storecnt_dscnt 0x0
	s_barrier_signal -1
	s_barrier_wait -1
	s_clause 0x2
	scratch_load_b128 v[94:97], off, off offset:320
	scratch_load_b128 v[98:101], off, off offset:336
	scratch_load_b64 v[110:111], off, off offset:352
	ds_load_2addr_b64 v[102:105], v2 offset0:87 offset1:88
	ds_load_2addr_b64 v[106:109], v2 offset0:89 offset1:90
	s_mov_b32 s0, exec_lo
	s_wait_loadcnt_dscnt 0x201
	v_fma_f64 v[2:3], v[96:97], v[102:103], 0
	s_wait_loadcnt 0x1
	s_delay_alu instid0(VALU_DEP_1) | instskip(SKIP_1) | instid1(VALU_DEP_1)
	v_fmac_f64_e32 v[2:3], v[98:99], v[104:105]
	s_wait_dscnt 0x0
	v_fmac_f64_e32 v[2:3], v[100:101], v[106:107]
	s_wait_loadcnt 0x0
	s_delay_alu instid0(VALU_DEP_1) | instskip(NEXT) | instid1(VALU_DEP_1)
	v_fmac_f64_e32 v[2:3], v[110:111], v[108:109]
	v_add_f64_e64 v[2:3], v[94:95], -v[2:3]
	scratch_store_b64 off, v[2:3], off offset:320
	s_wait_xcnt 0x0
	v_cmpx_lt_u32_e32 39, v0
	s_cbranch_execz .LBB44_201
; %bb.200:
	scratch_load_b64 v[2:3], off, off offset:312
	v_mov_b64_e32 v[94:95], 0
	scratch_store_b64 off, v[94:95], off offset:312
	s_wait_loadcnt 0x0
	ds_store_b64 v1, v[2:3]
.LBB44_201:
	s_wait_xcnt 0x0
	s_or_b32 exec_lo, exec_lo, s0
	s_wait_storecnt_dscnt 0x0
	s_barrier_signal -1
	s_barrier_wait -1
	s_clause 0x2
	scratch_load_b128 v[94:97], off, off offset:312
	scratch_load_b128 v[98:101], off, off offset:328
	scratch_load_b128 v[102:105], off, off offset:344
	v_mov_b32_e32 v2, 0
	ds_load_b128 v[106:109], v2 offset:688
	ds_load_b128 v[110:113], v2 offset:704
	s_mov_b32 s0, exec_lo
	s_wait_loadcnt_dscnt 0x201
	v_fma_f64 v[96:97], v[96:97], v[106:107], 0
	s_wait_loadcnt 0x1
	s_delay_alu instid0(VALU_DEP_1) | instskip(SKIP_4) | instid1(VALU_DEP_1)
	v_fmac_f64_e32 v[96:97], v[98:99], v[108:109]
	ds_load_b64 v[98:99], v2 offset:720
	s_wait_dscnt 0x1
	v_fmac_f64_e32 v[96:97], v[100:101], v[110:111]
	s_wait_loadcnt 0x0
	v_fmac_f64_e32 v[96:97], v[102:103], v[112:113]
	s_wait_dscnt 0x0
	s_delay_alu instid0(VALU_DEP_1) | instskip(NEXT) | instid1(VALU_DEP_1)
	v_fmac_f64_e32 v[96:97], v[104:105], v[98:99]
	v_add_f64_e64 v[94:95], v[94:95], -v[96:97]
	scratch_store_b64 off, v[94:95], off offset:312
	s_wait_xcnt 0x0
	v_cmpx_lt_u32_e32 38, v0
	s_cbranch_execz .LBB44_203
; %bb.202:
	scratch_load_b64 v[94:95], off, off offset:304
	v_mov_b64_e32 v[96:97], 0
	scratch_store_b64 off, v[96:97], off offset:304
	s_wait_loadcnt 0x0
	ds_store_b64 v1, v[94:95]
.LBB44_203:
	s_wait_xcnt 0x0
	s_or_b32 exec_lo, exec_lo, s0
	s_wait_storecnt_dscnt 0x0
	s_barrier_signal -1
	s_barrier_wait -1
	s_clause 0x3
	scratch_load_b128 v[94:97], off, off offset:304
	scratch_load_b128 v[98:101], off, off offset:320
	;; [unrolled: 1-line block ×3, first 2 shown]
	scratch_load_b64 v[114:115], off, off offset:352
	ds_load_2addr_b64 v[106:109], v2 offset0:85 offset1:86
	ds_load_2addr_b64 v[110:113], v2 offset0:87 offset1:88
	s_mov_b32 s0, exec_lo
	s_wait_loadcnt_dscnt 0x301
	v_fma_f64 v[106:107], v[96:97], v[106:107], 0
	s_wait_loadcnt 0x2
	s_delay_alu instid0(VALU_DEP_1) | instskip(SKIP_4) | instid1(VALU_DEP_1)
	v_fmac_f64_e32 v[106:107], v[98:99], v[108:109]
	ds_load_2addr_b64 v[96:99], v2 offset0:89 offset1:90
	s_wait_dscnt 0x1
	v_fmac_f64_e32 v[106:107], v[100:101], v[110:111]
	s_wait_loadcnt 0x1
	v_fmac_f64_e32 v[106:107], v[102:103], v[112:113]
	s_wait_dscnt 0x0
	s_delay_alu instid0(VALU_DEP_1) | instskip(SKIP_1) | instid1(VALU_DEP_1)
	v_fmac_f64_e32 v[106:107], v[104:105], v[96:97]
	s_wait_loadcnt 0x0
	v_fmac_f64_e32 v[106:107], v[114:115], v[98:99]
	s_delay_alu instid0(VALU_DEP_1)
	v_add_f64_e64 v[2:3], v[94:95], -v[106:107]
	scratch_store_b64 off, v[2:3], off offset:304
	s_wait_xcnt 0x0
	v_cmpx_lt_u32_e32 37, v0
	s_cbranch_execz .LBB44_205
; %bb.204:
	scratch_load_b64 v[2:3], off, off offset:296
	v_mov_b64_e32 v[94:95], 0
	scratch_store_b64 off, v[94:95], off offset:296
	s_wait_loadcnt 0x0
	ds_store_b64 v1, v[2:3]
.LBB44_205:
	s_wait_xcnt 0x0
	s_or_b32 exec_lo, exec_lo, s0
	s_wait_storecnt_dscnt 0x0
	s_barrier_signal -1
	s_barrier_wait -1
	s_clause 0x3
	scratch_load_b128 v[94:97], off, off offset:296
	scratch_load_b128 v[98:101], off, off offset:312
	;; [unrolled: 1-line block ×4, first 2 shown]
	v_mov_b32_e32 v2, 0
	ds_load_b128 v[110:113], v2 offset:672
	ds_load_b128 v[114:117], v2 offset:688
	s_mov_b32 s0, exec_lo
	s_wait_loadcnt_dscnt 0x301
	v_fma_f64 v[110:111], v[96:97], v[110:111], 0
	s_wait_loadcnt 0x2
	s_delay_alu instid0(VALU_DEP_1) | instskip(SKIP_1) | instid1(VALU_DEP_1)
	v_fmac_f64_e32 v[110:111], v[98:99], v[112:113]
	s_wait_dscnt 0x0
	v_fmac_f64_e32 v[110:111], v[100:101], v[114:115]
	ds_load_b128 v[96:99], v2 offset:704
	ds_load_b64 v[100:101], v2 offset:720
	s_wait_loadcnt 0x1
	v_fmac_f64_e32 v[110:111], v[102:103], v[116:117]
	s_wait_dscnt 0x1
	s_delay_alu instid0(VALU_DEP_1) | instskip(SKIP_1) | instid1(VALU_DEP_1)
	v_fmac_f64_e32 v[110:111], v[104:105], v[96:97]
	s_wait_loadcnt 0x0
	v_fmac_f64_e32 v[110:111], v[106:107], v[98:99]
	s_wait_dscnt 0x0
	s_delay_alu instid0(VALU_DEP_1) | instskip(NEXT) | instid1(VALU_DEP_1)
	v_fmac_f64_e32 v[110:111], v[108:109], v[100:101]
	v_add_f64_e64 v[94:95], v[94:95], -v[110:111]
	scratch_store_b64 off, v[94:95], off offset:296
	s_wait_xcnt 0x0
	v_cmpx_lt_u32_e32 36, v0
	s_cbranch_execz .LBB44_207
; %bb.206:
	scratch_load_b64 v[94:95], off, off offset:288
	v_mov_b64_e32 v[96:97], 0
	scratch_store_b64 off, v[96:97], off offset:288
	s_wait_loadcnt 0x0
	ds_store_b64 v1, v[94:95]
.LBB44_207:
	s_wait_xcnt 0x0
	s_or_b32 exec_lo, exec_lo, s0
	s_wait_storecnt_dscnt 0x0
	s_barrier_signal -1
	s_barrier_wait -1
	s_clause 0x4
	scratch_load_b128 v[94:97], off, off offset:288
	scratch_load_b128 v[98:101], off, off offset:304
	;; [unrolled: 1-line block ×4, first 2 shown]
	scratch_load_b64 v[118:119], off, off offset:352
	ds_load_2addr_b64 v[110:113], v2 offset0:83 offset1:84
	ds_load_2addr_b64 v[114:117], v2 offset0:85 offset1:86
	s_mov_b32 s0, exec_lo
	s_wait_loadcnt_dscnt 0x401
	v_fma_f64 v[110:111], v[96:97], v[110:111], 0
	s_wait_loadcnt 0x3
	s_delay_alu instid0(VALU_DEP_1) | instskip(SKIP_1) | instid1(VALU_DEP_1)
	v_fmac_f64_e32 v[110:111], v[98:99], v[112:113]
	s_wait_dscnt 0x0
	v_fmac_f64_e32 v[110:111], v[100:101], v[114:115]
	s_wait_loadcnt 0x2
	s_delay_alu instid0(VALU_DEP_1)
	v_fmac_f64_e32 v[110:111], v[102:103], v[116:117]
	ds_load_2addr_b64 v[96:99], v2 offset0:87 offset1:88
	ds_load_2addr_b64 v[100:103], v2 offset0:89 offset1:90
	s_wait_dscnt 0x1
	v_fmac_f64_e32 v[110:111], v[104:105], v[96:97]
	s_wait_loadcnt 0x1
	s_delay_alu instid0(VALU_DEP_1) | instskip(SKIP_1) | instid1(VALU_DEP_1)
	v_fmac_f64_e32 v[110:111], v[106:107], v[98:99]
	s_wait_dscnt 0x0
	v_fmac_f64_e32 v[110:111], v[108:109], v[100:101]
	s_wait_loadcnt 0x0
	s_delay_alu instid0(VALU_DEP_1) | instskip(NEXT) | instid1(VALU_DEP_1)
	v_fmac_f64_e32 v[110:111], v[118:119], v[102:103]
	v_add_f64_e64 v[2:3], v[94:95], -v[110:111]
	scratch_store_b64 off, v[2:3], off offset:288
	s_wait_xcnt 0x0
	v_cmpx_lt_u32_e32 35, v0
	s_cbranch_execz .LBB44_209
; %bb.208:
	scratch_load_b64 v[2:3], off, off offset:280
	v_mov_b64_e32 v[94:95], 0
	scratch_store_b64 off, v[94:95], off offset:280
	s_wait_loadcnt 0x0
	ds_store_b64 v1, v[2:3]
.LBB44_209:
	s_wait_xcnt 0x0
	s_or_b32 exec_lo, exec_lo, s0
	s_wait_storecnt_dscnt 0x0
	s_barrier_signal -1
	s_barrier_wait -1
	s_clause 0x4
	scratch_load_b128 v[94:97], off, off offset:280
	scratch_load_b128 v[98:101], off, off offset:296
	;; [unrolled: 1-line block ×5, first 2 shown]
	v_mov_b32_e32 v2, 0
	ds_load_b128 v[114:117], v2 offset:656
	ds_load_b128 v[118:121], v2 offset:672
	s_mov_b32 s0, exec_lo
	s_wait_loadcnt_dscnt 0x401
	v_fma_f64 v[114:115], v[96:97], v[114:115], 0
	s_wait_loadcnt 0x3
	s_delay_alu instid0(VALU_DEP_1) | instskip(SKIP_1) | instid1(VALU_DEP_1)
	v_fmac_f64_e32 v[114:115], v[98:99], v[116:117]
	s_wait_dscnt 0x0
	v_fmac_f64_e32 v[114:115], v[100:101], v[118:119]
	s_wait_loadcnt 0x2
	s_delay_alu instid0(VALU_DEP_1)
	v_fmac_f64_e32 v[114:115], v[102:103], v[120:121]
	ds_load_b128 v[96:99], v2 offset:688
	ds_load_b128 v[100:103], v2 offset:704
	s_wait_dscnt 0x1
	v_fmac_f64_e32 v[114:115], v[104:105], v[96:97]
	ds_load_b64 v[96:97], v2 offset:720
	s_wait_loadcnt 0x1
	v_fmac_f64_e32 v[114:115], v[106:107], v[98:99]
	s_wait_dscnt 0x1
	s_delay_alu instid0(VALU_DEP_1) | instskip(SKIP_1) | instid1(VALU_DEP_1)
	v_fmac_f64_e32 v[114:115], v[108:109], v[100:101]
	s_wait_loadcnt 0x0
	v_fmac_f64_e32 v[114:115], v[110:111], v[102:103]
	s_wait_dscnt 0x0
	s_delay_alu instid0(VALU_DEP_1) | instskip(NEXT) | instid1(VALU_DEP_1)
	v_fmac_f64_e32 v[114:115], v[112:113], v[96:97]
	v_add_f64_e64 v[94:95], v[94:95], -v[114:115]
	scratch_store_b64 off, v[94:95], off offset:280
	s_wait_xcnt 0x0
	v_cmpx_lt_u32_e32 34, v0
	s_cbranch_execz .LBB44_211
; %bb.210:
	scratch_load_b64 v[94:95], off, off offset:272
	v_mov_b64_e32 v[96:97], 0
	scratch_store_b64 off, v[96:97], off offset:272
	s_wait_loadcnt 0x0
	ds_store_b64 v1, v[94:95]
.LBB44_211:
	s_wait_xcnt 0x0
	s_or_b32 exec_lo, exec_lo, s0
	s_wait_storecnt_dscnt 0x0
	s_barrier_signal -1
	s_barrier_wait -1
	s_clause 0x5
	scratch_load_b128 v[94:97], off, off offset:272
	scratch_load_b128 v[98:101], off, off offset:288
	;; [unrolled: 1-line block ×5, first 2 shown]
	scratch_load_b64 v[122:123], off, off offset:352
	ds_load_2addr_b64 v[114:117], v2 offset0:81 offset1:82
	ds_load_2addr_b64 v[118:121], v2 offset0:83 offset1:84
	s_mov_b32 s0, exec_lo
	s_wait_loadcnt_dscnt 0x501
	v_fma_f64 v[114:115], v[96:97], v[114:115], 0
	s_wait_loadcnt 0x4
	s_delay_alu instid0(VALU_DEP_1) | instskip(SKIP_1) | instid1(VALU_DEP_1)
	v_fmac_f64_e32 v[114:115], v[98:99], v[116:117]
	s_wait_dscnt 0x0
	v_fmac_f64_e32 v[114:115], v[100:101], v[118:119]
	s_wait_loadcnt 0x3
	s_delay_alu instid0(VALU_DEP_1)
	v_fmac_f64_e32 v[114:115], v[102:103], v[120:121]
	ds_load_2addr_b64 v[96:99], v2 offset0:85 offset1:86
	ds_load_2addr_b64 v[100:103], v2 offset0:87 offset1:88
	s_wait_dscnt 0x1
	v_fmac_f64_e32 v[114:115], v[104:105], v[96:97]
	s_wait_loadcnt 0x2
	s_delay_alu instid0(VALU_DEP_1) | instskip(SKIP_4) | instid1(VALU_DEP_1)
	v_fmac_f64_e32 v[114:115], v[106:107], v[98:99]
	ds_load_2addr_b64 v[96:99], v2 offset0:89 offset1:90
	s_wait_dscnt 0x1
	v_fmac_f64_e32 v[114:115], v[108:109], v[100:101]
	s_wait_loadcnt 0x1
	v_fmac_f64_e32 v[114:115], v[110:111], v[102:103]
	s_wait_dscnt 0x0
	s_delay_alu instid0(VALU_DEP_1) | instskip(SKIP_1) | instid1(VALU_DEP_1)
	v_fmac_f64_e32 v[114:115], v[112:113], v[96:97]
	s_wait_loadcnt 0x0
	v_fmac_f64_e32 v[114:115], v[122:123], v[98:99]
	s_delay_alu instid0(VALU_DEP_1)
	v_add_f64_e64 v[2:3], v[94:95], -v[114:115]
	scratch_store_b64 off, v[2:3], off offset:272
	s_wait_xcnt 0x0
	v_cmpx_lt_u32_e32 33, v0
	s_cbranch_execz .LBB44_213
; %bb.212:
	scratch_load_b64 v[2:3], off, off offset:264
	v_mov_b64_e32 v[94:95], 0
	scratch_store_b64 off, v[94:95], off offset:264
	s_wait_loadcnt 0x0
	ds_store_b64 v1, v[2:3]
.LBB44_213:
	s_wait_xcnt 0x0
	s_or_b32 exec_lo, exec_lo, s0
	s_wait_storecnt_dscnt 0x0
	s_barrier_signal -1
	s_barrier_wait -1
	s_clause 0x5
	scratch_load_b128 v[94:97], off, off offset:264
	scratch_load_b128 v[98:101], off, off offset:280
	;; [unrolled: 1-line block ×6, first 2 shown]
	v_mov_b32_e32 v2, 0
	ds_load_b128 v[118:121], v2 offset:640
	ds_load_b128 v[122:125], v2 offset:656
	s_mov_b32 s0, exec_lo
	s_wait_loadcnt_dscnt 0x501
	v_fma_f64 v[118:119], v[96:97], v[118:119], 0
	s_wait_loadcnt 0x4
	s_delay_alu instid0(VALU_DEP_1) | instskip(SKIP_1) | instid1(VALU_DEP_1)
	v_fmac_f64_e32 v[118:119], v[98:99], v[120:121]
	s_wait_dscnt 0x0
	v_fmac_f64_e32 v[118:119], v[100:101], v[122:123]
	s_wait_loadcnt 0x3
	s_delay_alu instid0(VALU_DEP_1)
	v_fmac_f64_e32 v[118:119], v[102:103], v[124:125]
	ds_load_b128 v[96:99], v2 offset:672
	ds_load_b128 v[100:103], v2 offset:688
	s_wait_dscnt 0x1
	v_fmac_f64_e32 v[118:119], v[104:105], v[96:97]
	s_wait_loadcnt 0x2
	s_delay_alu instid0(VALU_DEP_1) | instskip(SKIP_1) | instid1(VALU_DEP_1)
	v_fmac_f64_e32 v[118:119], v[106:107], v[98:99]
	s_wait_dscnt 0x0
	v_fmac_f64_e32 v[118:119], v[108:109], v[100:101]
	ds_load_b128 v[96:99], v2 offset:704
	ds_load_b64 v[100:101], v2 offset:720
	s_wait_loadcnt 0x1
	v_fmac_f64_e32 v[118:119], v[110:111], v[102:103]
	s_wait_dscnt 0x1
	s_delay_alu instid0(VALU_DEP_1) | instskip(SKIP_1) | instid1(VALU_DEP_1)
	v_fmac_f64_e32 v[118:119], v[112:113], v[96:97]
	s_wait_loadcnt 0x0
	v_fmac_f64_e32 v[118:119], v[114:115], v[98:99]
	s_wait_dscnt 0x0
	s_delay_alu instid0(VALU_DEP_1) | instskip(NEXT) | instid1(VALU_DEP_1)
	v_fmac_f64_e32 v[118:119], v[116:117], v[100:101]
	v_add_f64_e64 v[94:95], v[94:95], -v[118:119]
	scratch_store_b64 off, v[94:95], off offset:264
	s_wait_xcnt 0x0
	v_cmpx_lt_u32_e32 32, v0
	s_cbranch_execz .LBB44_215
; %bb.214:
	scratch_load_b64 v[94:95], off, off offset:256
	v_mov_b64_e32 v[96:97], 0
	scratch_store_b64 off, v[96:97], off offset:256
	s_wait_loadcnt 0x0
	ds_store_b64 v1, v[94:95]
.LBB44_215:
	s_wait_xcnt 0x0
	s_or_b32 exec_lo, exec_lo, s0
	s_wait_storecnt_dscnt 0x0
	s_barrier_signal -1
	s_barrier_wait -1
	s_clause 0x5
	scratch_load_b128 v[94:97], off, off offset:256
	scratch_load_b128 v[98:101], off, off offset:272
	;; [unrolled: 1-line block ×6, first 2 shown]
	ds_load_2addr_b64 v[118:121], v2 offset0:79 offset1:80
	ds_load_2addr_b64 v[122:125], v2 offset0:81 offset1:82
	s_mov_b32 s0, exec_lo
	s_wait_loadcnt_dscnt 0x501
	v_fma_f64 v[118:119], v[96:97], v[118:119], 0
	s_wait_loadcnt 0x4
	s_delay_alu instid0(VALU_DEP_1) | instskip(SKIP_4) | instid1(VALU_DEP_1)
	v_fmac_f64_e32 v[118:119], v[98:99], v[120:121]
	scratch_load_b64 v[120:121], off, off offset:352
	s_wait_dscnt 0x0
	v_fmac_f64_e32 v[118:119], v[100:101], v[122:123]
	s_wait_loadcnt 0x4
	v_fmac_f64_e32 v[118:119], v[102:103], v[124:125]
	ds_load_2addr_b64 v[96:99], v2 offset0:83 offset1:84
	ds_load_2addr_b64 v[100:103], v2 offset0:85 offset1:86
	s_wait_dscnt 0x1
	v_fmac_f64_e32 v[118:119], v[104:105], v[96:97]
	s_wait_loadcnt 0x3
	s_delay_alu instid0(VALU_DEP_1) | instskip(SKIP_1) | instid1(VALU_DEP_1)
	v_fmac_f64_e32 v[118:119], v[106:107], v[98:99]
	s_wait_dscnt 0x0
	v_fmac_f64_e32 v[118:119], v[108:109], v[100:101]
	s_wait_loadcnt 0x2
	s_delay_alu instid0(VALU_DEP_1)
	v_fmac_f64_e32 v[118:119], v[110:111], v[102:103]
	ds_load_2addr_b64 v[96:99], v2 offset0:87 offset1:88
	ds_load_2addr_b64 v[100:103], v2 offset0:89 offset1:90
	s_wait_dscnt 0x1
	v_fmac_f64_e32 v[118:119], v[112:113], v[96:97]
	s_wait_loadcnt 0x1
	s_delay_alu instid0(VALU_DEP_1) | instskip(SKIP_1) | instid1(VALU_DEP_1)
	v_fmac_f64_e32 v[118:119], v[114:115], v[98:99]
	s_wait_dscnt 0x0
	v_fmac_f64_e32 v[118:119], v[116:117], v[100:101]
	s_wait_loadcnt 0x0
	s_delay_alu instid0(VALU_DEP_1) | instskip(NEXT) | instid1(VALU_DEP_1)
	v_fmac_f64_e32 v[118:119], v[120:121], v[102:103]
	v_add_f64_e64 v[2:3], v[94:95], -v[118:119]
	scratch_store_b64 off, v[2:3], off offset:256
	s_wait_xcnt 0x0
	v_cmpx_lt_u32_e32 31, v0
	s_cbranch_execz .LBB44_217
; %bb.216:
	scratch_load_b64 v[2:3], off, off offset:248
	v_mov_b64_e32 v[94:95], 0
	scratch_store_b64 off, v[94:95], off offset:248
	s_wait_loadcnt 0x0
	ds_store_b64 v1, v[2:3]
.LBB44_217:
	s_wait_xcnt 0x0
	s_or_b32 exec_lo, exec_lo, s0
	s_wait_storecnt_dscnt 0x0
	s_barrier_signal -1
	s_barrier_wait -1
	s_clause 0x5
	scratch_load_b128 v[94:97], off, off offset:248
	scratch_load_b128 v[98:101], off, off offset:264
	;; [unrolled: 1-line block ×6, first 2 shown]
	v_mov_b32_e32 v2, 0
	ds_load_b128 v[118:121], v2 offset:624
	ds_load_b128 v[122:125], v2 offset:640
	s_mov_b32 s0, exec_lo
	s_wait_loadcnt_dscnt 0x501
	v_fma_f64 v[126:127], v[96:97], v[118:119], 0
	s_wait_loadcnt 0x4
	s_delay_alu instid0(VALU_DEP_1) | instskip(SKIP_4) | instid1(VALU_DEP_1)
	v_fmac_f64_e32 v[126:127], v[98:99], v[120:121]
	scratch_load_b128 v[96:99], off, off offset:344
	s_wait_dscnt 0x0
	v_fmac_f64_e32 v[126:127], v[100:101], v[122:123]
	s_wait_loadcnt 0x4
	v_fmac_f64_e32 v[126:127], v[102:103], v[124:125]
	ds_load_b128 v[100:103], v2 offset:656
	ds_load_b128 v[118:121], v2 offset:672
	s_wait_dscnt 0x1
	v_fmac_f64_e32 v[126:127], v[104:105], v[100:101]
	s_wait_loadcnt 0x3
	s_delay_alu instid0(VALU_DEP_1)
	v_fmac_f64_e32 v[126:127], v[106:107], v[102:103]
	ds_load_b128 v[100:103], v2 offset:688
	ds_load_b128 v[104:107], v2 offset:704
	s_wait_dscnt 0x2
	v_fmac_f64_e32 v[126:127], v[108:109], v[118:119]
	s_wait_loadcnt 0x2
	s_delay_alu instid0(VALU_DEP_1) | instskip(SKIP_1) | instid1(VALU_DEP_1)
	v_fmac_f64_e32 v[126:127], v[110:111], v[120:121]
	s_wait_dscnt 0x1
	v_fmac_f64_e32 v[126:127], v[112:113], v[100:101]
	s_wait_loadcnt 0x1
	s_delay_alu instid0(VALU_DEP_1) | instskip(SKIP_1) | instid1(VALU_DEP_1)
	v_fmac_f64_e32 v[126:127], v[114:115], v[102:103]
	s_wait_dscnt 0x0
	v_fmac_f64_e32 v[126:127], v[116:117], v[104:105]
	s_wait_loadcnt 0x0
	s_delay_alu instid0(VALU_DEP_1) | instskip(SKIP_3) | instid1(VALU_DEP_1)
	v_fmac_f64_e32 v[126:127], v[96:97], v[106:107]
	ds_load_b64 v[96:97], v2 offset:720
	s_wait_dscnt 0x0
	v_fmac_f64_e32 v[126:127], v[98:99], v[96:97]
	v_add_f64_e64 v[94:95], v[94:95], -v[126:127]
	scratch_store_b64 off, v[94:95], off offset:248
	s_wait_xcnt 0x0
	v_cmpx_lt_u32_e32 30, v0
	s_cbranch_execz .LBB44_219
; %bb.218:
	scratch_load_b64 v[94:95], off, off offset:240
	v_mov_b64_e32 v[96:97], 0
	scratch_store_b64 off, v[96:97], off offset:240
	s_wait_loadcnt 0x0
	ds_store_b64 v1, v[94:95]
.LBB44_219:
	s_wait_xcnt 0x0
	s_or_b32 exec_lo, exec_lo, s0
	s_wait_storecnt_dscnt 0x0
	s_barrier_signal -1
	s_barrier_wait -1
	s_clause 0x5
	scratch_load_b128 v[94:97], off, off offset:240
	scratch_load_b128 v[98:101], off, off offset:256
	;; [unrolled: 1-line block ×6, first 2 shown]
	ds_load_2addr_b64 v[118:121], v2 offset0:77 offset1:78
	ds_load_2addr_b64 v[122:125], v2 offset0:79 offset1:80
	s_mov_b32 s0, exec_lo
	s_wait_loadcnt_dscnt 0x501
	v_fma_f64 v[126:127], v[96:97], v[118:119], 0
	s_wait_loadcnt 0x4
	s_delay_alu instid0(VALU_DEP_1)
	v_fmac_f64_e32 v[126:127], v[98:99], v[120:121]
	scratch_load_b128 v[96:99], off, off offset:336
	s_wait_dscnt 0x0
	v_fmac_f64_e32 v[126:127], v[100:101], v[122:123]
	scratch_load_b64 v[122:123], off, off offset:352
	s_wait_loadcnt 0x5
	v_fmac_f64_e32 v[126:127], v[102:103], v[124:125]
	ds_load_2addr_b64 v[100:103], v2 offset0:81 offset1:82
	ds_load_2addr_b64 v[118:121], v2 offset0:83 offset1:84
	s_wait_dscnt 0x1
	v_fmac_f64_e32 v[126:127], v[104:105], v[100:101]
	s_wait_loadcnt 0x4
	s_delay_alu instid0(VALU_DEP_1)
	v_fmac_f64_e32 v[126:127], v[106:107], v[102:103]
	ds_load_2addr_b64 v[100:103], v2 offset0:85 offset1:86
	ds_load_2addr_b64 v[104:107], v2 offset0:87 offset1:88
	s_wait_dscnt 0x2
	v_fmac_f64_e32 v[126:127], v[108:109], v[118:119]
	s_wait_loadcnt 0x3
	s_delay_alu instid0(VALU_DEP_1) | instskip(SKIP_1) | instid1(VALU_DEP_1)
	v_fmac_f64_e32 v[126:127], v[110:111], v[120:121]
	s_wait_dscnt 0x1
	v_fmac_f64_e32 v[126:127], v[112:113], v[100:101]
	s_wait_loadcnt 0x2
	s_delay_alu instid0(VALU_DEP_1) | instskip(SKIP_4) | instid1(VALU_DEP_1)
	v_fmac_f64_e32 v[126:127], v[114:115], v[102:103]
	ds_load_2addr_b64 v[100:103], v2 offset0:89 offset1:90
	s_wait_dscnt 0x1
	v_fmac_f64_e32 v[126:127], v[116:117], v[104:105]
	s_wait_loadcnt 0x1
	v_fmac_f64_e32 v[126:127], v[96:97], v[106:107]
	s_wait_dscnt 0x0
	s_delay_alu instid0(VALU_DEP_1) | instskip(SKIP_1) | instid1(VALU_DEP_1)
	v_fmac_f64_e32 v[126:127], v[98:99], v[100:101]
	s_wait_loadcnt 0x0
	v_fmac_f64_e32 v[126:127], v[122:123], v[102:103]
	s_delay_alu instid0(VALU_DEP_1)
	v_add_f64_e64 v[2:3], v[94:95], -v[126:127]
	scratch_store_b64 off, v[2:3], off offset:240
	s_wait_xcnt 0x0
	v_cmpx_lt_u32_e32 29, v0
	s_cbranch_execz .LBB44_221
; %bb.220:
	scratch_load_b64 v[2:3], off, off offset:232
	v_mov_b64_e32 v[94:95], 0
	scratch_store_b64 off, v[94:95], off offset:232
	s_wait_loadcnt 0x0
	ds_store_b64 v1, v[2:3]
.LBB44_221:
	s_wait_xcnt 0x0
	s_or_b32 exec_lo, exec_lo, s0
	s_wait_storecnt_dscnt 0x0
	s_barrier_signal -1
	s_barrier_wait -1
	s_clause 0x5
	scratch_load_b128 v[94:97], off, off offset:232
	scratch_load_b128 v[98:101], off, off offset:248
	scratch_load_b128 v[102:105], off, off offset:264
	scratch_load_b128 v[106:109], off, off offset:280
	scratch_load_b128 v[110:113], off, off offset:296
	scratch_load_b128 v[114:117], off, off offset:312
	v_mov_b32_e32 v2, 0
	ds_load_b128 v[118:121], v2 offset:608
	ds_load_b128 v[122:125], v2 offset:624
	s_mov_b32 s0, exec_lo
	s_wait_loadcnt_dscnt 0x501
	v_fma_f64 v[126:127], v[96:97], v[118:119], 0
	s_wait_loadcnt 0x4
	s_delay_alu instid0(VALU_DEP_1) | instskip(SKIP_4) | instid1(VALU_DEP_1)
	v_fmac_f64_e32 v[126:127], v[98:99], v[120:121]
	scratch_load_b128 v[96:99], off, off offset:328
	s_wait_dscnt 0x0
	v_fmac_f64_e32 v[126:127], v[100:101], v[122:123]
	s_wait_loadcnt 0x4
	v_fmac_f64_e32 v[126:127], v[102:103], v[124:125]
	scratch_load_b128 v[100:103], off, off offset:344
	ds_load_b128 v[118:121], v2 offset:640
	ds_load_b128 v[122:125], v2 offset:656
	s_wait_dscnt 0x1
	v_fmac_f64_e32 v[126:127], v[104:105], v[118:119]
	s_wait_loadcnt 0x4
	s_delay_alu instid0(VALU_DEP_1) | instskip(SKIP_1) | instid1(VALU_DEP_1)
	v_fmac_f64_e32 v[126:127], v[106:107], v[120:121]
	s_wait_dscnt 0x0
	v_fmac_f64_e32 v[126:127], v[108:109], v[122:123]
	s_wait_loadcnt 0x3
	s_delay_alu instid0(VALU_DEP_1)
	v_fmac_f64_e32 v[126:127], v[110:111], v[124:125]
	ds_load_b128 v[104:107], v2 offset:672
	ds_load_b128 v[108:111], v2 offset:688
	s_wait_dscnt 0x1
	v_fmac_f64_e32 v[126:127], v[112:113], v[104:105]
	s_wait_loadcnt 0x2
	s_delay_alu instid0(VALU_DEP_1) | instskip(SKIP_1) | instid1(VALU_DEP_1)
	v_fmac_f64_e32 v[126:127], v[114:115], v[106:107]
	s_wait_dscnt 0x0
	v_fmac_f64_e32 v[126:127], v[116:117], v[108:109]
	s_wait_loadcnt 0x1
	s_delay_alu instid0(VALU_DEP_1)
	v_fmac_f64_e32 v[126:127], v[96:97], v[110:111]
	ds_load_b128 v[104:107], v2 offset:704
	ds_load_b64 v[96:97], v2 offset:720
	s_wait_dscnt 0x1
	v_fmac_f64_e32 v[126:127], v[98:99], v[104:105]
	s_wait_loadcnt 0x0
	s_delay_alu instid0(VALU_DEP_1) | instskip(SKIP_1) | instid1(VALU_DEP_1)
	v_fmac_f64_e32 v[126:127], v[100:101], v[106:107]
	s_wait_dscnt 0x0
	v_fmac_f64_e32 v[126:127], v[102:103], v[96:97]
	s_delay_alu instid0(VALU_DEP_1)
	v_add_f64_e64 v[94:95], v[94:95], -v[126:127]
	scratch_store_b64 off, v[94:95], off offset:232
	s_wait_xcnt 0x0
	v_cmpx_lt_u32_e32 28, v0
	s_cbranch_execz .LBB44_223
; %bb.222:
	scratch_load_b64 v[94:95], off, off offset:224
	v_mov_b64_e32 v[96:97], 0
	scratch_store_b64 off, v[96:97], off offset:224
	s_wait_loadcnt 0x0
	ds_store_b64 v1, v[94:95]
.LBB44_223:
	s_wait_xcnt 0x0
	s_or_b32 exec_lo, exec_lo, s0
	s_wait_storecnt_dscnt 0x0
	s_barrier_signal -1
	s_barrier_wait -1
	s_clause 0x5
	scratch_load_b128 v[94:97], off, off offset:224
	scratch_load_b128 v[98:101], off, off offset:240
	;; [unrolled: 1-line block ×6, first 2 shown]
	ds_load_2addr_b64 v[118:121], v2 offset0:75 offset1:76
	ds_load_2addr_b64 v[122:125], v2 offset0:77 offset1:78
	s_mov_b32 s0, exec_lo
	s_wait_loadcnt_dscnt 0x501
	v_fma_f64 v[126:127], v[96:97], v[118:119], 0
	s_wait_loadcnt 0x4
	s_delay_alu instid0(VALU_DEP_1) | instskip(SKIP_4) | instid1(VALU_DEP_1)
	v_fmac_f64_e32 v[126:127], v[98:99], v[120:121]
	scratch_load_b128 v[96:99], off, off offset:320
	s_wait_dscnt 0x0
	v_fmac_f64_e32 v[126:127], v[100:101], v[122:123]
	s_wait_loadcnt 0x4
	v_fmac_f64_e32 v[126:127], v[102:103], v[124:125]
	scratch_load_b128 v[100:103], off, off offset:336
	ds_load_2addr_b64 v[118:121], v2 offset0:79 offset1:80
	ds_load_2addr_b64 v[122:125], v2 offset0:81 offset1:82
	s_wait_dscnt 0x1
	v_fmac_f64_e32 v[126:127], v[104:105], v[118:119]
	scratch_load_b64 v[118:119], off, off offset:352
	s_wait_loadcnt 0x5
	v_fmac_f64_e32 v[126:127], v[106:107], v[120:121]
	s_wait_dscnt 0x0
	s_delay_alu instid0(VALU_DEP_1) | instskip(SKIP_1) | instid1(VALU_DEP_1)
	v_fmac_f64_e32 v[126:127], v[108:109], v[122:123]
	s_wait_loadcnt 0x4
	v_fmac_f64_e32 v[126:127], v[110:111], v[124:125]
	ds_load_2addr_b64 v[104:107], v2 offset0:83 offset1:84
	ds_load_2addr_b64 v[108:111], v2 offset0:85 offset1:86
	s_wait_dscnt 0x1
	v_fmac_f64_e32 v[126:127], v[112:113], v[104:105]
	s_wait_loadcnt 0x3
	s_delay_alu instid0(VALU_DEP_1) | instskip(SKIP_1) | instid1(VALU_DEP_1)
	v_fmac_f64_e32 v[126:127], v[114:115], v[106:107]
	s_wait_dscnt 0x0
	v_fmac_f64_e32 v[126:127], v[116:117], v[108:109]
	s_wait_loadcnt 0x2
	s_delay_alu instid0(VALU_DEP_1)
	v_fmac_f64_e32 v[126:127], v[96:97], v[110:111]
	ds_load_2addr_b64 v[104:107], v2 offset0:87 offset1:88
	ds_load_2addr_b64 v[108:111], v2 offset0:89 offset1:90
	s_wait_dscnt 0x1
	v_fmac_f64_e32 v[126:127], v[98:99], v[104:105]
	s_wait_loadcnt 0x1
	s_delay_alu instid0(VALU_DEP_1) | instskip(SKIP_1) | instid1(VALU_DEP_1)
	v_fmac_f64_e32 v[126:127], v[100:101], v[106:107]
	s_wait_dscnt 0x0
	v_fmac_f64_e32 v[126:127], v[102:103], v[108:109]
	s_wait_loadcnt 0x0
	s_delay_alu instid0(VALU_DEP_1) | instskip(NEXT) | instid1(VALU_DEP_1)
	v_fmac_f64_e32 v[126:127], v[118:119], v[110:111]
	v_add_f64_e64 v[2:3], v[94:95], -v[126:127]
	scratch_store_b64 off, v[2:3], off offset:224
	s_wait_xcnt 0x0
	v_cmpx_lt_u32_e32 27, v0
	s_cbranch_execz .LBB44_225
; %bb.224:
	scratch_load_b64 v[2:3], off, off offset:216
	v_mov_b64_e32 v[94:95], 0
	scratch_store_b64 off, v[94:95], off offset:216
	s_wait_loadcnt 0x0
	ds_store_b64 v1, v[2:3]
.LBB44_225:
	s_wait_xcnt 0x0
	s_or_b32 exec_lo, exec_lo, s0
	s_wait_storecnt_dscnt 0x0
	s_barrier_signal -1
	s_barrier_wait -1
	s_clause 0x5
	scratch_load_b128 v[94:97], off, off offset:216
	scratch_load_b128 v[98:101], off, off offset:232
	scratch_load_b128 v[102:105], off, off offset:248
	scratch_load_b128 v[106:109], off, off offset:264
	scratch_load_b128 v[110:113], off, off offset:280
	scratch_load_b128 v[114:117], off, off offset:296
	v_mov_b32_e32 v2, 0
	ds_load_b128 v[118:121], v2 offset:592
	ds_load_b128 v[122:125], v2 offset:608
	s_mov_b32 s0, exec_lo
	s_wait_loadcnt_dscnt 0x501
	v_fma_f64 v[126:127], v[96:97], v[118:119], 0
	s_wait_loadcnt 0x4
	s_delay_alu instid0(VALU_DEP_1) | instskip(SKIP_4) | instid1(VALU_DEP_1)
	v_fmac_f64_e32 v[126:127], v[98:99], v[120:121]
	scratch_load_b128 v[96:99], off, off offset:312
	s_wait_dscnt 0x0
	v_fmac_f64_e32 v[126:127], v[100:101], v[122:123]
	s_wait_loadcnt 0x4
	v_fmac_f64_e32 v[126:127], v[102:103], v[124:125]
	scratch_load_b128 v[100:103], off, off offset:328
	ds_load_b128 v[118:121], v2 offset:624
	ds_load_b128 v[122:125], v2 offset:640
	s_wait_dscnt 0x1
	v_fmac_f64_e32 v[126:127], v[104:105], v[118:119]
	s_wait_loadcnt 0x4
	s_delay_alu instid0(VALU_DEP_1) | instskip(SKIP_4) | instid1(VALU_DEP_1)
	v_fmac_f64_e32 v[126:127], v[106:107], v[120:121]
	scratch_load_b128 v[104:107], off, off offset:344
	s_wait_dscnt 0x0
	v_fmac_f64_e32 v[126:127], v[108:109], v[122:123]
	s_wait_loadcnt 0x4
	v_fmac_f64_e32 v[126:127], v[110:111], v[124:125]
	ds_load_b128 v[108:111], v2 offset:656
	ds_load_b128 v[118:121], v2 offset:672
	s_wait_dscnt 0x1
	v_fmac_f64_e32 v[126:127], v[112:113], v[108:109]
	s_wait_loadcnt 0x3
	s_delay_alu instid0(VALU_DEP_1)
	v_fmac_f64_e32 v[126:127], v[114:115], v[110:111]
	ds_load_b128 v[108:111], v2 offset:688
	ds_load_b128 v[112:115], v2 offset:704
	s_wait_dscnt 0x2
	v_fmac_f64_e32 v[126:127], v[116:117], v[118:119]
	s_wait_loadcnt 0x2
	s_delay_alu instid0(VALU_DEP_1) | instskip(SKIP_4) | instid1(VALU_DEP_1)
	v_fmac_f64_e32 v[126:127], v[96:97], v[120:121]
	ds_load_b64 v[96:97], v2 offset:720
	s_wait_dscnt 0x2
	v_fmac_f64_e32 v[126:127], v[98:99], v[108:109]
	s_wait_loadcnt 0x1
	v_fmac_f64_e32 v[126:127], v[100:101], v[110:111]
	s_wait_dscnt 0x1
	s_delay_alu instid0(VALU_DEP_1) | instskip(SKIP_1) | instid1(VALU_DEP_1)
	v_fmac_f64_e32 v[126:127], v[102:103], v[112:113]
	s_wait_loadcnt 0x0
	v_fmac_f64_e32 v[126:127], v[104:105], v[114:115]
	s_wait_dscnt 0x0
	s_delay_alu instid0(VALU_DEP_1) | instskip(NEXT) | instid1(VALU_DEP_1)
	v_fmac_f64_e32 v[126:127], v[106:107], v[96:97]
	v_add_f64_e64 v[94:95], v[94:95], -v[126:127]
	scratch_store_b64 off, v[94:95], off offset:216
	s_wait_xcnt 0x0
	v_cmpx_lt_u32_e32 26, v0
	s_cbranch_execz .LBB44_227
; %bb.226:
	scratch_load_b64 v[94:95], off, off offset:208
	v_mov_b64_e32 v[96:97], 0
	scratch_store_b64 off, v[96:97], off offset:208
	s_wait_loadcnt 0x0
	ds_store_b64 v1, v[94:95]
.LBB44_227:
	s_wait_xcnt 0x0
	s_or_b32 exec_lo, exec_lo, s0
	s_wait_storecnt_dscnt 0x0
	s_barrier_signal -1
	s_barrier_wait -1
	s_clause 0x5
	scratch_load_b128 v[94:97], off, off offset:208
	scratch_load_b128 v[98:101], off, off offset:224
	;; [unrolled: 1-line block ×6, first 2 shown]
	ds_load_2addr_b64 v[118:121], v2 offset0:73 offset1:74
	ds_load_2addr_b64 v[122:125], v2 offset0:75 offset1:76
	s_mov_b32 s0, exec_lo
	s_wait_loadcnt_dscnt 0x501
	v_fma_f64 v[126:127], v[96:97], v[118:119], 0
	s_wait_loadcnt 0x4
	s_delay_alu instid0(VALU_DEP_1) | instskip(SKIP_4) | instid1(VALU_DEP_1)
	v_fmac_f64_e32 v[126:127], v[98:99], v[120:121]
	scratch_load_b128 v[96:99], off, off offset:304
	s_wait_dscnt 0x0
	v_fmac_f64_e32 v[126:127], v[100:101], v[122:123]
	s_wait_loadcnt 0x4
	v_fmac_f64_e32 v[126:127], v[102:103], v[124:125]
	scratch_load_b128 v[100:103], off, off offset:320
	ds_load_2addr_b64 v[118:121], v2 offset0:77 offset1:78
	ds_load_2addr_b64 v[122:125], v2 offset0:79 offset1:80
	s_wait_dscnt 0x1
	v_fmac_f64_e32 v[126:127], v[104:105], v[118:119]
	s_wait_loadcnt 0x4
	s_delay_alu instid0(VALU_DEP_1)
	v_fmac_f64_e32 v[126:127], v[106:107], v[120:121]
	scratch_load_b128 v[104:107], off, off offset:336
	s_wait_dscnt 0x0
	v_fmac_f64_e32 v[126:127], v[108:109], v[122:123]
	scratch_load_b64 v[122:123], off, off offset:352
	s_wait_loadcnt 0x5
	v_fmac_f64_e32 v[126:127], v[110:111], v[124:125]
	ds_load_2addr_b64 v[108:111], v2 offset0:81 offset1:82
	ds_load_2addr_b64 v[118:121], v2 offset0:83 offset1:84
	s_wait_dscnt 0x1
	v_fmac_f64_e32 v[126:127], v[112:113], v[108:109]
	s_wait_loadcnt 0x4
	s_delay_alu instid0(VALU_DEP_1)
	v_fmac_f64_e32 v[126:127], v[114:115], v[110:111]
	ds_load_2addr_b64 v[108:111], v2 offset0:85 offset1:86
	ds_load_2addr_b64 v[112:115], v2 offset0:87 offset1:88
	s_wait_dscnt 0x2
	v_fmac_f64_e32 v[126:127], v[116:117], v[118:119]
	s_wait_loadcnt 0x3
	s_delay_alu instid0(VALU_DEP_1) | instskip(SKIP_1) | instid1(VALU_DEP_1)
	v_fmac_f64_e32 v[126:127], v[96:97], v[120:121]
	s_wait_dscnt 0x1
	v_fmac_f64_e32 v[126:127], v[98:99], v[108:109]
	ds_load_2addr_b64 v[96:99], v2 offset0:89 offset1:90
	s_wait_loadcnt 0x2
	v_fmac_f64_e32 v[126:127], v[100:101], v[110:111]
	s_wait_dscnt 0x1
	s_delay_alu instid0(VALU_DEP_1) | instskip(SKIP_1) | instid1(VALU_DEP_1)
	v_fmac_f64_e32 v[126:127], v[102:103], v[112:113]
	s_wait_loadcnt 0x1
	v_fmac_f64_e32 v[126:127], v[104:105], v[114:115]
	s_wait_dscnt 0x0
	s_delay_alu instid0(VALU_DEP_1) | instskip(SKIP_1) | instid1(VALU_DEP_1)
	v_fmac_f64_e32 v[126:127], v[106:107], v[96:97]
	s_wait_loadcnt 0x0
	v_fmac_f64_e32 v[126:127], v[122:123], v[98:99]
	s_delay_alu instid0(VALU_DEP_1)
	v_add_f64_e64 v[2:3], v[94:95], -v[126:127]
	scratch_store_b64 off, v[2:3], off offset:208
	s_wait_xcnt 0x0
	v_cmpx_lt_u32_e32 25, v0
	s_cbranch_execz .LBB44_229
; %bb.228:
	scratch_load_b64 v[2:3], off, off offset:200
	v_mov_b64_e32 v[94:95], 0
	scratch_store_b64 off, v[94:95], off offset:200
	s_wait_loadcnt 0x0
	ds_store_b64 v1, v[2:3]
.LBB44_229:
	s_wait_xcnt 0x0
	s_or_b32 exec_lo, exec_lo, s0
	s_wait_storecnt_dscnt 0x0
	s_barrier_signal -1
	s_barrier_wait -1
	s_clause 0x5
	scratch_load_b128 v[94:97], off, off offset:200
	scratch_load_b128 v[98:101], off, off offset:216
	;; [unrolled: 1-line block ×6, first 2 shown]
	v_mov_b32_e32 v2, 0
	ds_load_b128 v[118:121], v2 offset:576
	ds_load_b128 v[122:125], v2 offset:592
	s_mov_b32 s0, exec_lo
	s_wait_loadcnt_dscnt 0x501
	v_fma_f64 v[126:127], v[96:97], v[118:119], 0
	s_wait_loadcnt 0x4
	s_delay_alu instid0(VALU_DEP_1) | instskip(SKIP_4) | instid1(VALU_DEP_1)
	v_fmac_f64_e32 v[126:127], v[98:99], v[120:121]
	scratch_load_b128 v[96:99], off, off offset:296
	s_wait_dscnt 0x0
	v_fmac_f64_e32 v[126:127], v[100:101], v[122:123]
	s_wait_loadcnt 0x4
	v_fmac_f64_e32 v[126:127], v[102:103], v[124:125]
	scratch_load_b128 v[100:103], off, off offset:312
	ds_load_b128 v[118:121], v2 offset:608
	ds_load_b128 v[122:125], v2 offset:624
	s_wait_dscnt 0x1
	v_fmac_f64_e32 v[126:127], v[104:105], v[118:119]
	s_wait_loadcnt 0x4
	s_delay_alu instid0(VALU_DEP_1) | instskip(SKIP_4) | instid1(VALU_DEP_1)
	v_fmac_f64_e32 v[126:127], v[106:107], v[120:121]
	scratch_load_b128 v[104:107], off, off offset:328
	s_wait_dscnt 0x0
	v_fmac_f64_e32 v[126:127], v[108:109], v[122:123]
	s_wait_loadcnt 0x4
	v_fmac_f64_e32 v[126:127], v[110:111], v[124:125]
	scratch_load_b128 v[108:111], off, off offset:344
	ds_load_b128 v[118:121], v2 offset:640
	ds_load_b128 v[122:125], v2 offset:656
	s_wait_dscnt 0x1
	v_fmac_f64_e32 v[126:127], v[112:113], v[118:119]
	s_wait_loadcnt 0x4
	s_delay_alu instid0(VALU_DEP_1) | instskip(SKIP_1) | instid1(VALU_DEP_1)
	v_fmac_f64_e32 v[126:127], v[114:115], v[120:121]
	s_wait_dscnt 0x0
	v_fmac_f64_e32 v[126:127], v[116:117], v[122:123]
	ds_load_b128 v[112:115], v2 offset:672
	ds_load_b128 v[116:119], v2 offset:688
	s_wait_loadcnt 0x3
	v_fmac_f64_e32 v[126:127], v[96:97], v[124:125]
	s_wait_dscnt 0x1
	s_delay_alu instid0(VALU_DEP_1) | instskip(SKIP_1) | instid1(VALU_DEP_1)
	v_fmac_f64_e32 v[126:127], v[98:99], v[112:113]
	s_wait_loadcnt 0x2
	v_fmac_f64_e32 v[126:127], v[100:101], v[114:115]
	ds_load_b128 v[96:99], v2 offset:704
	ds_load_b64 v[100:101], v2 offset:720
	s_wait_dscnt 0x2
	v_fmac_f64_e32 v[126:127], v[102:103], v[116:117]
	s_wait_loadcnt 0x1
	s_delay_alu instid0(VALU_DEP_1) | instskip(SKIP_1) | instid1(VALU_DEP_1)
	v_fmac_f64_e32 v[126:127], v[104:105], v[118:119]
	s_wait_dscnt 0x1
	v_fmac_f64_e32 v[126:127], v[106:107], v[96:97]
	s_wait_loadcnt 0x0
	s_delay_alu instid0(VALU_DEP_1) | instskip(SKIP_1) | instid1(VALU_DEP_1)
	v_fmac_f64_e32 v[126:127], v[108:109], v[98:99]
	s_wait_dscnt 0x0
	v_fmac_f64_e32 v[126:127], v[110:111], v[100:101]
	s_delay_alu instid0(VALU_DEP_1)
	v_add_f64_e64 v[94:95], v[94:95], -v[126:127]
	scratch_store_b64 off, v[94:95], off offset:200
	s_wait_xcnt 0x0
	v_cmpx_lt_u32_e32 24, v0
	s_cbranch_execz .LBB44_231
; %bb.230:
	scratch_load_b64 v[94:95], off, off offset:192
	v_mov_b64_e32 v[96:97], 0
	scratch_store_b64 off, v[96:97], off offset:192
	s_wait_loadcnt 0x0
	ds_store_b64 v1, v[94:95]
.LBB44_231:
	s_wait_xcnt 0x0
	s_or_b32 exec_lo, exec_lo, s0
	s_wait_storecnt_dscnt 0x0
	s_barrier_signal -1
	s_barrier_wait -1
	s_clause 0x5
	scratch_load_b128 v[94:97], off, off offset:192
	scratch_load_b128 v[98:101], off, off offset:208
	;; [unrolled: 1-line block ×6, first 2 shown]
	ds_load_2addr_b64 v[118:121], v2 offset0:71 offset1:72
	ds_load_2addr_b64 v[122:125], v2 offset0:73 offset1:74
	s_mov_b32 s0, exec_lo
	s_wait_loadcnt_dscnt 0x501
	v_fma_f64 v[126:127], v[96:97], v[118:119], 0
	s_wait_loadcnt 0x4
	s_delay_alu instid0(VALU_DEP_1) | instskip(SKIP_4) | instid1(VALU_DEP_1)
	v_fmac_f64_e32 v[126:127], v[98:99], v[120:121]
	scratch_load_b128 v[96:99], off, off offset:288
	s_wait_dscnt 0x0
	v_fmac_f64_e32 v[126:127], v[100:101], v[122:123]
	s_wait_loadcnt 0x4
	v_fmac_f64_e32 v[126:127], v[102:103], v[124:125]
	scratch_load_b128 v[100:103], off, off offset:304
	ds_load_2addr_b64 v[118:121], v2 offset0:75 offset1:76
	ds_load_2addr_b64 v[122:125], v2 offset0:77 offset1:78
	s_wait_dscnt 0x1
	v_fmac_f64_e32 v[126:127], v[104:105], v[118:119]
	s_wait_loadcnt 0x4
	s_delay_alu instid0(VALU_DEP_1) | instskip(SKIP_4) | instid1(VALU_DEP_1)
	v_fmac_f64_e32 v[126:127], v[106:107], v[120:121]
	scratch_load_b128 v[104:107], off, off offset:320
	s_wait_dscnt 0x0
	v_fmac_f64_e32 v[126:127], v[108:109], v[122:123]
	s_wait_loadcnt 0x4
	v_fmac_f64_e32 v[126:127], v[110:111], v[124:125]
	scratch_load_b128 v[108:111], off, off offset:336
	ds_load_2addr_b64 v[118:121], v2 offset0:79 offset1:80
	ds_load_2addr_b64 v[122:125], v2 offset0:81 offset1:82
	s_wait_dscnt 0x1
	v_fmac_f64_e32 v[126:127], v[112:113], v[118:119]
	s_wait_loadcnt 0x4
	s_delay_alu instid0(VALU_DEP_1)
	v_fmac_f64_e32 v[126:127], v[114:115], v[120:121]
	scratch_load_b64 v[120:121], off, off offset:352
	s_wait_dscnt 0x0
	v_fmac_f64_e32 v[126:127], v[116:117], v[122:123]
	ds_load_2addr_b64 v[112:115], v2 offset0:83 offset1:84
	ds_load_2addr_b64 v[116:119], v2 offset0:85 offset1:86
	s_wait_loadcnt 0x4
	v_fmac_f64_e32 v[126:127], v[96:97], v[124:125]
	s_wait_dscnt 0x1
	s_delay_alu instid0(VALU_DEP_1) | instskip(SKIP_1) | instid1(VALU_DEP_1)
	v_fmac_f64_e32 v[126:127], v[98:99], v[112:113]
	s_wait_loadcnt 0x3
	v_fmac_f64_e32 v[126:127], v[100:101], v[114:115]
	s_wait_dscnt 0x0
	s_delay_alu instid0(VALU_DEP_1)
	v_fmac_f64_e32 v[126:127], v[102:103], v[116:117]
	ds_load_2addr_b64 v[96:99], v2 offset0:87 offset1:88
	ds_load_2addr_b64 v[100:103], v2 offset0:89 offset1:90
	s_wait_loadcnt 0x2
	v_fmac_f64_e32 v[126:127], v[104:105], v[118:119]
	s_wait_dscnt 0x1
	s_delay_alu instid0(VALU_DEP_1) | instskip(SKIP_1) | instid1(VALU_DEP_1)
	v_fmac_f64_e32 v[126:127], v[106:107], v[96:97]
	s_wait_loadcnt 0x1
	v_fmac_f64_e32 v[126:127], v[108:109], v[98:99]
	s_wait_dscnt 0x0
	s_delay_alu instid0(VALU_DEP_1) | instskip(SKIP_1) | instid1(VALU_DEP_1)
	v_fmac_f64_e32 v[126:127], v[110:111], v[100:101]
	s_wait_loadcnt 0x0
	v_fmac_f64_e32 v[126:127], v[120:121], v[102:103]
	s_delay_alu instid0(VALU_DEP_1)
	v_add_f64_e64 v[2:3], v[94:95], -v[126:127]
	scratch_store_b64 off, v[2:3], off offset:192
	s_wait_xcnt 0x0
	v_cmpx_lt_u32_e32 23, v0
	s_cbranch_execz .LBB44_233
; %bb.232:
	scratch_load_b64 v[2:3], off, off offset:184
	v_mov_b64_e32 v[94:95], 0
	scratch_store_b64 off, v[94:95], off offset:184
	s_wait_loadcnt 0x0
	ds_store_b64 v1, v[2:3]
.LBB44_233:
	s_wait_xcnt 0x0
	s_or_b32 exec_lo, exec_lo, s0
	s_wait_storecnt_dscnt 0x0
	s_barrier_signal -1
	s_barrier_wait -1
	s_clause 0x5
	scratch_load_b128 v[94:97], off, off offset:184
	scratch_load_b128 v[98:101], off, off offset:200
	;; [unrolled: 1-line block ×6, first 2 shown]
	v_mov_b32_e32 v2, 0
	ds_load_b128 v[118:121], v2 offset:560
	ds_load_b128 v[122:125], v2 offset:576
	s_mov_b32 s0, exec_lo
	s_wait_loadcnt_dscnt 0x501
	v_fma_f64 v[126:127], v[96:97], v[118:119], 0
	s_wait_loadcnt 0x4
	s_delay_alu instid0(VALU_DEP_1) | instskip(SKIP_4) | instid1(VALU_DEP_1)
	v_fmac_f64_e32 v[126:127], v[98:99], v[120:121]
	scratch_load_b128 v[96:99], off, off offset:280
	s_wait_dscnt 0x0
	v_fmac_f64_e32 v[126:127], v[100:101], v[122:123]
	s_wait_loadcnt 0x4
	v_fmac_f64_e32 v[126:127], v[102:103], v[124:125]
	scratch_load_b128 v[100:103], off, off offset:296
	ds_load_b128 v[118:121], v2 offset:592
	ds_load_b128 v[122:125], v2 offset:608
	s_wait_dscnt 0x1
	v_fmac_f64_e32 v[126:127], v[104:105], v[118:119]
	s_wait_loadcnt 0x4
	s_delay_alu instid0(VALU_DEP_1) | instskip(SKIP_4) | instid1(VALU_DEP_1)
	v_fmac_f64_e32 v[126:127], v[106:107], v[120:121]
	scratch_load_b128 v[104:107], off, off offset:312
	s_wait_dscnt 0x0
	v_fmac_f64_e32 v[126:127], v[108:109], v[122:123]
	s_wait_loadcnt 0x4
	v_fmac_f64_e32 v[126:127], v[110:111], v[124:125]
	scratch_load_b128 v[108:111], off, off offset:328
	ds_load_b128 v[118:121], v2 offset:624
	ds_load_b128 v[122:125], v2 offset:640
	s_wait_dscnt 0x1
	v_fmac_f64_e32 v[126:127], v[112:113], v[118:119]
	s_wait_loadcnt 0x4
	s_delay_alu instid0(VALU_DEP_1)
	v_fmac_f64_e32 v[126:127], v[114:115], v[120:121]
	scratch_load_b128 v[112:115], off, off offset:344
	s_wait_dscnt 0x0
	v_fmac_f64_e32 v[126:127], v[116:117], v[122:123]
	ds_load_b128 v[116:119], v2 offset:656
	ds_load_b128 v[120:123], v2 offset:672
	s_wait_loadcnt 0x4
	v_fmac_f64_e32 v[126:127], v[96:97], v[124:125]
	s_wait_dscnt 0x1
	s_delay_alu instid0(VALU_DEP_1) | instskip(SKIP_1) | instid1(VALU_DEP_1)
	v_fmac_f64_e32 v[126:127], v[98:99], v[116:117]
	s_wait_loadcnt 0x3
	v_fmac_f64_e32 v[126:127], v[100:101], v[118:119]
	s_wait_dscnt 0x0
	s_delay_alu instid0(VALU_DEP_1)
	v_fmac_f64_e32 v[126:127], v[102:103], v[120:121]
	ds_load_b128 v[96:99], v2 offset:688
	ds_load_b128 v[100:103], v2 offset:704
	s_wait_loadcnt 0x2
	v_fmac_f64_e32 v[126:127], v[104:105], v[122:123]
	s_wait_dscnt 0x1
	s_delay_alu instid0(VALU_DEP_1) | instskip(SKIP_4) | instid1(VALU_DEP_1)
	v_fmac_f64_e32 v[126:127], v[106:107], v[96:97]
	ds_load_b64 v[96:97], v2 offset:720
	s_wait_loadcnt 0x1
	v_fmac_f64_e32 v[126:127], v[108:109], v[98:99]
	s_wait_dscnt 0x1
	v_fmac_f64_e32 v[126:127], v[110:111], v[100:101]
	s_wait_loadcnt 0x0
	s_delay_alu instid0(VALU_DEP_1) | instskip(SKIP_1) | instid1(VALU_DEP_1)
	v_fmac_f64_e32 v[126:127], v[112:113], v[102:103]
	s_wait_dscnt 0x0
	v_fmac_f64_e32 v[126:127], v[114:115], v[96:97]
	s_delay_alu instid0(VALU_DEP_1)
	v_add_f64_e64 v[94:95], v[94:95], -v[126:127]
	scratch_store_b64 off, v[94:95], off offset:184
	s_wait_xcnt 0x0
	v_cmpx_lt_u32_e32 22, v0
	s_cbranch_execz .LBB44_235
; %bb.234:
	scratch_load_b64 v[94:95], off, off offset:176
	v_mov_b64_e32 v[96:97], 0
	scratch_store_b64 off, v[96:97], off offset:176
	s_wait_loadcnt 0x0
	ds_store_b64 v1, v[94:95]
.LBB44_235:
	s_wait_xcnt 0x0
	s_or_b32 exec_lo, exec_lo, s0
	s_wait_storecnt_dscnt 0x0
	s_barrier_signal -1
	s_barrier_wait -1
	s_clause 0x5
	scratch_load_b128 v[94:97], off, off offset:176
	scratch_load_b128 v[98:101], off, off offset:192
	;; [unrolled: 1-line block ×6, first 2 shown]
	ds_load_2addr_b64 v[118:121], v2 offset0:69 offset1:70
	ds_load_2addr_b64 v[122:125], v2 offset0:71 offset1:72
	scratch_load_b128 v[126:129], off, off offset:272
	s_mov_b32 s0, exec_lo
	s_wait_loadcnt_dscnt 0x601
	v_fma_f64 v[130:131], v[96:97], v[118:119], 0
	s_wait_loadcnt 0x5
	s_delay_alu instid0(VALU_DEP_1) | instskip(SKIP_4) | instid1(VALU_DEP_1)
	v_fmac_f64_e32 v[130:131], v[98:99], v[120:121]
	scratch_load_b128 v[96:99], off, off offset:288
	s_wait_dscnt 0x0
	v_fmac_f64_e32 v[130:131], v[100:101], v[122:123]
	s_wait_loadcnt 0x5
	v_fmac_f64_e32 v[130:131], v[102:103], v[124:125]
	ds_load_2addr_b64 v[100:103], v2 offset0:73 offset1:74
	ds_load_2addr_b64 v[118:121], v2 offset0:75 offset1:76
	s_wait_dscnt 0x1
	v_fmac_f64_e32 v[130:131], v[104:105], v[100:101]
	s_wait_loadcnt 0x4
	s_delay_alu instid0(VALU_DEP_1)
	v_fmac_f64_e32 v[130:131], v[106:107], v[102:103]
	s_clause 0x1
	scratch_load_b128 v[100:103], off, off offset:304
	scratch_load_b128 v[104:107], off, off offset:320
	s_wait_dscnt 0x0
	v_fmac_f64_e32 v[130:131], v[108:109], v[118:119]
	s_wait_loadcnt 0x5
	s_delay_alu instid0(VALU_DEP_1)
	v_fmac_f64_e32 v[130:131], v[110:111], v[120:121]
	ds_load_2addr_b64 v[108:111], v2 offset0:77 offset1:78
	ds_load_2addr_b64 v[118:121], v2 offset0:79 offset1:80
	s_wait_dscnt 0x1
	v_fmac_f64_e32 v[130:131], v[112:113], v[108:109]
	s_wait_loadcnt 0x4
	s_delay_alu instid0(VALU_DEP_1) | instskip(SKIP_4) | instid1(VALU_DEP_1)
	v_fmac_f64_e32 v[130:131], v[114:115], v[110:111]
	scratch_load_b128 v[108:111], off, off offset:336
	s_wait_dscnt 0x0
	v_fmac_f64_e32 v[130:131], v[116:117], v[118:119]
	s_wait_loadcnt 0x4
	v_fmac_f64_e32 v[130:131], v[126:127], v[120:121]
	scratch_load_b64 v[120:121], off, off offset:352
	ds_load_2addr_b64 v[112:115], v2 offset0:81 offset1:82
	ds_load_2addr_b64 v[116:119], v2 offset0:83 offset1:84
	s_wait_dscnt 0x1
	v_fmac_f64_e32 v[130:131], v[128:129], v[112:113]
	s_wait_loadcnt 0x4
	s_delay_alu instid0(VALU_DEP_1) | instskip(SKIP_1) | instid1(VALU_DEP_1)
	v_fmac_f64_e32 v[130:131], v[96:97], v[114:115]
	s_wait_dscnt 0x0
	v_fmac_f64_e32 v[130:131], v[98:99], v[116:117]
	ds_load_2addr_b64 v[96:99], v2 offset0:85 offset1:86
	ds_load_2addr_b64 v[112:115], v2 offset0:87 offset1:88
	s_wait_loadcnt 0x3
	v_fmac_f64_e32 v[130:131], v[100:101], v[118:119]
	s_wait_dscnt 0x1
	s_delay_alu instid0(VALU_DEP_1) | instskip(SKIP_1) | instid1(VALU_DEP_1)
	v_fmac_f64_e32 v[130:131], v[102:103], v[96:97]
	s_wait_loadcnt 0x2
	v_fmac_f64_e32 v[130:131], v[104:105], v[98:99]
	ds_load_2addr_b64 v[96:99], v2 offset0:89 offset1:90
	s_wait_dscnt 0x1
	v_fmac_f64_e32 v[130:131], v[106:107], v[112:113]
	s_wait_loadcnt 0x1
	s_delay_alu instid0(VALU_DEP_1) | instskip(SKIP_1) | instid1(VALU_DEP_1)
	v_fmac_f64_e32 v[130:131], v[108:109], v[114:115]
	s_wait_dscnt 0x0
	v_fmac_f64_e32 v[130:131], v[110:111], v[96:97]
	s_wait_loadcnt 0x0
	s_delay_alu instid0(VALU_DEP_1) | instskip(NEXT) | instid1(VALU_DEP_1)
	v_fmac_f64_e32 v[130:131], v[120:121], v[98:99]
	v_add_f64_e64 v[2:3], v[94:95], -v[130:131]
	scratch_store_b64 off, v[2:3], off offset:176
	s_wait_xcnt 0x0
	v_cmpx_lt_u32_e32 21, v0
	s_cbranch_execz .LBB44_237
; %bb.236:
	scratch_load_b64 v[2:3], off, off offset:168
	v_mov_b64_e32 v[94:95], 0
	scratch_store_b64 off, v[94:95], off offset:168
	s_wait_loadcnt 0x0
	ds_store_b64 v1, v[2:3]
.LBB44_237:
	s_wait_xcnt 0x0
	s_or_b32 exec_lo, exec_lo, s0
	s_wait_storecnt_dscnt 0x0
	s_barrier_signal -1
	s_barrier_wait -1
	s_clause 0x5
	scratch_load_b128 v[94:97], off, off offset:168
	scratch_load_b128 v[98:101], off, off offset:184
	scratch_load_b128 v[102:105], off, off offset:200
	scratch_load_b128 v[106:109], off, off offset:216
	scratch_load_b128 v[110:113], off, off offset:232
	scratch_load_b128 v[114:117], off, off offset:248
	v_mov_b32_e32 v2, 0
	ds_load_b128 v[118:121], v2 offset:544
	ds_load_b128 v[122:125], v2 offset:560
	scratch_load_b128 v[126:129], off, off offset:264
	s_mov_b32 s0, exec_lo
	s_wait_loadcnt_dscnt 0x601
	v_fma_f64 v[130:131], v[96:97], v[118:119], 0
	s_wait_loadcnt 0x5
	s_delay_alu instid0(VALU_DEP_1) | instskip(SKIP_4) | instid1(VALU_DEP_1)
	v_fmac_f64_e32 v[130:131], v[98:99], v[120:121]
	scratch_load_b128 v[96:99], off, off offset:280
	s_wait_dscnt 0x0
	v_fmac_f64_e32 v[130:131], v[100:101], v[122:123]
	s_wait_loadcnt 0x5
	v_fmac_f64_e32 v[130:131], v[102:103], v[124:125]
	ds_load_b128 v[100:103], v2 offset:576
	ds_load_b128 v[118:121], v2 offset:592
	s_wait_dscnt 0x1
	v_fmac_f64_e32 v[130:131], v[104:105], v[100:101]
	s_wait_loadcnt 0x4
	s_delay_alu instid0(VALU_DEP_1)
	v_fmac_f64_e32 v[130:131], v[106:107], v[102:103]
	s_clause 0x1
	scratch_load_b128 v[100:103], off, off offset:296
	scratch_load_b128 v[104:107], off, off offset:312
	s_wait_dscnt 0x0
	v_fmac_f64_e32 v[130:131], v[108:109], v[118:119]
	s_wait_loadcnt 0x5
	s_delay_alu instid0(VALU_DEP_1)
	v_fmac_f64_e32 v[130:131], v[110:111], v[120:121]
	ds_load_b128 v[108:111], v2 offset:608
	ds_load_b128 v[118:121], v2 offset:624
	s_wait_dscnt 0x1
	v_fmac_f64_e32 v[130:131], v[112:113], v[108:109]
	s_wait_loadcnt 0x4
	s_delay_alu instid0(VALU_DEP_1)
	v_fmac_f64_e32 v[130:131], v[114:115], v[110:111]
	s_clause 0x1
	scratch_load_b128 v[108:111], off, off offset:328
	scratch_load_b128 v[112:115], off, off offset:344
	s_wait_dscnt 0x0
	v_fmac_f64_e32 v[130:131], v[116:117], v[118:119]
	s_wait_loadcnt 0x5
	s_delay_alu instid0(VALU_DEP_1)
	v_fmac_f64_e32 v[130:131], v[126:127], v[120:121]
	ds_load_b128 v[116:119], v2 offset:640
	ds_load_b128 v[120:123], v2 offset:656
	s_wait_dscnt 0x1
	v_fmac_f64_e32 v[130:131], v[128:129], v[116:117]
	s_wait_loadcnt 0x4
	s_delay_alu instid0(VALU_DEP_1) | instskip(SKIP_1) | instid1(VALU_DEP_1)
	v_fmac_f64_e32 v[130:131], v[96:97], v[118:119]
	s_wait_dscnt 0x0
	v_fmac_f64_e32 v[130:131], v[98:99], v[120:121]
	ds_load_b128 v[96:99], v2 offset:672
	ds_load_b128 v[116:119], v2 offset:688
	s_wait_loadcnt 0x3
	v_fmac_f64_e32 v[130:131], v[100:101], v[122:123]
	s_wait_dscnt 0x1
	s_delay_alu instid0(VALU_DEP_1) | instskip(SKIP_1) | instid1(VALU_DEP_1)
	v_fmac_f64_e32 v[130:131], v[102:103], v[96:97]
	s_wait_loadcnt 0x2
	v_fmac_f64_e32 v[130:131], v[104:105], v[98:99]
	ds_load_b128 v[96:99], v2 offset:704
	ds_load_b64 v[100:101], v2 offset:720
	s_wait_dscnt 0x2
	v_fmac_f64_e32 v[130:131], v[106:107], v[116:117]
	s_wait_loadcnt 0x1
	s_delay_alu instid0(VALU_DEP_1) | instskip(SKIP_1) | instid1(VALU_DEP_1)
	v_fmac_f64_e32 v[130:131], v[108:109], v[118:119]
	s_wait_dscnt 0x1
	v_fmac_f64_e32 v[130:131], v[110:111], v[96:97]
	s_wait_loadcnt 0x0
	s_delay_alu instid0(VALU_DEP_1) | instskip(SKIP_1) | instid1(VALU_DEP_1)
	v_fmac_f64_e32 v[130:131], v[112:113], v[98:99]
	s_wait_dscnt 0x0
	v_fmac_f64_e32 v[130:131], v[114:115], v[100:101]
	s_delay_alu instid0(VALU_DEP_1)
	v_add_f64_e64 v[94:95], v[94:95], -v[130:131]
	scratch_store_b64 off, v[94:95], off offset:168
	s_wait_xcnt 0x0
	v_cmpx_lt_u32_e32 20, v0
	s_cbranch_execz .LBB44_239
; %bb.238:
	scratch_load_b64 v[94:95], off, off offset:160
	v_mov_b64_e32 v[96:97], 0
	scratch_store_b64 off, v[96:97], off offset:160
	s_wait_loadcnt 0x0
	ds_store_b64 v1, v[94:95]
.LBB44_239:
	s_wait_xcnt 0x0
	s_or_b32 exec_lo, exec_lo, s0
	s_wait_storecnt_dscnt 0x0
	s_barrier_signal -1
	s_barrier_wait -1
	s_clause 0x5
	scratch_load_b128 v[94:97], off, off offset:160
	scratch_load_b128 v[98:101], off, off offset:176
	;; [unrolled: 1-line block ×6, first 2 shown]
	ds_load_2addr_b64 v[118:121], v2 offset0:67 offset1:68
	ds_load_2addr_b64 v[122:125], v2 offset0:69 offset1:70
	scratch_load_b128 v[126:129], off, off offset:256
	s_mov_b32 s0, exec_lo
	s_wait_loadcnt_dscnt 0x601
	v_fma_f64 v[130:131], v[96:97], v[118:119], 0
	s_wait_loadcnt 0x5
	s_delay_alu instid0(VALU_DEP_1) | instskip(SKIP_4) | instid1(VALU_DEP_1)
	v_fmac_f64_e32 v[130:131], v[98:99], v[120:121]
	scratch_load_b128 v[96:99], off, off offset:272
	s_wait_dscnt 0x0
	v_fmac_f64_e32 v[130:131], v[100:101], v[122:123]
	s_wait_loadcnt 0x5
	v_fmac_f64_e32 v[130:131], v[102:103], v[124:125]
	ds_load_2addr_b64 v[100:103], v2 offset0:71 offset1:72
	ds_load_2addr_b64 v[118:121], v2 offset0:73 offset1:74
	s_wait_dscnt 0x1
	v_fmac_f64_e32 v[130:131], v[104:105], v[100:101]
	s_wait_loadcnt 0x4
	s_delay_alu instid0(VALU_DEP_1)
	v_fmac_f64_e32 v[130:131], v[106:107], v[102:103]
	s_clause 0x1
	scratch_load_b128 v[100:103], off, off offset:288
	scratch_load_b128 v[104:107], off, off offset:304
	s_wait_dscnt 0x0
	v_fmac_f64_e32 v[130:131], v[108:109], v[118:119]
	s_wait_loadcnt 0x5
	s_delay_alu instid0(VALU_DEP_1)
	v_fmac_f64_e32 v[130:131], v[110:111], v[120:121]
	ds_load_2addr_b64 v[108:111], v2 offset0:75 offset1:76
	ds_load_2addr_b64 v[118:121], v2 offset0:77 offset1:78
	s_wait_dscnt 0x1
	v_fmac_f64_e32 v[130:131], v[112:113], v[108:109]
	s_wait_loadcnt 0x4
	s_delay_alu instid0(VALU_DEP_1)
	v_fmac_f64_e32 v[130:131], v[114:115], v[110:111]
	s_clause 0x1
	scratch_load_b128 v[108:111], off, off offset:320
	scratch_load_b128 v[112:115], off, off offset:336
	s_wait_dscnt 0x0
	v_fmac_f64_e32 v[130:131], v[116:117], v[118:119]
	s_wait_loadcnt 0x5
	s_delay_alu instid0(VALU_DEP_1)
	v_fmac_f64_e32 v[130:131], v[126:127], v[120:121]
	ds_load_2addr_b64 v[116:119], v2 offset0:79 offset1:80
	ds_load_2addr_b64 v[120:123], v2 offset0:81 offset1:82
	scratch_load_b64 v[124:125], off, off offset:352
	s_wait_dscnt 0x1
	v_fmac_f64_e32 v[130:131], v[128:129], v[116:117]
	s_wait_loadcnt 0x5
	s_delay_alu instid0(VALU_DEP_1) | instskip(SKIP_1) | instid1(VALU_DEP_1)
	v_fmac_f64_e32 v[130:131], v[96:97], v[118:119]
	s_wait_dscnt 0x0
	v_fmac_f64_e32 v[130:131], v[98:99], v[120:121]
	ds_load_2addr_b64 v[96:99], v2 offset0:83 offset1:84
	ds_load_2addr_b64 v[116:119], v2 offset0:85 offset1:86
	s_wait_loadcnt 0x4
	v_fmac_f64_e32 v[130:131], v[100:101], v[122:123]
	s_wait_dscnt 0x1
	s_delay_alu instid0(VALU_DEP_1) | instskip(SKIP_1) | instid1(VALU_DEP_1)
	v_fmac_f64_e32 v[130:131], v[102:103], v[96:97]
	s_wait_loadcnt 0x3
	v_fmac_f64_e32 v[130:131], v[104:105], v[98:99]
	ds_load_2addr_b64 v[96:99], v2 offset0:87 offset1:88
	ds_load_2addr_b64 v[100:103], v2 offset0:89 offset1:90
	s_wait_dscnt 0x2
	v_fmac_f64_e32 v[130:131], v[106:107], v[116:117]
	s_wait_loadcnt 0x2
	s_delay_alu instid0(VALU_DEP_1) | instskip(SKIP_1) | instid1(VALU_DEP_1)
	v_fmac_f64_e32 v[130:131], v[108:109], v[118:119]
	s_wait_dscnt 0x1
	v_fmac_f64_e32 v[130:131], v[110:111], v[96:97]
	s_wait_loadcnt 0x1
	s_delay_alu instid0(VALU_DEP_1) | instskip(SKIP_1) | instid1(VALU_DEP_1)
	v_fmac_f64_e32 v[130:131], v[112:113], v[98:99]
	s_wait_dscnt 0x0
	v_fmac_f64_e32 v[130:131], v[114:115], v[100:101]
	s_wait_loadcnt 0x0
	s_delay_alu instid0(VALU_DEP_1) | instskip(NEXT) | instid1(VALU_DEP_1)
	v_fmac_f64_e32 v[130:131], v[124:125], v[102:103]
	v_add_f64_e64 v[2:3], v[94:95], -v[130:131]
	scratch_store_b64 off, v[2:3], off offset:160
	s_wait_xcnt 0x0
	v_cmpx_lt_u32_e32 19, v0
	s_cbranch_execz .LBB44_241
; %bb.240:
	scratch_load_b64 v[2:3], off, off offset:152
	v_mov_b64_e32 v[94:95], 0
	scratch_store_b64 off, v[94:95], off offset:152
	s_wait_loadcnt 0x0
	ds_store_b64 v1, v[2:3]
.LBB44_241:
	s_wait_xcnt 0x0
	s_or_b32 exec_lo, exec_lo, s0
	s_wait_storecnt_dscnt 0x0
	s_barrier_signal -1
	s_barrier_wait -1
	s_clause 0x5
	scratch_load_b128 v[94:97], off, off offset:152
	scratch_load_b128 v[98:101], off, off offset:168
	;; [unrolled: 1-line block ×6, first 2 shown]
	v_mov_b32_e32 v2, 0
	ds_load_b128 v[118:121], v2 offset:528
	ds_load_b128 v[122:125], v2 offset:544
	scratch_load_b128 v[126:129], off, off offset:248
	s_mov_b32 s0, exec_lo
	s_wait_loadcnt_dscnt 0x601
	v_fma_f64 v[130:131], v[96:97], v[118:119], 0
	s_wait_loadcnt 0x5
	s_delay_alu instid0(VALU_DEP_1) | instskip(SKIP_4) | instid1(VALU_DEP_1)
	v_fmac_f64_e32 v[130:131], v[98:99], v[120:121]
	scratch_load_b128 v[96:99], off, off offset:264
	s_wait_dscnt 0x0
	v_fmac_f64_e32 v[130:131], v[100:101], v[122:123]
	s_wait_loadcnt 0x5
	v_fmac_f64_e32 v[130:131], v[102:103], v[124:125]
	ds_load_b128 v[100:103], v2 offset:560
	ds_load_b128 v[118:121], v2 offset:576
	s_wait_dscnt 0x1
	v_fmac_f64_e32 v[130:131], v[104:105], v[100:101]
	s_wait_loadcnt 0x4
	s_delay_alu instid0(VALU_DEP_1)
	v_fmac_f64_e32 v[130:131], v[106:107], v[102:103]
	s_clause 0x1
	scratch_load_b128 v[100:103], off, off offset:280
	scratch_load_b128 v[104:107], off, off offset:296
	s_wait_dscnt 0x0
	v_fmac_f64_e32 v[130:131], v[108:109], v[118:119]
	s_wait_loadcnt 0x5
	s_delay_alu instid0(VALU_DEP_1)
	v_fmac_f64_e32 v[130:131], v[110:111], v[120:121]
	ds_load_b128 v[108:111], v2 offset:592
	ds_load_b128 v[118:121], v2 offset:608
	s_wait_dscnt 0x1
	v_fmac_f64_e32 v[130:131], v[112:113], v[108:109]
	s_wait_loadcnt 0x4
	s_delay_alu instid0(VALU_DEP_1)
	v_fmac_f64_e32 v[130:131], v[114:115], v[110:111]
	s_clause 0x1
	scratch_load_b128 v[108:111], off, off offset:312
	scratch_load_b128 v[112:115], off, off offset:328
	s_wait_dscnt 0x0
	v_fmac_f64_e32 v[130:131], v[116:117], v[118:119]
	s_wait_loadcnt 0x5
	s_delay_alu instid0(VALU_DEP_1)
	v_fmac_f64_e32 v[130:131], v[126:127], v[120:121]
	ds_load_b128 v[116:119], v2 offset:624
	ds_load_b128 v[120:123], v2 offset:640
	s_wait_dscnt 0x1
	v_fmac_f64_e32 v[130:131], v[128:129], v[116:117]
	s_wait_loadcnt 0x4
	s_delay_alu instid0(VALU_DEP_1) | instskip(SKIP_4) | instid1(VALU_DEP_1)
	v_fmac_f64_e32 v[130:131], v[96:97], v[118:119]
	scratch_load_b128 v[116:119], off, off offset:344
	s_wait_dscnt 0x0
	v_fmac_f64_e32 v[130:131], v[98:99], v[120:121]
	s_wait_loadcnt 0x4
	v_fmac_f64_e32 v[130:131], v[100:101], v[122:123]
	ds_load_b128 v[96:99], v2 offset:656
	ds_load_b128 v[120:123], v2 offset:672
	s_wait_dscnt 0x1
	v_fmac_f64_e32 v[130:131], v[102:103], v[96:97]
	s_wait_loadcnt 0x3
	s_delay_alu instid0(VALU_DEP_1)
	v_fmac_f64_e32 v[130:131], v[104:105], v[98:99]
	ds_load_b128 v[96:99], v2 offset:688
	ds_load_b128 v[100:103], v2 offset:704
	s_wait_dscnt 0x2
	v_fmac_f64_e32 v[130:131], v[106:107], v[120:121]
	s_wait_loadcnt 0x2
	s_delay_alu instid0(VALU_DEP_1) | instskip(SKIP_1) | instid1(VALU_DEP_1)
	v_fmac_f64_e32 v[130:131], v[108:109], v[122:123]
	s_wait_dscnt 0x1
	v_fmac_f64_e32 v[130:131], v[110:111], v[96:97]
	ds_load_b64 v[96:97], v2 offset:720
	s_wait_loadcnt 0x1
	v_fmac_f64_e32 v[130:131], v[112:113], v[98:99]
	s_wait_dscnt 0x1
	s_delay_alu instid0(VALU_DEP_1) | instskip(SKIP_1) | instid1(VALU_DEP_1)
	v_fmac_f64_e32 v[130:131], v[114:115], v[100:101]
	s_wait_loadcnt 0x0
	v_fmac_f64_e32 v[130:131], v[116:117], v[102:103]
	s_wait_dscnt 0x0
	s_delay_alu instid0(VALU_DEP_1) | instskip(NEXT) | instid1(VALU_DEP_1)
	v_fmac_f64_e32 v[130:131], v[118:119], v[96:97]
	v_add_f64_e64 v[94:95], v[94:95], -v[130:131]
	scratch_store_b64 off, v[94:95], off offset:152
	s_wait_xcnt 0x0
	v_cmpx_lt_u32_e32 18, v0
	s_cbranch_execz .LBB44_243
; %bb.242:
	scratch_load_b64 v[94:95], off, off offset:144
	v_mov_b64_e32 v[96:97], 0
	scratch_store_b64 off, v[96:97], off offset:144
	s_wait_loadcnt 0x0
	ds_store_b64 v1, v[94:95]
.LBB44_243:
	s_wait_xcnt 0x0
	s_or_b32 exec_lo, exec_lo, s0
	s_wait_storecnt_dscnt 0x0
	s_barrier_signal -1
	s_barrier_wait -1
	s_clause 0x5
	scratch_load_b128 v[94:97], off, off offset:144
	scratch_load_b128 v[98:101], off, off offset:160
	;; [unrolled: 1-line block ×6, first 2 shown]
	ds_load_2addr_b64 v[118:121], v2 offset0:65 offset1:66
	ds_load_2addr_b64 v[122:125], v2 offset0:67 offset1:68
	scratch_load_b128 v[126:129], off, off offset:240
	s_mov_b32 s0, exec_lo
	s_wait_loadcnt_dscnt 0x601
	v_fma_f64 v[130:131], v[96:97], v[118:119], 0
	s_wait_loadcnt 0x5
	s_delay_alu instid0(VALU_DEP_1) | instskip(SKIP_4) | instid1(VALU_DEP_1)
	v_fmac_f64_e32 v[130:131], v[98:99], v[120:121]
	scratch_load_b128 v[96:99], off, off offset:256
	s_wait_dscnt 0x0
	v_fmac_f64_e32 v[130:131], v[100:101], v[122:123]
	s_wait_loadcnt 0x5
	v_fmac_f64_e32 v[130:131], v[102:103], v[124:125]
	ds_load_2addr_b64 v[100:103], v2 offset0:69 offset1:70
	ds_load_2addr_b64 v[118:121], v2 offset0:71 offset1:72
	scratch_load_b128 v[122:125], off, off offset:272
	s_wait_dscnt 0x1
	v_fmac_f64_e32 v[130:131], v[104:105], v[100:101]
	s_wait_loadcnt 0x5
	s_delay_alu instid0(VALU_DEP_1) | instskip(SKIP_4) | instid1(VALU_DEP_1)
	v_fmac_f64_e32 v[130:131], v[106:107], v[102:103]
	scratch_load_b128 v[100:103], off, off offset:288
	s_wait_dscnt 0x0
	v_fmac_f64_e32 v[130:131], v[108:109], v[118:119]
	s_wait_loadcnt 0x5
	v_fmac_f64_e32 v[130:131], v[110:111], v[120:121]
	ds_load_2addr_b64 v[104:107], v2 offset0:73 offset1:74
	ds_load_2addr_b64 v[108:111], v2 offset0:75 offset1:76
	s_wait_dscnt 0x1
	v_fmac_f64_e32 v[130:131], v[112:113], v[104:105]
	s_wait_loadcnt 0x4
	s_delay_alu instid0(VALU_DEP_1) | instskip(SKIP_4) | instid1(VALU_DEP_1)
	v_fmac_f64_e32 v[130:131], v[114:115], v[106:107]
	scratch_load_b128 v[104:107], off, off offset:304
	s_wait_dscnt 0x0
	v_fmac_f64_e32 v[130:131], v[116:117], v[108:109]
	s_wait_loadcnt 0x4
	v_fmac_f64_e32 v[130:131], v[126:127], v[110:111]
	scratch_load_b128 v[108:111], off, off offset:320
	ds_load_2addr_b64 v[112:115], v2 offset0:77 offset1:78
	ds_load_2addr_b64 v[116:119], v2 offset0:79 offset1:80
	scratch_load_b64 v[120:121], off, off offset:352
	s_wait_dscnt 0x1
	v_fmac_f64_e32 v[130:131], v[128:129], v[112:113]
	s_wait_loadcnt 0x5
	s_delay_alu instid0(VALU_DEP_1) | instskip(SKIP_4) | instid1(VALU_DEP_1)
	v_fmac_f64_e32 v[130:131], v[96:97], v[114:115]
	scratch_load_b128 v[112:115], off, off offset:336
	s_wait_dscnt 0x0
	v_fmac_f64_e32 v[130:131], v[98:99], v[116:117]
	s_wait_loadcnt 0x5
	v_fmac_f64_e32 v[130:131], v[122:123], v[118:119]
	ds_load_2addr_b64 v[96:99], v2 offset0:81 offset1:82
	ds_load_2addr_b64 v[116:119], v2 offset0:83 offset1:84
	s_wait_dscnt 0x1
	v_fmac_f64_e32 v[130:131], v[124:125], v[96:97]
	s_wait_loadcnt 0x4
	s_delay_alu instid0(VALU_DEP_1) | instskip(SKIP_1) | instid1(VALU_DEP_1)
	v_fmac_f64_e32 v[130:131], v[100:101], v[98:99]
	s_wait_dscnt 0x0
	v_fmac_f64_e32 v[130:131], v[102:103], v[116:117]
	ds_load_2addr_b64 v[96:99], v2 offset0:85 offset1:86
	ds_load_2addr_b64 v[100:103], v2 offset0:87 offset1:88
	s_wait_loadcnt 0x3
	v_fmac_f64_e32 v[130:131], v[104:105], v[118:119]
	s_wait_dscnt 0x1
	s_delay_alu instid0(VALU_DEP_1) | instskip(SKIP_1) | instid1(VALU_DEP_1)
	v_fmac_f64_e32 v[130:131], v[106:107], v[96:97]
	s_wait_loadcnt 0x2
	v_fmac_f64_e32 v[130:131], v[108:109], v[98:99]
	ds_load_2addr_b64 v[96:99], v2 offset0:89 offset1:90
	s_wait_dscnt 0x1
	v_fmac_f64_e32 v[130:131], v[110:111], v[100:101]
	s_wait_loadcnt 0x0
	s_delay_alu instid0(VALU_DEP_1) | instskip(SKIP_1) | instid1(VALU_DEP_1)
	v_fmac_f64_e32 v[130:131], v[112:113], v[102:103]
	s_wait_dscnt 0x0
	v_fmac_f64_e32 v[130:131], v[114:115], v[96:97]
	s_delay_alu instid0(VALU_DEP_1) | instskip(NEXT) | instid1(VALU_DEP_1)
	v_fmac_f64_e32 v[130:131], v[120:121], v[98:99]
	v_add_f64_e64 v[2:3], v[94:95], -v[130:131]
	scratch_store_b64 off, v[2:3], off offset:144
	s_wait_xcnt 0x0
	v_cmpx_lt_u32_e32 17, v0
	s_cbranch_execz .LBB44_245
; %bb.244:
	scratch_load_b64 v[2:3], off, off offset:136
	v_mov_b64_e32 v[94:95], 0
	scratch_store_b64 off, v[94:95], off offset:136
	s_wait_loadcnt 0x0
	ds_store_b64 v1, v[2:3]
.LBB44_245:
	s_wait_xcnt 0x0
	s_or_b32 exec_lo, exec_lo, s0
	s_wait_storecnt_dscnt 0x0
	s_barrier_signal -1
	s_barrier_wait -1
	s_clause 0x5
	scratch_load_b128 v[94:97], off, off offset:136
	scratch_load_b128 v[98:101], off, off offset:152
	;; [unrolled: 1-line block ×6, first 2 shown]
	v_mov_b32_e32 v2, 0
	ds_load_b128 v[118:121], v2 offset:512
	ds_load_b128 v[122:125], v2 offset:528
	scratch_load_b128 v[126:129], off, off offset:232
	s_mov_b32 s0, exec_lo
	s_wait_loadcnt_dscnt 0x601
	v_fma_f64 v[130:131], v[96:97], v[118:119], 0
	s_wait_loadcnt 0x5
	s_delay_alu instid0(VALU_DEP_1) | instskip(SKIP_4) | instid1(VALU_DEP_1)
	v_fmac_f64_e32 v[130:131], v[98:99], v[120:121]
	scratch_load_b128 v[96:99], off, off offset:248
	s_wait_dscnt 0x0
	v_fmac_f64_e32 v[130:131], v[100:101], v[122:123]
	s_wait_loadcnt 0x5
	v_fmac_f64_e32 v[130:131], v[102:103], v[124:125]
	ds_load_b128 v[100:103], v2 offset:544
	ds_load_b128 v[118:121], v2 offset:560
	scratch_load_b128 v[122:125], off, off offset:264
	s_wait_dscnt 0x1
	v_fmac_f64_e32 v[130:131], v[104:105], v[100:101]
	s_wait_loadcnt 0x5
	s_delay_alu instid0(VALU_DEP_1) | instskip(SKIP_4) | instid1(VALU_DEP_1)
	v_fmac_f64_e32 v[130:131], v[106:107], v[102:103]
	scratch_load_b128 v[100:103], off, off offset:280
	s_wait_dscnt 0x0
	v_fmac_f64_e32 v[130:131], v[108:109], v[118:119]
	s_wait_loadcnt 0x5
	v_fmac_f64_e32 v[130:131], v[110:111], v[120:121]
	ds_load_b128 v[104:107], v2 offset:576
	ds_load_b128 v[108:111], v2 offset:592
	s_wait_dscnt 0x1
	v_fmac_f64_e32 v[130:131], v[112:113], v[104:105]
	s_wait_loadcnt 0x4
	s_delay_alu instid0(VALU_DEP_1) | instskip(SKIP_4) | instid1(VALU_DEP_1)
	v_fmac_f64_e32 v[130:131], v[114:115], v[106:107]
	scratch_load_b128 v[104:107], off, off offset:296
	s_wait_dscnt 0x0
	v_fmac_f64_e32 v[130:131], v[116:117], v[108:109]
	s_wait_loadcnt 0x4
	v_fmac_f64_e32 v[130:131], v[126:127], v[110:111]
	scratch_load_b128 v[108:111], off, off offset:312
	ds_load_b128 v[112:115], v2 offset:608
	ds_load_b128 v[116:119], v2 offset:624
	s_wait_dscnt 0x1
	v_fmac_f64_e32 v[130:131], v[128:129], v[112:113]
	s_wait_loadcnt 0x4
	s_delay_alu instid0(VALU_DEP_1)
	v_fmac_f64_e32 v[130:131], v[96:97], v[114:115]
	scratch_load_b128 v[112:115], off, off offset:328
	s_wait_dscnt 0x0
	v_fmac_f64_e32 v[130:131], v[98:99], v[116:117]
	scratch_load_b128 v[96:99], off, off offset:344
	s_wait_loadcnt 0x5
	v_fmac_f64_e32 v[130:131], v[122:123], v[118:119]
	ds_load_b128 v[116:119], v2 offset:640
	ds_load_b128 v[120:123], v2 offset:656
	s_wait_dscnt 0x1
	v_fmac_f64_e32 v[130:131], v[124:125], v[116:117]
	s_wait_loadcnt 0x4
	s_delay_alu instid0(VALU_DEP_1) | instskip(SKIP_1) | instid1(VALU_DEP_1)
	v_fmac_f64_e32 v[130:131], v[100:101], v[118:119]
	s_wait_dscnt 0x0
	v_fmac_f64_e32 v[130:131], v[102:103], v[120:121]
	ds_load_b128 v[100:103], v2 offset:672
	ds_load_b128 v[116:119], v2 offset:688
	s_wait_loadcnt 0x3
	v_fmac_f64_e32 v[130:131], v[104:105], v[122:123]
	s_wait_dscnt 0x1
	s_delay_alu instid0(VALU_DEP_1) | instskip(SKIP_1) | instid1(VALU_DEP_1)
	v_fmac_f64_e32 v[130:131], v[106:107], v[100:101]
	s_wait_loadcnt 0x2
	v_fmac_f64_e32 v[130:131], v[108:109], v[102:103]
	ds_load_b128 v[100:103], v2 offset:704
	ds_load_b64 v[104:105], v2 offset:720
	s_wait_dscnt 0x2
	v_fmac_f64_e32 v[130:131], v[110:111], v[116:117]
	s_wait_loadcnt 0x1
	s_delay_alu instid0(VALU_DEP_1) | instskip(SKIP_1) | instid1(VALU_DEP_1)
	v_fmac_f64_e32 v[130:131], v[112:113], v[118:119]
	s_wait_dscnt 0x1
	v_fmac_f64_e32 v[130:131], v[114:115], v[100:101]
	s_wait_loadcnt 0x0
	s_delay_alu instid0(VALU_DEP_1) | instskip(SKIP_1) | instid1(VALU_DEP_1)
	v_fmac_f64_e32 v[130:131], v[96:97], v[102:103]
	s_wait_dscnt 0x0
	v_fmac_f64_e32 v[130:131], v[98:99], v[104:105]
	s_delay_alu instid0(VALU_DEP_1)
	v_add_f64_e64 v[94:95], v[94:95], -v[130:131]
	scratch_store_b64 off, v[94:95], off offset:136
	s_wait_xcnt 0x0
	v_cmpx_lt_u32_e32 16, v0
	s_cbranch_execz .LBB44_247
; %bb.246:
	scratch_load_b64 v[94:95], off, off offset:128
	v_mov_b64_e32 v[96:97], 0
	scratch_store_b64 off, v[96:97], off offset:128
	s_wait_loadcnt 0x0
	ds_store_b64 v1, v[94:95]
.LBB44_247:
	s_wait_xcnt 0x0
	s_or_b32 exec_lo, exec_lo, s0
	s_wait_storecnt_dscnt 0x0
	s_barrier_signal -1
	s_barrier_wait -1
	s_clause 0x5
	scratch_load_b128 v[94:97], off, off offset:128
	scratch_load_b128 v[98:101], off, off offset:144
	;; [unrolled: 1-line block ×6, first 2 shown]
	ds_load_2addr_b64 v[118:121], v2 offset0:63 offset1:64
	ds_load_2addr_b64 v[122:125], v2 offset0:65 offset1:66
	scratch_load_b128 v[126:129], off, off offset:224
	s_mov_b32 s0, exec_lo
	s_wait_loadcnt_dscnt 0x601
	v_fma_f64 v[130:131], v[96:97], v[118:119], 0
	s_wait_loadcnt 0x5
	s_delay_alu instid0(VALU_DEP_1) | instskip(SKIP_4) | instid1(VALU_DEP_1)
	v_fmac_f64_e32 v[130:131], v[98:99], v[120:121]
	scratch_load_b128 v[96:99], off, off offset:240
	s_wait_dscnt 0x0
	v_fmac_f64_e32 v[130:131], v[100:101], v[122:123]
	s_wait_loadcnt 0x5
	v_fmac_f64_e32 v[130:131], v[102:103], v[124:125]
	ds_load_2addr_b64 v[100:103], v2 offset0:67 offset1:68
	ds_load_2addr_b64 v[118:121], v2 offset0:69 offset1:70
	scratch_load_b128 v[122:125], off, off offset:256
	s_wait_dscnt 0x1
	v_fmac_f64_e32 v[130:131], v[104:105], v[100:101]
	s_wait_loadcnt 0x5
	s_delay_alu instid0(VALU_DEP_1) | instskip(SKIP_4) | instid1(VALU_DEP_1)
	v_fmac_f64_e32 v[130:131], v[106:107], v[102:103]
	scratch_load_b128 v[100:103], off, off offset:272
	s_wait_dscnt 0x0
	v_fmac_f64_e32 v[130:131], v[108:109], v[118:119]
	s_wait_loadcnt 0x5
	v_fmac_f64_e32 v[130:131], v[110:111], v[120:121]
	ds_load_2addr_b64 v[104:107], v2 offset0:71 offset1:72
	ds_load_2addr_b64 v[108:111], v2 offset0:73 offset1:74
	s_wait_dscnt 0x1
	v_fmac_f64_e32 v[130:131], v[112:113], v[104:105]
	s_wait_loadcnt 0x4
	s_delay_alu instid0(VALU_DEP_1) | instskip(SKIP_4) | instid1(VALU_DEP_1)
	v_fmac_f64_e32 v[130:131], v[114:115], v[106:107]
	scratch_load_b128 v[104:107], off, off offset:288
	s_wait_dscnt 0x0
	v_fmac_f64_e32 v[130:131], v[116:117], v[108:109]
	s_wait_loadcnt 0x4
	v_fmac_f64_e32 v[130:131], v[126:127], v[110:111]
	scratch_load_b128 v[108:111], off, off offset:304
	ds_load_2addr_b64 v[112:115], v2 offset0:75 offset1:76
	ds_load_2addr_b64 v[116:119], v2 offset0:77 offset1:78
	s_wait_dscnt 0x1
	v_fmac_f64_e32 v[130:131], v[128:129], v[112:113]
	s_wait_loadcnt 0x4
	s_delay_alu instid0(VALU_DEP_1)
	v_fmac_f64_e32 v[130:131], v[96:97], v[114:115]
	scratch_load_b128 v[112:115], off, off offset:320
	s_wait_dscnt 0x0
	v_fmac_f64_e32 v[130:131], v[98:99], v[116:117]
	scratch_load_b128 v[96:99], off, off offset:336
	s_wait_loadcnt 0x5
	v_fmac_f64_e32 v[130:131], v[122:123], v[118:119]
	ds_load_2addr_b64 v[116:119], v2 offset0:79 offset1:80
	ds_load_2addr_b64 v[120:123], v2 offset0:81 offset1:82
	s_wait_dscnt 0x1
	v_fmac_f64_e32 v[130:131], v[124:125], v[116:117]
	scratch_load_b64 v[124:125], off, off offset:352
	s_wait_loadcnt 0x5
	v_fmac_f64_e32 v[130:131], v[100:101], v[118:119]
	s_wait_dscnt 0x0
	s_delay_alu instid0(VALU_DEP_1)
	v_fmac_f64_e32 v[130:131], v[102:103], v[120:121]
	ds_load_2addr_b64 v[100:103], v2 offset0:83 offset1:84
	ds_load_2addr_b64 v[116:119], v2 offset0:85 offset1:86
	s_wait_loadcnt 0x4
	v_fmac_f64_e32 v[130:131], v[104:105], v[122:123]
	s_wait_dscnt 0x1
	s_delay_alu instid0(VALU_DEP_1) | instskip(SKIP_1) | instid1(VALU_DEP_1)
	v_fmac_f64_e32 v[130:131], v[106:107], v[100:101]
	s_wait_loadcnt 0x3
	v_fmac_f64_e32 v[130:131], v[108:109], v[102:103]
	ds_load_2addr_b64 v[100:103], v2 offset0:87 offset1:88
	ds_load_2addr_b64 v[104:107], v2 offset0:89 offset1:90
	s_wait_dscnt 0x2
	v_fmac_f64_e32 v[130:131], v[110:111], v[116:117]
	s_wait_loadcnt 0x2
	s_delay_alu instid0(VALU_DEP_1) | instskip(SKIP_1) | instid1(VALU_DEP_1)
	v_fmac_f64_e32 v[130:131], v[112:113], v[118:119]
	s_wait_dscnt 0x1
	v_fmac_f64_e32 v[130:131], v[114:115], v[100:101]
	s_wait_loadcnt 0x1
	s_delay_alu instid0(VALU_DEP_1) | instskip(SKIP_1) | instid1(VALU_DEP_1)
	v_fmac_f64_e32 v[130:131], v[96:97], v[102:103]
	s_wait_dscnt 0x0
	v_fmac_f64_e32 v[130:131], v[98:99], v[104:105]
	s_wait_loadcnt 0x0
	s_delay_alu instid0(VALU_DEP_1) | instskip(NEXT) | instid1(VALU_DEP_1)
	v_fmac_f64_e32 v[130:131], v[124:125], v[106:107]
	v_add_f64_e64 v[2:3], v[94:95], -v[130:131]
	scratch_store_b64 off, v[2:3], off offset:128
	s_wait_xcnt 0x0
	v_cmpx_lt_u32_e32 15, v0
	s_cbranch_execz .LBB44_249
; %bb.248:
	scratch_load_b64 v[2:3], off, off offset:120
	v_mov_b64_e32 v[94:95], 0
	scratch_store_b64 off, v[94:95], off offset:120
	s_wait_loadcnt 0x0
	ds_store_b64 v1, v[2:3]
.LBB44_249:
	s_wait_xcnt 0x0
	s_or_b32 exec_lo, exec_lo, s0
	s_wait_storecnt_dscnt 0x0
	s_barrier_signal -1
	s_barrier_wait -1
	s_clause 0x5
	scratch_load_b128 v[94:97], off, off offset:120
	scratch_load_b128 v[98:101], off, off offset:136
	;; [unrolled: 1-line block ×6, first 2 shown]
	v_mov_b32_e32 v2, 0
	ds_load_b128 v[118:121], v2 offset:496
	ds_load_b128 v[122:125], v2 offset:512
	scratch_load_b128 v[126:129], off, off offset:216
	s_mov_b32 s0, exec_lo
	s_wait_loadcnt_dscnt 0x601
	v_fma_f64 v[130:131], v[96:97], v[118:119], 0
	s_wait_loadcnt 0x5
	s_delay_alu instid0(VALU_DEP_1) | instskip(SKIP_4) | instid1(VALU_DEP_1)
	v_fmac_f64_e32 v[130:131], v[98:99], v[120:121]
	scratch_load_b128 v[96:99], off, off offset:232
	s_wait_dscnt 0x0
	v_fmac_f64_e32 v[130:131], v[100:101], v[122:123]
	s_wait_loadcnt 0x5
	v_fmac_f64_e32 v[130:131], v[102:103], v[124:125]
	ds_load_b128 v[100:103], v2 offset:528
	ds_load_b128 v[118:121], v2 offset:544
	scratch_load_b128 v[122:125], off, off offset:248
	s_wait_dscnt 0x1
	v_fmac_f64_e32 v[130:131], v[104:105], v[100:101]
	s_wait_loadcnt 0x5
	s_delay_alu instid0(VALU_DEP_1) | instskip(SKIP_4) | instid1(VALU_DEP_1)
	v_fmac_f64_e32 v[130:131], v[106:107], v[102:103]
	scratch_load_b128 v[100:103], off, off offset:264
	s_wait_dscnt 0x0
	v_fmac_f64_e32 v[130:131], v[108:109], v[118:119]
	s_wait_loadcnt 0x5
	v_fmac_f64_e32 v[130:131], v[110:111], v[120:121]
	ds_load_b128 v[104:107], v2 offset:560
	ds_load_b128 v[108:111], v2 offset:576
	s_wait_dscnt 0x1
	v_fmac_f64_e32 v[130:131], v[112:113], v[104:105]
	s_wait_loadcnt 0x4
	s_delay_alu instid0(VALU_DEP_1) | instskip(SKIP_4) | instid1(VALU_DEP_1)
	v_fmac_f64_e32 v[130:131], v[114:115], v[106:107]
	scratch_load_b128 v[104:107], off, off offset:280
	s_wait_dscnt 0x0
	v_fmac_f64_e32 v[130:131], v[116:117], v[108:109]
	s_wait_loadcnt 0x4
	v_fmac_f64_e32 v[130:131], v[126:127], v[110:111]
	scratch_load_b128 v[108:111], off, off offset:296
	ds_load_b128 v[112:115], v2 offset:592
	ds_load_b128 v[116:119], v2 offset:608
	s_wait_dscnt 0x1
	v_fmac_f64_e32 v[130:131], v[128:129], v[112:113]
	s_wait_loadcnt 0x4
	s_delay_alu instid0(VALU_DEP_1)
	v_fmac_f64_e32 v[130:131], v[96:97], v[114:115]
	scratch_load_b128 v[112:115], off, off offset:312
	s_wait_dscnt 0x0
	v_fmac_f64_e32 v[130:131], v[98:99], v[116:117]
	scratch_load_b128 v[96:99], off, off offset:328
	s_wait_loadcnt 0x5
	v_fmac_f64_e32 v[130:131], v[122:123], v[118:119]
	ds_load_b128 v[116:119], v2 offset:624
	ds_load_b128 v[120:123], v2 offset:640
	s_wait_dscnt 0x1
	v_fmac_f64_e32 v[130:131], v[124:125], v[116:117]
	s_wait_loadcnt 0x4
	s_delay_alu instid0(VALU_DEP_1) | instskip(SKIP_4) | instid1(VALU_DEP_1)
	v_fmac_f64_e32 v[130:131], v[100:101], v[118:119]
	scratch_load_b128 v[116:119], off, off offset:344
	s_wait_dscnt 0x0
	v_fmac_f64_e32 v[130:131], v[102:103], v[120:121]
	s_wait_loadcnt 0x4
	v_fmac_f64_e32 v[130:131], v[104:105], v[122:123]
	ds_load_b128 v[100:103], v2 offset:656
	ds_load_b128 v[120:123], v2 offset:672
	s_wait_dscnt 0x1
	v_fmac_f64_e32 v[130:131], v[106:107], v[100:101]
	s_wait_loadcnt 0x3
	s_delay_alu instid0(VALU_DEP_1)
	v_fmac_f64_e32 v[130:131], v[108:109], v[102:103]
	ds_load_b128 v[100:103], v2 offset:688
	ds_load_b128 v[104:107], v2 offset:704
	s_wait_dscnt 0x2
	v_fmac_f64_e32 v[130:131], v[110:111], v[120:121]
	s_wait_loadcnt 0x2
	s_delay_alu instid0(VALU_DEP_1) | instskip(SKIP_1) | instid1(VALU_DEP_1)
	v_fmac_f64_e32 v[130:131], v[112:113], v[122:123]
	s_wait_dscnt 0x1
	v_fmac_f64_e32 v[130:131], v[114:115], v[100:101]
	s_wait_loadcnt 0x1
	s_delay_alu instid0(VALU_DEP_1) | instskip(SKIP_4) | instid1(VALU_DEP_1)
	v_fmac_f64_e32 v[130:131], v[96:97], v[102:103]
	ds_load_b64 v[96:97], v2 offset:720
	s_wait_dscnt 0x1
	v_fmac_f64_e32 v[130:131], v[98:99], v[104:105]
	s_wait_loadcnt 0x0
	v_fmac_f64_e32 v[130:131], v[116:117], v[106:107]
	s_wait_dscnt 0x0
	s_delay_alu instid0(VALU_DEP_1) | instskip(NEXT) | instid1(VALU_DEP_1)
	v_fmac_f64_e32 v[130:131], v[118:119], v[96:97]
	v_add_f64_e64 v[94:95], v[94:95], -v[130:131]
	scratch_store_b64 off, v[94:95], off offset:120
	s_wait_xcnt 0x0
	v_cmpx_lt_u32_e32 14, v0
	s_cbranch_execz .LBB44_251
; %bb.250:
	scratch_load_b64 v[94:95], off, off offset:112
	v_mov_b64_e32 v[96:97], 0
	scratch_store_b64 off, v[96:97], off offset:112
	s_wait_loadcnt 0x0
	ds_store_b64 v1, v[94:95]
.LBB44_251:
	s_wait_xcnt 0x0
	s_or_b32 exec_lo, exec_lo, s0
	s_wait_storecnt_dscnt 0x0
	s_barrier_signal -1
	s_barrier_wait -1
	s_clause 0x5
	scratch_load_b128 v[94:97], off, off offset:112
	scratch_load_b128 v[98:101], off, off offset:128
	;; [unrolled: 1-line block ×6, first 2 shown]
	ds_load_2addr_b64 v[118:121], v2 offset0:61 offset1:62
	ds_load_2addr_b64 v[122:125], v2 offset0:63 offset1:64
	scratch_load_b128 v[126:129], off, off offset:208
	s_mov_b32 s0, exec_lo
	s_wait_loadcnt_dscnt 0x601
	v_fma_f64 v[130:131], v[96:97], v[118:119], 0
	s_wait_loadcnt 0x5
	s_delay_alu instid0(VALU_DEP_1) | instskip(SKIP_4) | instid1(VALU_DEP_1)
	v_fmac_f64_e32 v[130:131], v[98:99], v[120:121]
	scratch_load_b128 v[96:99], off, off offset:224
	s_wait_dscnt 0x0
	v_fmac_f64_e32 v[130:131], v[100:101], v[122:123]
	s_wait_loadcnt 0x5
	v_fmac_f64_e32 v[130:131], v[102:103], v[124:125]
	ds_load_2addr_b64 v[100:103], v2 offset0:65 offset1:66
	ds_load_2addr_b64 v[118:121], v2 offset0:67 offset1:68
	scratch_load_b128 v[122:125], off, off offset:240
	s_wait_dscnt 0x1
	v_fmac_f64_e32 v[130:131], v[104:105], v[100:101]
	s_wait_loadcnt 0x5
	s_delay_alu instid0(VALU_DEP_1) | instskip(SKIP_4) | instid1(VALU_DEP_1)
	v_fmac_f64_e32 v[130:131], v[106:107], v[102:103]
	scratch_load_b128 v[100:103], off, off offset:256
	s_wait_dscnt 0x0
	v_fmac_f64_e32 v[130:131], v[108:109], v[118:119]
	s_wait_loadcnt 0x5
	v_fmac_f64_e32 v[130:131], v[110:111], v[120:121]
	ds_load_2addr_b64 v[104:107], v2 offset0:69 offset1:70
	ds_load_2addr_b64 v[108:111], v2 offset0:71 offset1:72
	scratch_load_b128 v[118:121], off, off offset:272
	s_wait_dscnt 0x1
	v_fmac_f64_e32 v[130:131], v[112:113], v[104:105]
	s_wait_loadcnt 0x5
	s_delay_alu instid0(VALU_DEP_1) | instskip(SKIP_4) | instid1(VALU_DEP_1)
	v_fmac_f64_e32 v[130:131], v[114:115], v[106:107]
	scratch_load_b128 v[104:107], off, off offset:288
	s_wait_dscnt 0x0
	v_fmac_f64_e32 v[130:131], v[116:117], v[108:109]
	s_wait_loadcnt 0x5
	v_fmac_f64_e32 v[130:131], v[126:127], v[110:111]
	ds_load_2addr_b64 v[108:111], v2 offset0:73 offset1:74
	ds_load_2addr_b64 v[112:115], v2 offset0:75 offset1:76
	s_wait_dscnt 0x1
	v_fmac_f64_e32 v[130:131], v[128:129], v[108:109]
	s_wait_loadcnt 0x4
	s_delay_alu instid0(VALU_DEP_1)
	v_fmac_f64_e32 v[130:131], v[96:97], v[110:111]
	scratch_load_b128 v[108:111], off, off offset:304
	s_wait_dscnt 0x0
	v_fmac_f64_e32 v[130:131], v[98:99], v[112:113]
	scratch_load_b128 v[96:99], off, off offset:320
	s_wait_loadcnt 0x5
	v_fmac_f64_e32 v[130:131], v[122:123], v[114:115]
	ds_load_2addr_b64 v[112:115], v2 offset0:77 offset1:78
	ds_load_2addr_b64 v[126:129], v2 offset0:79 offset1:80
	scratch_load_b64 v[122:123], off, off offset:352
	s_wait_dscnt 0x1
	v_fmac_f64_e32 v[130:131], v[124:125], v[112:113]
	s_wait_loadcnt 0x5
	s_delay_alu instid0(VALU_DEP_1) | instskip(SKIP_4) | instid1(VALU_DEP_1)
	v_fmac_f64_e32 v[130:131], v[100:101], v[114:115]
	scratch_load_b128 v[112:115], off, off offset:336
	s_wait_dscnt 0x0
	v_fmac_f64_e32 v[130:131], v[102:103], v[126:127]
	s_wait_loadcnt 0x5
	v_fmac_f64_e32 v[130:131], v[118:119], v[128:129]
	ds_load_2addr_b64 v[100:103], v2 offset0:81 offset1:82
	ds_load_2addr_b64 v[116:119], v2 offset0:83 offset1:84
	s_wait_dscnt 0x1
	v_fmac_f64_e32 v[130:131], v[120:121], v[100:101]
	s_wait_loadcnt 0x4
	s_delay_alu instid0(VALU_DEP_1) | instskip(SKIP_1) | instid1(VALU_DEP_1)
	v_fmac_f64_e32 v[130:131], v[104:105], v[102:103]
	s_wait_dscnt 0x0
	v_fmac_f64_e32 v[130:131], v[106:107], v[116:117]
	ds_load_2addr_b64 v[100:103], v2 offset0:85 offset1:86
	ds_load_2addr_b64 v[104:107], v2 offset0:87 offset1:88
	s_wait_loadcnt 0x3
	v_fmac_f64_e32 v[130:131], v[108:109], v[118:119]
	s_wait_dscnt 0x1
	s_delay_alu instid0(VALU_DEP_1) | instskip(SKIP_1) | instid1(VALU_DEP_1)
	v_fmac_f64_e32 v[130:131], v[110:111], v[100:101]
	s_wait_loadcnt 0x2
	v_fmac_f64_e32 v[130:131], v[96:97], v[102:103]
	s_wait_dscnt 0x0
	s_delay_alu instid0(VALU_DEP_1) | instskip(SKIP_4) | instid1(VALU_DEP_1)
	v_fmac_f64_e32 v[130:131], v[98:99], v[104:105]
	ds_load_2addr_b64 v[96:99], v2 offset0:89 offset1:90
	s_wait_loadcnt 0x0
	v_fmac_f64_e32 v[130:131], v[112:113], v[106:107]
	s_wait_dscnt 0x0
	v_fmac_f64_e32 v[130:131], v[114:115], v[96:97]
	s_delay_alu instid0(VALU_DEP_1) | instskip(NEXT) | instid1(VALU_DEP_1)
	v_fmac_f64_e32 v[130:131], v[122:123], v[98:99]
	v_add_f64_e64 v[2:3], v[94:95], -v[130:131]
	scratch_store_b64 off, v[2:3], off offset:112
	s_wait_xcnt 0x0
	v_cmpx_lt_u32_e32 13, v0
	s_cbranch_execz .LBB44_253
; %bb.252:
	scratch_load_b64 v[2:3], off, off offset:104
	v_mov_b64_e32 v[94:95], 0
	scratch_store_b64 off, v[94:95], off offset:104
	s_wait_loadcnt 0x0
	ds_store_b64 v1, v[2:3]
.LBB44_253:
	s_wait_xcnt 0x0
	s_or_b32 exec_lo, exec_lo, s0
	s_wait_storecnt_dscnt 0x0
	s_barrier_signal -1
	s_barrier_wait -1
	s_clause 0x5
	scratch_load_b128 v[94:97], off, off offset:104
	scratch_load_b128 v[98:101], off, off offset:120
	;; [unrolled: 1-line block ×6, first 2 shown]
	v_mov_b32_e32 v2, 0
	ds_load_b128 v[118:121], v2 offset:480
	ds_load_b128 v[122:125], v2 offset:496
	scratch_load_b128 v[126:129], off, off offset:200
	s_mov_b32 s0, exec_lo
	s_wait_loadcnt_dscnt 0x601
	v_fma_f64 v[130:131], v[96:97], v[118:119], 0
	s_wait_loadcnt 0x5
	s_delay_alu instid0(VALU_DEP_1) | instskip(SKIP_4) | instid1(VALU_DEP_1)
	v_fmac_f64_e32 v[130:131], v[98:99], v[120:121]
	scratch_load_b128 v[96:99], off, off offset:216
	s_wait_dscnt 0x0
	v_fmac_f64_e32 v[130:131], v[100:101], v[122:123]
	s_wait_loadcnt 0x5
	v_fmac_f64_e32 v[130:131], v[102:103], v[124:125]
	ds_load_b128 v[100:103], v2 offset:512
	ds_load_b128 v[118:121], v2 offset:528
	scratch_load_b128 v[122:125], off, off offset:232
	s_wait_dscnt 0x1
	v_fmac_f64_e32 v[130:131], v[104:105], v[100:101]
	s_wait_loadcnt 0x5
	s_delay_alu instid0(VALU_DEP_1) | instskip(SKIP_4) | instid1(VALU_DEP_1)
	v_fmac_f64_e32 v[130:131], v[106:107], v[102:103]
	scratch_load_b128 v[100:103], off, off offset:248
	s_wait_dscnt 0x0
	v_fmac_f64_e32 v[130:131], v[108:109], v[118:119]
	s_wait_loadcnt 0x5
	v_fmac_f64_e32 v[130:131], v[110:111], v[120:121]
	ds_load_b128 v[104:107], v2 offset:544
	ds_load_b128 v[108:111], v2 offset:560
	scratch_load_b128 v[118:121], off, off offset:264
	s_wait_dscnt 0x1
	v_fmac_f64_e32 v[130:131], v[112:113], v[104:105]
	s_wait_loadcnt 0x5
	s_delay_alu instid0(VALU_DEP_1) | instskip(SKIP_4) | instid1(VALU_DEP_1)
	v_fmac_f64_e32 v[130:131], v[114:115], v[106:107]
	scratch_load_b128 v[104:107], off, off offset:280
	s_wait_dscnt 0x0
	v_fmac_f64_e32 v[130:131], v[116:117], v[108:109]
	s_wait_loadcnt 0x5
	v_fmac_f64_e32 v[130:131], v[126:127], v[110:111]
	ds_load_b128 v[108:111], v2 offset:576
	ds_load_b128 v[112:115], v2 offset:592
	s_wait_dscnt 0x1
	v_fmac_f64_e32 v[130:131], v[128:129], v[108:109]
	s_wait_loadcnt 0x4
	s_delay_alu instid0(VALU_DEP_1)
	v_fmac_f64_e32 v[130:131], v[96:97], v[110:111]
	scratch_load_b128 v[108:111], off, off offset:296
	s_wait_dscnt 0x0
	v_fmac_f64_e32 v[130:131], v[98:99], v[112:113]
	scratch_load_b128 v[96:99], off, off offset:312
	s_wait_loadcnt 0x5
	v_fmac_f64_e32 v[130:131], v[122:123], v[114:115]
	ds_load_b128 v[112:115], v2 offset:608
	ds_load_b128 v[126:129], v2 offset:624
	s_wait_dscnt 0x1
	v_fmac_f64_e32 v[130:131], v[124:125], v[112:113]
	s_wait_loadcnt 0x4
	s_delay_alu instid0(VALU_DEP_1)
	v_fmac_f64_e32 v[130:131], v[100:101], v[114:115]
	scratch_load_b128 v[112:115], off, off offset:328
	s_wait_dscnt 0x0
	v_fmac_f64_e32 v[130:131], v[102:103], v[126:127]
	scratch_load_b128 v[100:103], off, off offset:344
	s_wait_loadcnt 0x5
	v_fmac_f64_e32 v[130:131], v[118:119], v[128:129]
	ds_load_b128 v[116:119], v2 offset:640
	ds_load_b128 v[122:125], v2 offset:656
	s_wait_dscnt 0x1
	v_fmac_f64_e32 v[130:131], v[120:121], v[116:117]
	s_wait_loadcnt 0x4
	s_delay_alu instid0(VALU_DEP_1) | instskip(SKIP_1) | instid1(VALU_DEP_1)
	v_fmac_f64_e32 v[130:131], v[104:105], v[118:119]
	s_wait_dscnt 0x0
	v_fmac_f64_e32 v[130:131], v[106:107], v[122:123]
	ds_load_b128 v[104:107], v2 offset:672
	ds_load_b128 v[116:119], v2 offset:688
	s_wait_loadcnt 0x3
	v_fmac_f64_e32 v[130:131], v[108:109], v[124:125]
	s_wait_dscnt 0x1
	s_delay_alu instid0(VALU_DEP_1) | instskip(SKIP_1) | instid1(VALU_DEP_1)
	v_fmac_f64_e32 v[130:131], v[110:111], v[104:105]
	s_wait_loadcnt 0x2
	v_fmac_f64_e32 v[130:131], v[96:97], v[106:107]
	s_wait_dscnt 0x0
	s_delay_alu instid0(VALU_DEP_1)
	v_fmac_f64_e32 v[130:131], v[98:99], v[116:117]
	ds_load_b128 v[96:99], v2 offset:704
	ds_load_b64 v[104:105], v2 offset:720
	s_wait_loadcnt 0x1
	v_fmac_f64_e32 v[130:131], v[112:113], v[118:119]
	s_wait_dscnt 0x1
	s_delay_alu instid0(VALU_DEP_1) | instskip(SKIP_1) | instid1(VALU_DEP_1)
	v_fmac_f64_e32 v[130:131], v[114:115], v[96:97]
	s_wait_loadcnt 0x0
	v_fmac_f64_e32 v[130:131], v[100:101], v[98:99]
	s_wait_dscnt 0x0
	s_delay_alu instid0(VALU_DEP_1) | instskip(NEXT) | instid1(VALU_DEP_1)
	v_fmac_f64_e32 v[130:131], v[102:103], v[104:105]
	v_add_f64_e64 v[94:95], v[94:95], -v[130:131]
	scratch_store_b64 off, v[94:95], off offset:104
	s_wait_xcnt 0x0
	v_cmpx_lt_u32_e32 12, v0
	s_cbranch_execz .LBB44_255
; %bb.254:
	scratch_load_b64 v[94:95], off, off offset:96
	v_mov_b64_e32 v[96:97], 0
	scratch_store_b64 off, v[96:97], off offset:96
	s_wait_loadcnt 0x0
	ds_store_b64 v1, v[94:95]
.LBB44_255:
	s_wait_xcnt 0x0
	s_or_b32 exec_lo, exec_lo, s0
	s_wait_storecnt_dscnt 0x0
	s_barrier_signal -1
	s_barrier_wait -1
	s_clause 0x5
	scratch_load_b128 v[94:97], off, off offset:96
	scratch_load_b128 v[98:101], off, off offset:112
	;; [unrolled: 1-line block ×6, first 2 shown]
	ds_load_2addr_b64 v[118:121], v2 offset0:59 offset1:60
	ds_load_2addr_b64 v[122:125], v2 offset0:61 offset1:62
	scratch_load_b128 v[126:129], off, off offset:192
	s_mov_b32 s0, exec_lo
	s_wait_loadcnt_dscnt 0x601
	v_fma_f64 v[130:131], v[96:97], v[118:119], 0
	s_wait_loadcnt 0x5
	s_delay_alu instid0(VALU_DEP_1) | instskip(SKIP_4) | instid1(VALU_DEP_1)
	v_fmac_f64_e32 v[130:131], v[98:99], v[120:121]
	scratch_load_b128 v[96:99], off, off offset:208
	s_wait_dscnt 0x0
	v_fmac_f64_e32 v[130:131], v[100:101], v[122:123]
	s_wait_loadcnt 0x5
	v_fmac_f64_e32 v[130:131], v[102:103], v[124:125]
	ds_load_2addr_b64 v[100:103], v2 offset0:63 offset1:64
	ds_load_2addr_b64 v[118:121], v2 offset0:65 offset1:66
	scratch_load_b128 v[122:125], off, off offset:224
	s_wait_dscnt 0x1
	v_fmac_f64_e32 v[130:131], v[104:105], v[100:101]
	s_wait_loadcnt 0x5
	s_delay_alu instid0(VALU_DEP_1) | instskip(SKIP_4) | instid1(VALU_DEP_1)
	v_fmac_f64_e32 v[130:131], v[106:107], v[102:103]
	scratch_load_b128 v[100:103], off, off offset:240
	s_wait_dscnt 0x0
	v_fmac_f64_e32 v[130:131], v[108:109], v[118:119]
	s_wait_loadcnt 0x5
	v_fmac_f64_e32 v[130:131], v[110:111], v[120:121]
	ds_load_2addr_b64 v[104:107], v2 offset0:67 offset1:68
	ds_load_2addr_b64 v[108:111], v2 offset0:69 offset1:70
	scratch_load_b128 v[118:121], off, off offset:256
	s_wait_dscnt 0x1
	v_fmac_f64_e32 v[130:131], v[112:113], v[104:105]
	s_wait_loadcnt 0x5
	s_delay_alu instid0(VALU_DEP_1) | instskip(SKIP_4) | instid1(VALU_DEP_1)
	v_fmac_f64_e32 v[130:131], v[114:115], v[106:107]
	scratch_load_b128 v[104:107], off, off offset:272
	s_wait_dscnt 0x0
	v_fmac_f64_e32 v[130:131], v[116:117], v[108:109]
	s_wait_loadcnt 0x5
	v_fmac_f64_e32 v[130:131], v[126:127], v[110:111]
	ds_load_2addr_b64 v[108:111], v2 offset0:71 offset1:72
	ds_load_2addr_b64 v[112:115], v2 offset0:73 offset1:74
	s_wait_dscnt 0x1
	v_fmac_f64_e32 v[130:131], v[128:129], v[108:109]
	s_wait_loadcnt 0x4
	s_delay_alu instid0(VALU_DEP_1)
	v_fmac_f64_e32 v[130:131], v[96:97], v[110:111]
	scratch_load_b128 v[108:111], off, off offset:288
	s_wait_dscnt 0x0
	v_fmac_f64_e32 v[130:131], v[98:99], v[112:113]
	scratch_load_b128 v[96:99], off, off offset:304
	s_wait_loadcnt 0x5
	v_fmac_f64_e32 v[130:131], v[122:123], v[114:115]
	ds_load_2addr_b64 v[112:115], v2 offset0:75 offset1:76
	ds_load_2addr_b64 v[126:129], v2 offset0:77 offset1:78
	s_wait_dscnt 0x1
	v_fmac_f64_e32 v[130:131], v[124:125], v[112:113]
	s_wait_loadcnt 0x4
	s_delay_alu instid0(VALU_DEP_1)
	v_fmac_f64_e32 v[130:131], v[100:101], v[114:115]
	scratch_load_b128 v[112:115], off, off offset:320
	s_wait_dscnt 0x0
	v_fmac_f64_e32 v[130:131], v[102:103], v[126:127]
	scratch_load_b128 v[100:103], off, off offset:336
	s_wait_loadcnt 0x5
	v_fmac_f64_e32 v[130:131], v[118:119], v[128:129]
	ds_load_2addr_b64 v[116:119], v2 offset0:79 offset1:80
	ds_load_2addr_b64 v[122:125], v2 offset0:81 offset1:82
	s_wait_dscnt 0x1
	v_fmac_f64_e32 v[130:131], v[120:121], v[116:117]
	scratch_load_b64 v[120:121], off, off offset:352
	s_wait_loadcnt 0x5
	v_fmac_f64_e32 v[130:131], v[104:105], v[118:119]
	s_wait_dscnt 0x0
	s_delay_alu instid0(VALU_DEP_1)
	v_fmac_f64_e32 v[130:131], v[106:107], v[122:123]
	ds_load_2addr_b64 v[104:107], v2 offset0:83 offset1:84
	ds_load_2addr_b64 v[116:119], v2 offset0:85 offset1:86
	s_wait_loadcnt 0x4
	v_fmac_f64_e32 v[130:131], v[108:109], v[124:125]
	s_wait_dscnt 0x1
	s_delay_alu instid0(VALU_DEP_1) | instskip(SKIP_1) | instid1(VALU_DEP_1)
	v_fmac_f64_e32 v[130:131], v[110:111], v[104:105]
	s_wait_loadcnt 0x3
	v_fmac_f64_e32 v[130:131], v[96:97], v[106:107]
	s_wait_dscnt 0x0
	s_delay_alu instid0(VALU_DEP_1)
	v_fmac_f64_e32 v[130:131], v[98:99], v[116:117]
	ds_load_2addr_b64 v[96:99], v2 offset0:87 offset1:88
	ds_load_2addr_b64 v[104:107], v2 offset0:89 offset1:90
	s_wait_loadcnt 0x2
	v_fmac_f64_e32 v[130:131], v[112:113], v[118:119]
	s_wait_dscnt 0x1
	s_delay_alu instid0(VALU_DEP_1) | instskip(SKIP_1) | instid1(VALU_DEP_1)
	v_fmac_f64_e32 v[130:131], v[114:115], v[96:97]
	s_wait_loadcnt 0x1
	v_fmac_f64_e32 v[130:131], v[100:101], v[98:99]
	s_wait_dscnt 0x0
	s_delay_alu instid0(VALU_DEP_1) | instskip(SKIP_1) | instid1(VALU_DEP_1)
	v_fmac_f64_e32 v[130:131], v[102:103], v[104:105]
	s_wait_loadcnt 0x0
	v_fmac_f64_e32 v[130:131], v[120:121], v[106:107]
	s_delay_alu instid0(VALU_DEP_1)
	v_add_f64_e64 v[2:3], v[94:95], -v[130:131]
	scratch_store_b64 off, v[2:3], off offset:96
	s_wait_xcnt 0x0
	v_cmpx_lt_u32_e32 11, v0
	s_cbranch_execz .LBB44_257
; %bb.256:
	scratch_load_b64 v[2:3], off, off offset:88
	v_mov_b64_e32 v[94:95], 0
	scratch_store_b64 off, v[94:95], off offset:88
	s_wait_loadcnt 0x0
	ds_store_b64 v1, v[2:3]
.LBB44_257:
	s_wait_xcnt 0x0
	s_or_b32 exec_lo, exec_lo, s0
	s_wait_storecnt_dscnt 0x0
	s_barrier_signal -1
	s_barrier_wait -1
	s_clause 0x5
	scratch_load_b128 v[94:97], off, off offset:88
	scratch_load_b128 v[98:101], off, off offset:104
	;; [unrolled: 1-line block ×6, first 2 shown]
	v_mov_b32_e32 v2, 0
	ds_load_b128 v[118:121], v2 offset:464
	ds_load_b128 v[122:125], v2 offset:480
	scratch_load_b128 v[126:129], off, off offset:184
	s_mov_b32 s0, exec_lo
	s_wait_loadcnt_dscnt 0x601
	v_fma_f64 v[130:131], v[96:97], v[118:119], 0
	s_wait_loadcnt 0x5
	s_delay_alu instid0(VALU_DEP_1) | instskip(SKIP_4) | instid1(VALU_DEP_1)
	v_fmac_f64_e32 v[130:131], v[98:99], v[120:121]
	scratch_load_b128 v[96:99], off, off offset:200
	s_wait_dscnt 0x0
	v_fmac_f64_e32 v[130:131], v[100:101], v[122:123]
	s_wait_loadcnt 0x5
	v_fmac_f64_e32 v[130:131], v[102:103], v[124:125]
	ds_load_b128 v[100:103], v2 offset:496
	ds_load_b128 v[118:121], v2 offset:512
	scratch_load_b128 v[122:125], off, off offset:216
	s_wait_dscnt 0x1
	v_fmac_f64_e32 v[130:131], v[104:105], v[100:101]
	s_wait_loadcnt 0x5
	s_delay_alu instid0(VALU_DEP_1) | instskip(SKIP_4) | instid1(VALU_DEP_1)
	v_fmac_f64_e32 v[130:131], v[106:107], v[102:103]
	scratch_load_b128 v[100:103], off, off offset:232
	s_wait_dscnt 0x0
	v_fmac_f64_e32 v[130:131], v[108:109], v[118:119]
	s_wait_loadcnt 0x5
	v_fmac_f64_e32 v[130:131], v[110:111], v[120:121]
	ds_load_b128 v[104:107], v2 offset:528
	ds_load_b128 v[108:111], v2 offset:544
	scratch_load_b128 v[118:121], off, off offset:248
	s_wait_dscnt 0x1
	v_fmac_f64_e32 v[130:131], v[112:113], v[104:105]
	s_wait_loadcnt 0x5
	s_delay_alu instid0(VALU_DEP_1) | instskip(SKIP_4) | instid1(VALU_DEP_1)
	v_fmac_f64_e32 v[130:131], v[114:115], v[106:107]
	scratch_load_b128 v[104:107], off, off offset:264
	s_wait_dscnt 0x0
	v_fmac_f64_e32 v[130:131], v[116:117], v[108:109]
	s_wait_loadcnt 0x5
	v_fmac_f64_e32 v[130:131], v[126:127], v[110:111]
	ds_load_b128 v[108:111], v2 offset:560
	ds_load_b128 v[112:115], v2 offset:576
	s_wait_dscnt 0x1
	v_fmac_f64_e32 v[130:131], v[128:129], v[108:109]
	s_wait_loadcnt 0x4
	s_delay_alu instid0(VALU_DEP_1)
	v_fmac_f64_e32 v[130:131], v[96:97], v[110:111]
	scratch_load_b128 v[108:111], off, off offset:280
	s_wait_dscnt 0x0
	v_fmac_f64_e32 v[130:131], v[98:99], v[112:113]
	scratch_load_b128 v[96:99], off, off offset:296
	s_wait_loadcnt 0x5
	v_fmac_f64_e32 v[130:131], v[122:123], v[114:115]
	ds_load_b128 v[112:115], v2 offset:592
	ds_load_b128 v[126:129], v2 offset:608
	s_wait_dscnt 0x1
	v_fmac_f64_e32 v[130:131], v[124:125], v[112:113]
	s_wait_loadcnt 0x4
	s_delay_alu instid0(VALU_DEP_1)
	v_fmac_f64_e32 v[130:131], v[100:101], v[114:115]
	scratch_load_b128 v[112:115], off, off offset:312
	s_wait_dscnt 0x0
	v_fmac_f64_e32 v[130:131], v[102:103], v[126:127]
	scratch_load_b128 v[100:103], off, off offset:328
	s_wait_loadcnt 0x5
	v_fmac_f64_e32 v[130:131], v[118:119], v[128:129]
	ds_load_b128 v[116:119], v2 offset:624
	ds_load_b128 v[122:125], v2 offset:640
	s_wait_dscnt 0x1
	v_fmac_f64_e32 v[130:131], v[120:121], v[116:117]
	s_wait_loadcnt 0x4
	s_delay_alu instid0(VALU_DEP_1)
	v_fmac_f64_e32 v[130:131], v[104:105], v[118:119]
	scratch_load_b128 v[116:119], off, off offset:344
	s_wait_dscnt 0x0
	v_fmac_f64_e32 v[130:131], v[106:107], v[122:123]
	ds_load_b128 v[104:107], v2 offset:656
	ds_load_b128 v[120:123], v2 offset:672
	s_wait_loadcnt 0x4
	v_fmac_f64_e32 v[130:131], v[108:109], v[124:125]
	s_wait_dscnt 0x1
	s_delay_alu instid0(VALU_DEP_1) | instskip(SKIP_1) | instid1(VALU_DEP_1)
	v_fmac_f64_e32 v[130:131], v[110:111], v[104:105]
	s_wait_loadcnt 0x3
	v_fmac_f64_e32 v[130:131], v[96:97], v[106:107]
	s_wait_dscnt 0x0
	s_delay_alu instid0(VALU_DEP_1)
	v_fmac_f64_e32 v[130:131], v[98:99], v[120:121]
	ds_load_b128 v[96:99], v2 offset:688
	ds_load_b128 v[104:107], v2 offset:704
	s_wait_loadcnt 0x2
	v_fmac_f64_e32 v[130:131], v[112:113], v[122:123]
	s_wait_dscnt 0x1
	s_delay_alu instid0(VALU_DEP_1) | instskip(SKIP_4) | instid1(VALU_DEP_1)
	v_fmac_f64_e32 v[130:131], v[114:115], v[96:97]
	ds_load_b64 v[96:97], v2 offset:720
	s_wait_loadcnt 0x1
	v_fmac_f64_e32 v[130:131], v[100:101], v[98:99]
	s_wait_dscnt 0x1
	v_fmac_f64_e32 v[130:131], v[102:103], v[104:105]
	s_wait_loadcnt 0x0
	s_delay_alu instid0(VALU_DEP_1) | instskip(SKIP_1) | instid1(VALU_DEP_1)
	v_fmac_f64_e32 v[130:131], v[116:117], v[106:107]
	s_wait_dscnt 0x0
	v_fmac_f64_e32 v[130:131], v[118:119], v[96:97]
	s_delay_alu instid0(VALU_DEP_1)
	v_add_f64_e64 v[94:95], v[94:95], -v[130:131]
	scratch_store_b64 off, v[94:95], off offset:88
	s_wait_xcnt 0x0
	v_cmpx_lt_u32_e32 10, v0
	s_cbranch_execz .LBB44_259
; %bb.258:
	scratch_load_b64 v[94:95], off, off offset:80
	v_mov_b64_e32 v[96:97], 0
	scratch_store_b64 off, v[96:97], off offset:80
	s_wait_loadcnt 0x0
	ds_store_b64 v1, v[94:95]
.LBB44_259:
	s_wait_xcnt 0x0
	s_or_b32 exec_lo, exec_lo, s0
	s_wait_storecnt_dscnt 0x0
	s_barrier_signal -1
	s_barrier_wait -1
	s_clause 0x5
	scratch_load_b128 v[94:97], off, off offset:80
	scratch_load_b128 v[98:101], off, off offset:96
	;; [unrolled: 1-line block ×6, first 2 shown]
	ds_load_2addr_b64 v[118:121], v2 offset0:57 offset1:58
	ds_load_2addr_b64 v[122:125], v2 offset0:59 offset1:60
	scratch_load_b128 v[126:129], off, off offset:176
	s_mov_b32 s0, exec_lo
	s_wait_loadcnt_dscnt 0x601
	v_fma_f64 v[130:131], v[96:97], v[118:119], 0
	s_wait_loadcnt 0x5
	s_delay_alu instid0(VALU_DEP_1) | instskip(SKIP_4) | instid1(VALU_DEP_1)
	v_fmac_f64_e32 v[130:131], v[98:99], v[120:121]
	scratch_load_b128 v[96:99], off, off offset:192
	s_wait_dscnt 0x0
	v_fmac_f64_e32 v[130:131], v[100:101], v[122:123]
	s_wait_loadcnt 0x5
	v_fmac_f64_e32 v[130:131], v[102:103], v[124:125]
	ds_load_2addr_b64 v[100:103], v2 offset0:61 offset1:62
	ds_load_2addr_b64 v[118:121], v2 offset0:63 offset1:64
	scratch_load_b128 v[122:125], off, off offset:208
	s_wait_dscnt 0x1
	v_fmac_f64_e32 v[130:131], v[104:105], v[100:101]
	s_wait_loadcnt 0x5
	s_delay_alu instid0(VALU_DEP_1) | instskip(SKIP_4) | instid1(VALU_DEP_1)
	v_fmac_f64_e32 v[130:131], v[106:107], v[102:103]
	scratch_load_b128 v[100:103], off, off offset:224
	s_wait_dscnt 0x0
	v_fmac_f64_e32 v[130:131], v[108:109], v[118:119]
	s_wait_loadcnt 0x5
	v_fmac_f64_e32 v[130:131], v[110:111], v[120:121]
	ds_load_2addr_b64 v[104:107], v2 offset0:65 offset1:66
	ds_load_2addr_b64 v[108:111], v2 offset0:67 offset1:68
	scratch_load_b128 v[118:121], off, off offset:240
	s_wait_dscnt 0x1
	v_fmac_f64_e32 v[130:131], v[112:113], v[104:105]
	s_wait_loadcnt 0x5
	s_delay_alu instid0(VALU_DEP_1) | instskip(SKIP_4) | instid1(VALU_DEP_1)
	v_fmac_f64_e32 v[130:131], v[114:115], v[106:107]
	scratch_load_b128 v[104:107], off, off offset:256
	s_wait_dscnt 0x0
	v_fmac_f64_e32 v[130:131], v[116:117], v[108:109]
	s_wait_loadcnt 0x5
	v_fmac_f64_e32 v[130:131], v[126:127], v[110:111]
	ds_load_2addr_b64 v[108:111], v2 offset0:69 offset1:70
	ds_load_2addr_b64 v[112:115], v2 offset0:71 offset1:72
	s_wait_dscnt 0x1
	v_fmac_f64_e32 v[130:131], v[128:129], v[108:109]
	scratch_load_b128 v[126:129], off, off offset:272
	s_wait_loadcnt 0x5
	v_fmac_f64_e32 v[130:131], v[96:97], v[110:111]
	s_wait_dscnt 0x0
	s_delay_alu instid0(VALU_DEP_1)
	v_fmac_f64_e32 v[130:131], v[98:99], v[112:113]
	scratch_load_b128 v[96:99], off, off offset:288
	s_wait_loadcnt 0x5
	v_fmac_f64_e32 v[130:131], v[122:123], v[114:115]
	ds_load_2addr_b64 v[108:111], v2 offset0:73 offset1:74
	ds_load_2addr_b64 v[112:115], v2 offset0:75 offset1:76
	s_wait_dscnt 0x1
	v_fmac_f64_e32 v[130:131], v[124:125], v[108:109]
	s_wait_loadcnt 0x4
	s_delay_alu instid0(VALU_DEP_1)
	v_fmac_f64_e32 v[130:131], v[100:101], v[110:111]
	scratch_load_b128 v[108:111], off, off offset:304
	s_wait_dscnt 0x0
	v_fmac_f64_e32 v[130:131], v[102:103], v[112:113]
	scratch_load_b128 v[100:103], off, off offset:320
	s_wait_loadcnt 0x5
	v_fmac_f64_e32 v[130:131], v[118:119], v[114:115]
	ds_load_2addr_b64 v[112:115], v2 offset0:77 offset1:78
	ds_load_2addr_b64 v[116:119], v2 offset0:79 offset1:80
	s_wait_dscnt 0x1
	v_fmac_f64_e32 v[130:131], v[120:121], v[112:113]
	scratch_load_b64 v[120:121], off, off offset:352
	s_wait_loadcnt 0x5
	v_fmac_f64_e32 v[130:131], v[104:105], v[114:115]
	scratch_load_b128 v[112:115], off, off offset:336
	s_wait_dscnt 0x0
	v_fmac_f64_e32 v[130:131], v[106:107], v[116:117]
	s_wait_loadcnt 0x5
	s_delay_alu instid0(VALU_DEP_1)
	v_fmac_f64_e32 v[130:131], v[126:127], v[118:119]
	ds_load_2addr_b64 v[104:107], v2 offset0:81 offset1:82
	ds_load_2addr_b64 v[116:119], v2 offset0:83 offset1:84
	s_wait_dscnt 0x1
	v_fmac_f64_e32 v[130:131], v[128:129], v[104:105]
	s_wait_loadcnt 0x4
	s_delay_alu instid0(VALU_DEP_1) | instskip(SKIP_1) | instid1(VALU_DEP_1)
	v_fmac_f64_e32 v[130:131], v[96:97], v[106:107]
	s_wait_dscnt 0x0
	v_fmac_f64_e32 v[130:131], v[98:99], v[116:117]
	ds_load_2addr_b64 v[96:99], v2 offset0:85 offset1:86
	ds_load_2addr_b64 v[104:107], v2 offset0:87 offset1:88
	s_wait_loadcnt 0x3
	v_fmac_f64_e32 v[130:131], v[108:109], v[118:119]
	s_wait_dscnt 0x1
	s_delay_alu instid0(VALU_DEP_1) | instskip(SKIP_1) | instid1(VALU_DEP_1)
	v_fmac_f64_e32 v[130:131], v[110:111], v[96:97]
	s_wait_loadcnt 0x2
	v_fmac_f64_e32 v[130:131], v[100:101], v[98:99]
	ds_load_2addr_b64 v[96:99], v2 offset0:89 offset1:90
	s_wait_dscnt 0x1
	v_fmac_f64_e32 v[130:131], v[102:103], v[104:105]
	s_wait_loadcnt 0x0
	s_delay_alu instid0(VALU_DEP_1) | instskip(SKIP_1) | instid1(VALU_DEP_1)
	v_fmac_f64_e32 v[130:131], v[112:113], v[106:107]
	s_wait_dscnt 0x0
	v_fmac_f64_e32 v[130:131], v[114:115], v[96:97]
	s_delay_alu instid0(VALU_DEP_1) | instskip(NEXT) | instid1(VALU_DEP_1)
	v_fmac_f64_e32 v[130:131], v[120:121], v[98:99]
	v_add_f64_e64 v[2:3], v[94:95], -v[130:131]
	scratch_store_b64 off, v[2:3], off offset:80
	s_wait_xcnt 0x0
	v_cmpx_lt_u32_e32 9, v0
	s_cbranch_execz .LBB44_261
; %bb.260:
	scratch_load_b64 v[2:3], off, off offset:72
	v_mov_b64_e32 v[94:95], 0
	scratch_store_b64 off, v[94:95], off offset:72
	s_wait_loadcnt 0x0
	ds_store_b64 v1, v[2:3]
.LBB44_261:
	s_wait_xcnt 0x0
	s_or_b32 exec_lo, exec_lo, s0
	s_wait_storecnt_dscnt 0x0
	s_barrier_signal -1
	s_barrier_wait -1
	s_clause 0x5
	scratch_load_b128 v[94:97], off, off offset:72
	scratch_load_b128 v[98:101], off, off offset:88
	;; [unrolled: 1-line block ×6, first 2 shown]
	v_mov_b32_e32 v2, 0
	ds_load_b128 v[118:121], v2 offset:448
	ds_load_b128 v[122:125], v2 offset:464
	scratch_load_b128 v[126:129], off, off offset:168
	s_mov_b32 s0, exec_lo
	s_wait_loadcnt_dscnt 0x601
	v_fma_f64 v[130:131], v[96:97], v[118:119], 0
	s_wait_loadcnt 0x5
	s_delay_alu instid0(VALU_DEP_1) | instskip(SKIP_4) | instid1(VALU_DEP_1)
	v_fmac_f64_e32 v[130:131], v[98:99], v[120:121]
	scratch_load_b128 v[96:99], off, off offset:184
	s_wait_dscnt 0x0
	v_fmac_f64_e32 v[130:131], v[100:101], v[122:123]
	s_wait_loadcnt 0x5
	v_fmac_f64_e32 v[130:131], v[102:103], v[124:125]
	ds_load_b128 v[100:103], v2 offset:480
	ds_load_b128 v[118:121], v2 offset:496
	scratch_load_b128 v[122:125], off, off offset:200
	s_wait_dscnt 0x1
	v_fmac_f64_e32 v[130:131], v[104:105], v[100:101]
	s_wait_loadcnt 0x5
	s_delay_alu instid0(VALU_DEP_1) | instskip(SKIP_4) | instid1(VALU_DEP_1)
	v_fmac_f64_e32 v[130:131], v[106:107], v[102:103]
	scratch_load_b128 v[100:103], off, off offset:216
	s_wait_dscnt 0x0
	v_fmac_f64_e32 v[130:131], v[108:109], v[118:119]
	s_wait_loadcnt 0x5
	v_fmac_f64_e32 v[130:131], v[110:111], v[120:121]
	ds_load_b128 v[104:107], v2 offset:512
	ds_load_b128 v[108:111], v2 offset:528
	scratch_load_b128 v[118:121], off, off offset:232
	s_wait_dscnt 0x1
	v_fmac_f64_e32 v[130:131], v[112:113], v[104:105]
	s_wait_loadcnt 0x5
	s_delay_alu instid0(VALU_DEP_1) | instskip(SKIP_4) | instid1(VALU_DEP_1)
	v_fmac_f64_e32 v[130:131], v[114:115], v[106:107]
	scratch_load_b128 v[104:107], off, off offset:248
	s_wait_dscnt 0x0
	v_fmac_f64_e32 v[130:131], v[116:117], v[108:109]
	s_wait_loadcnt 0x5
	v_fmac_f64_e32 v[130:131], v[126:127], v[110:111]
	ds_load_b128 v[108:111], v2 offset:544
	ds_load_b128 v[112:115], v2 offset:560
	s_wait_dscnt 0x1
	v_fmac_f64_e32 v[130:131], v[128:129], v[108:109]
	scratch_load_b128 v[126:129], off, off offset:264
	s_wait_loadcnt 0x5
	v_fmac_f64_e32 v[130:131], v[96:97], v[110:111]
	s_wait_dscnt 0x0
	s_delay_alu instid0(VALU_DEP_1)
	v_fmac_f64_e32 v[130:131], v[98:99], v[112:113]
	scratch_load_b128 v[96:99], off, off offset:280
	s_wait_loadcnt 0x5
	v_fmac_f64_e32 v[130:131], v[122:123], v[114:115]
	ds_load_b128 v[108:111], v2 offset:576
	ds_load_b128 v[112:115], v2 offset:592
	s_wait_dscnt 0x1
	v_fmac_f64_e32 v[130:131], v[124:125], v[108:109]
	s_wait_loadcnt 0x4
	s_delay_alu instid0(VALU_DEP_1)
	v_fmac_f64_e32 v[130:131], v[100:101], v[110:111]
	scratch_load_b128 v[108:111], off, off offset:296
	s_wait_dscnt 0x0
	v_fmac_f64_e32 v[130:131], v[102:103], v[112:113]
	scratch_load_b128 v[100:103], off, off offset:312
	s_wait_loadcnt 0x5
	v_fmac_f64_e32 v[130:131], v[118:119], v[114:115]
	ds_load_b128 v[112:115], v2 offset:608
	ds_load_b128 v[116:119], v2 offset:624
	s_wait_dscnt 0x1
	v_fmac_f64_e32 v[130:131], v[120:121], v[112:113]
	s_wait_loadcnt 0x4
	s_delay_alu instid0(VALU_DEP_1)
	v_fmac_f64_e32 v[130:131], v[104:105], v[114:115]
	scratch_load_b128 v[112:115], off, off offset:328
	s_wait_dscnt 0x0
	v_fmac_f64_e32 v[130:131], v[106:107], v[116:117]
	scratch_load_b128 v[104:107], off, off offset:344
	s_wait_loadcnt 0x5
	v_fmac_f64_e32 v[130:131], v[126:127], v[118:119]
	ds_load_b128 v[116:119], v2 offset:640
	ds_load_b128 v[120:123], v2 offset:656
	s_wait_dscnt 0x1
	v_fmac_f64_e32 v[130:131], v[128:129], v[116:117]
	s_wait_loadcnt 0x4
	s_delay_alu instid0(VALU_DEP_1) | instskip(SKIP_1) | instid1(VALU_DEP_1)
	v_fmac_f64_e32 v[130:131], v[96:97], v[118:119]
	s_wait_dscnt 0x0
	v_fmac_f64_e32 v[130:131], v[98:99], v[120:121]
	ds_load_b128 v[96:99], v2 offset:672
	ds_load_b128 v[116:119], v2 offset:688
	s_wait_loadcnt 0x3
	v_fmac_f64_e32 v[130:131], v[108:109], v[122:123]
	s_wait_dscnt 0x1
	s_delay_alu instid0(VALU_DEP_1) | instskip(SKIP_1) | instid1(VALU_DEP_1)
	v_fmac_f64_e32 v[130:131], v[110:111], v[96:97]
	s_wait_loadcnt 0x2
	v_fmac_f64_e32 v[130:131], v[100:101], v[98:99]
	ds_load_b128 v[96:99], v2 offset:704
	ds_load_b64 v[100:101], v2 offset:720
	s_wait_dscnt 0x2
	v_fmac_f64_e32 v[130:131], v[102:103], v[116:117]
	s_wait_loadcnt 0x1
	s_delay_alu instid0(VALU_DEP_1) | instskip(SKIP_1) | instid1(VALU_DEP_1)
	v_fmac_f64_e32 v[130:131], v[112:113], v[118:119]
	s_wait_dscnt 0x1
	v_fmac_f64_e32 v[130:131], v[114:115], v[96:97]
	s_wait_loadcnt 0x0
	s_delay_alu instid0(VALU_DEP_1) | instskip(SKIP_1) | instid1(VALU_DEP_1)
	v_fmac_f64_e32 v[130:131], v[104:105], v[98:99]
	s_wait_dscnt 0x0
	v_fmac_f64_e32 v[130:131], v[106:107], v[100:101]
	s_delay_alu instid0(VALU_DEP_1)
	v_add_f64_e64 v[94:95], v[94:95], -v[130:131]
	scratch_store_b64 off, v[94:95], off offset:72
	s_wait_xcnt 0x0
	v_cmpx_lt_u32_e32 8, v0
	s_cbranch_execz .LBB44_263
; %bb.262:
	scratch_load_b64 v[94:95], off, off offset:64
	v_mov_b64_e32 v[96:97], 0
	scratch_store_b64 off, v[96:97], off offset:64
	s_wait_loadcnt 0x0
	ds_store_b64 v1, v[94:95]
.LBB44_263:
	s_wait_xcnt 0x0
	s_or_b32 exec_lo, exec_lo, s0
	s_wait_storecnt_dscnt 0x0
	s_barrier_signal -1
	s_barrier_wait -1
	s_clause 0x5
	scratch_load_b128 v[94:97], off, off offset:64
	scratch_load_b128 v[98:101], off, off offset:80
	;; [unrolled: 1-line block ×6, first 2 shown]
	ds_load_2addr_b64 v[118:121], v2 offset0:55 offset1:56
	ds_load_2addr_b64 v[122:125], v2 offset0:57 offset1:58
	scratch_load_b128 v[126:129], off, off offset:160
	s_mov_b32 s0, exec_lo
	s_wait_loadcnt_dscnt 0x601
	v_fma_f64 v[130:131], v[96:97], v[118:119], 0
	s_wait_loadcnt 0x5
	s_delay_alu instid0(VALU_DEP_1) | instskip(SKIP_4) | instid1(VALU_DEP_1)
	v_fmac_f64_e32 v[130:131], v[98:99], v[120:121]
	scratch_load_b128 v[96:99], off, off offset:176
	s_wait_dscnt 0x0
	v_fmac_f64_e32 v[130:131], v[100:101], v[122:123]
	s_wait_loadcnt 0x5
	v_fmac_f64_e32 v[130:131], v[102:103], v[124:125]
	ds_load_2addr_b64 v[100:103], v2 offset0:59 offset1:60
	ds_load_2addr_b64 v[118:121], v2 offset0:61 offset1:62
	scratch_load_b128 v[122:125], off, off offset:192
	s_wait_dscnt 0x1
	v_fmac_f64_e32 v[130:131], v[104:105], v[100:101]
	s_wait_loadcnt 0x5
	s_delay_alu instid0(VALU_DEP_1) | instskip(SKIP_4) | instid1(VALU_DEP_1)
	v_fmac_f64_e32 v[130:131], v[106:107], v[102:103]
	scratch_load_b128 v[100:103], off, off offset:208
	s_wait_dscnt 0x0
	v_fmac_f64_e32 v[130:131], v[108:109], v[118:119]
	s_wait_loadcnt 0x5
	v_fmac_f64_e32 v[130:131], v[110:111], v[120:121]
	ds_load_2addr_b64 v[104:107], v2 offset0:63 offset1:64
	ds_load_2addr_b64 v[108:111], v2 offset0:65 offset1:66
	scratch_load_b128 v[118:121], off, off offset:224
	s_wait_dscnt 0x1
	v_fmac_f64_e32 v[130:131], v[112:113], v[104:105]
	s_wait_loadcnt 0x5
	s_delay_alu instid0(VALU_DEP_1) | instskip(SKIP_4) | instid1(VALU_DEP_1)
	v_fmac_f64_e32 v[130:131], v[114:115], v[106:107]
	scratch_load_b128 v[104:107], off, off offset:240
	s_wait_dscnt 0x0
	v_fmac_f64_e32 v[130:131], v[116:117], v[108:109]
	s_wait_loadcnt 0x5
	v_fmac_f64_e32 v[130:131], v[126:127], v[110:111]
	ds_load_2addr_b64 v[108:111], v2 offset0:67 offset1:68
	ds_load_2addr_b64 v[112:115], v2 offset0:69 offset1:70
	s_wait_dscnt 0x1
	v_fmac_f64_e32 v[130:131], v[128:129], v[108:109]
	scratch_load_b128 v[126:129], off, off offset:256
	s_wait_loadcnt 0x5
	v_fmac_f64_e32 v[130:131], v[96:97], v[110:111]
	s_wait_dscnt 0x0
	s_delay_alu instid0(VALU_DEP_1)
	v_fmac_f64_e32 v[130:131], v[98:99], v[112:113]
	scratch_load_b128 v[96:99], off, off offset:272
	s_wait_loadcnt 0x5
	v_fmac_f64_e32 v[130:131], v[122:123], v[114:115]
	ds_load_2addr_b64 v[108:111], v2 offset0:71 offset1:72
	ds_load_2addr_b64 v[112:115], v2 offset0:73 offset1:74
	s_wait_dscnt 0x1
	v_fmac_f64_e32 v[130:131], v[124:125], v[108:109]
	s_wait_loadcnt 0x4
	s_delay_alu instid0(VALU_DEP_1)
	v_fmac_f64_e32 v[130:131], v[100:101], v[110:111]
	scratch_load_b128 v[108:111], off, off offset:288
	s_wait_dscnt 0x0
	v_fmac_f64_e32 v[130:131], v[102:103], v[112:113]
	scratch_load_b128 v[100:103], off, off offset:304
	s_wait_loadcnt 0x5
	v_fmac_f64_e32 v[130:131], v[118:119], v[114:115]
	ds_load_2addr_b64 v[112:115], v2 offset0:75 offset1:76
	ds_load_2addr_b64 v[116:119], v2 offset0:77 offset1:78
	s_wait_dscnt 0x1
	v_fmac_f64_e32 v[130:131], v[120:121], v[112:113]
	s_wait_loadcnt 0x4
	s_delay_alu instid0(VALU_DEP_1)
	v_fmac_f64_e32 v[130:131], v[104:105], v[114:115]
	scratch_load_b128 v[112:115], off, off offset:320
	s_wait_dscnt 0x0
	v_fmac_f64_e32 v[130:131], v[106:107], v[116:117]
	scratch_load_b128 v[104:107], off, off offset:336
	s_wait_loadcnt 0x5
	v_fmac_f64_e32 v[130:131], v[126:127], v[118:119]
	ds_load_2addr_b64 v[116:119], v2 offset0:79 offset1:80
	ds_load_2addr_b64 v[120:123], v2 offset0:81 offset1:82
	scratch_load_b64 v[124:125], off, off offset:352
	s_wait_dscnt 0x1
	v_fmac_f64_e32 v[130:131], v[128:129], v[116:117]
	s_wait_loadcnt 0x5
	s_delay_alu instid0(VALU_DEP_1) | instskip(SKIP_1) | instid1(VALU_DEP_1)
	v_fmac_f64_e32 v[130:131], v[96:97], v[118:119]
	s_wait_dscnt 0x0
	v_fmac_f64_e32 v[130:131], v[98:99], v[120:121]
	ds_load_2addr_b64 v[96:99], v2 offset0:83 offset1:84
	ds_load_2addr_b64 v[116:119], v2 offset0:85 offset1:86
	s_wait_loadcnt 0x4
	v_fmac_f64_e32 v[130:131], v[108:109], v[122:123]
	s_wait_dscnt 0x1
	s_delay_alu instid0(VALU_DEP_1) | instskip(SKIP_1) | instid1(VALU_DEP_1)
	v_fmac_f64_e32 v[130:131], v[110:111], v[96:97]
	s_wait_loadcnt 0x3
	v_fmac_f64_e32 v[130:131], v[100:101], v[98:99]
	s_wait_dscnt 0x0
	s_delay_alu instid0(VALU_DEP_1)
	v_fmac_f64_e32 v[130:131], v[102:103], v[116:117]
	ds_load_2addr_b64 v[96:99], v2 offset0:87 offset1:88
	ds_load_2addr_b64 v[100:103], v2 offset0:89 offset1:90
	s_wait_loadcnt 0x2
	v_fmac_f64_e32 v[130:131], v[112:113], v[118:119]
	s_wait_dscnt 0x1
	s_delay_alu instid0(VALU_DEP_1) | instskip(SKIP_1) | instid1(VALU_DEP_1)
	v_fmac_f64_e32 v[130:131], v[114:115], v[96:97]
	s_wait_loadcnt 0x1
	v_fmac_f64_e32 v[130:131], v[104:105], v[98:99]
	s_wait_dscnt 0x0
	s_delay_alu instid0(VALU_DEP_1) | instskip(SKIP_1) | instid1(VALU_DEP_1)
	v_fmac_f64_e32 v[130:131], v[106:107], v[100:101]
	s_wait_loadcnt 0x0
	v_fmac_f64_e32 v[130:131], v[124:125], v[102:103]
	s_delay_alu instid0(VALU_DEP_1)
	v_add_f64_e64 v[2:3], v[94:95], -v[130:131]
	scratch_store_b64 off, v[2:3], off offset:64
	s_wait_xcnt 0x0
	v_cmpx_lt_u32_e32 7, v0
	s_cbranch_execz .LBB44_265
; %bb.264:
	scratch_load_b64 v[2:3], off, off offset:56
	v_mov_b64_e32 v[94:95], 0
	scratch_store_b64 off, v[94:95], off offset:56
	s_wait_loadcnt 0x0
	ds_store_b64 v1, v[2:3]
.LBB44_265:
	s_wait_xcnt 0x0
	s_or_b32 exec_lo, exec_lo, s0
	s_wait_storecnt_dscnt 0x0
	s_barrier_signal -1
	s_barrier_wait -1
	s_clause 0x5
	scratch_load_b128 v[94:97], off, off offset:56
	scratch_load_b128 v[98:101], off, off offset:72
	;; [unrolled: 1-line block ×6, first 2 shown]
	v_mov_b32_e32 v2, 0
	ds_load_b128 v[118:121], v2 offset:432
	ds_load_b128 v[122:125], v2 offset:448
	scratch_load_b128 v[126:129], off, off offset:152
	s_mov_b32 s0, exec_lo
	s_wait_loadcnt_dscnt 0x601
	v_fma_f64 v[130:131], v[96:97], v[118:119], 0
	s_wait_loadcnt 0x5
	s_delay_alu instid0(VALU_DEP_1) | instskip(SKIP_4) | instid1(VALU_DEP_1)
	v_fmac_f64_e32 v[130:131], v[98:99], v[120:121]
	scratch_load_b128 v[96:99], off, off offset:168
	s_wait_dscnt 0x0
	v_fmac_f64_e32 v[130:131], v[100:101], v[122:123]
	s_wait_loadcnt 0x5
	v_fmac_f64_e32 v[130:131], v[102:103], v[124:125]
	ds_load_b128 v[100:103], v2 offset:464
	ds_load_b128 v[118:121], v2 offset:480
	scratch_load_b128 v[122:125], off, off offset:184
	s_wait_dscnt 0x1
	v_fmac_f64_e32 v[130:131], v[104:105], v[100:101]
	s_wait_loadcnt 0x5
	s_delay_alu instid0(VALU_DEP_1) | instskip(SKIP_4) | instid1(VALU_DEP_1)
	v_fmac_f64_e32 v[130:131], v[106:107], v[102:103]
	scratch_load_b128 v[100:103], off, off offset:200
	s_wait_dscnt 0x0
	v_fmac_f64_e32 v[130:131], v[108:109], v[118:119]
	s_wait_loadcnt 0x5
	v_fmac_f64_e32 v[130:131], v[110:111], v[120:121]
	ds_load_b128 v[104:107], v2 offset:496
	ds_load_b128 v[108:111], v2 offset:512
	scratch_load_b128 v[118:121], off, off offset:216
	s_wait_dscnt 0x1
	v_fmac_f64_e32 v[130:131], v[112:113], v[104:105]
	s_wait_loadcnt 0x5
	s_delay_alu instid0(VALU_DEP_1) | instskip(SKIP_4) | instid1(VALU_DEP_1)
	v_fmac_f64_e32 v[130:131], v[114:115], v[106:107]
	scratch_load_b128 v[104:107], off, off offset:232
	s_wait_dscnt 0x0
	v_fmac_f64_e32 v[130:131], v[116:117], v[108:109]
	s_wait_loadcnt 0x5
	v_fmac_f64_e32 v[130:131], v[126:127], v[110:111]
	ds_load_b128 v[108:111], v2 offset:528
	ds_load_b128 v[112:115], v2 offset:544
	s_wait_dscnt 0x1
	v_fmac_f64_e32 v[130:131], v[128:129], v[108:109]
	scratch_load_b128 v[126:129], off, off offset:248
	s_wait_loadcnt 0x5
	v_fmac_f64_e32 v[130:131], v[96:97], v[110:111]
	s_wait_dscnt 0x0
	s_delay_alu instid0(VALU_DEP_1)
	v_fmac_f64_e32 v[130:131], v[98:99], v[112:113]
	scratch_load_b128 v[96:99], off, off offset:264
	s_wait_loadcnt 0x5
	v_fmac_f64_e32 v[130:131], v[122:123], v[114:115]
	ds_load_b128 v[108:111], v2 offset:560
	ds_load_b128 v[112:115], v2 offset:576
	s_wait_dscnt 0x1
	v_fmac_f64_e32 v[130:131], v[124:125], v[108:109]
	s_wait_loadcnt 0x4
	s_delay_alu instid0(VALU_DEP_1)
	v_fmac_f64_e32 v[130:131], v[100:101], v[110:111]
	scratch_load_b128 v[108:111], off, off offset:280
	s_wait_dscnt 0x0
	v_fmac_f64_e32 v[130:131], v[102:103], v[112:113]
	scratch_load_b128 v[100:103], off, off offset:296
	s_wait_loadcnt 0x5
	v_fmac_f64_e32 v[130:131], v[118:119], v[114:115]
	ds_load_b128 v[112:115], v2 offset:592
	ds_load_b128 v[116:119], v2 offset:608
	s_wait_dscnt 0x1
	v_fmac_f64_e32 v[130:131], v[120:121], v[112:113]
	s_wait_loadcnt 0x4
	s_delay_alu instid0(VALU_DEP_1)
	v_fmac_f64_e32 v[130:131], v[104:105], v[114:115]
	scratch_load_b128 v[112:115], off, off offset:312
	s_wait_dscnt 0x0
	v_fmac_f64_e32 v[130:131], v[106:107], v[116:117]
	scratch_load_b128 v[104:107], off, off offset:328
	s_wait_loadcnt 0x5
	v_fmac_f64_e32 v[130:131], v[126:127], v[118:119]
	ds_load_b128 v[116:119], v2 offset:624
	ds_load_b128 v[120:123], v2 offset:640
	s_wait_dscnt 0x1
	v_fmac_f64_e32 v[130:131], v[128:129], v[116:117]
	s_wait_loadcnt 0x4
	s_delay_alu instid0(VALU_DEP_1) | instskip(SKIP_4) | instid1(VALU_DEP_1)
	v_fmac_f64_e32 v[130:131], v[96:97], v[118:119]
	scratch_load_b128 v[116:119], off, off offset:344
	s_wait_dscnt 0x0
	v_fmac_f64_e32 v[130:131], v[98:99], v[120:121]
	s_wait_loadcnt 0x4
	v_fmac_f64_e32 v[130:131], v[108:109], v[122:123]
	ds_load_b128 v[96:99], v2 offset:656
	ds_load_b128 v[120:123], v2 offset:672
	s_wait_dscnt 0x1
	v_fmac_f64_e32 v[130:131], v[110:111], v[96:97]
	s_wait_loadcnt 0x3
	s_delay_alu instid0(VALU_DEP_1) | instskip(SKIP_1) | instid1(VALU_DEP_1)
	v_fmac_f64_e32 v[130:131], v[100:101], v[98:99]
	s_wait_dscnt 0x0
	v_fmac_f64_e32 v[130:131], v[102:103], v[120:121]
	ds_load_b128 v[96:99], v2 offset:688
	ds_load_b128 v[100:103], v2 offset:704
	s_wait_loadcnt 0x2
	v_fmac_f64_e32 v[130:131], v[112:113], v[122:123]
	s_wait_dscnt 0x1
	s_delay_alu instid0(VALU_DEP_1) | instskip(SKIP_4) | instid1(VALU_DEP_1)
	v_fmac_f64_e32 v[130:131], v[114:115], v[96:97]
	ds_load_b64 v[96:97], v2 offset:720
	s_wait_loadcnt 0x1
	v_fmac_f64_e32 v[130:131], v[104:105], v[98:99]
	s_wait_dscnt 0x1
	v_fmac_f64_e32 v[130:131], v[106:107], v[100:101]
	s_wait_loadcnt 0x0
	s_delay_alu instid0(VALU_DEP_1) | instskip(SKIP_1) | instid1(VALU_DEP_1)
	v_fmac_f64_e32 v[130:131], v[116:117], v[102:103]
	s_wait_dscnt 0x0
	v_fmac_f64_e32 v[130:131], v[118:119], v[96:97]
	s_delay_alu instid0(VALU_DEP_1)
	v_add_f64_e64 v[94:95], v[94:95], -v[130:131]
	scratch_store_b64 off, v[94:95], off offset:56
	s_wait_xcnt 0x0
	v_cmpx_lt_u32_e32 6, v0
	s_cbranch_execz .LBB44_267
; %bb.266:
	scratch_load_b64 v[94:95], off, off offset:48
	v_mov_b64_e32 v[96:97], 0
	scratch_store_b64 off, v[96:97], off offset:48
	s_wait_loadcnt 0x0
	ds_store_b64 v1, v[94:95]
.LBB44_267:
	s_wait_xcnt 0x0
	s_or_b32 exec_lo, exec_lo, s0
	s_wait_storecnt_dscnt 0x0
	s_barrier_signal -1
	s_barrier_wait -1
	s_clause 0x5
	scratch_load_b128 v[94:97], off, off offset:48
	scratch_load_b128 v[98:101], off, off offset:64
	;; [unrolled: 1-line block ×6, first 2 shown]
	ds_load_2addr_b64 v[118:121], v2 offset0:53 offset1:54
	ds_load_2addr_b64 v[122:125], v2 offset0:55 offset1:56
	scratch_load_b128 v[126:129], off, off offset:144
	s_mov_b32 s0, exec_lo
	s_wait_loadcnt_dscnt 0x601
	v_fma_f64 v[130:131], v[96:97], v[118:119], 0
	s_wait_loadcnt 0x5
	s_delay_alu instid0(VALU_DEP_1) | instskip(SKIP_4) | instid1(VALU_DEP_1)
	v_fmac_f64_e32 v[130:131], v[98:99], v[120:121]
	scratch_load_b128 v[96:99], off, off offset:160
	s_wait_dscnt 0x0
	v_fmac_f64_e32 v[130:131], v[100:101], v[122:123]
	s_wait_loadcnt 0x5
	v_fmac_f64_e32 v[130:131], v[102:103], v[124:125]
	ds_load_2addr_b64 v[100:103], v2 offset0:57 offset1:58
	ds_load_2addr_b64 v[118:121], v2 offset0:59 offset1:60
	scratch_load_b128 v[122:125], off, off offset:176
	s_wait_dscnt 0x1
	v_fmac_f64_e32 v[130:131], v[104:105], v[100:101]
	s_wait_loadcnt 0x5
	s_delay_alu instid0(VALU_DEP_1) | instskip(SKIP_4) | instid1(VALU_DEP_1)
	v_fmac_f64_e32 v[130:131], v[106:107], v[102:103]
	scratch_load_b128 v[100:103], off, off offset:192
	s_wait_dscnt 0x0
	v_fmac_f64_e32 v[130:131], v[108:109], v[118:119]
	s_wait_loadcnt 0x5
	v_fmac_f64_e32 v[130:131], v[110:111], v[120:121]
	ds_load_2addr_b64 v[104:107], v2 offset0:61 offset1:62
	ds_load_2addr_b64 v[108:111], v2 offset0:63 offset1:64
	scratch_load_b128 v[118:121], off, off offset:208
	s_wait_dscnt 0x1
	v_fmac_f64_e32 v[130:131], v[112:113], v[104:105]
	s_wait_loadcnt 0x5
	s_delay_alu instid0(VALU_DEP_1) | instskip(SKIP_4) | instid1(VALU_DEP_1)
	v_fmac_f64_e32 v[130:131], v[114:115], v[106:107]
	scratch_load_b128 v[104:107], off, off offset:224
	s_wait_dscnt 0x0
	v_fmac_f64_e32 v[130:131], v[116:117], v[108:109]
	s_wait_loadcnt 0x5
	v_fmac_f64_e32 v[130:131], v[126:127], v[110:111]
	ds_load_2addr_b64 v[108:111], v2 offset0:65 offset1:66
	ds_load_2addr_b64 v[112:115], v2 offset0:67 offset1:68
	s_wait_dscnt 0x1
	v_fmac_f64_e32 v[130:131], v[128:129], v[108:109]
	scratch_load_b128 v[126:129], off, off offset:240
	s_wait_loadcnt 0x5
	v_fmac_f64_e32 v[130:131], v[96:97], v[110:111]
	s_wait_dscnt 0x0
	s_delay_alu instid0(VALU_DEP_1)
	v_fmac_f64_e32 v[130:131], v[98:99], v[112:113]
	scratch_load_b128 v[96:99], off, off offset:256
	s_wait_loadcnt 0x5
	v_fmac_f64_e32 v[130:131], v[122:123], v[114:115]
	ds_load_2addr_b64 v[108:111], v2 offset0:69 offset1:70
	ds_load_2addr_b64 v[112:115], v2 offset0:71 offset1:72
	s_wait_dscnt 0x1
	v_fmac_f64_e32 v[130:131], v[124:125], v[108:109]
	scratch_load_b128 v[122:125], off, off offset:272
	s_wait_loadcnt 0x5
	v_fmac_f64_e32 v[130:131], v[100:101], v[110:111]
	s_wait_dscnt 0x0
	s_delay_alu instid0(VALU_DEP_1)
	v_fmac_f64_e32 v[130:131], v[102:103], v[112:113]
	scratch_load_b128 v[100:103], off, off offset:288
	s_wait_loadcnt 0x5
	v_fmac_f64_e32 v[130:131], v[118:119], v[114:115]
	ds_load_2addr_b64 v[108:111], v2 offset0:73 offset1:74
	ds_load_2addr_b64 v[112:115], v2 offset0:75 offset1:76
	s_wait_dscnt 0x1
	v_fmac_f64_e32 v[130:131], v[120:121], v[108:109]
	s_wait_loadcnt 0x4
	s_delay_alu instid0(VALU_DEP_1)
	v_fmac_f64_e32 v[130:131], v[104:105], v[110:111]
	scratch_load_b128 v[108:111], off, off offset:304
	s_wait_dscnt 0x0
	v_fmac_f64_e32 v[130:131], v[106:107], v[112:113]
	scratch_load_b128 v[104:107], off, off offset:320
	s_wait_loadcnt 0x5
	v_fmac_f64_e32 v[130:131], v[126:127], v[114:115]
	ds_load_2addr_b64 v[112:115], v2 offset0:77 offset1:78
	ds_load_2addr_b64 v[116:119], v2 offset0:79 offset1:80
	scratch_load_b64 v[120:121], off, off offset:352
	s_wait_dscnt 0x1
	v_fmac_f64_e32 v[130:131], v[128:129], v[112:113]
	s_wait_loadcnt 0x5
	s_delay_alu instid0(VALU_DEP_1) | instskip(SKIP_4) | instid1(VALU_DEP_1)
	v_fmac_f64_e32 v[130:131], v[96:97], v[114:115]
	scratch_load_b128 v[112:115], off, off offset:336
	s_wait_dscnt 0x0
	v_fmac_f64_e32 v[130:131], v[98:99], v[116:117]
	s_wait_loadcnt 0x5
	v_fmac_f64_e32 v[130:131], v[122:123], v[118:119]
	ds_load_2addr_b64 v[96:99], v2 offset0:81 offset1:82
	ds_load_2addr_b64 v[116:119], v2 offset0:83 offset1:84
	s_wait_dscnt 0x1
	v_fmac_f64_e32 v[130:131], v[124:125], v[96:97]
	s_wait_loadcnt 0x4
	s_delay_alu instid0(VALU_DEP_1) | instskip(SKIP_1) | instid1(VALU_DEP_1)
	v_fmac_f64_e32 v[130:131], v[100:101], v[98:99]
	s_wait_dscnt 0x0
	v_fmac_f64_e32 v[130:131], v[102:103], v[116:117]
	ds_load_2addr_b64 v[96:99], v2 offset0:85 offset1:86
	ds_load_2addr_b64 v[100:103], v2 offset0:87 offset1:88
	s_wait_loadcnt 0x3
	v_fmac_f64_e32 v[130:131], v[108:109], v[118:119]
	s_wait_dscnt 0x1
	s_delay_alu instid0(VALU_DEP_1) | instskip(SKIP_1) | instid1(VALU_DEP_1)
	v_fmac_f64_e32 v[130:131], v[110:111], v[96:97]
	s_wait_loadcnt 0x2
	v_fmac_f64_e32 v[130:131], v[104:105], v[98:99]
	ds_load_2addr_b64 v[96:99], v2 offset0:89 offset1:90
	s_wait_dscnt 0x1
	v_fmac_f64_e32 v[130:131], v[106:107], v[100:101]
	s_wait_loadcnt 0x0
	s_delay_alu instid0(VALU_DEP_1) | instskip(SKIP_1) | instid1(VALU_DEP_1)
	v_fmac_f64_e32 v[130:131], v[112:113], v[102:103]
	s_wait_dscnt 0x0
	v_fmac_f64_e32 v[130:131], v[114:115], v[96:97]
	s_delay_alu instid0(VALU_DEP_1) | instskip(NEXT) | instid1(VALU_DEP_1)
	v_fmac_f64_e32 v[130:131], v[120:121], v[98:99]
	v_add_f64_e64 v[2:3], v[94:95], -v[130:131]
	scratch_store_b64 off, v[2:3], off offset:48
	s_wait_xcnt 0x0
	v_cmpx_lt_u32_e32 5, v0
	s_cbranch_execz .LBB44_269
; %bb.268:
	scratch_load_b64 v[2:3], off, off offset:40
	v_mov_b64_e32 v[94:95], 0
	scratch_store_b64 off, v[94:95], off offset:40
	s_wait_loadcnt 0x0
	ds_store_b64 v1, v[2:3]
.LBB44_269:
	s_wait_xcnt 0x0
	s_or_b32 exec_lo, exec_lo, s0
	s_wait_storecnt_dscnt 0x0
	s_barrier_signal -1
	s_barrier_wait -1
	s_clause 0x5
	scratch_load_b128 v[94:97], off, off offset:40
	scratch_load_b128 v[98:101], off, off offset:56
	;; [unrolled: 1-line block ×6, first 2 shown]
	v_mov_b32_e32 v2, 0
	ds_load_b128 v[118:121], v2 offset:416
	ds_load_b128 v[122:125], v2 offset:432
	scratch_load_b128 v[126:129], off, off offset:136
	s_mov_b32 s0, exec_lo
	s_wait_loadcnt_dscnt 0x601
	v_fma_f64 v[130:131], v[96:97], v[118:119], 0
	s_wait_loadcnt 0x5
	s_delay_alu instid0(VALU_DEP_1) | instskip(SKIP_4) | instid1(VALU_DEP_1)
	v_fmac_f64_e32 v[130:131], v[98:99], v[120:121]
	scratch_load_b128 v[96:99], off, off offset:152
	s_wait_dscnt 0x0
	v_fmac_f64_e32 v[130:131], v[100:101], v[122:123]
	s_wait_loadcnt 0x5
	v_fmac_f64_e32 v[130:131], v[102:103], v[124:125]
	ds_load_b128 v[100:103], v2 offset:448
	ds_load_b128 v[118:121], v2 offset:464
	scratch_load_b128 v[122:125], off, off offset:168
	s_wait_dscnt 0x1
	v_fmac_f64_e32 v[130:131], v[104:105], v[100:101]
	s_wait_loadcnt 0x5
	s_delay_alu instid0(VALU_DEP_1) | instskip(SKIP_4) | instid1(VALU_DEP_1)
	v_fmac_f64_e32 v[130:131], v[106:107], v[102:103]
	scratch_load_b128 v[100:103], off, off offset:184
	s_wait_dscnt 0x0
	v_fmac_f64_e32 v[130:131], v[108:109], v[118:119]
	s_wait_loadcnt 0x5
	v_fmac_f64_e32 v[130:131], v[110:111], v[120:121]
	ds_load_b128 v[104:107], v2 offset:480
	ds_load_b128 v[108:111], v2 offset:496
	scratch_load_b128 v[118:121], off, off offset:200
	s_wait_dscnt 0x1
	v_fmac_f64_e32 v[130:131], v[112:113], v[104:105]
	s_wait_loadcnt 0x5
	s_delay_alu instid0(VALU_DEP_1) | instskip(SKIP_4) | instid1(VALU_DEP_1)
	v_fmac_f64_e32 v[130:131], v[114:115], v[106:107]
	scratch_load_b128 v[104:107], off, off offset:216
	s_wait_dscnt 0x0
	v_fmac_f64_e32 v[130:131], v[116:117], v[108:109]
	s_wait_loadcnt 0x5
	v_fmac_f64_e32 v[130:131], v[126:127], v[110:111]
	ds_load_b128 v[108:111], v2 offset:512
	ds_load_b128 v[112:115], v2 offset:528
	s_wait_dscnt 0x1
	v_fmac_f64_e32 v[130:131], v[128:129], v[108:109]
	scratch_load_b128 v[126:129], off, off offset:232
	s_wait_loadcnt 0x5
	v_fmac_f64_e32 v[130:131], v[96:97], v[110:111]
	s_wait_dscnt 0x0
	s_delay_alu instid0(VALU_DEP_1)
	v_fmac_f64_e32 v[130:131], v[98:99], v[112:113]
	scratch_load_b128 v[96:99], off, off offset:248
	s_wait_loadcnt 0x5
	v_fmac_f64_e32 v[130:131], v[122:123], v[114:115]
	ds_load_b128 v[108:111], v2 offset:544
	ds_load_b128 v[112:115], v2 offset:560
	s_wait_dscnt 0x1
	v_fmac_f64_e32 v[130:131], v[124:125], v[108:109]
	scratch_load_b128 v[122:125], off, off offset:264
	s_wait_loadcnt 0x5
	v_fmac_f64_e32 v[130:131], v[100:101], v[110:111]
	s_wait_dscnt 0x0
	s_delay_alu instid0(VALU_DEP_1)
	v_fmac_f64_e32 v[130:131], v[102:103], v[112:113]
	scratch_load_b128 v[100:103], off, off offset:280
	s_wait_loadcnt 0x5
	v_fmac_f64_e32 v[130:131], v[118:119], v[114:115]
	ds_load_b128 v[108:111], v2 offset:576
	ds_load_b128 v[112:115], v2 offset:592
	s_wait_dscnt 0x1
	v_fmac_f64_e32 v[130:131], v[120:121], v[108:109]
	s_wait_loadcnt 0x4
	s_delay_alu instid0(VALU_DEP_1)
	v_fmac_f64_e32 v[130:131], v[104:105], v[110:111]
	scratch_load_b128 v[108:111], off, off offset:296
	s_wait_dscnt 0x0
	v_fmac_f64_e32 v[130:131], v[106:107], v[112:113]
	scratch_load_b128 v[104:107], off, off offset:312
	s_wait_loadcnt 0x5
	v_fmac_f64_e32 v[130:131], v[126:127], v[114:115]
	ds_load_b128 v[112:115], v2 offset:608
	ds_load_b128 v[116:119], v2 offset:624
	s_wait_dscnt 0x1
	v_fmac_f64_e32 v[130:131], v[128:129], v[112:113]
	s_wait_loadcnt 0x4
	s_delay_alu instid0(VALU_DEP_1)
	v_fmac_f64_e32 v[130:131], v[96:97], v[114:115]
	scratch_load_b128 v[112:115], off, off offset:328
	s_wait_dscnt 0x0
	v_fmac_f64_e32 v[130:131], v[98:99], v[116:117]
	scratch_load_b128 v[96:99], off, off offset:344
	s_wait_loadcnt 0x5
	v_fmac_f64_e32 v[130:131], v[122:123], v[118:119]
	ds_load_b128 v[116:119], v2 offset:640
	ds_load_b128 v[120:123], v2 offset:656
	s_wait_dscnt 0x1
	v_fmac_f64_e32 v[130:131], v[124:125], v[116:117]
	s_wait_loadcnt 0x4
	s_delay_alu instid0(VALU_DEP_1) | instskip(SKIP_1) | instid1(VALU_DEP_1)
	v_fmac_f64_e32 v[130:131], v[100:101], v[118:119]
	s_wait_dscnt 0x0
	v_fmac_f64_e32 v[130:131], v[102:103], v[120:121]
	ds_load_b128 v[100:103], v2 offset:672
	ds_load_b128 v[116:119], v2 offset:688
	s_wait_loadcnt 0x3
	v_fmac_f64_e32 v[130:131], v[108:109], v[122:123]
	s_wait_dscnt 0x1
	s_delay_alu instid0(VALU_DEP_1) | instskip(SKIP_1) | instid1(VALU_DEP_1)
	v_fmac_f64_e32 v[130:131], v[110:111], v[100:101]
	s_wait_loadcnt 0x2
	v_fmac_f64_e32 v[130:131], v[104:105], v[102:103]
	ds_load_b128 v[100:103], v2 offset:704
	ds_load_b64 v[104:105], v2 offset:720
	s_wait_dscnt 0x2
	v_fmac_f64_e32 v[130:131], v[106:107], v[116:117]
	s_wait_loadcnt 0x1
	s_delay_alu instid0(VALU_DEP_1) | instskip(SKIP_1) | instid1(VALU_DEP_1)
	v_fmac_f64_e32 v[130:131], v[112:113], v[118:119]
	s_wait_dscnt 0x1
	v_fmac_f64_e32 v[130:131], v[114:115], v[100:101]
	s_wait_loadcnt 0x0
	s_delay_alu instid0(VALU_DEP_1) | instskip(SKIP_1) | instid1(VALU_DEP_1)
	v_fmac_f64_e32 v[130:131], v[96:97], v[102:103]
	s_wait_dscnt 0x0
	v_fmac_f64_e32 v[130:131], v[98:99], v[104:105]
	s_delay_alu instid0(VALU_DEP_1)
	v_add_f64_e64 v[94:95], v[94:95], -v[130:131]
	scratch_store_b64 off, v[94:95], off offset:40
	s_wait_xcnt 0x0
	v_cmpx_lt_u32_e32 4, v0
	s_cbranch_execz .LBB44_271
; %bb.270:
	scratch_load_b64 v[94:95], off, off offset:32
	v_mov_b64_e32 v[96:97], 0
	scratch_store_b64 off, v[96:97], off offset:32
	s_wait_loadcnt 0x0
	ds_store_b64 v1, v[94:95]
.LBB44_271:
	s_wait_xcnt 0x0
	s_or_b32 exec_lo, exec_lo, s0
	s_wait_storecnt_dscnt 0x0
	s_barrier_signal -1
	s_barrier_wait -1
	s_clause 0x5
	scratch_load_b128 v[94:97], off, off offset:32
	scratch_load_b128 v[98:101], off, off offset:48
	;; [unrolled: 1-line block ×6, first 2 shown]
	ds_load_2addr_b64 v[118:121], v2 offset0:51 offset1:52
	ds_load_2addr_b64 v[122:125], v2 offset0:53 offset1:54
	scratch_load_b128 v[126:129], off, off offset:128
	s_mov_b32 s0, exec_lo
	s_wait_loadcnt_dscnt 0x601
	v_fma_f64 v[130:131], v[96:97], v[118:119], 0
	s_wait_loadcnt 0x5
	s_delay_alu instid0(VALU_DEP_1) | instskip(SKIP_4) | instid1(VALU_DEP_1)
	v_fmac_f64_e32 v[130:131], v[98:99], v[120:121]
	scratch_load_b128 v[96:99], off, off offset:144
	s_wait_dscnt 0x0
	v_fmac_f64_e32 v[130:131], v[100:101], v[122:123]
	s_wait_loadcnt 0x5
	v_fmac_f64_e32 v[130:131], v[102:103], v[124:125]
	ds_load_2addr_b64 v[100:103], v2 offset0:55 offset1:56
	ds_load_2addr_b64 v[118:121], v2 offset0:57 offset1:58
	scratch_load_b128 v[122:125], off, off offset:160
	s_wait_dscnt 0x1
	v_fmac_f64_e32 v[130:131], v[104:105], v[100:101]
	s_wait_loadcnt 0x5
	s_delay_alu instid0(VALU_DEP_1) | instskip(SKIP_4) | instid1(VALU_DEP_1)
	v_fmac_f64_e32 v[130:131], v[106:107], v[102:103]
	scratch_load_b128 v[100:103], off, off offset:176
	s_wait_dscnt 0x0
	v_fmac_f64_e32 v[130:131], v[108:109], v[118:119]
	s_wait_loadcnt 0x5
	v_fmac_f64_e32 v[130:131], v[110:111], v[120:121]
	ds_load_2addr_b64 v[104:107], v2 offset0:59 offset1:60
	ds_load_2addr_b64 v[108:111], v2 offset0:61 offset1:62
	scratch_load_b128 v[118:121], off, off offset:192
	s_wait_dscnt 0x1
	v_fmac_f64_e32 v[130:131], v[112:113], v[104:105]
	s_wait_loadcnt 0x5
	s_delay_alu instid0(VALU_DEP_1) | instskip(SKIP_4) | instid1(VALU_DEP_1)
	v_fmac_f64_e32 v[130:131], v[114:115], v[106:107]
	scratch_load_b128 v[104:107], off, off offset:208
	s_wait_dscnt 0x0
	v_fmac_f64_e32 v[130:131], v[116:117], v[108:109]
	s_wait_loadcnt 0x5
	v_fmac_f64_e32 v[130:131], v[126:127], v[110:111]
	ds_load_2addr_b64 v[108:111], v2 offset0:63 offset1:64
	ds_load_2addr_b64 v[112:115], v2 offset0:65 offset1:66
	s_wait_dscnt 0x1
	v_fmac_f64_e32 v[130:131], v[128:129], v[108:109]
	scratch_load_b128 v[126:129], off, off offset:224
	s_wait_loadcnt 0x5
	v_fmac_f64_e32 v[130:131], v[96:97], v[110:111]
	s_wait_dscnt 0x0
	s_delay_alu instid0(VALU_DEP_1)
	v_fmac_f64_e32 v[130:131], v[98:99], v[112:113]
	scratch_load_b128 v[96:99], off, off offset:240
	s_wait_loadcnt 0x5
	v_fmac_f64_e32 v[130:131], v[122:123], v[114:115]
	ds_load_2addr_b64 v[108:111], v2 offset0:67 offset1:68
	ds_load_2addr_b64 v[112:115], v2 offset0:69 offset1:70
	s_wait_dscnt 0x1
	v_fmac_f64_e32 v[130:131], v[124:125], v[108:109]
	scratch_load_b128 v[122:125], off, off offset:256
	s_wait_loadcnt 0x5
	v_fmac_f64_e32 v[130:131], v[100:101], v[110:111]
	s_wait_dscnt 0x0
	s_delay_alu instid0(VALU_DEP_1)
	v_fmac_f64_e32 v[130:131], v[102:103], v[112:113]
	scratch_load_b128 v[100:103], off, off offset:272
	s_wait_loadcnt 0x5
	v_fmac_f64_e32 v[130:131], v[118:119], v[114:115]
	ds_load_2addr_b64 v[108:111], v2 offset0:71 offset1:72
	ds_load_2addr_b64 v[112:115], v2 offset0:73 offset1:74
	s_wait_dscnt 0x1
	v_fmac_f64_e32 v[130:131], v[120:121], v[108:109]
	s_wait_loadcnt 0x4
	s_delay_alu instid0(VALU_DEP_1)
	v_fmac_f64_e32 v[130:131], v[104:105], v[110:111]
	scratch_load_b128 v[108:111], off, off offset:288
	s_wait_dscnt 0x0
	v_fmac_f64_e32 v[130:131], v[106:107], v[112:113]
	scratch_load_b128 v[104:107], off, off offset:304
	s_wait_loadcnt 0x5
	v_fmac_f64_e32 v[130:131], v[126:127], v[114:115]
	ds_load_2addr_b64 v[112:115], v2 offset0:75 offset1:76
	ds_load_2addr_b64 v[116:119], v2 offset0:77 offset1:78
	s_wait_dscnt 0x1
	v_fmac_f64_e32 v[130:131], v[128:129], v[112:113]
	s_wait_loadcnt 0x4
	s_delay_alu instid0(VALU_DEP_1)
	v_fmac_f64_e32 v[130:131], v[96:97], v[114:115]
	scratch_load_b128 v[112:115], off, off offset:320
	s_wait_dscnt 0x0
	v_fmac_f64_e32 v[130:131], v[98:99], v[116:117]
	scratch_load_b128 v[96:99], off, off offset:336
	s_wait_loadcnt 0x5
	v_fmac_f64_e32 v[130:131], v[122:123], v[118:119]
	ds_load_2addr_b64 v[116:119], v2 offset0:79 offset1:80
	ds_load_2addr_b64 v[120:123], v2 offset0:81 offset1:82
	s_wait_dscnt 0x1
	v_fmac_f64_e32 v[130:131], v[124:125], v[116:117]
	scratch_load_b64 v[124:125], off, off offset:352
	s_wait_loadcnt 0x5
	v_fmac_f64_e32 v[130:131], v[100:101], v[118:119]
	s_wait_dscnt 0x0
	s_delay_alu instid0(VALU_DEP_1)
	v_fmac_f64_e32 v[130:131], v[102:103], v[120:121]
	ds_load_2addr_b64 v[100:103], v2 offset0:83 offset1:84
	ds_load_2addr_b64 v[116:119], v2 offset0:85 offset1:86
	s_wait_loadcnt 0x4
	v_fmac_f64_e32 v[130:131], v[108:109], v[122:123]
	s_wait_dscnt 0x1
	s_delay_alu instid0(VALU_DEP_1) | instskip(SKIP_1) | instid1(VALU_DEP_1)
	v_fmac_f64_e32 v[130:131], v[110:111], v[100:101]
	s_wait_loadcnt 0x3
	v_fmac_f64_e32 v[130:131], v[104:105], v[102:103]
	s_wait_dscnt 0x0
	s_delay_alu instid0(VALU_DEP_1)
	v_fmac_f64_e32 v[130:131], v[106:107], v[116:117]
	ds_load_2addr_b64 v[100:103], v2 offset0:87 offset1:88
	ds_load_2addr_b64 v[104:107], v2 offset0:89 offset1:90
	s_wait_loadcnt 0x2
	v_fmac_f64_e32 v[130:131], v[112:113], v[118:119]
	s_wait_dscnt 0x1
	s_delay_alu instid0(VALU_DEP_1) | instskip(SKIP_1) | instid1(VALU_DEP_1)
	v_fmac_f64_e32 v[130:131], v[114:115], v[100:101]
	s_wait_loadcnt 0x1
	v_fmac_f64_e32 v[130:131], v[96:97], v[102:103]
	s_wait_dscnt 0x0
	s_delay_alu instid0(VALU_DEP_1) | instskip(SKIP_1) | instid1(VALU_DEP_1)
	v_fmac_f64_e32 v[130:131], v[98:99], v[104:105]
	s_wait_loadcnt 0x0
	v_fmac_f64_e32 v[130:131], v[124:125], v[106:107]
	s_delay_alu instid0(VALU_DEP_1)
	v_add_f64_e64 v[2:3], v[94:95], -v[130:131]
	scratch_store_b64 off, v[2:3], off offset:32
	s_wait_xcnt 0x0
	v_cmpx_lt_u32_e32 3, v0
	s_cbranch_execz .LBB44_273
; %bb.272:
	scratch_load_b64 v[2:3], off, off offset:24
	v_mov_b64_e32 v[94:95], 0
	scratch_store_b64 off, v[94:95], off offset:24
	s_wait_loadcnt 0x0
	ds_store_b64 v1, v[2:3]
.LBB44_273:
	s_wait_xcnt 0x0
	s_or_b32 exec_lo, exec_lo, s0
	s_wait_storecnt_dscnt 0x0
	s_barrier_signal -1
	s_barrier_wait -1
	s_clause 0x5
	scratch_load_b128 v[94:97], off, off offset:24
	scratch_load_b128 v[98:101], off, off offset:40
	;; [unrolled: 1-line block ×6, first 2 shown]
	v_mov_b32_e32 v2, 0
	ds_load_b128 v[118:121], v2 offset:400
	ds_load_b128 v[122:125], v2 offset:416
	scratch_load_b128 v[126:129], off, off offset:120
	s_mov_b32 s0, exec_lo
	s_wait_loadcnt_dscnt 0x601
	v_fma_f64 v[130:131], v[96:97], v[118:119], 0
	s_wait_loadcnt 0x5
	s_delay_alu instid0(VALU_DEP_1) | instskip(SKIP_4) | instid1(VALU_DEP_1)
	v_fmac_f64_e32 v[130:131], v[98:99], v[120:121]
	scratch_load_b128 v[96:99], off, off offset:136
	s_wait_dscnt 0x0
	v_fmac_f64_e32 v[130:131], v[100:101], v[122:123]
	s_wait_loadcnt 0x5
	v_fmac_f64_e32 v[130:131], v[102:103], v[124:125]
	ds_load_b128 v[100:103], v2 offset:432
	ds_load_b128 v[118:121], v2 offset:448
	scratch_load_b128 v[122:125], off, off offset:152
	s_wait_dscnt 0x1
	v_fmac_f64_e32 v[130:131], v[104:105], v[100:101]
	s_wait_loadcnt 0x5
	s_delay_alu instid0(VALU_DEP_1) | instskip(SKIP_4) | instid1(VALU_DEP_1)
	v_fmac_f64_e32 v[130:131], v[106:107], v[102:103]
	scratch_load_b128 v[100:103], off, off offset:168
	s_wait_dscnt 0x0
	v_fmac_f64_e32 v[130:131], v[108:109], v[118:119]
	s_wait_loadcnt 0x5
	v_fmac_f64_e32 v[130:131], v[110:111], v[120:121]
	ds_load_b128 v[104:107], v2 offset:464
	ds_load_b128 v[108:111], v2 offset:480
	scratch_load_b128 v[118:121], off, off offset:184
	s_wait_dscnt 0x1
	v_fmac_f64_e32 v[130:131], v[112:113], v[104:105]
	s_wait_loadcnt 0x5
	s_delay_alu instid0(VALU_DEP_1) | instskip(SKIP_4) | instid1(VALU_DEP_1)
	v_fmac_f64_e32 v[130:131], v[114:115], v[106:107]
	scratch_load_b128 v[104:107], off, off offset:200
	s_wait_dscnt 0x0
	v_fmac_f64_e32 v[130:131], v[116:117], v[108:109]
	s_wait_loadcnt 0x5
	v_fmac_f64_e32 v[130:131], v[126:127], v[110:111]
	ds_load_b128 v[108:111], v2 offset:496
	ds_load_b128 v[112:115], v2 offset:512
	s_wait_dscnt 0x1
	v_fmac_f64_e32 v[130:131], v[128:129], v[108:109]
	scratch_load_b128 v[126:129], off, off offset:216
	s_wait_loadcnt 0x5
	v_fmac_f64_e32 v[130:131], v[96:97], v[110:111]
	s_wait_dscnt 0x0
	s_delay_alu instid0(VALU_DEP_1)
	v_fmac_f64_e32 v[130:131], v[98:99], v[112:113]
	scratch_load_b128 v[96:99], off, off offset:232
	s_wait_loadcnt 0x5
	v_fmac_f64_e32 v[130:131], v[122:123], v[114:115]
	ds_load_b128 v[108:111], v2 offset:528
	ds_load_b128 v[112:115], v2 offset:544
	s_wait_dscnt 0x1
	v_fmac_f64_e32 v[130:131], v[124:125], v[108:109]
	scratch_load_b128 v[122:125], off, off offset:248
	s_wait_loadcnt 0x5
	v_fmac_f64_e32 v[130:131], v[100:101], v[110:111]
	s_wait_dscnt 0x0
	s_delay_alu instid0(VALU_DEP_1)
	v_fmac_f64_e32 v[130:131], v[102:103], v[112:113]
	scratch_load_b128 v[100:103], off, off offset:264
	s_wait_loadcnt 0x5
	v_fmac_f64_e32 v[130:131], v[118:119], v[114:115]
	ds_load_b128 v[108:111], v2 offset:560
	ds_load_b128 v[112:115], v2 offset:576
	s_wait_dscnt 0x1
	v_fmac_f64_e32 v[130:131], v[120:121], v[108:109]
	s_wait_loadcnt 0x4
	s_delay_alu instid0(VALU_DEP_1)
	v_fmac_f64_e32 v[130:131], v[104:105], v[110:111]
	scratch_load_b128 v[108:111], off, off offset:280
	s_wait_dscnt 0x0
	v_fmac_f64_e32 v[130:131], v[106:107], v[112:113]
	scratch_load_b128 v[104:107], off, off offset:296
	s_wait_loadcnt 0x5
	v_fmac_f64_e32 v[130:131], v[126:127], v[114:115]
	ds_load_b128 v[112:115], v2 offset:592
	ds_load_b128 v[116:119], v2 offset:608
	s_wait_dscnt 0x1
	v_fmac_f64_e32 v[130:131], v[128:129], v[112:113]
	s_wait_loadcnt 0x4
	s_delay_alu instid0(VALU_DEP_1)
	v_fmac_f64_e32 v[130:131], v[96:97], v[114:115]
	scratch_load_b128 v[112:115], off, off offset:312
	s_wait_dscnt 0x0
	v_fmac_f64_e32 v[130:131], v[98:99], v[116:117]
	scratch_load_b128 v[96:99], off, off offset:328
	s_wait_loadcnt 0x5
	v_fmac_f64_e32 v[130:131], v[122:123], v[118:119]
	ds_load_b128 v[116:119], v2 offset:624
	ds_load_b128 v[120:123], v2 offset:640
	s_wait_dscnt 0x1
	v_fmac_f64_e32 v[130:131], v[124:125], v[116:117]
	s_wait_loadcnt 0x4
	s_delay_alu instid0(VALU_DEP_1) | instskip(SKIP_4) | instid1(VALU_DEP_1)
	v_fmac_f64_e32 v[130:131], v[100:101], v[118:119]
	scratch_load_b128 v[116:119], off, off offset:344
	s_wait_dscnt 0x0
	v_fmac_f64_e32 v[130:131], v[102:103], v[120:121]
	s_wait_loadcnt 0x4
	v_fmac_f64_e32 v[130:131], v[108:109], v[122:123]
	ds_load_b128 v[100:103], v2 offset:656
	ds_load_b128 v[120:123], v2 offset:672
	s_wait_dscnt 0x1
	v_fmac_f64_e32 v[130:131], v[110:111], v[100:101]
	s_wait_loadcnt 0x3
	s_delay_alu instid0(VALU_DEP_1) | instskip(SKIP_1) | instid1(VALU_DEP_1)
	v_fmac_f64_e32 v[130:131], v[104:105], v[102:103]
	s_wait_dscnt 0x0
	v_fmac_f64_e32 v[130:131], v[106:107], v[120:121]
	ds_load_b128 v[100:103], v2 offset:688
	ds_load_b128 v[104:107], v2 offset:704
	s_wait_loadcnt 0x2
	v_fmac_f64_e32 v[130:131], v[112:113], v[122:123]
	s_wait_dscnt 0x1
	s_delay_alu instid0(VALU_DEP_1) | instskip(SKIP_1) | instid1(VALU_DEP_1)
	v_fmac_f64_e32 v[130:131], v[114:115], v[100:101]
	s_wait_loadcnt 0x1
	v_fmac_f64_e32 v[130:131], v[96:97], v[102:103]
	ds_load_b64 v[96:97], v2 offset:720
	s_wait_dscnt 0x1
	v_fmac_f64_e32 v[130:131], v[98:99], v[104:105]
	s_wait_loadcnt 0x0
	s_delay_alu instid0(VALU_DEP_1) | instskip(SKIP_1) | instid1(VALU_DEP_1)
	v_fmac_f64_e32 v[130:131], v[116:117], v[106:107]
	s_wait_dscnt 0x0
	v_fmac_f64_e32 v[130:131], v[118:119], v[96:97]
	s_delay_alu instid0(VALU_DEP_1)
	v_add_f64_e64 v[94:95], v[94:95], -v[130:131]
	scratch_store_b64 off, v[94:95], off offset:24
	s_wait_xcnt 0x0
	v_cmpx_lt_u32_e32 2, v0
	s_cbranch_execz .LBB44_275
; %bb.274:
	scratch_load_b64 v[94:95], off, off offset:16
	v_mov_b64_e32 v[96:97], 0
	scratch_store_b64 off, v[96:97], off offset:16
	s_wait_loadcnt 0x0
	ds_store_b64 v1, v[94:95]
.LBB44_275:
	s_wait_xcnt 0x0
	s_or_b32 exec_lo, exec_lo, s0
	s_wait_storecnt_dscnt 0x0
	s_barrier_signal -1
	s_barrier_wait -1
	s_clause 0x5
	scratch_load_b128 v[94:97], off, off offset:16
	scratch_load_b128 v[98:101], off, off offset:32
	;; [unrolled: 1-line block ×6, first 2 shown]
	ds_load_2addr_b64 v[118:121], v2 offset0:49 offset1:50
	ds_load_2addr_b64 v[122:125], v2 offset0:51 offset1:52
	scratch_load_b128 v[126:129], off, off offset:112
	s_mov_b32 s0, exec_lo
	s_wait_loadcnt_dscnt 0x601
	v_fma_f64 v[130:131], v[96:97], v[118:119], 0
	s_wait_loadcnt 0x5
	s_delay_alu instid0(VALU_DEP_1) | instskip(SKIP_4) | instid1(VALU_DEP_1)
	v_fmac_f64_e32 v[130:131], v[98:99], v[120:121]
	scratch_load_b128 v[96:99], off, off offset:128
	s_wait_dscnt 0x0
	v_fmac_f64_e32 v[130:131], v[100:101], v[122:123]
	s_wait_loadcnt 0x5
	v_fmac_f64_e32 v[130:131], v[102:103], v[124:125]
	ds_load_2addr_b64 v[100:103], v2 offset0:53 offset1:54
	ds_load_2addr_b64 v[118:121], v2 offset0:55 offset1:56
	scratch_load_b128 v[122:125], off, off offset:144
	s_wait_dscnt 0x1
	v_fmac_f64_e32 v[130:131], v[104:105], v[100:101]
	s_wait_loadcnt 0x5
	s_delay_alu instid0(VALU_DEP_1) | instskip(SKIP_4) | instid1(VALU_DEP_1)
	v_fmac_f64_e32 v[130:131], v[106:107], v[102:103]
	scratch_load_b128 v[100:103], off, off offset:160
	s_wait_dscnt 0x0
	v_fmac_f64_e32 v[130:131], v[108:109], v[118:119]
	s_wait_loadcnt 0x5
	v_fmac_f64_e32 v[130:131], v[110:111], v[120:121]
	ds_load_2addr_b64 v[104:107], v2 offset0:57 offset1:58
	ds_load_2addr_b64 v[108:111], v2 offset0:59 offset1:60
	scratch_load_b128 v[118:121], off, off offset:176
	s_wait_dscnt 0x1
	v_fmac_f64_e32 v[130:131], v[112:113], v[104:105]
	s_wait_loadcnt 0x5
	s_delay_alu instid0(VALU_DEP_1) | instskip(SKIP_4) | instid1(VALU_DEP_1)
	v_fmac_f64_e32 v[130:131], v[114:115], v[106:107]
	scratch_load_b128 v[104:107], off, off offset:192
	s_wait_dscnt 0x0
	v_fmac_f64_e32 v[130:131], v[116:117], v[108:109]
	s_wait_loadcnt 0x5
	v_fmac_f64_e32 v[130:131], v[126:127], v[110:111]
	ds_load_2addr_b64 v[108:111], v2 offset0:61 offset1:62
	ds_load_2addr_b64 v[112:115], v2 offset0:63 offset1:64
	s_wait_dscnt 0x1
	v_fmac_f64_e32 v[130:131], v[128:129], v[108:109]
	scratch_load_b128 v[126:129], off, off offset:208
	s_wait_loadcnt 0x5
	v_fmac_f64_e32 v[130:131], v[96:97], v[110:111]
	s_wait_dscnt 0x0
	s_delay_alu instid0(VALU_DEP_1)
	v_fmac_f64_e32 v[130:131], v[98:99], v[112:113]
	scratch_load_b128 v[96:99], off, off offset:224
	s_wait_loadcnt 0x5
	v_fmac_f64_e32 v[130:131], v[122:123], v[114:115]
	ds_load_2addr_b64 v[108:111], v2 offset0:65 offset1:66
	ds_load_2addr_b64 v[112:115], v2 offset0:67 offset1:68
	s_wait_dscnt 0x1
	v_fmac_f64_e32 v[130:131], v[124:125], v[108:109]
	scratch_load_b128 v[122:125], off, off offset:240
	s_wait_loadcnt 0x5
	v_fmac_f64_e32 v[130:131], v[100:101], v[110:111]
	s_wait_dscnt 0x0
	s_delay_alu instid0(VALU_DEP_1)
	v_fmac_f64_e32 v[130:131], v[102:103], v[112:113]
	scratch_load_b128 v[100:103], off, off offset:256
	s_wait_loadcnt 0x5
	v_fmac_f64_e32 v[130:131], v[118:119], v[114:115]
	ds_load_2addr_b64 v[108:111], v2 offset0:69 offset1:70
	ds_load_2addr_b64 v[112:115], v2 offset0:71 offset1:72
	scratch_load_b128 v[116:119], off, off offset:272
	s_wait_dscnt 0x1
	v_fmac_f64_e32 v[130:131], v[120:121], v[108:109]
	s_wait_loadcnt 0x5
	s_delay_alu instid0(VALU_DEP_1) | instskip(SKIP_1) | instid1(VALU_DEP_1)
	v_fmac_f64_e32 v[130:131], v[104:105], v[110:111]
	s_wait_dscnt 0x0
	v_fmac_f64_e32 v[130:131], v[106:107], v[112:113]
	scratch_load_b128 v[104:107], off, off offset:288
	s_wait_loadcnt 0x5
	v_fmac_f64_e32 v[130:131], v[126:127], v[114:115]
	ds_load_2addr_b64 v[108:111], v2 offset0:73 offset1:74
	ds_load_2addr_b64 v[112:115], v2 offset0:75 offset1:76
	s_wait_dscnt 0x1
	v_fmac_f64_e32 v[130:131], v[128:129], v[108:109]
	s_wait_loadcnt 0x4
	s_delay_alu instid0(VALU_DEP_1)
	v_fmac_f64_e32 v[130:131], v[96:97], v[110:111]
	scratch_load_b128 v[108:111], off, off offset:304
	s_wait_dscnt 0x0
	v_fmac_f64_e32 v[130:131], v[98:99], v[112:113]
	scratch_load_b128 v[96:99], off, off offset:320
	s_wait_loadcnt 0x5
	v_fmac_f64_e32 v[130:131], v[122:123], v[114:115]
	ds_load_2addr_b64 v[112:115], v2 offset0:77 offset1:78
	ds_load_2addr_b64 v[120:123], v2 offset0:79 offset1:80
	s_wait_dscnt 0x1
	v_fmac_f64_e32 v[130:131], v[124:125], v[112:113]
	s_wait_loadcnt 0x4
	s_delay_alu instid0(VALU_DEP_1) | instskip(SKIP_4) | instid1(VALU_DEP_1)
	v_fmac_f64_e32 v[130:131], v[100:101], v[114:115]
	scratch_load_b128 v[112:115], off, off offset:336
	s_wait_dscnt 0x0
	v_fmac_f64_e32 v[130:131], v[102:103], v[120:121]
	s_wait_loadcnt 0x4
	v_fmac_f64_e32 v[130:131], v[116:117], v[122:123]
	scratch_load_b64 v[116:117], off, off offset:352
	ds_load_2addr_b64 v[100:103], v2 offset0:81 offset1:82
	ds_load_2addr_b64 v[120:123], v2 offset0:83 offset1:84
	s_wait_dscnt 0x1
	v_fmac_f64_e32 v[130:131], v[118:119], v[100:101]
	s_wait_loadcnt 0x4
	s_delay_alu instid0(VALU_DEP_1) | instskip(SKIP_1) | instid1(VALU_DEP_1)
	v_fmac_f64_e32 v[130:131], v[104:105], v[102:103]
	s_wait_dscnt 0x0
	v_fmac_f64_e32 v[130:131], v[106:107], v[120:121]
	ds_load_2addr_b64 v[100:103], v2 offset0:85 offset1:86
	ds_load_2addr_b64 v[104:107], v2 offset0:87 offset1:88
	s_wait_loadcnt 0x3
	v_fmac_f64_e32 v[130:131], v[108:109], v[122:123]
	s_wait_dscnt 0x1
	s_delay_alu instid0(VALU_DEP_1) | instskip(SKIP_1) | instid1(VALU_DEP_1)
	v_fmac_f64_e32 v[130:131], v[110:111], v[100:101]
	s_wait_loadcnt 0x2
	v_fmac_f64_e32 v[130:131], v[96:97], v[102:103]
	s_wait_dscnt 0x0
	s_delay_alu instid0(VALU_DEP_1) | instskip(SKIP_4) | instid1(VALU_DEP_1)
	v_fmac_f64_e32 v[130:131], v[98:99], v[104:105]
	ds_load_2addr_b64 v[96:99], v2 offset0:89 offset1:90
	s_wait_loadcnt 0x1
	v_fmac_f64_e32 v[130:131], v[112:113], v[106:107]
	s_wait_dscnt 0x0
	v_fmac_f64_e32 v[130:131], v[114:115], v[96:97]
	s_wait_loadcnt 0x0
	s_delay_alu instid0(VALU_DEP_1) | instskip(NEXT) | instid1(VALU_DEP_1)
	v_fmac_f64_e32 v[130:131], v[116:117], v[98:99]
	v_add_f64_e64 v[2:3], v[94:95], -v[130:131]
	scratch_store_b64 off, v[2:3], off offset:16
	s_wait_xcnt 0x0
	v_cmpx_lt_u32_e32 1, v0
	s_cbranch_execz .LBB44_277
; %bb.276:
	scratch_load_b64 v[2:3], off, off offset:8
	v_mov_b64_e32 v[94:95], 0
	scratch_store_b64 off, v[94:95], off offset:8
	s_wait_loadcnt 0x0
	ds_store_b64 v1, v[2:3]
.LBB44_277:
	s_wait_xcnt 0x0
	s_or_b32 exec_lo, exec_lo, s0
	s_wait_storecnt_dscnt 0x0
	s_barrier_signal -1
	s_barrier_wait -1
	s_clause 0x4
	scratch_load_b128 v[96:99], off, off offset:8
	scratch_load_b128 v[100:103], off, off offset:24
	;; [unrolled: 1-line block ×5, first 2 shown]
	v_dual_mov_b32 v94, 0 :: v_dual_ashrrev_i32 v9, 31, v8
	scratch_load_b128 v[120:123], off, off offset:88
	v_dual_ashrrev_i32 v11, 31, v10 :: v_dual_ashrrev_i32 v13, 31, v12
	ds_load_b128 v[116:119], v94 offset:384
	ds_load_b128 v[124:127], v94 offset:400
	v_dual_ashrrev_i32 v15, 31, v14 :: v_dual_ashrrev_i32 v17, 31, v16
	v_dual_ashrrev_i32 v19, 31, v18 :: v_dual_ashrrev_i32 v21, 31, v20
	;; [unrolled: 1-line block ×19, first 2 shown]
	v_ashrrev_i32_e32 v91, 31, v90
	s_mov_b32 s0, exec_lo
	v_ashrrev_i32_e32 v41, 31, v40
	s_wait_loadcnt_dscnt 0x501
	v_fma_f64 v[2:3], v[98:99], v[116:117], 0
	s_wait_loadcnt 0x4
	s_delay_alu instid0(VALU_DEP_1) | instskip(SKIP_4) | instid1(VALU_DEP_1)
	v_fmac_f64_e32 v[2:3], v[100:101], v[118:119]
	scratch_load_b128 v[98:101], off, off offset:104
	s_wait_dscnt 0x0
	v_fmac_f64_e32 v[2:3], v[102:103], v[124:125]
	s_wait_loadcnt 0x4
	v_fmac_f64_e32 v[2:3], v[104:105], v[126:127]
	ds_load_b128 v[102:105], v94 offset:416
	ds_load_b128 v[116:119], v94 offset:432
	scratch_load_b128 v[124:127], off, off offset:120
	s_wait_dscnt 0x1
	v_fmac_f64_e32 v[2:3], v[106:107], v[102:103]
	s_wait_loadcnt 0x4
	s_delay_alu instid0(VALU_DEP_1) | instskip(SKIP_4) | instid1(VALU_DEP_1)
	v_fmac_f64_e32 v[2:3], v[108:109], v[104:105]
	scratch_load_b128 v[102:105], off, off offset:136
	s_wait_dscnt 0x0
	v_fmac_f64_e32 v[2:3], v[110:111], v[116:117]
	s_wait_loadcnt 0x4
	v_fmac_f64_e32 v[2:3], v[112:113], v[118:119]
	ds_load_b128 v[106:109], v94 offset:448
	ds_load_b128 v[110:113], v94 offset:464
	s_wait_dscnt 0x1
	v_fmac_f64_e32 v[2:3], v[114:115], v[106:107]
	scratch_load_b128 v[114:117], off, off offset:152
	s_wait_loadcnt 0x4
	v_fmac_f64_e32 v[2:3], v[120:121], v[108:109]
	scratch_load_b128 v[106:109], off, off offset:168
	s_wait_dscnt 0x0
	v_fmac_f64_e32 v[2:3], v[122:123], v[110:111]
	s_wait_loadcnt 0x4
	s_delay_alu instid0(VALU_DEP_1)
	v_fmac_f64_e32 v[2:3], v[98:99], v[112:113]
	ds_load_b128 v[110:113], v94 offset:480
	ds_load_b128 v[118:121], v94 offset:496
	s_wait_dscnt 0x1
	v_fmac_f64_e32 v[2:3], v[100:101], v[110:111]
	scratch_load_b128 v[98:101], off, off offset:184
	s_wait_loadcnt 0x4
	v_fmac_f64_e32 v[2:3], v[124:125], v[112:113]
	scratch_load_b128 v[110:113], off, off offset:200
	s_wait_dscnt 0x0
	v_fmac_f64_e32 v[2:3], v[126:127], v[118:119]
	s_wait_loadcnt 0x4
	s_delay_alu instid0(VALU_DEP_1)
	v_fmac_f64_e32 v[2:3], v[102:103], v[120:121]
	ds_load_b128 v[118:121], v94 offset:512
	ds_load_b128 v[122:125], v94 offset:528
	s_wait_dscnt 0x1
	v_fmac_f64_e32 v[2:3], v[104:105], v[118:119]
	scratch_load_b128 v[102:105], off, off offset:216
	s_wait_loadcnt 0x4
	v_fmac_f64_e32 v[2:3], v[114:115], v[120:121]
	s_wait_dscnt 0x0
	s_delay_alu instid0(VALU_DEP_1)
	v_fmac_f64_e32 v[2:3], v[116:117], v[122:123]
	scratch_load_b128 v[114:117], off, off offset:232
	s_wait_loadcnt 0x4
	v_fmac_f64_e32 v[2:3], v[106:107], v[124:125]
	ds_load_b128 v[118:121], v94 offset:544
	ds_load_b128 v[122:125], v94 offset:560
	s_wait_dscnt 0x1
	v_fmac_f64_e32 v[2:3], v[108:109], v[118:119]
	scratch_load_b128 v[106:109], off, off offset:248
	s_wait_loadcnt 0x4
	v_fmac_f64_e32 v[2:3], v[98:99], v[120:121]
	scratch_load_b128 v[118:121], off, off offset:264
	s_wait_dscnt 0x0
	v_fmac_f64_e32 v[2:3], v[100:101], v[122:123]
	s_wait_loadcnt 0x4
	s_delay_alu instid0(VALU_DEP_1)
	v_fmac_f64_e32 v[2:3], v[110:111], v[124:125]
	ds_load_b128 v[98:101], v94 offset:576
	ds_load_b128 v[122:125], v94 offset:592
	s_wait_dscnt 0x1
	v_fmac_f64_e32 v[2:3], v[112:113], v[98:99]
	scratch_load_b128 v[110:113], off, off offset:280
	s_wait_loadcnt 0x4
	v_fmac_f64_e32 v[2:3], v[102:103], v[100:101]
	scratch_load_b128 v[98:101], off, off offset:296
	s_wait_dscnt 0x0
	v_fmac_f64_e32 v[2:3], v[104:105], v[122:123]
	s_wait_loadcnt 0x4
	s_delay_alu instid0(VALU_DEP_1)
	;; [unrolled: 13-line block ×3, first 2 shown]
	v_fmac_f64_e32 v[2:3], v[118:119], v[124:125]
	ds_load_b128 v[106:109], v94 offset:640
	ds_load_b128 v[122:125], v94 offset:656
	s_wait_dscnt 0x1
	v_fmac_f64_e32 v[2:3], v[120:121], v[106:107]
	scratch_load_b128 v[118:121], off, off offset:344
	s_wait_loadcnt 0x4
	v_fmac_f64_e32 v[2:3], v[110:111], v[108:109]
	s_wait_dscnt 0x0
	s_delay_alu instid0(VALU_DEP_1)
	v_fmac_f64_e32 v[2:3], v[112:113], v[122:123]
	ds_load_b128 v[106:109], v94 offset:672
	ds_load_b128 v[110:113], v94 offset:688
	s_wait_loadcnt 0x3
	v_fmac_f64_e32 v[2:3], v[98:99], v[124:125]
	s_wait_dscnt 0x1
	s_delay_alu instid0(VALU_DEP_1) | instskip(SKIP_4) | instid1(VALU_DEP_1)
	v_fmac_f64_e32 v[2:3], v[100:101], v[106:107]
	ds_load_b128 v[98:101], v94 offset:704
	s_wait_loadcnt 0x2
	v_fmac_f64_e32 v[2:3], v[114:115], v[108:109]
	s_wait_dscnt 0x1
	v_fmac_f64_e32 v[2:3], v[116:117], v[110:111]
	s_wait_loadcnt 0x1
	s_delay_alu instid0(VALU_DEP_1) | instskip(SKIP_1) | instid1(VALU_DEP_1)
	v_fmac_f64_e32 v[2:3], v[102:103], v[112:113]
	s_wait_dscnt 0x0
	v_fmac_f64_e32 v[2:3], v[104:105], v[98:99]
	ds_load_b64 v[98:99], v94 offset:720
	s_wait_loadcnt 0x0
	v_fmac_f64_e32 v[2:3], v[118:119], v[100:101]
	s_wait_dscnt 0x0
	s_delay_alu instid0(VALU_DEP_1) | instskip(NEXT) | instid1(VALU_DEP_1)
	v_fmac_f64_e32 v[2:3], v[120:121], v[98:99]
	v_add_f64_e64 v[2:3], v[96:97], -v[2:3]
	scratch_store_b64 off, v[2:3], off offset:8
	s_wait_xcnt 0x0
	v_cmpx_ne_u32_e32 0, v0
	s_cbranch_execz .LBB44_279
; %bb.278:
	scratch_load_b64 v[2:3], off, off
	v_mov_b64_e32 v[96:97], 0
	scratch_store_b64 off, v[96:97], off
	s_wait_loadcnt 0x0
	ds_store_b64 v1, v[2:3]
.LBB44_279:
	s_wait_xcnt 0x0
	s_or_b32 exec_lo, exec_lo, s0
	s_wait_storecnt_dscnt 0x0
	s_barrier_signal -1
	s_barrier_wait -1
	s_clause 0x5
	scratch_load_b128 v[96:99], off, off
	scratch_load_b128 v[0:3], off, off offset:16
	scratch_load_b128 v[100:103], off, off offset:32
	scratch_load_b128 v[104:107], off, off offset:48
	scratch_load_b128 v[108:111], off, off offset:64
	scratch_load_b128 v[112:115], off, off offset:80
	ds_load_2addr_b64 v[116:119], v94 offset0:47 offset1:48
	scratch_load_b128 v[120:123], off, off offset:96
	s_and_b32 vcc_lo, exec_lo, s18
	s_wait_loadcnt_dscnt 0x600
	v_fma_f64 v[126:127], v[98:99], v[116:117], 0
	s_wait_loadcnt 0x5
	s_delay_alu instid0(VALU_DEP_1)
	v_fmac_f64_e32 v[126:127], v[0:1], v[118:119]
	ds_load_2addr_b64 v[116:119], v94 offset0:49 offset1:50
	s_wait_dscnt 0x0
	v_fmac_f64_e32 v[126:127], v[2:3], v[116:117]
	scratch_load_b128 v[0:3], off, off offset:112
	s_wait_loadcnt 0x5
	v_fmac_f64_e32 v[126:127], v[100:101], v[118:119]
	ds_load_2addr_b64 v[98:101], v94 offset0:51 offset1:52
	scratch_load_b128 v[116:119], off, off offset:128
	s_wait_dscnt 0x0
	v_fmac_f64_e32 v[126:127], v[102:103], v[98:99]
	s_wait_loadcnt 0x5
	s_delay_alu instid0(VALU_DEP_1)
	v_fmac_f64_e32 v[126:127], v[104:105], v[100:101]
	ds_load_2addr_b64 v[98:101], v94 offset0:53 offset1:54
	scratch_load_b128 v[102:105], off, off offset:144
	s_wait_dscnt 0x0
	v_fmac_f64_e32 v[126:127], v[106:107], v[98:99]
	s_wait_loadcnt 0x5
	s_delay_alu instid0(VALU_DEP_1)
	;; [unrolled: 7-line block ×4, first 2 shown]
	v_fmac_f64_e32 v[126:127], v[120:121], v[100:101]
	ds_load_2addr_b64 v[98:101], v94 offset0:59 offset1:60
	s_wait_dscnt 0x0
	v_fmac_f64_e32 v[126:127], v[122:123], v[98:99]
	scratch_load_b128 v[120:123], off, off offset:192
	s_wait_loadcnt 0x5
	v_fmac_f64_e32 v[126:127], v[0:1], v[100:101]
	ds_load_2addr_b64 v[98:101], v94 offset0:61 offset1:62
	s_wait_dscnt 0x0
	v_fmac_f64_e32 v[126:127], v[2:3], v[98:99]
	scratch_load_b128 v[0:3], off, off offset:208
	s_wait_loadcnt 0x5
	v_fmac_f64_e32 v[126:127], v[116:117], v[100:101]
	ds_load_2addr_b64 v[98:101], v94 offset0:63 offset1:64
	scratch_load_b128 v[114:117], off, off offset:224
	s_wait_dscnt 0x0
	v_fmac_f64_e32 v[126:127], v[118:119], v[98:99]
	s_wait_loadcnt 0x5
	s_delay_alu instid0(VALU_DEP_1)
	v_fmac_f64_e32 v[126:127], v[102:103], v[100:101]
	ds_load_2addr_b64 v[98:101], v94 offset0:65 offset1:66
	s_wait_dscnt 0x0
	v_fmac_f64_e32 v[126:127], v[104:105], v[98:99]
	scratch_load_b128 v[102:105], off, off offset:240
	s_wait_loadcnt 0x5
	v_fmac_f64_e32 v[126:127], v[106:107], v[100:101]
	ds_load_2addr_b64 v[98:101], v94 offset0:67 offset1:68
	s_wait_dscnt 0x0
	v_fmac_f64_e32 v[126:127], v[108:109], v[98:99]
	scratch_load_b128 v[106:109], off, off offset:256
	s_wait_loadcnt 0x5
	;; [unrolled: 6-line block ×3, first 2 shown]
	v_fmac_f64_e32 v[126:127], v[120:121], v[100:101]
	ds_load_2addr_b64 v[98:101], v94 offset0:71 offset1:72
	scratch_load_b128 v[118:121], off, off offset:288
	s_wait_dscnt 0x0
	v_fmac_f64_e32 v[126:127], v[122:123], v[98:99]
	scratch_load_b128 v[122:125], off, off offset:304
	s_wait_loadcnt 0x6
	v_fmac_f64_e32 v[126:127], v[0:1], v[100:101]
	ds_load_2addr_b64 v[98:101], v94 offset0:73 offset1:74
	s_wait_dscnt 0x0
	v_fmac_f64_e32 v[126:127], v[2:3], v[98:99]
	ds_load_2addr_b64 v[0:3], v94 offset0:75 offset1:76
	s_wait_loadcnt 0x5
	v_fmac_f64_e32 v[126:127], v[114:115], v[100:101]
	scratch_load_b128 v[98:101], off, off offset:320
	s_wait_dscnt 0x0
	v_fmac_f64_e32 v[126:127], v[116:117], v[0:1]
	ds_load_2addr_b64 v[114:117], v94 offset0:77 offset1:78
	s_wait_loadcnt 0x5
	v_fmac_f64_e32 v[126:127], v[102:103], v[2:3]
	scratch_load_b128 v[0:3], off, off offset:336
	s_wait_dscnt 0x0
	v_fmac_f64_e32 v[126:127], v[104:105], v[114:115]
	ds_load_2addr_b64 v[102:105], v94 offset0:79 offset1:80
	s_wait_loadcnt 0x5
	v_fmac_f64_e32 v[126:127], v[106:107], v[116:117]
	scratch_load_b64 v[106:107], off, off offset:352
	s_wait_dscnt 0x0
	v_fmac_f64_e32 v[126:127], v[108:109], v[102:103]
	s_wait_loadcnt 0x5
	s_delay_alu instid0(VALU_DEP_1) | instskip(SKIP_4) | instid1(VALU_DEP_1)
	v_fmac_f64_e32 v[126:127], v[110:111], v[104:105]
	ds_load_2addr_b64 v[102:105], v94 offset0:81 offset1:82
	s_wait_dscnt 0x0
	v_fmac_f64_e32 v[126:127], v[112:113], v[102:103]
	s_wait_loadcnt 0x4
	v_fmac_f64_e32 v[126:127], v[118:119], v[104:105]
	ds_load_2addr_b64 v[102:105], v94 offset0:83 offset1:84
	s_wait_dscnt 0x0
	v_fmac_f64_e32 v[126:127], v[120:121], v[102:103]
	s_wait_loadcnt 0x3
	s_delay_alu instid0(VALU_DEP_1) | instskip(SKIP_4) | instid1(VALU_DEP_1)
	v_fmac_f64_e32 v[126:127], v[122:123], v[104:105]
	ds_load_2addr_b64 v[102:105], v94 offset0:85 offset1:86
	s_wait_dscnt 0x0
	v_fmac_f64_e32 v[126:127], v[124:125], v[102:103]
	s_wait_loadcnt 0x2
	v_fmac_f64_e32 v[126:127], v[98:99], v[104:105]
	ds_load_2addr_b64 v[102:105], v94 offset0:87 offset1:88
	s_wait_dscnt 0x0
	v_fmac_f64_e32 v[126:127], v[100:101], v[102:103]
	ds_load_2addr_b64 v[98:101], v94 offset0:89 offset1:90
	s_wait_loadcnt 0x1
	v_fmac_f64_e32 v[126:127], v[0:1], v[104:105]
	s_wait_dscnt 0x0
	s_delay_alu instid0(VALU_DEP_1) | instskip(SKIP_1) | instid1(VALU_DEP_1)
	v_fmac_f64_e32 v[126:127], v[2:3], v[98:99]
	s_wait_loadcnt 0x0
	v_fmac_f64_e32 v[126:127], v[106:107], v[100:101]
	s_delay_alu instid0(VALU_DEP_1)
	v_add_f64_e64 v[118:119], v[96:97], -v[126:127]
	scratch_store_b64 off, v[118:119], off
	s_cbranch_vccz .LBB44_368
; %bb.280:
	v_mov_b32_e32 v0, 0
	global_load_b32 v1, v0, s[2:3] offset:172
	s_wait_loadcnt 0x0
	v_cmp_ne_u32_e32 vcc_lo, 44, v1
	s_cbranch_vccz .LBB44_282
; %bb.281:
	v_lshlrev_b32_e32 v1, 3, v1
	scratch_load_b64 v[94:95], v1, off offset:-8
	s_wait_loadcnt 0x0
	scratch_store_b64 off, v[94:95], off offset:344
	scratch_store_b64 v1, v[2:3], off offset:-8
.LBB44_282:
	global_load_b32 v0, v0, s[2:3] offset:168
	s_wait_loadcnt 0x0
	v_cmp_eq_u32_e32 vcc_lo, 43, v0
	s_cbranch_vccnz .LBB44_284
; %bb.283:
	s_wait_xcnt 0x0
	v_lshlrev_b32_e32 v0, 3, v0
	s_delay_alu instid0(VALU_DEP_1)
	v_mov_b32_e32 v94, v0
	scratch_load_b64 v[0:1], v94, off offset:-8
	scratch_load_b64 v[2:3], off, off offset:336
	s_wait_loadcnt 0x1
	scratch_store_b64 off, v[0:1], off offset:336
	s_wait_loadcnt 0x0
	scratch_store_b64 v94, v[2:3], off offset:-8
.LBB44_284:
	s_wait_xcnt 0x0
	v_mov_b32_e32 v0, 0
	global_load_b32 v1, v0, s[2:3] offset:164
	s_wait_loadcnt 0x0
	v_cmp_eq_u32_e32 vcc_lo, 42, v1
	s_cbranch_vccnz .LBB44_286
; %bb.285:
	v_lshlrev_b32_e32 v1, 3, v1
	scratch_load_b64 v[2:3], v1, off offset:-8
	scratch_load_b64 v[94:95], off, off offset:328
	s_wait_loadcnt 0x1
	scratch_store_b64 off, v[2:3], off offset:328
	s_wait_loadcnt 0x0
	scratch_store_b64 v1, v[94:95], off offset:-8
.LBB44_286:
	global_load_b32 v0, v0, s[2:3] offset:160
	s_wait_loadcnt 0x0
	v_cmp_eq_u32_e32 vcc_lo, 41, v0
	s_cbranch_vccnz .LBB44_288
; %bb.287:
	s_wait_xcnt 0x0
	v_lshlrev_b32_e32 v0, 3, v0
	s_delay_alu instid0(VALU_DEP_1)
	v_mov_b32_e32 v94, v0
	scratch_load_b64 v[0:1], v94, off offset:-8
	scratch_load_b64 v[2:3], off, off offset:320
	s_wait_loadcnt 0x1
	scratch_store_b64 off, v[0:1], off offset:320
	s_wait_loadcnt 0x0
	scratch_store_b64 v94, v[2:3], off offset:-8
.LBB44_288:
	s_wait_xcnt 0x0
	v_mov_b32_e32 v0, 0
	global_load_b32 v1, v0, s[2:3] offset:156
	s_wait_loadcnt 0x0
	v_cmp_eq_u32_e32 vcc_lo, 40, v1
	s_cbranch_vccnz .LBB44_290
; %bb.289:
	v_lshlrev_b32_e32 v1, 3, v1
	scratch_load_b64 v[2:3], v1, off offset:-8
	scratch_load_b64 v[94:95], off, off offset:312
	s_wait_loadcnt 0x1
	scratch_store_b64 off, v[2:3], off offset:312
	s_wait_loadcnt 0x0
	scratch_store_b64 v1, v[94:95], off offset:-8
.LBB44_290:
	;; [unrolled: 31-line block ×21, first 2 shown]
	global_load_b32 v0, v0, s[2:3]
	scratch_load_b64 v[118:119], off, off
	s_wait_loadcnt 0x1
	v_cmp_eq_u32_e32 vcc_lo, 1, v0
	s_cbranch_vccnz .LBB44_368
; %bb.367:
	s_wait_xcnt 0x1
	v_lshlrev_b32_e32 v0, 3, v0
	s_delay_alu instid0(VALU_DEP_1)
	v_mov_b32_e32 v2, v0
	scratch_load_b64 v[0:1], v2, off offset:-8
	s_wait_loadcnt 0x0
	scratch_store_b64 off, v[0:1], off
	scratch_store_b64 v2, v[118:119], off offset:-8
	scratch_load_b64 v[118:119], off, off
.LBB44_368:
	v_lshl_add_u64 v[120:121], v[8:9], 3, s[4:5]
	v_lshl_add_u64 v[114:115], v[10:11], 3, s[4:5]
	;; [unrolled: 1-line block ×41, first 2 shown]
	s_wait_xcnt 0x1
	v_lshl_add_u64 v[0:1], v[90:91], 3, s[4:5]
	s_clause 0x6
	scratch_load_b128 v[64:67], off, off offset:8
	scratch_load_b128 v[68:71], off, off offset:24
	;; [unrolled: 1-line block ×7, first 2 shown]
	s_wait_loadcnt 0x7
	global_store_b64 v[6:7], v[118:119], off
	s_clause 0x1
	scratch_load_b128 v[122:125], off, off offset:120
	scratch_load_b128 v[126:129], off, off offset:136
	v_lshl_add_u64 v[2:3], v[92:93], 3, s[4:5]
	s_wait_loadcnt 0x8
	s_clause 0x1
	global_store_b64 v[4:5], v[64:65], off
	global_store_b64 v[120:121], v[66:67], off
	s_clause 0x1
	scratch_load_b128 v[4:7], off, off offset:152
	scratch_load_b128 v[64:67], off, off offset:168
	s_wait_loadcnt 0x9
	s_clause 0x1
	global_store_b64 v[114:115], v[68:69], off
	global_store_b64 v[116:117], v[70:71], off
	s_clause 0x1
	scratch_load_b128 v[68:71], off, off offset:184
	scratch_load_b128 v[114:117], off, off offset:200
	;; [unrolled: 7-line block ×6, first 2 shown]
	s_wait_loadcnt 0xe
	s_clause 0x1
	global_store_b64 v[94:95], v[88:89], off
	global_store_b64 v[96:97], v[90:91], off
	scratch_load_b128 v[88:91], off, off offset:344
	s_wait_loadcnt 0xe
	s_clause 0x1
	global_store_b64 v[8:9], v[122:123], off
	global_store_b64 v[10:11], v[124:125], off
	s_wait_loadcnt 0xd
	s_clause 0x1
	global_store_b64 v[12:13], v[126:127], off
	global_store_b64 v[14:15], v[128:129], off
	;; [unrolled: 4-line block ×15, first 2 shown]
	s_sendmsg sendmsg(MSG_DEALLOC_VGPRS)
	s_endpgm
	.section	.rodata,"a",@progbits
	.p2align	6, 0x0
	.amdhsa_kernel _ZN9rocsolver6v33100L18getri_kernel_smallILi45EdPdEEvT1_iilPiilS4_bb
		.amdhsa_group_segment_fixed_size 728
		.amdhsa_private_segment_fixed_size 368
		.amdhsa_kernarg_size 60
		.amdhsa_user_sgpr_count 2
		.amdhsa_user_sgpr_dispatch_ptr 0
		.amdhsa_user_sgpr_queue_ptr 0
		.amdhsa_user_sgpr_kernarg_segment_ptr 1
		.amdhsa_user_sgpr_dispatch_id 0
		.amdhsa_user_sgpr_kernarg_preload_length 0
		.amdhsa_user_sgpr_kernarg_preload_offset 0
		.amdhsa_user_sgpr_private_segment_size 0
		.amdhsa_wavefront_size32 1
		.amdhsa_uses_dynamic_stack 0
		.amdhsa_enable_private_segment 1
		.amdhsa_system_sgpr_workgroup_id_x 1
		.amdhsa_system_sgpr_workgroup_id_y 0
		.amdhsa_system_sgpr_workgroup_id_z 0
		.amdhsa_system_sgpr_workgroup_info 0
		.amdhsa_system_vgpr_workitem_id 0
		.amdhsa_next_free_vgpr 132
		.amdhsa_next_free_sgpr 19
		.amdhsa_named_barrier_count 0
		.amdhsa_reserve_vcc 1
		.amdhsa_float_round_mode_32 0
		.amdhsa_float_round_mode_16_64 0
		.amdhsa_float_denorm_mode_32 3
		.amdhsa_float_denorm_mode_16_64 3
		.amdhsa_fp16_overflow 0
		.amdhsa_memory_ordered 1
		.amdhsa_forward_progress 1
		.amdhsa_inst_pref_size 255
		.amdhsa_round_robin_scheduling 0
		.amdhsa_exception_fp_ieee_invalid_op 0
		.amdhsa_exception_fp_denorm_src 0
		.amdhsa_exception_fp_ieee_div_zero 0
		.amdhsa_exception_fp_ieee_overflow 0
		.amdhsa_exception_fp_ieee_underflow 0
		.amdhsa_exception_fp_ieee_inexact 0
		.amdhsa_exception_int_div_zero 0
	.end_amdhsa_kernel
	.section	.text._ZN9rocsolver6v33100L18getri_kernel_smallILi45EdPdEEvT1_iilPiilS4_bb,"axG",@progbits,_ZN9rocsolver6v33100L18getri_kernel_smallILi45EdPdEEvT1_iilPiilS4_bb,comdat
.Lfunc_end44:
	.size	_ZN9rocsolver6v33100L18getri_kernel_smallILi45EdPdEEvT1_iilPiilS4_bb, .Lfunc_end44-_ZN9rocsolver6v33100L18getri_kernel_smallILi45EdPdEEvT1_iilPiilS4_bb
                                        ; -- End function
	.set _ZN9rocsolver6v33100L18getri_kernel_smallILi45EdPdEEvT1_iilPiilS4_bb.num_vgpr, 132
	.set _ZN9rocsolver6v33100L18getri_kernel_smallILi45EdPdEEvT1_iilPiilS4_bb.num_agpr, 0
	.set _ZN9rocsolver6v33100L18getri_kernel_smallILi45EdPdEEvT1_iilPiilS4_bb.numbered_sgpr, 19
	.set _ZN9rocsolver6v33100L18getri_kernel_smallILi45EdPdEEvT1_iilPiilS4_bb.num_named_barrier, 0
	.set _ZN9rocsolver6v33100L18getri_kernel_smallILi45EdPdEEvT1_iilPiilS4_bb.private_seg_size, 368
	.set _ZN9rocsolver6v33100L18getri_kernel_smallILi45EdPdEEvT1_iilPiilS4_bb.uses_vcc, 1
	.set _ZN9rocsolver6v33100L18getri_kernel_smallILi45EdPdEEvT1_iilPiilS4_bb.uses_flat_scratch, 1
	.set _ZN9rocsolver6v33100L18getri_kernel_smallILi45EdPdEEvT1_iilPiilS4_bb.has_dyn_sized_stack, 0
	.set _ZN9rocsolver6v33100L18getri_kernel_smallILi45EdPdEEvT1_iilPiilS4_bb.has_recursion, 0
	.set _ZN9rocsolver6v33100L18getri_kernel_smallILi45EdPdEEvT1_iilPiilS4_bb.has_indirect_call, 0
	.section	.AMDGPU.csdata,"",@progbits
; Kernel info:
; codeLenInByte = 40748
; TotalNumSgprs: 21
; NumVgprs: 132
; ScratchSize: 368
; MemoryBound: 0
; FloatMode: 240
; IeeeMode: 1
; LDSByteSize: 728 bytes/workgroup (compile time only)
; SGPRBlocks: 0
; VGPRBlocks: 8
; NumSGPRsForWavesPerEU: 21
; NumVGPRsForWavesPerEU: 132
; NamedBarCnt: 0
; Occupancy: 7
; WaveLimiterHint : 1
; COMPUTE_PGM_RSRC2:SCRATCH_EN: 1
; COMPUTE_PGM_RSRC2:USER_SGPR: 2
; COMPUTE_PGM_RSRC2:TRAP_HANDLER: 0
; COMPUTE_PGM_RSRC2:TGID_X_EN: 1
; COMPUTE_PGM_RSRC2:TGID_Y_EN: 0
; COMPUTE_PGM_RSRC2:TGID_Z_EN: 0
; COMPUTE_PGM_RSRC2:TIDIG_COMP_CNT: 0
	.section	.text._ZN9rocsolver6v33100L18getri_kernel_smallILi46EdPdEEvT1_iilPiilS4_bb,"axG",@progbits,_ZN9rocsolver6v33100L18getri_kernel_smallILi46EdPdEEvT1_iilPiilS4_bb,comdat
	.globl	_ZN9rocsolver6v33100L18getri_kernel_smallILi46EdPdEEvT1_iilPiilS4_bb ; -- Begin function _ZN9rocsolver6v33100L18getri_kernel_smallILi46EdPdEEvT1_iilPiilS4_bb
	.p2align	8
	.type	_ZN9rocsolver6v33100L18getri_kernel_smallILi46EdPdEEvT1_iilPiilS4_bb,@function
_ZN9rocsolver6v33100L18getri_kernel_smallILi46EdPdEEvT1_iilPiilS4_bb: ; @_ZN9rocsolver6v33100L18getri_kernel_smallILi46EdPdEEvT1_iilPiilS4_bb
; %bb.0:
	s_mov_b32 s2, exec_lo
	v_cmpx_gt_u32_e32 46, v0
	s_cbranch_execz .LBB45_194
; %bb.1:
	s_clause 0x2
	s_load_b32 s2, s[0:1], 0x38
	s_load_b128 s[12:15], s[0:1], 0x10
	s_load_b128 s[4:7], s[0:1], 0x28
	s_getreg_b32 s9, hwreg(HW_REG_IB_STS2, 6, 4)
                                        ; implicit-def: $sgpr16_sgpr17
	s_wait_kmcnt 0x0
	s_bitcmp1_b32 s2, 8
	s_cselect_b32 s20, -1, 0
	s_bfe_u32 s3, ttmp6, 0x4000c
	s_and_b32 s8, ttmp6, 15
	s_add_co_i32 s3, s3, 1
	s_delay_alu instid0(SALU_CYCLE_1) | instskip(NEXT) | instid1(SALU_CYCLE_1)
	s_mul_i32 s3, ttmp9, s3
	s_add_co_i32 s8, s8, s3
	s_cmp_eq_u32 s9, 0
	s_cselect_b32 s18, ttmp9, s8
	s_bfe_u32 s2, s2, 0x10008
	s_ashr_i32 s19, s18, 31
	s_cmp_eq_u32 s2, 0
	s_cbranch_scc1 .LBB45_3
; %bb.2:
	s_load_b32 s2, s[0:1], 0x20
	s_mul_u64 s[4:5], s[4:5], s[18:19]
	s_delay_alu instid0(SALU_CYCLE_1) | instskip(NEXT) | instid1(SALU_CYCLE_1)
	s_lshl_b64 s[4:5], s[4:5], 2
	s_add_nc_u64 s[4:5], s[14:15], s[4:5]
	s_wait_kmcnt 0x0
	s_ashr_i32 s3, s2, 31
	s_delay_alu instid0(SALU_CYCLE_1) | instskip(NEXT) | instid1(SALU_CYCLE_1)
	s_lshl_b64 s[2:3], s[2:3], 2
	s_add_nc_u64 s[16:17], s[4:5], s[2:3]
.LBB45_3:
	s_clause 0x1
	s_load_b128 s[8:11], s[0:1], 0x0
	s_load_b32 s4, s[0:1], 0x38
	s_wait_xcnt 0x0
	s_mul_u64 s[0:1], s[12:13], s[18:19]
	v_dual_mov_b32 v3, 0 :: v_dual_lshlrev_b32 v2, 3, v0
	s_lshl_b64 s[0:1], s[0:1], 3
	s_wait_kmcnt 0x0
	v_add3_u32 v8, s11, s11, v0
	s_ashr_i32 s3, s10, 31
	s_mov_b32 s2, s10
	s_add_nc_u64 s[0:1], s[8:9], s[0:1]
	s_lshl_b64 s[2:3], s[2:3], 3
	v_add_nc_u32_e32 v10, s11, v8
	s_add_nc_u64 s[2:3], s[0:1], s[2:3]
	s_ashr_i32 s1, s11, 31
	v_add_nc_u64_e32 v[4:5], s[2:3], v[2:3]
	s_mov_b32 s0, s11
	v_add_nc_u32_e32 v12, s11, v10
	s_bitcmp0_b32 s4, 0
	s_delay_alu instid0(VALU_DEP_2) | instskip(NEXT) | instid1(VALU_DEP_2)
	v_lshl_add_u64 v[6:7], s[0:1], 3, v[4:5]
	v_add_nc_u32_e32 v14, s11, v12
	s_mov_b32 s1, -1
	s_delay_alu instid0(VALU_DEP_1)
	v_add_nc_u32_e32 v16, s11, v14
	s_clause 0x3
	global_load_b64 v[68:69], v0, s[2:3] scale_offset
	global_load_b64 v[70:71], v[6:7], off
	global_load_b64 v[72:73], v8, s[2:3] scale_offset
	global_load_b64 v[74:75], v10, s[2:3] scale_offset
	v_add_nc_u32_e32 v18, s11, v16
	s_delay_alu instid0(VALU_DEP_1)
	v_add_nc_u32_e32 v20, s11, v18
	s_clause 0x3
	global_load_b64 v[76:77], v12, s[2:3] scale_offset
	global_load_b64 v[78:79], v14, s[2:3] scale_offset
	;; [unrolled: 1-line block ×4, first 2 shown]
	v_add_nc_u32_e32 v22, s11, v20
	s_delay_alu instid0(VALU_DEP_1) | instskip(NEXT) | instid1(VALU_DEP_1)
	v_add_nc_u32_e32 v24, s11, v22
	v_add_nc_u32_e32 v26, s11, v24
	s_delay_alu instid0(VALU_DEP_1) | instskip(SKIP_4) | instid1(VALU_DEP_1)
	v_add_nc_u32_e32 v28, s11, v26
	s_clause 0x1
	global_load_b64 v[84:85], v20, s[2:3] scale_offset
	global_load_b64 v[86:87], v22, s[2:3] scale_offset
	v_add_nc_u32_e32 v30, s11, v28
	v_add_nc_u32_e32 v32, s11, v30
	s_clause 0x3
	global_load_b64 v[88:89], v24, s[2:3] scale_offset
	global_load_b64 v[90:91], v26, s[2:3] scale_offset
	;; [unrolled: 1-line block ×4, first 2 shown]
	v_add_nc_u32_e32 v34, s11, v32
	s_delay_alu instid0(VALU_DEP_1) | instskip(NEXT) | instid1(VALU_DEP_1)
	v_add_nc_u32_e32 v36, s11, v34
	v_add_nc_u32_e32 v38, s11, v36
	s_delay_alu instid0(VALU_DEP_1) | instskip(NEXT) | instid1(VALU_DEP_1)
	v_add_nc_u32_e32 v40, s11, v38
	v_add_nc_u32_e32 v42, s11, v40
	s_delay_alu instid0(VALU_DEP_1)
	v_add_nc_u32_e32 v44, s11, v42
	s_clause 0x3
	global_load_b64 v[96:97], v32, s[2:3] scale_offset
	global_load_b64 v[98:99], v34, s[2:3] scale_offset
	;; [unrolled: 1-line block ×4, first 2 shown]
	v_add_nc_u32_e32 v46, s11, v44
	s_delay_alu instid0(VALU_DEP_1) | instskip(NEXT) | instid1(VALU_DEP_1)
	v_add_nc_u32_e32 v48, s11, v46
	v_add_nc_u32_e32 v50, s11, v48
	s_delay_alu instid0(VALU_DEP_1)
	v_add_nc_u32_e32 v52, s11, v50
	s_clause 0x3
	global_load_b64 v[104:105], v40, s[2:3] scale_offset
	global_load_b64 v[106:107], v42, s[2:3] scale_offset
	;; [unrolled: 1-line block ×4, first 2 shown]
	v_add_nc_u32_e32 v54, s11, v52
	s_delay_alu instid0(VALU_DEP_1)
	v_add_nc_u32_e32 v56, s11, v54
	s_clause 0x3
	global_load_b64 v[112:113], v48, s[2:3] scale_offset
	global_load_b64 v[114:115], v50, s[2:3] scale_offset
	;; [unrolled: 1-line block ×4, first 2 shown]
	v_add_nc_u32_e32 v58, s11, v56
	s_delay_alu instid0(VALU_DEP_1) | instskip(NEXT) | instid1(VALU_DEP_1)
	v_add_nc_u32_e32 v60, s11, v58
	v_add_nc_u32_e32 v62, s11, v60
	s_delay_alu instid0(VALU_DEP_1)
	v_add_nc_u32_e32 v64, s11, v62
	s_clause 0x1
	global_load_b64 v[120:121], v56, s[2:3] scale_offset
	global_load_b64 v[122:123], v58, s[2:3] scale_offset
	v_add_nc_u32_e32 v66, s11, v64
	s_wait_loadcnt 0x1a
	scratch_store_b128 off, v[68:71], off
	s_wait_xcnt 0x0
	v_add_nc_u32_e32 v68, s11, v66
	s_clause 0x1
	global_load_b64 v[124:125], v60, s[2:3] scale_offset
	global_load_b64 v[126:127], v62, s[2:3] scale_offset
	s_wait_loadcnt 0x1a
	scratch_store_b128 off, v[72:75], off offset:16
	s_clause 0x1
	global_load_b64 v[128:129], v64, s[2:3] scale_offset
	global_load_b64 v[130:131], v66, s[2:3] scale_offset
	v_add_nc_u32_e32 v70, s11, v68
	s_wait_xcnt 0x2
	s_delay_alu instid0(VALU_DEP_1)
	v_add_nc_u32_e32 v72, s11, v70
	s_wait_loadcnt 0x1a
	scratch_store_b128 off, v[76:79], off offset:32
	s_wait_loadcnt 0x18
	scratch_store_b128 off, v[80:83], off offset:48
	v_add_nc_u32_e32 v74, s11, v72
	s_wait_xcnt 0x1
	s_delay_alu instid0(VALU_DEP_1) | instskip(NEXT) | instid1(VALU_DEP_1)
	v_add_nc_u32_e32 v76, s11, v74
	v_add_nc_u32_e32 v78, s11, v76
	s_wait_xcnt 0x0
	s_delay_alu instid0(VALU_DEP_1) | instskip(SKIP_4) | instid1(VALU_DEP_1)
	v_add_nc_u32_e32 v80, s11, v78
	s_wait_loadcnt 0x16
	scratch_store_b128 off, v[84:87], off offset:64
	v_add_nc_u32_e32 v82, s11, v80
	s_wait_xcnt 0x0
	v_add_nc_u32_e32 v84, s11, v82
	s_wait_loadcnt 0x14
	scratch_store_b128 off, v[88:91], off offset:80
	s_wait_loadcnt 0x12
	scratch_store_b128 off, v[92:95], off offset:96
	v_add_nc_u32_e32 v86, s11, v84
	s_wait_xcnt 0x1
	s_delay_alu instid0(VALU_DEP_1) | instskip(NEXT) | instid1(VALU_DEP_1)
	v_add_nc_u32_e32 v88, s11, v86
	v_add_nc_u32_e32 v90, s11, v88
	s_wait_xcnt 0x0
	s_delay_alu instid0(VALU_DEP_1) | instskip(NEXT) | instid1(VALU_DEP_1)
	v_add_nc_u32_e32 v92, s11, v90
	v_add_nc_u32_e32 v94, s11, v92
	s_wait_loadcnt 0x10
	scratch_store_b128 off, v[96:99], off offset:112
	s_wait_loadcnt 0xe
	scratch_store_b128 off, v[100:103], off offset:128
	s_clause 0x1
	global_load_b64 v[96:97], v68, s[2:3] scale_offset
	global_load_b64 v[98:99], v70, s[2:3] scale_offset
	s_wait_loadcnt 0xe
	scratch_store_b128 off, v[104:107], off offset:144
	s_wait_loadcnt 0xc
	scratch_store_b128 off, v[108:111], off offset:160
	s_clause 0x3
	global_load_b64 v[100:101], v72, s[2:3] scale_offset
	global_load_b64 v[102:103], v74, s[2:3] scale_offset
	;; [unrolled: 1-line block ×4, first 2 shown]
	s_wait_loadcnt 0xe
	scratch_store_b128 off, v[112:115], off offset:176
	s_wait_loadcnt 0xc
	scratch_store_b128 off, v[116:119], off offset:192
	;; [unrolled: 2-line block ×3, first 2 shown]
	s_clause 0x3
	global_load_b64 v[108:109], v80, s[2:3] scale_offset
	global_load_b64 v[110:111], v82, s[2:3] scale_offset
	;; [unrolled: 1-line block ×4, first 2 shown]
	s_wait_loadcnt 0xc
	scratch_store_b128 off, v[124:127], off offset:224
	s_clause 0x1
	global_load_b64 v[116:117], v88, s[2:3] scale_offset
	global_load_b64 v[118:119], v90, s[2:3] scale_offset
	s_wait_loadcnt 0xc
	scratch_store_b128 off, v[128:131], off offset:240
	s_clause 0x1
	global_load_b64 v[120:121], v92, s[2:3] scale_offset
	global_load_b64 v[122:123], v94, s[2:3] scale_offset
	s_wait_loadcnt 0xc
	scratch_store_b128 off, v[96:99], off offset:256
	s_wait_loadcnt 0xa
	scratch_store_b128 off, v[100:103], off offset:272
	;; [unrolled: 2-line block ×7, first 2 shown]
	s_cbranch_scc1 .LBB45_192
; %bb.4:
	v_cmp_eq_u32_e64 s0, 0, v0
	s_wait_xcnt 0x0
	s_and_saveexec_b32 s1, s0
; %bb.5:
	v_mov_b32_e32 v1, 0
	ds_store_b32 v1, v1 offset:736
; %bb.6:
	s_or_b32 exec_lo, exec_lo, s1
	s_wait_storecnt_dscnt 0x0
	s_barrier_signal -1
	s_barrier_wait -1
	scratch_load_b64 v[96:97], v0, off scale_offset
	s_mov_b32 s4, exec_lo
	s_wait_loadcnt 0x0
	v_cmpx_eq_f64_e32 0, v[96:97]
	s_cbranch_execz .LBB45_10
; %bb.7:
	v_mov_b32_e32 v1, 0
	s_mov_b32 s5, 0
	ds_load_b32 v3, v1 offset:736
	s_wait_dscnt 0x0
	v_readfirstlane_b32 s1, v3
	v_add_nc_u32_e32 v3, 1, v0
	s_cmp_eq_u32 s1, 0
	s_delay_alu instid0(VALU_DEP_1) | instskip(SKIP_1) | instid1(SALU_CYCLE_1)
	v_cmp_gt_i32_e32 vcc_lo, s1, v3
	s_cselect_b32 s8, -1, 0
	s_or_b32 s8, s8, vcc_lo
	s_delay_alu instid0(SALU_CYCLE_1)
	s_and_b32 exec_lo, exec_lo, s8
	s_cbranch_execz .LBB45_10
; %bb.8:
	v_mov_b32_e32 v9, s1
.LBB45_9:                               ; =>This Inner Loop Header: Depth=1
	ds_cmpstore_rtn_b32 v9, v1, v3, v9 offset:736
	s_wait_dscnt 0x0
	v_cmp_ne_u32_e32 vcc_lo, 0, v9
	v_cmp_le_i32_e64 s1, v9, v3
	s_and_b32 s1, vcc_lo, s1
	s_delay_alu instid0(SALU_CYCLE_1) | instskip(NEXT) | instid1(SALU_CYCLE_1)
	s_and_b32 s1, exec_lo, s1
	s_or_b32 s5, s1, s5
	s_delay_alu instid0(SALU_CYCLE_1)
	s_and_not1_b32 exec_lo, exec_lo, s5
	s_cbranch_execnz .LBB45_9
.LBB45_10:
	s_or_b32 exec_lo, exec_lo, s4
	v_mov_b32_e32 v1, 0
	s_barrier_signal -1
	s_barrier_wait -1
	ds_load_b32 v3, v1 offset:736
	s_and_saveexec_b32 s1, s0
	s_cbranch_execz .LBB45_12
; %bb.11:
	s_lshl_b64 s[4:5], s[18:19], 2
	s_delay_alu instid0(SALU_CYCLE_1)
	s_add_nc_u64 s[4:5], s[6:7], s[4:5]
	s_wait_dscnt 0x0
	global_store_b32 v1, v3, s[4:5]
.LBB45_12:
	s_wait_xcnt 0x0
	s_or_b32 exec_lo, exec_lo, s1
	s_wait_dscnt 0x0
	v_cmp_ne_u32_e32 vcc_lo, 0, v3
	s_mov_b32 s1, 0
	s_cbranch_vccnz .LBB45_192
; %bb.13:
	v_lshl_add_u32 v3, v0, 3, 0
	v_add_nc_u32_e32 v1, 0x170, v2
	scratch_load_b64 v[96:97], v3, off
	s_wait_loadcnt 0x0
	v_div_scale_f64 v[98:99], null, v[96:97], v[96:97], 1.0
	v_div_scale_f64 v[104:105], vcc_lo, 1.0, v[96:97], 1.0
	s_delay_alu instid0(VALU_DEP_2) | instskip(SKIP_1) | instid1(TRANS32_DEP_1)
	v_rcp_f64_e32 v[100:101], v[98:99]
	v_nop
	v_fma_f64 v[102:103], -v[98:99], v[100:101], 1.0
	s_delay_alu instid0(VALU_DEP_1) | instskip(NEXT) | instid1(VALU_DEP_1)
	v_fmac_f64_e32 v[100:101], v[100:101], v[102:103]
	v_fma_f64 v[102:103], -v[98:99], v[100:101], 1.0
	s_delay_alu instid0(VALU_DEP_1) | instskip(NEXT) | instid1(VALU_DEP_1)
	v_fmac_f64_e32 v[100:101], v[100:101], v[102:103]
	v_mul_f64_e32 v[102:103], v[104:105], v[100:101]
	s_delay_alu instid0(VALU_DEP_1) | instskip(NEXT) | instid1(VALU_DEP_1)
	v_fma_f64 v[98:99], -v[98:99], v[102:103], v[104:105]
	v_div_fmas_f64 v[98:99], v[98:99], v[100:101], v[102:103]
	s_delay_alu instid0(VALU_DEP_1)
	v_div_fixup_f64 v[96:97], v[98:99], v[96:97], 1.0
	scratch_store_b64 v3, v[96:97], off
	scratch_load_b64 v[98:99], off, off offset:8
	s_wait_xcnt 0x1
	v_xor_b32_e32 v97, 0x80000000, v97
	s_wait_loadcnt 0x0
	ds_store_2addr_b64 v2, v[96:97], v[98:99] offset1:46
	s_wait_storecnt_dscnt 0x0
	s_barrier_signal -1
	s_barrier_wait -1
	s_wait_xcnt 0x0
	s_and_saveexec_b32 s1, s0
	s_cbranch_execz .LBB45_15
; %bb.14:
	scratch_load_b64 v[96:97], v3, off
	ds_load_b64 v[98:99], v1
	s_wait_loadcnt_dscnt 0x0
	v_fma_f64 v[96:97], v[96:97], v[98:99], 0
	v_mov_b32_e32 v9, 0
	ds_load_b64 v[100:101], v9 offset:8
	s_wait_dscnt 0x0
	v_mul_f64_e32 v[96:97], v[96:97], v[100:101]
	scratch_store_b64 off, v[96:97], off offset:8
.LBB45_15:
	s_wait_xcnt 0x0
	s_or_b32 exec_lo, exec_lo, s1
	s_wait_storecnt 0x0
	s_barrier_signal -1
	s_barrier_wait -1
	scratch_load_b64 v[96:97], off, off offset:16
	s_mov_b32 s1, exec_lo
	s_wait_loadcnt 0x0
	ds_store_b64 v1, v[96:97]
	s_wait_dscnt 0x0
	s_barrier_signal -1
	s_barrier_wait -1
	v_cmpx_gt_u32_e32 2, v0
	s_cbranch_execz .LBB45_19
; %bb.16:
	scratch_load_b64 v[96:97], v3, off
	ds_load_b64 v[98:99], v1
	s_wait_loadcnt_dscnt 0x0
	v_fma_f64 v[96:97], v[96:97], v[98:99], 0
	s_and_saveexec_b32 s4, s0
	s_cbranch_execz .LBB45_18
; %bb.17:
	scratch_load_b64 v[98:99], off, off offset:8
	v_mov_b32_e32 v3, 0
	ds_load_b64 v[100:101], v3 offset:376
	s_wait_loadcnt_dscnt 0x0
	v_fmac_f64_e32 v[96:97], v[98:99], v[100:101]
.LBB45_18:
	s_or_b32 exec_lo, exec_lo, s4
	v_mov_b32_e32 v3, 0
	ds_load_b64 v[98:99], v3 offset:16
	s_wait_dscnt 0x0
	v_mul_f64_e32 v[96:97], v[96:97], v[98:99]
	scratch_store_b64 off, v[96:97], off offset:16
.LBB45_19:
	s_wait_xcnt 0x0
	s_or_b32 exec_lo, exec_lo, s1
	s_wait_storecnt 0x0
	s_barrier_signal -1
	s_barrier_wait -1
	scratch_load_b64 v[96:97], off, off offset:24
	v_add_nc_u32_e32 v3, -1, v0
	s_mov_b32 s0, exec_lo
	s_wait_loadcnt 0x0
	ds_store_b64 v1, v[96:97]
	s_wait_dscnt 0x0
	s_barrier_signal -1
	s_barrier_wait -1
	v_cmpx_gt_u32_e32 3, v0
	s_cbranch_execz .LBB45_23
; %bb.20:
	v_mov_b64_e32 v[96:97], 0
	v_dual_add_nc_u32 v9, -1, v0 :: v_dual_mov_b32 v13, v2
	v_add_nc_u32_e32 v11, 0x170, v2
	s_mov_b32 s1, 0
.LBB45_21:                              ; =>This Inner Loop Header: Depth=1
	scratch_load_b64 v[98:99], v13, off
	ds_load_b64 v[100:101], v11
	v_dual_add_nc_u32 v9, 1, v9 :: v_dual_add_nc_u32 v11, 8, v11
	s_wait_xcnt 0x0
	v_add_nc_u32_e32 v13, 8, v13
	s_delay_alu instid0(VALU_DEP_2)
	v_cmp_lt_u32_e32 vcc_lo, 1, v9
	s_or_b32 s1, vcc_lo, s1
	s_wait_loadcnt_dscnt 0x0
	v_fmac_f64_e32 v[96:97], v[98:99], v[100:101]
	s_and_not1_b32 exec_lo, exec_lo, s1
	s_cbranch_execnz .LBB45_21
; %bb.22:
	s_or_b32 exec_lo, exec_lo, s1
	v_mov_b32_e32 v9, 0
	ds_load_b64 v[98:99], v9 offset:24
	s_wait_dscnt 0x0
	v_mul_f64_e32 v[96:97], v[96:97], v[98:99]
	scratch_store_b64 off, v[96:97], off offset:24
.LBB45_23:
	s_wait_xcnt 0x0
	s_or_b32 exec_lo, exec_lo, s0
	s_wait_storecnt 0x0
	s_barrier_signal -1
	s_barrier_wait -1
	scratch_load_b64 v[96:97], off, off offset:32
	s_mov_b32 s0, exec_lo
	s_wait_loadcnt 0x0
	ds_store_b64 v1, v[96:97]
	s_wait_dscnt 0x0
	s_barrier_signal -1
	s_barrier_wait -1
	v_cmpx_gt_u32_e32 4, v0
	s_cbranch_execz .LBB45_27
; %bb.24:
	v_mov_b64_e32 v[96:97], 0
	v_dual_add_nc_u32 v9, -1, v0 :: v_dual_mov_b32 v13, v2
	v_add_nc_u32_e32 v11, 0x170, v2
	s_mov_b32 s1, 0
.LBB45_25:                              ; =>This Inner Loop Header: Depth=1
	scratch_load_b64 v[98:99], v13, off
	ds_load_b64 v[100:101], v11
	v_dual_add_nc_u32 v9, 1, v9 :: v_dual_add_nc_u32 v11, 8, v11
	s_wait_xcnt 0x0
	v_add_nc_u32_e32 v13, 8, v13
	s_delay_alu instid0(VALU_DEP_2)
	v_cmp_lt_u32_e32 vcc_lo, 2, v9
	s_or_b32 s1, vcc_lo, s1
	s_wait_loadcnt_dscnt 0x0
	v_fmac_f64_e32 v[96:97], v[98:99], v[100:101]
	s_and_not1_b32 exec_lo, exec_lo, s1
	s_cbranch_execnz .LBB45_25
; %bb.26:
	s_or_b32 exec_lo, exec_lo, s1
	v_mov_b32_e32 v9, 0
	ds_load_b64 v[98:99], v9 offset:32
	s_wait_dscnt 0x0
	v_mul_f64_e32 v[96:97], v[96:97], v[98:99]
	scratch_store_b64 off, v[96:97], off offset:32
.LBB45_27:
	s_wait_xcnt 0x0
	s_or_b32 exec_lo, exec_lo, s0
	s_wait_storecnt 0x0
	s_barrier_signal -1
	s_barrier_wait -1
	scratch_load_b64 v[96:97], off, off offset:40
	s_mov_b32 s0, exec_lo
	s_wait_loadcnt 0x0
	ds_store_b64 v1, v[96:97]
	s_wait_dscnt 0x0
	s_barrier_signal -1
	s_barrier_wait -1
	v_cmpx_gt_u32_e32 5, v0
	s_cbranch_execz .LBB45_31
; %bb.28:
	v_mov_b64_e32 v[96:97], 0
	v_dual_add_nc_u32 v9, -1, v0 :: v_dual_mov_b32 v13, v2
	v_add_nc_u32_e32 v11, 0x170, v2
	s_mov_b32 s1, 0
.LBB45_29:                              ; =>This Inner Loop Header: Depth=1
	scratch_load_b64 v[98:99], v13, off
	ds_load_b64 v[100:101], v11
	v_dual_add_nc_u32 v9, 1, v9 :: v_dual_add_nc_u32 v11, 8, v11
	s_wait_xcnt 0x0
	v_add_nc_u32_e32 v13, 8, v13
	s_delay_alu instid0(VALU_DEP_2)
	v_cmp_lt_u32_e32 vcc_lo, 3, v9
	s_or_b32 s1, vcc_lo, s1
	s_wait_loadcnt_dscnt 0x0
	v_fmac_f64_e32 v[96:97], v[98:99], v[100:101]
	s_and_not1_b32 exec_lo, exec_lo, s1
	s_cbranch_execnz .LBB45_29
; %bb.30:
	s_or_b32 exec_lo, exec_lo, s1
	v_mov_b32_e32 v9, 0
	ds_load_b64 v[98:99], v9 offset:40
	s_wait_dscnt 0x0
	v_mul_f64_e32 v[96:97], v[96:97], v[98:99]
	scratch_store_b64 off, v[96:97], off offset:40
.LBB45_31:
	s_wait_xcnt 0x0
	s_or_b32 exec_lo, exec_lo, s0
	s_wait_storecnt 0x0
	s_barrier_signal -1
	s_barrier_wait -1
	scratch_load_b64 v[96:97], off, off offset:48
	s_mov_b32 s0, exec_lo
	s_wait_loadcnt 0x0
	ds_store_b64 v1, v[96:97]
	s_wait_dscnt 0x0
	s_barrier_signal -1
	s_barrier_wait -1
	v_cmpx_gt_u32_e32 6, v0
	s_cbranch_execz .LBB45_35
; %bb.32:
	v_mov_b64_e32 v[96:97], 0
	v_dual_add_nc_u32 v9, -1, v0 :: v_dual_mov_b32 v13, v2
	v_add_nc_u32_e32 v11, 0x170, v2
	s_mov_b32 s1, 0
.LBB45_33:                              ; =>This Inner Loop Header: Depth=1
	scratch_load_b64 v[98:99], v13, off
	ds_load_b64 v[100:101], v11
	v_dual_add_nc_u32 v9, 1, v9 :: v_dual_add_nc_u32 v11, 8, v11
	s_wait_xcnt 0x0
	v_add_nc_u32_e32 v13, 8, v13
	s_delay_alu instid0(VALU_DEP_2)
	v_cmp_lt_u32_e32 vcc_lo, 4, v9
	s_or_b32 s1, vcc_lo, s1
	s_wait_loadcnt_dscnt 0x0
	v_fmac_f64_e32 v[96:97], v[98:99], v[100:101]
	s_and_not1_b32 exec_lo, exec_lo, s1
	s_cbranch_execnz .LBB45_33
; %bb.34:
	s_or_b32 exec_lo, exec_lo, s1
	v_mov_b32_e32 v9, 0
	ds_load_b64 v[98:99], v9 offset:48
	s_wait_dscnt 0x0
	v_mul_f64_e32 v[96:97], v[96:97], v[98:99]
	scratch_store_b64 off, v[96:97], off offset:48
.LBB45_35:
	s_wait_xcnt 0x0
	s_or_b32 exec_lo, exec_lo, s0
	s_wait_storecnt 0x0
	s_barrier_signal -1
	s_barrier_wait -1
	scratch_load_b64 v[96:97], off, off offset:56
	s_mov_b32 s0, exec_lo
	s_wait_loadcnt 0x0
	ds_store_b64 v1, v[96:97]
	s_wait_dscnt 0x0
	s_barrier_signal -1
	s_barrier_wait -1
	v_cmpx_gt_u32_e32 7, v0
	s_cbranch_execz .LBB45_39
; %bb.36:
	v_mov_b64_e32 v[96:97], 0
	v_dual_add_nc_u32 v9, -1, v0 :: v_dual_mov_b32 v13, v2
	v_add_nc_u32_e32 v11, 0x170, v2
	s_mov_b32 s1, 0
.LBB45_37:                              ; =>This Inner Loop Header: Depth=1
	scratch_load_b64 v[98:99], v13, off
	ds_load_b64 v[100:101], v11
	v_dual_add_nc_u32 v9, 1, v9 :: v_dual_add_nc_u32 v11, 8, v11
	s_wait_xcnt 0x0
	v_add_nc_u32_e32 v13, 8, v13
	s_delay_alu instid0(VALU_DEP_2)
	v_cmp_lt_u32_e32 vcc_lo, 5, v9
	s_or_b32 s1, vcc_lo, s1
	s_wait_loadcnt_dscnt 0x0
	v_fmac_f64_e32 v[96:97], v[98:99], v[100:101]
	s_and_not1_b32 exec_lo, exec_lo, s1
	s_cbranch_execnz .LBB45_37
; %bb.38:
	s_or_b32 exec_lo, exec_lo, s1
	v_mov_b32_e32 v9, 0
	ds_load_b64 v[98:99], v9 offset:56
	s_wait_dscnt 0x0
	v_mul_f64_e32 v[96:97], v[96:97], v[98:99]
	scratch_store_b64 off, v[96:97], off offset:56
.LBB45_39:
	s_wait_xcnt 0x0
	s_or_b32 exec_lo, exec_lo, s0
	s_wait_storecnt 0x0
	s_barrier_signal -1
	s_barrier_wait -1
	scratch_load_b64 v[96:97], off, off offset:64
	s_mov_b32 s0, exec_lo
	s_wait_loadcnt 0x0
	ds_store_b64 v1, v[96:97]
	s_wait_dscnt 0x0
	s_barrier_signal -1
	s_barrier_wait -1
	v_cmpx_gt_u32_e32 8, v0
	s_cbranch_execz .LBB45_43
; %bb.40:
	v_mov_b64_e32 v[96:97], 0
	v_dual_add_nc_u32 v9, -1, v0 :: v_dual_mov_b32 v13, v2
	v_add_nc_u32_e32 v11, 0x170, v2
	s_mov_b32 s1, 0
.LBB45_41:                              ; =>This Inner Loop Header: Depth=1
	scratch_load_b64 v[98:99], v13, off
	ds_load_b64 v[100:101], v11
	v_dual_add_nc_u32 v9, 1, v9 :: v_dual_add_nc_u32 v11, 8, v11
	s_wait_xcnt 0x0
	v_add_nc_u32_e32 v13, 8, v13
	s_delay_alu instid0(VALU_DEP_2)
	v_cmp_lt_u32_e32 vcc_lo, 6, v9
	s_or_b32 s1, vcc_lo, s1
	s_wait_loadcnt_dscnt 0x0
	v_fmac_f64_e32 v[96:97], v[98:99], v[100:101]
	s_and_not1_b32 exec_lo, exec_lo, s1
	s_cbranch_execnz .LBB45_41
; %bb.42:
	s_or_b32 exec_lo, exec_lo, s1
	v_mov_b32_e32 v9, 0
	ds_load_b64 v[98:99], v9 offset:64
	s_wait_dscnt 0x0
	v_mul_f64_e32 v[96:97], v[96:97], v[98:99]
	scratch_store_b64 off, v[96:97], off offset:64
.LBB45_43:
	s_wait_xcnt 0x0
	s_or_b32 exec_lo, exec_lo, s0
	s_wait_storecnt 0x0
	s_barrier_signal -1
	s_barrier_wait -1
	scratch_load_b64 v[96:97], off, off offset:72
	s_mov_b32 s0, exec_lo
	s_wait_loadcnt 0x0
	ds_store_b64 v1, v[96:97]
	s_wait_dscnt 0x0
	s_barrier_signal -1
	s_barrier_wait -1
	v_cmpx_gt_u32_e32 9, v0
	s_cbranch_execz .LBB45_47
; %bb.44:
	v_mov_b64_e32 v[96:97], 0
	v_dual_add_nc_u32 v9, -1, v0 :: v_dual_mov_b32 v13, v2
	v_add_nc_u32_e32 v11, 0x170, v2
	s_mov_b32 s1, 0
.LBB45_45:                              ; =>This Inner Loop Header: Depth=1
	scratch_load_b64 v[98:99], v13, off
	ds_load_b64 v[100:101], v11
	v_dual_add_nc_u32 v9, 1, v9 :: v_dual_add_nc_u32 v11, 8, v11
	s_wait_xcnt 0x0
	v_add_nc_u32_e32 v13, 8, v13
	s_delay_alu instid0(VALU_DEP_2)
	v_cmp_lt_u32_e32 vcc_lo, 7, v9
	s_or_b32 s1, vcc_lo, s1
	s_wait_loadcnt_dscnt 0x0
	v_fmac_f64_e32 v[96:97], v[98:99], v[100:101]
	s_and_not1_b32 exec_lo, exec_lo, s1
	s_cbranch_execnz .LBB45_45
; %bb.46:
	s_or_b32 exec_lo, exec_lo, s1
	v_mov_b32_e32 v9, 0
	ds_load_b64 v[98:99], v9 offset:72
	s_wait_dscnt 0x0
	v_mul_f64_e32 v[96:97], v[96:97], v[98:99]
	scratch_store_b64 off, v[96:97], off offset:72
.LBB45_47:
	s_wait_xcnt 0x0
	s_or_b32 exec_lo, exec_lo, s0
	s_wait_storecnt 0x0
	s_barrier_signal -1
	s_barrier_wait -1
	scratch_load_b64 v[96:97], off, off offset:80
	s_mov_b32 s0, exec_lo
	s_wait_loadcnt 0x0
	ds_store_b64 v1, v[96:97]
	s_wait_dscnt 0x0
	s_barrier_signal -1
	s_barrier_wait -1
	v_cmpx_gt_u32_e32 10, v0
	s_cbranch_execz .LBB45_51
; %bb.48:
	v_mov_b64_e32 v[96:97], 0
	v_dual_add_nc_u32 v9, -1, v0 :: v_dual_mov_b32 v13, v2
	v_add_nc_u32_e32 v11, 0x170, v2
	s_mov_b32 s1, 0
.LBB45_49:                              ; =>This Inner Loop Header: Depth=1
	scratch_load_b64 v[98:99], v13, off
	ds_load_b64 v[100:101], v11
	v_dual_add_nc_u32 v9, 1, v9 :: v_dual_add_nc_u32 v11, 8, v11
	s_wait_xcnt 0x0
	v_add_nc_u32_e32 v13, 8, v13
	s_delay_alu instid0(VALU_DEP_2)
	v_cmp_lt_u32_e32 vcc_lo, 8, v9
	s_or_b32 s1, vcc_lo, s1
	s_wait_loadcnt_dscnt 0x0
	v_fmac_f64_e32 v[96:97], v[98:99], v[100:101]
	s_and_not1_b32 exec_lo, exec_lo, s1
	s_cbranch_execnz .LBB45_49
; %bb.50:
	s_or_b32 exec_lo, exec_lo, s1
	v_mov_b32_e32 v9, 0
	ds_load_b64 v[98:99], v9 offset:80
	s_wait_dscnt 0x0
	v_mul_f64_e32 v[96:97], v[96:97], v[98:99]
	scratch_store_b64 off, v[96:97], off offset:80
.LBB45_51:
	s_wait_xcnt 0x0
	s_or_b32 exec_lo, exec_lo, s0
	s_wait_storecnt 0x0
	s_barrier_signal -1
	s_barrier_wait -1
	scratch_load_b64 v[96:97], off, off offset:88
	s_mov_b32 s0, exec_lo
	s_wait_loadcnt 0x0
	ds_store_b64 v1, v[96:97]
	s_wait_dscnt 0x0
	s_barrier_signal -1
	s_barrier_wait -1
	v_cmpx_gt_u32_e32 11, v0
	s_cbranch_execz .LBB45_55
; %bb.52:
	v_mov_b64_e32 v[96:97], 0
	v_dual_add_nc_u32 v9, -1, v0 :: v_dual_mov_b32 v13, v2
	v_add_nc_u32_e32 v11, 0x170, v2
	s_mov_b32 s1, 0
.LBB45_53:                              ; =>This Inner Loop Header: Depth=1
	scratch_load_b64 v[98:99], v13, off
	ds_load_b64 v[100:101], v11
	v_dual_add_nc_u32 v9, 1, v9 :: v_dual_add_nc_u32 v11, 8, v11
	s_wait_xcnt 0x0
	v_add_nc_u32_e32 v13, 8, v13
	s_delay_alu instid0(VALU_DEP_2)
	v_cmp_lt_u32_e32 vcc_lo, 9, v9
	s_or_b32 s1, vcc_lo, s1
	s_wait_loadcnt_dscnt 0x0
	v_fmac_f64_e32 v[96:97], v[98:99], v[100:101]
	s_and_not1_b32 exec_lo, exec_lo, s1
	s_cbranch_execnz .LBB45_53
; %bb.54:
	s_or_b32 exec_lo, exec_lo, s1
	v_mov_b32_e32 v9, 0
	ds_load_b64 v[98:99], v9 offset:88
	s_wait_dscnt 0x0
	v_mul_f64_e32 v[96:97], v[96:97], v[98:99]
	scratch_store_b64 off, v[96:97], off offset:88
.LBB45_55:
	s_wait_xcnt 0x0
	s_or_b32 exec_lo, exec_lo, s0
	s_wait_storecnt 0x0
	s_barrier_signal -1
	s_barrier_wait -1
	scratch_load_b64 v[96:97], off, off offset:96
	s_mov_b32 s0, exec_lo
	s_wait_loadcnt 0x0
	ds_store_b64 v1, v[96:97]
	s_wait_dscnt 0x0
	s_barrier_signal -1
	s_barrier_wait -1
	v_cmpx_gt_u32_e32 12, v0
	s_cbranch_execz .LBB45_59
; %bb.56:
	v_mov_b64_e32 v[96:97], 0
	v_dual_add_nc_u32 v9, -1, v0 :: v_dual_mov_b32 v13, v2
	v_add_nc_u32_e32 v11, 0x170, v2
	s_mov_b32 s1, 0
.LBB45_57:                              ; =>This Inner Loop Header: Depth=1
	scratch_load_b64 v[98:99], v13, off
	ds_load_b64 v[100:101], v11
	v_dual_add_nc_u32 v9, 1, v9 :: v_dual_add_nc_u32 v11, 8, v11
	s_wait_xcnt 0x0
	v_add_nc_u32_e32 v13, 8, v13
	s_delay_alu instid0(VALU_DEP_2)
	v_cmp_lt_u32_e32 vcc_lo, 10, v9
	s_or_b32 s1, vcc_lo, s1
	s_wait_loadcnt_dscnt 0x0
	v_fmac_f64_e32 v[96:97], v[98:99], v[100:101]
	s_and_not1_b32 exec_lo, exec_lo, s1
	s_cbranch_execnz .LBB45_57
; %bb.58:
	s_or_b32 exec_lo, exec_lo, s1
	v_mov_b32_e32 v9, 0
	ds_load_b64 v[98:99], v9 offset:96
	s_wait_dscnt 0x0
	v_mul_f64_e32 v[96:97], v[96:97], v[98:99]
	scratch_store_b64 off, v[96:97], off offset:96
.LBB45_59:
	s_wait_xcnt 0x0
	s_or_b32 exec_lo, exec_lo, s0
	s_wait_storecnt 0x0
	s_barrier_signal -1
	s_barrier_wait -1
	scratch_load_b64 v[96:97], off, off offset:104
	s_mov_b32 s0, exec_lo
	s_wait_loadcnt 0x0
	ds_store_b64 v1, v[96:97]
	s_wait_dscnt 0x0
	s_barrier_signal -1
	s_barrier_wait -1
	v_cmpx_gt_u32_e32 13, v0
	s_cbranch_execz .LBB45_63
; %bb.60:
	v_mov_b64_e32 v[96:97], 0
	v_dual_add_nc_u32 v9, -1, v0 :: v_dual_mov_b32 v13, v2
	v_add_nc_u32_e32 v11, 0x170, v2
	s_mov_b32 s1, 0
.LBB45_61:                              ; =>This Inner Loop Header: Depth=1
	scratch_load_b64 v[98:99], v13, off
	ds_load_b64 v[100:101], v11
	v_dual_add_nc_u32 v9, 1, v9 :: v_dual_add_nc_u32 v11, 8, v11
	s_wait_xcnt 0x0
	v_add_nc_u32_e32 v13, 8, v13
	s_delay_alu instid0(VALU_DEP_2)
	v_cmp_lt_u32_e32 vcc_lo, 11, v9
	s_or_b32 s1, vcc_lo, s1
	s_wait_loadcnt_dscnt 0x0
	v_fmac_f64_e32 v[96:97], v[98:99], v[100:101]
	s_and_not1_b32 exec_lo, exec_lo, s1
	s_cbranch_execnz .LBB45_61
; %bb.62:
	s_or_b32 exec_lo, exec_lo, s1
	v_mov_b32_e32 v9, 0
	ds_load_b64 v[98:99], v9 offset:104
	s_wait_dscnt 0x0
	v_mul_f64_e32 v[96:97], v[96:97], v[98:99]
	scratch_store_b64 off, v[96:97], off offset:104
.LBB45_63:
	s_wait_xcnt 0x0
	s_or_b32 exec_lo, exec_lo, s0
	s_wait_storecnt 0x0
	s_barrier_signal -1
	s_barrier_wait -1
	scratch_load_b64 v[96:97], off, off offset:112
	s_mov_b32 s0, exec_lo
	s_wait_loadcnt 0x0
	ds_store_b64 v1, v[96:97]
	s_wait_dscnt 0x0
	s_barrier_signal -1
	s_barrier_wait -1
	v_cmpx_gt_u32_e32 14, v0
	s_cbranch_execz .LBB45_67
; %bb.64:
	v_mov_b64_e32 v[96:97], 0
	v_dual_add_nc_u32 v9, -1, v0 :: v_dual_mov_b32 v13, v2
	v_add_nc_u32_e32 v11, 0x170, v2
	s_mov_b32 s1, 0
.LBB45_65:                              ; =>This Inner Loop Header: Depth=1
	scratch_load_b64 v[98:99], v13, off
	ds_load_b64 v[100:101], v11
	v_dual_add_nc_u32 v9, 1, v9 :: v_dual_add_nc_u32 v11, 8, v11
	s_wait_xcnt 0x0
	v_add_nc_u32_e32 v13, 8, v13
	s_delay_alu instid0(VALU_DEP_2)
	v_cmp_lt_u32_e32 vcc_lo, 12, v9
	s_or_b32 s1, vcc_lo, s1
	s_wait_loadcnt_dscnt 0x0
	v_fmac_f64_e32 v[96:97], v[98:99], v[100:101]
	s_and_not1_b32 exec_lo, exec_lo, s1
	s_cbranch_execnz .LBB45_65
; %bb.66:
	s_or_b32 exec_lo, exec_lo, s1
	v_mov_b32_e32 v9, 0
	ds_load_b64 v[98:99], v9 offset:112
	s_wait_dscnt 0x0
	v_mul_f64_e32 v[96:97], v[96:97], v[98:99]
	scratch_store_b64 off, v[96:97], off offset:112
.LBB45_67:
	s_wait_xcnt 0x0
	s_or_b32 exec_lo, exec_lo, s0
	s_wait_storecnt 0x0
	s_barrier_signal -1
	s_barrier_wait -1
	scratch_load_b64 v[96:97], off, off offset:120
	s_mov_b32 s0, exec_lo
	s_wait_loadcnt 0x0
	ds_store_b64 v1, v[96:97]
	s_wait_dscnt 0x0
	s_barrier_signal -1
	s_barrier_wait -1
	v_cmpx_gt_u32_e32 15, v0
	s_cbranch_execz .LBB45_71
; %bb.68:
	v_mov_b64_e32 v[96:97], 0
	v_dual_add_nc_u32 v9, -1, v0 :: v_dual_mov_b32 v13, v2
	v_add_nc_u32_e32 v11, 0x170, v2
	s_mov_b32 s1, 0
.LBB45_69:                              ; =>This Inner Loop Header: Depth=1
	scratch_load_b64 v[98:99], v13, off
	ds_load_b64 v[100:101], v11
	v_dual_add_nc_u32 v9, 1, v9 :: v_dual_add_nc_u32 v11, 8, v11
	s_wait_xcnt 0x0
	v_add_nc_u32_e32 v13, 8, v13
	s_delay_alu instid0(VALU_DEP_2)
	v_cmp_lt_u32_e32 vcc_lo, 13, v9
	s_or_b32 s1, vcc_lo, s1
	s_wait_loadcnt_dscnt 0x0
	v_fmac_f64_e32 v[96:97], v[98:99], v[100:101]
	s_and_not1_b32 exec_lo, exec_lo, s1
	s_cbranch_execnz .LBB45_69
; %bb.70:
	s_or_b32 exec_lo, exec_lo, s1
	v_mov_b32_e32 v9, 0
	ds_load_b64 v[98:99], v9 offset:120
	s_wait_dscnt 0x0
	v_mul_f64_e32 v[96:97], v[96:97], v[98:99]
	scratch_store_b64 off, v[96:97], off offset:120
.LBB45_71:
	s_wait_xcnt 0x0
	s_or_b32 exec_lo, exec_lo, s0
	s_wait_storecnt 0x0
	s_barrier_signal -1
	s_barrier_wait -1
	scratch_load_b64 v[96:97], off, off offset:128
	s_mov_b32 s0, exec_lo
	s_wait_loadcnt 0x0
	ds_store_b64 v1, v[96:97]
	s_wait_dscnt 0x0
	s_barrier_signal -1
	s_barrier_wait -1
	v_cmpx_gt_u32_e32 16, v0
	s_cbranch_execz .LBB45_75
; %bb.72:
	v_mov_b64_e32 v[96:97], 0
	v_dual_add_nc_u32 v9, -1, v0 :: v_dual_mov_b32 v13, v2
	v_add_nc_u32_e32 v11, 0x170, v2
	s_mov_b32 s1, 0
.LBB45_73:                              ; =>This Inner Loop Header: Depth=1
	scratch_load_b64 v[98:99], v13, off
	ds_load_b64 v[100:101], v11
	v_dual_add_nc_u32 v9, 1, v9 :: v_dual_add_nc_u32 v11, 8, v11
	s_wait_xcnt 0x0
	v_add_nc_u32_e32 v13, 8, v13
	s_delay_alu instid0(VALU_DEP_2)
	v_cmp_lt_u32_e32 vcc_lo, 14, v9
	s_or_b32 s1, vcc_lo, s1
	s_wait_loadcnt_dscnt 0x0
	v_fmac_f64_e32 v[96:97], v[98:99], v[100:101]
	s_and_not1_b32 exec_lo, exec_lo, s1
	s_cbranch_execnz .LBB45_73
; %bb.74:
	s_or_b32 exec_lo, exec_lo, s1
	v_mov_b32_e32 v9, 0
	ds_load_b64 v[98:99], v9 offset:128
	s_wait_dscnt 0x0
	v_mul_f64_e32 v[96:97], v[96:97], v[98:99]
	scratch_store_b64 off, v[96:97], off offset:128
.LBB45_75:
	s_wait_xcnt 0x0
	s_or_b32 exec_lo, exec_lo, s0
	s_wait_storecnt 0x0
	s_barrier_signal -1
	s_barrier_wait -1
	scratch_load_b64 v[96:97], off, off offset:136
	s_mov_b32 s0, exec_lo
	s_wait_loadcnt 0x0
	ds_store_b64 v1, v[96:97]
	s_wait_dscnt 0x0
	s_barrier_signal -1
	s_barrier_wait -1
	v_cmpx_gt_u32_e32 17, v0
	s_cbranch_execz .LBB45_79
; %bb.76:
	v_mov_b64_e32 v[96:97], 0
	v_dual_add_nc_u32 v9, -1, v0 :: v_dual_mov_b32 v13, v2
	v_add_nc_u32_e32 v11, 0x170, v2
	s_mov_b32 s1, 0
.LBB45_77:                              ; =>This Inner Loop Header: Depth=1
	scratch_load_b64 v[98:99], v13, off
	ds_load_b64 v[100:101], v11
	v_dual_add_nc_u32 v9, 1, v9 :: v_dual_add_nc_u32 v11, 8, v11
	s_wait_xcnt 0x0
	v_add_nc_u32_e32 v13, 8, v13
	s_delay_alu instid0(VALU_DEP_2)
	v_cmp_lt_u32_e32 vcc_lo, 15, v9
	s_or_b32 s1, vcc_lo, s1
	s_wait_loadcnt_dscnt 0x0
	v_fmac_f64_e32 v[96:97], v[98:99], v[100:101]
	s_and_not1_b32 exec_lo, exec_lo, s1
	s_cbranch_execnz .LBB45_77
; %bb.78:
	s_or_b32 exec_lo, exec_lo, s1
	v_mov_b32_e32 v9, 0
	ds_load_b64 v[98:99], v9 offset:136
	s_wait_dscnt 0x0
	v_mul_f64_e32 v[96:97], v[96:97], v[98:99]
	scratch_store_b64 off, v[96:97], off offset:136
.LBB45_79:
	s_wait_xcnt 0x0
	s_or_b32 exec_lo, exec_lo, s0
	s_wait_storecnt 0x0
	s_barrier_signal -1
	s_barrier_wait -1
	scratch_load_b64 v[96:97], off, off offset:144
	s_mov_b32 s0, exec_lo
	s_wait_loadcnt 0x0
	ds_store_b64 v1, v[96:97]
	s_wait_dscnt 0x0
	s_barrier_signal -1
	s_barrier_wait -1
	v_cmpx_gt_u32_e32 18, v0
	s_cbranch_execz .LBB45_83
; %bb.80:
	v_mov_b64_e32 v[96:97], 0
	v_dual_add_nc_u32 v9, -1, v0 :: v_dual_mov_b32 v13, v2
	v_add_nc_u32_e32 v11, 0x170, v2
	s_mov_b32 s1, 0
.LBB45_81:                              ; =>This Inner Loop Header: Depth=1
	scratch_load_b64 v[98:99], v13, off
	ds_load_b64 v[100:101], v11
	v_dual_add_nc_u32 v9, 1, v9 :: v_dual_add_nc_u32 v11, 8, v11
	s_wait_xcnt 0x0
	v_add_nc_u32_e32 v13, 8, v13
	s_delay_alu instid0(VALU_DEP_2)
	v_cmp_lt_u32_e32 vcc_lo, 16, v9
	s_or_b32 s1, vcc_lo, s1
	s_wait_loadcnt_dscnt 0x0
	v_fmac_f64_e32 v[96:97], v[98:99], v[100:101]
	s_and_not1_b32 exec_lo, exec_lo, s1
	s_cbranch_execnz .LBB45_81
; %bb.82:
	s_or_b32 exec_lo, exec_lo, s1
	v_mov_b32_e32 v9, 0
	ds_load_b64 v[98:99], v9 offset:144
	s_wait_dscnt 0x0
	v_mul_f64_e32 v[96:97], v[96:97], v[98:99]
	scratch_store_b64 off, v[96:97], off offset:144
.LBB45_83:
	s_wait_xcnt 0x0
	s_or_b32 exec_lo, exec_lo, s0
	s_wait_storecnt 0x0
	s_barrier_signal -1
	s_barrier_wait -1
	scratch_load_b64 v[96:97], off, off offset:152
	s_mov_b32 s0, exec_lo
	s_wait_loadcnt 0x0
	ds_store_b64 v1, v[96:97]
	s_wait_dscnt 0x0
	s_barrier_signal -1
	s_barrier_wait -1
	v_cmpx_gt_u32_e32 19, v0
	s_cbranch_execz .LBB45_87
; %bb.84:
	v_mov_b64_e32 v[96:97], 0
	v_dual_add_nc_u32 v9, -1, v0 :: v_dual_mov_b32 v13, v2
	v_add_nc_u32_e32 v11, 0x170, v2
	s_mov_b32 s1, 0
.LBB45_85:                              ; =>This Inner Loop Header: Depth=1
	scratch_load_b64 v[98:99], v13, off
	ds_load_b64 v[100:101], v11
	v_dual_add_nc_u32 v9, 1, v9 :: v_dual_add_nc_u32 v11, 8, v11
	s_wait_xcnt 0x0
	v_add_nc_u32_e32 v13, 8, v13
	s_delay_alu instid0(VALU_DEP_2)
	v_cmp_lt_u32_e32 vcc_lo, 17, v9
	s_or_b32 s1, vcc_lo, s1
	s_wait_loadcnt_dscnt 0x0
	v_fmac_f64_e32 v[96:97], v[98:99], v[100:101]
	s_and_not1_b32 exec_lo, exec_lo, s1
	s_cbranch_execnz .LBB45_85
; %bb.86:
	s_or_b32 exec_lo, exec_lo, s1
	v_mov_b32_e32 v9, 0
	ds_load_b64 v[98:99], v9 offset:152
	s_wait_dscnt 0x0
	v_mul_f64_e32 v[96:97], v[96:97], v[98:99]
	scratch_store_b64 off, v[96:97], off offset:152
.LBB45_87:
	s_wait_xcnt 0x0
	s_or_b32 exec_lo, exec_lo, s0
	s_wait_storecnt 0x0
	s_barrier_signal -1
	s_barrier_wait -1
	scratch_load_b64 v[96:97], off, off offset:160
	s_mov_b32 s0, exec_lo
	s_wait_loadcnt 0x0
	ds_store_b64 v1, v[96:97]
	s_wait_dscnt 0x0
	s_barrier_signal -1
	s_barrier_wait -1
	v_cmpx_gt_u32_e32 20, v0
	s_cbranch_execz .LBB45_91
; %bb.88:
	v_mov_b64_e32 v[96:97], 0
	v_dual_add_nc_u32 v9, -1, v0 :: v_dual_mov_b32 v13, v2
	v_add_nc_u32_e32 v11, 0x170, v2
	s_mov_b32 s1, 0
.LBB45_89:                              ; =>This Inner Loop Header: Depth=1
	scratch_load_b64 v[98:99], v13, off
	ds_load_b64 v[100:101], v11
	v_dual_add_nc_u32 v9, 1, v9 :: v_dual_add_nc_u32 v11, 8, v11
	s_wait_xcnt 0x0
	v_add_nc_u32_e32 v13, 8, v13
	s_delay_alu instid0(VALU_DEP_2)
	v_cmp_lt_u32_e32 vcc_lo, 18, v9
	s_or_b32 s1, vcc_lo, s1
	s_wait_loadcnt_dscnt 0x0
	v_fmac_f64_e32 v[96:97], v[98:99], v[100:101]
	s_and_not1_b32 exec_lo, exec_lo, s1
	s_cbranch_execnz .LBB45_89
; %bb.90:
	s_or_b32 exec_lo, exec_lo, s1
	v_mov_b32_e32 v9, 0
	ds_load_b64 v[98:99], v9 offset:160
	s_wait_dscnt 0x0
	v_mul_f64_e32 v[96:97], v[96:97], v[98:99]
	scratch_store_b64 off, v[96:97], off offset:160
.LBB45_91:
	s_wait_xcnt 0x0
	s_or_b32 exec_lo, exec_lo, s0
	s_wait_storecnt 0x0
	s_barrier_signal -1
	s_barrier_wait -1
	scratch_load_b64 v[96:97], off, off offset:168
	s_mov_b32 s0, exec_lo
	s_wait_loadcnt 0x0
	ds_store_b64 v1, v[96:97]
	s_wait_dscnt 0x0
	s_barrier_signal -1
	s_barrier_wait -1
	v_cmpx_gt_u32_e32 21, v0
	s_cbranch_execz .LBB45_95
; %bb.92:
	v_mov_b64_e32 v[96:97], 0
	v_dual_add_nc_u32 v9, -1, v0 :: v_dual_mov_b32 v13, v2
	v_add_nc_u32_e32 v11, 0x170, v2
	s_mov_b32 s1, 0
.LBB45_93:                              ; =>This Inner Loop Header: Depth=1
	scratch_load_b64 v[98:99], v13, off
	ds_load_b64 v[100:101], v11
	v_dual_add_nc_u32 v9, 1, v9 :: v_dual_add_nc_u32 v11, 8, v11
	s_wait_xcnt 0x0
	v_add_nc_u32_e32 v13, 8, v13
	s_delay_alu instid0(VALU_DEP_2)
	v_cmp_lt_u32_e32 vcc_lo, 19, v9
	s_or_b32 s1, vcc_lo, s1
	s_wait_loadcnt_dscnt 0x0
	v_fmac_f64_e32 v[96:97], v[98:99], v[100:101]
	s_and_not1_b32 exec_lo, exec_lo, s1
	s_cbranch_execnz .LBB45_93
; %bb.94:
	s_or_b32 exec_lo, exec_lo, s1
	v_mov_b32_e32 v9, 0
	ds_load_b64 v[98:99], v9 offset:168
	s_wait_dscnt 0x0
	v_mul_f64_e32 v[96:97], v[96:97], v[98:99]
	scratch_store_b64 off, v[96:97], off offset:168
.LBB45_95:
	s_wait_xcnt 0x0
	s_or_b32 exec_lo, exec_lo, s0
	s_wait_storecnt 0x0
	s_barrier_signal -1
	s_barrier_wait -1
	scratch_load_b64 v[96:97], off, off offset:176
	s_mov_b32 s0, exec_lo
	s_wait_loadcnt 0x0
	ds_store_b64 v1, v[96:97]
	s_wait_dscnt 0x0
	s_barrier_signal -1
	s_barrier_wait -1
	v_cmpx_gt_u32_e32 22, v0
	s_cbranch_execz .LBB45_99
; %bb.96:
	v_mov_b64_e32 v[96:97], 0
	v_dual_add_nc_u32 v9, -1, v0 :: v_dual_mov_b32 v13, v2
	v_add_nc_u32_e32 v11, 0x170, v2
	s_mov_b32 s1, 0
.LBB45_97:                              ; =>This Inner Loop Header: Depth=1
	scratch_load_b64 v[98:99], v13, off
	ds_load_b64 v[100:101], v11
	v_dual_add_nc_u32 v9, 1, v9 :: v_dual_add_nc_u32 v11, 8, v11
	s_wait_xcnt 0x0
	v_add_nc_u32_e32 v13, 8, v13
	s_delay_alu instid0(VALU_DEP_2)
	v_cmp_lt_u32_e32 vcc_lo, 20, v9
	s_or_b32 s1, vcc_lo, s1
	s_wait_loadcnt_dscnt 0x0
	v_fmac_f64_e32 v[96:97], v[98:99], v[100:101]
	s_and_not1_b32 exec_lo, exec_lo, s1
	s_cbranch_execnz .LBB45_97
; %bb.98:
	s_or_b32 exec_lo, exec_lo, s1
	v_mov_b32_e32 v9, 0
	ds_load_b64 v[98:99], v9 offset:176
	s_wait_dscnt 0x0
	v_mul_f64_e32 v[96:97], v[96:97], v[98:99]
	scratch_store_b64 off, v[96:97], off offset:176
.LBB45_99:
	s_wait_xcnt 0x0
	s_or_b32 exec_lo, exec_lo, s0
	s_wait_storecnt 0x0
	s_barrier_signal -1
	s_barrier_wait -1
	scratch_load_b64 v[96:97], off, off offset:184
	s_mov_b32 s0, exec_lo
	s_wait_loadcnt 0x0
	ds_store_b64 v1, v[96:97]
	s_wait_dscnt 0x0
	s_barrier_signal -1
	s_barrier_wait -1
	v_cmpx_gt_u32_e32 23, v0
	s_cbranch_execz .LBB45_103
; %bb.100:
	v_mov_b64_e32 v[96:97], 0
	v_dual_add_nc_u32 v9, -1, v0 :: v_dual_mov_b32 v13, v2
	v_add_nc_u32_e32 v11, 0x170, v2
	s_mov_b32 s1, 0
.LBB45_101:                             ; =>This Inner Loop Header: Depth=1
	scratch_load_b64 v[98:99], v13, off
	ds_load_b64 v[100:101], v11
	v_dual_add_nc_u32 v9, 1, v9 :: v_dual_add_nc_u32 v11, 8, v11
	s_wait_xcnt 0x0
	v_add_nc_u32_e32 v13, 8, v13
	s_delay_alu instid0(VALU_DEP_2)
	v_cmp_lt_u32_e32 vcc_lo, 21, v9
	s_or_b32 s1, vcc_lo, s1
	s_wait_loadcnt_dscnt 0x0
	v_fmac_f64_e32 v[96:97], v[98:99], v[100:101]
	s_and_not1_b32 exec_lo, exec_lo, s1
	s_cbranch_execnz .LBB45_101
; %bb.102:
	s_or_b32 exec_lo, exec_lo, s1
	v_mov_b32_e32 v9, 0
	ds_load_b64 v[98:99], v9 offset:184
	s_wait_dscnt 0x0
	v_mul_f64_e32 v[96:97], v[96:97], v[98:99]
	scratch_store_b64 off, v[96:97], off offset:184
.LBB45_103:
	s_wait_xcnt 0x0
	s_or_b32 exec_lo, exec_lo, s0
	s_wait_storecnt 0x0
	s_barrier_signal -1
	s_barrier_wait -1
	scratch_load_b64 v[96:97], off, off offset:192
	s_mov_b32 s0, exec_lo
	s_wait_loadcnt 0x0
	ds_store_b64 v1, v[96:97]
	s_wait_dscnt 0x0
	s_barrier_signal -1
	s_barrier_wait -1
	v_cmpx_gt_u32_e32 24, v0
	s_cbranch_execz .LBB45_107
; %bb.104:
	v_mov_b64_e32 v[96:97], 0
	v_dual_add_nc_u32 v9, -1, v0 :: v_dual_mov_b32 v13, v2
	v_add_nc_u32_e32 v11, 0x170, v2
	s_mov_b32 s1, 0
.LBB45_105:                             ; =>This Inner Loop Header: Depth=1
	scratch_load_b64 v[98:99], v13, off
	ds_load_b64 v[100:101], v11
	v_dual_add_nc_u32 v9, 1, v9 :: v_dual_add_nc_u32 v11, 8, v11
	s_wait_xcnt 0x0
	v_add_nc_u32_e32 v13, 8, v13
	s_delay_alu instid0(VALU_DEP_2)
	v_cmp_lt_u32_e32 vcc_lo, 22, v9
	s_or_b32 s1, vcc_lo, s1
	s_wait_loadcnt_dscnt 0x0
	v_fmac_f64_e32 v[96:97], v[98:99], v[100:101]
	s_and_not1_b32 exec_lo, exec_lo, s1
	s_cbranch_execnz .LBB45_105
; %bb.106:
	s_or_b32 exec_lo, exec_lo, s1
	v_mov_b32_e32 v9, 0
	ds_load_b64 v[98:99], v9 offset:192
	s_wait_dscnt 0x0
	v_mul_f64_e32 v[96:97], v[96:97], v[98:99]
	scratch_store_b64 off, v[96:97], off offset:192
.LBB45_107:
	s_wait_xcnt 0x0
	s_or_b32 exec_lo, exec_lo, s0
	s_wait_storecnt 0x0
	s_barrier_signal -1
	s_barrier_wait -1
	scratch_load_b64 v[96:97], off, off offset:200
	s_mov_b32 s0, exec_lo
	s_wait_loadcnt 0x0
	ds_store_b64 v1, v[96:97]
	s_wait_dscnt 0x0
	s_barrier_signal -1
	s_barrier_wait -1
	v_cmpx_gt_u32_e32 25, v0
	s_cbranch_execz .LBB45_111
; %bb.108:
	v_mov_b64_e32 v[96:97], 0
	v_dual_add_nc_u32 v9, -1, v0 :: v_dual_mov_b32 v13, v2
	v_add_nc_u32_e32 v11, 0x170, v2
	s_mov_b32 s1, 0
.LBB45_109:                             ; =>This Inner Loop Header: Depth=1
	scratch_load_b64 v[98:99], v13, off
	ds_load_b64 v[100:101], v11
	v_dual_add_nc_u32 v9, 1, v9 :: v_dual_add_nc_u32 v11, 8, v11
	s_wait_xcnt 0x0
	v_add_nc_u32_e32 v13, 8, v13
	s_delay_alu instid0(VALU_DEP_2)
	v_cmp_lt_u32_e32 vcc_lo, 23, v9
	s_or_b32 s1, vcc_lo, s1
	s_wait_loadcnt_dscnt 0x0
	v_fmac_f64_e32 v[96:97], v[98:99], v[100:101]
	s_and_not1_b32 exec_lo, exec_lo, s1
	s_cbranch_execnz .LBB45_109
; %bb.110:
	s_or_b32 exec_lo, exec_lo, s1
	v_mov_b32_e32 v9, 0
	ds_load_b64 v[98:99], v9 offset:200
	s_wait_dscnt 0x0
	v_mul_f64_e32 v[96:97], v[96:97], v[98:99]
	scratch_store_b64 off, v[96:97], off offset:200
.LBB45_111:
	s_wait_xcnt 0x0
	s_or_b32 exec_lo, exec_lo, s0
	s_wait_storecnt 0x0
	s_barrier_signal -1
	s_barrier_wait -1
	scratch_load_b64 v[96:97], off, off offset:208
	s_mov_b32 s0, exec_lo
	s_wait_loadcnt 0x0
	ds_store_b64 v1, v[96:97]
	s_wait_dscnt 0x0
	s_barrier_signal -1
	s_barrier_wait -1
	v_cmpx_gt_u32_e32 26, v0
	s_cbranch_execz .LBB45_115
; %bb.112:
	v_mov_b64_e32 v[96:97], 0
	v_dual_add_nc_u32 v9, -1, v0 :: v_dual_mov_b32 v13, v2
	v_add_nc_u32_e32 v11, 0x170, v2
	s_mov_b32 s1, 0
.LBB45_113:                             ; =>This Inner Loop Header: Depth=1
	scratch_load_b64 v[98:99], v13, off
	ds_load_b64 v[100:101], v11
	v_dual_add_nc_u32 v9, 1, v9 :: v_dual_add_nc_u32 v11, 8, v11
	s_wait_xcnt 0x0
	v_add_nc_u32_e32 v13, 8, v13
	s_delay_alu instid0(VALU_DEP_2)
	v_cmp_lt_u32_e32 vcc_lo, 24, v9
	s_or_b32 s1, vcc_lo, s1
	s_wait_loadcnt_dscnt 0x0
	v_fmac_f64_e32 v[96:97], v[98:99], v[100:101]
	s_and_not1_b32 exec_lo, exec_lo, s1
	s_cbranch_execnz .LBB45_113
; %bb.114:
	s_or_b32 exec_lo, exec_lo, s1
	v_mov_b32_e32 v9, 0
	ds_load_b64 v[98:99], v9 offset:208
	s_wait_dscnt 0x0
	v_mul_f64_e32 v[96:97], v[96:97], v[98:99]
	scratch_store_b64 off, v[96:97], off offset:208
.LBB45_115:
	s_wait_xcnt 0x0
	s_or_b32 exec_lo, exec_lo, s0
	s_wait_storecnt 0x0
	s_barrier_signal -1
	s_barrier_wait -1
	scratch_load_b64 v[96:97], off, off offset:216
	s_mov_b32 s0, exec_lo
	s_wait_loadcnt 0x0
	ds_store_b64 v1, v[96:97]
	s_wait_dscnt 0x0
	s_barrier_signal -1
	s_barrier_wait -1
	v_cmpx_gt_u32_e32 27, v0
	s_cbranch_execz .LBB45_119
; %bb.116:
	v_mov_b64_e32 v[96:97], 0
	v_dual_add_nc_u32 v9, -1, v0 :: v_dual_mov_b32 v13, v2
	v_add_nc_u32_e32 v11, 0x170, v2
	s_mov_b32 s1, 0
.LBB45_117:                             ; =>This Inner Loop Header: Depth=1
	scratch_load_b64 v[98:99], v13, off
	ds_load_b64 v[100:101], v11
	v_dual_add_nc_u32 v9, 1, v9 :: v_dual_add_nc_u32 v11, 8, v11
	s_wait_xcnt 0x0
	v_add_nc_u32_e32 v13, 8, v13
	s_delay_alu instid0(VALU_DEP_2)
	v_cmp_lt_u32_e32 vcc_lo, 25, v9
	s_or_b32 s1, vcc_lo, s1
	s_wait_loadcnt_dscnt 0x0
	v_fmac_f64_e32 v[96:97], v[98:99], v[100:101]
	s_and_not1_b32 exec_lo, exec_lo, s1
	s_cbranch_execnz .LBB45_117
; %bb.118:
	s_or_b32 exec_lo, exec_lo, s1
	v_mov_b32_e32 v9, 0
	ds_load_b64 v[98:99], v9 offset:216
	s_wait_dscnt 0x0
	v_mul_f64_e32 v[96:97], v[96:97], v[98:99]
	scratch_store_b64 off, v[96:97], off offset:216
.LBB45_119:
	s_wait_xcnt 0x0
	s_or_b32 exec_lo, exec_lo, s0
	s_wait_storecnt 0x0
	s_barrier_signal -1
	s_barrier_wait -1
	scratch_load_b64 v[96:97], off, off offset:224
	s_mov_b32 s0, exec_lo
	s_wait_loadcnt 0x0
	ds_store_b64 v1, v[96:97]
	s_wait_dscnt 0x0
	s_barrier_signal -1
	s_barrier_wait -1
	v_cmpx_gt_u32_e32 28, v0
	s_cbranch_execz .LBB45_123
; %bb.120:
	v_mov_b64_e32 v[96:97], 0
	v_dual_add_nc_u32 v9, -1, v0 :: v_dual_mov_b32 v13, v2
	v_add_nc_u32_e32 v11, 0x170, v2
	s_mov_b32 s1, 0
.LBB45_121:                             ; =>This Inner Loop Header: Depth=1
	scratch_load_b64 v[98:99], v13, off
	ds_load_b64 v[100:101], v11
	v_dual_add_nc_u32 v9, 1, v9 :: v_dual_add_nc_u32 v11, 8, v11
	s_wait_xcnt 0x0
	v_add_nc_u32_e32 v13, 8, v13
	s_delay_alu instid0(VALU_DEP_2)
	v_cmp_lt_u32_e32 vcc_lo, 26, v9
	s_or_b32 s1, vcc_lo, s1
	s_wait_loadcnt_dscnt 0x0
	v_fmac_f64_e32 v[96:97], v[98:99], v[100:101]
	s_and_not1_b32 exec_lo, exec_lo, s1
	s_cbranch_execnz .LBB45_121
; %bb.122:
	s_or_b32 exec_lo, exec_lo, s1
	v_mov_b32_e32 v9, 0
	ds_load_b64 v[98:99], v9 offset:224
	s_wait_dscnt 0x0
	v_mul_f64_e32 v[96:97], v[96:97], v[98:99]
	scratch_store_b64 off, v[96:97], off offset:224
.LBB45_123:
	s_wait_xcnt 0x0
	s_or_b32 exec_lo, exec_lo, s0
	s_wait_storecnt 0x0
	s_barrier_signal -1
	s_barrier_wait -1
	scratch_load_b64 v[96:97], off, off offset:232
	s_mov_b32 s0, exec_lo
	s_wait_loadcnt 0x0
	ds_store_b64 v1, v[96:97]
	s_wait_dscnt 0x0
	s_barrier_signal -1
	s_barrier_wait -1
	v_cmpx_gt_u32_e32 29, v0
	s_cbranch_execz .LBB45_127
; %bb.124:
	v_mov_b64_e32 v[96:97], 0
	v_dual_add_nc_u32 v9, -1, v0 :: v_dual_mov_b32 v13, v2
	v_add_nc_u32_e32 v11, 0x170, v2
	s_mov_b32 s1, 0
.LBB45_125:                             ; =>This Inner Loop Header: Depth=1
	scratch_load_b64 v[98:99], v13, off
	ds_load_b64 v[100:101], v11
	v_dual_add_nc_u32 v9, 1, v9 :: v_dual_add_nc_u32 v11, 8, v11
	s_wait_xcnt 0x0
	v_add_nc_u32_e32 v13, 8, v13
	s_delay_alu instid0(VALU_DEP_2)
	v_cmp_lt_u32_e32 vcc_lo, 27, v9
	s_or_b32 s1, vcc_lo, s1
	s_wait_loadcnt_dscnt 0x0
	v_fmac_f64_e32 v[96:97], v[98:99], v[100:101]
	s_and_not1_b32 exec_lo, exec_lo, s1
	s_cbranch_execnz .LBB45_125
; %bb.126:
	s_or_b32 exec_lo, exec_lo, s1
	v_mov_b32_e32 v9, 0
	ds_load_b64 v[98:99], v9 offset:232
	s_wait_dscnt 0x0
	v_mul_f64_e32 v[96:97], v[96:97], v[98:99]
	scratch_store_b64 off, v[96:97], off offset:232
.LBB45_127:
	s_wait_xcnt 0x0
	s_or_b32 exec_lo, exec_lo, s0
	s_wait_storecnt 0x0
	s_barrier_signal -1
	s_barrier_wait -1
	scratch_load_b64 v[96:97], off, off offset:240
	s_mov_b32 s0, exec_lo
	s_wait_loadcnt 0x0
	ds_store_b64 v1, v[96:97]
	s_wait_dscnt 0x0
	s_barrier_signal -1
	s_barrier_wait -1
	v_cmpx_gt_u32_e32 30, v0
	s_cbranch_execz .LBB45_131
; %bb.128:
	v_mov_b64_e32 v[96:97], 0
	v_dual_add_nc_u32 v9, -1, v0 :: v_dual_mov_b32 v13, v2
	v_add_nc_u32_e32 v11, 0x170, v2
	s_mov_b32 s1, 0
.LBB45_129:                             ; =>This Inner Loop Header: Depth=1
	scratch_load_b64 v[98:99], v13, off
	ds_load_b64 v[100:101], v11
	v_dual_add_nc_u32 v9, 1, v9 :: v_dual_add_nc_u32 v11, 8, v11
	s_wait_xcnt 0x0
	v_add_nc_u32_e32 v13, 8, v13
	s_delay_alu instid0(VALU_DEP_2)
	v_cmp_lt_u32_e32 vcc_lo, 28, v9
	s_or_b32 s1, vcc_lo, s1
	s_wait_loadcnt_dscnt 0x0
	v_fmac_f64_e32 v[96:97], v[98:99], v[100:101]
	s_and_not1_b32 exec_lo, exec_lo, s1
	s_cbranch_execnz .LBB45_129
; %bb.130:
	s_or_b32 exec_lo, exec_lo, s1
	v_mov_b32_e32 v9, 0
	ds_load_b64 v[98:99], v9 offset:240
	s_wait_dscnt 0x0
	v_mul_f64_e32 v[96:97], v[96:97], v[98:99]
	scratch_store_b64 off, v[96:97], off offset:240
.LBB45_131:
	s_wait_xcnt 0x0
	s_or_b32 exec_lo, exec_lo, s0
	s_wait_storecnt 0x0
	s_barrier_signal -1
	s_barrier_wait -1
	scratch_load_b64 v[96:97], off, off offset:248
	s_mov_b32 s0, exec_lo
	s_wait_loadcnt 0x0
	ds_store_b64 v1, v[96:97]
	s_wait_dscnt 0x0
	s_barrier_signal -1
	s_barrier_wait -1
	v_cmpx_gt_u32_e32 31, v0
	s_cbranch_execz .LBB45_135
; %bb.132:
	v_mov_b64_e32 v[96:97], 0
	v_dual_add_nc_u32 v9, -1, v0 :: v_dual_mov_b32 v13, v2
	v_add_nc_u32_e32 v11, 0x170, v2
	s_mov_b32 s1, 0
.LBB45_133:                             ; =>This Inner Loop Header: Depth=1
	scratch_load_b64 v[98:99], v13, off
	ds_load_b64 v[100:101], v11
	v_dual_add_nc_u32 v9, 1, v9 :: v_dual_add_nc_u32 v11, 8, v11
	s_wait_xcnt 0x0
	v_add_nc_u32_e32 v13, 8, v13
	s_delay_alu instid0(VALU_DEP_2)
	v_cmp_lt_u32_e32 vcc_lo, 29, v9
	s_or_b32 s1, vcc_lo, s1
	s_wait_loadcnt_dscnt 0x0
	v_fmac_f64_e32 v[96:97], v[98:99], v[100:101]
	s_and_not1_b32 exec_lo, exec_lo, s1
	s_cbranch_execnz .LBB45_133
; %bb.134:
	s_or_b32 exec_lo, exec_lo, s1
	v_mov_b32_e32 v9, 0
	ds_load_b64 v[98:99], v9 offset:248
	s_wait_dscnt 0x0
	v_mul_f64_e32 v[96:97], v[96:97], v[98:99]
	scratch_store_b64 off, v[96:97], off offset:248
.LBB45_135:
	s_wait_xcnt 0x0
	s_or_b32 exec_lo, exec_lo, s0
	s_wait_storecnt 0x0
	s_barrier_signal -1
	s_barrier_wait -1
	scratch_load_b64 v[96:97], off, off offset:256
	s_mov_b32 s0, exec_lo
	s_wait_loadcnt 0x0
	ds_store_b64 v1, v[96:97]
	s_wait_dscnt 0x0
	s_barrier_signal -1
	s_barrier_wait -1
	v_cmpx_gt_u32_e32 32, v0
	s_cbranch_execz .LBB45_139
; %bb.136:
	v_mov_b64_e32 v[96:97], 0
	v_dual_add_nc_u32 v9, -1, v0 :: v_dual_mov_b32 v13, v2
	v_add_nc_u32_e32 v11, 0x170, v2
	s_mov_b32 s1, 0
.LBB45_137:                             ; =>This Inner Loop Header: Depth=1
	scratch_load_b64 v[98:99], v13, off
	ds_load_b64 v[100:101], v11
	v_dual_add_nc_u32 v9, 1, v9 :: v_dual_add_nc_u32 v11, 8, v11
	s_wait_xcnt 0x0
	v_add_nc_u32_e32 v13, 8, v13
	s_delay_alu instid0(VALU_DEP_2)
	v_cmp_lt_u32_e32 vcc_lo, 30, v9
	s_or_b32 s1, vcc_lo, s1
	s_wait_loadcnt_dscnt 0x0
	v_fmac_f64_e32 v[96:97], v[98:99], v[100:101]
	s_and_not1_b32 exec_lo, exec_lo, s1
	s_cbranch_execnz .LBB45_137
; %bb.138:
	s_or_b32 exec_lo, exec_lo, s1
	v_mov_b32_e32 v9, 0
	ds_load_b64 v[98:99], v9 offset:256
	s_wait_dscnt 0x0
	v_mul_f64_e32 v[96:97], v[96:97], v[98:99]
	scratch_store_b64 off, v[96:97], off offset:256
.LBB45_139:
	s_wait_xcnt 0x0
	s_or_b32 exec_lo, exec_lo, s0
	s_wait_storecnt 0x0
	s_barrier_signal -1
	s_barrier_wait -1
	scratch_load_b64 v[96:97], off, off offset:264
	s_mov_b32 s0, exec_lo
	s_wait_loadcnt 0x0
	ds_store_b64 v1, v[96:97]
	s_wait_dscnt 0x0
	s_barrier_signal -1
	s_barrier_wait -1
	v_cmpx_gt_u32_e32 33, v0
	s_cbranch_execz .LBB45_143
; %bb.140:
	v_mov_b64_e32 v[96:97], 0
	v_dual_add_nc_u32 v9, -1, v0 :: v_dual_mov_b32 v13, v2
	v_add_nc_u32_e32 v11, 0x170, v2
	s_mov_b32 s1, 0
.LBB45_141:                             ; =>This Inner Loop Header: Depth=1
	scratch_load_b64 v[98:99], v13, off
	ds_load_b64 v[100:101], v11
	v_dual_add_nc_u32 v9, 1, v9 :: v_dual_add_nc_u32 v11, 8, v11
	s_wait_xcnt 0x0
	v_add_nc_u32_e32 v13, 8, v13
	s_delay_alu instid0(VALU_DEP_2)
	v_cmp_lt_u32_e32 vcc_lo, 31, v9
	s_or_b32 s1, vcc_lo, s1
	s_wait_loadcnt_dscnt 0x0
	v_fmac_f64_e32 v[96:97], v[98:99], v[100:101]
	s_and_not1_b32 exec_lo, exec_lo, s1
	s_cbranch_execnz .LBB45_141
; %bb.142:
	s_or_b32 exec_lo, exec_lo, s1
	v_mov_b32_e32 v9, 0
	ds_load_b64 v[98:99], v9 offset:264
	s_wait_dscnt 0x0
	v_mul_f64_e32 v[96:97], v[96:97], v[98:99]
	scratch_store_b64 off, v[96:97], off offset:264
.LBB45_143:
	s_wait_xcnt 0x0
	s_or_b32 exec_lo, exec_lo, s0
	s_wait_storecnt 0x0
	s_barrier_signal -1
	s_barrier_wait -1
	scratch_load_b64 v[96:97], off, off offset:272
	s_mov_b32 s0, exec_lo
	s_wait_loadcnt 0x0
	ds_store_b64 v1, v[96:97]
	s_wait_dscnt 0x0
	s_barrier_signal -1
	s_barrier_wait -1
	v_cmpx_gt_u32_e32 34, v0
	s_cbranch_execz .LBB45_147
; %bb.144:
	v_mov_b64_e32 v[96:97], 0
	v_dual_add_nc_u32 v9, -1, v0 :: v_dual_mov_b32 v13, v2
	v_add_nc_u32_e32 v11, 0x170, v2
	s_mov_b32 s1, 0
.LBB45_145:                             ; =>This Inner Loop Header: Depth=1
	scratch_load_b64 v[98:99], v13, off
	ds_load_b64 v[100:101], v11
	v_dual_add_nc_u32 v9, 1, v9 :: v_dual_add_nc_u32 v11, 8, v11
	s_wait_xcnt 0x0
	v_add_nc_u32_e32 v13, 8, v13
	s_delay_alu instid0(VALU_DEP_2)
	v_cmp_lt_u32_e32 vcc_lo, 32, v9
	s_or_b32 s1, vcc_lo, s1
	s_wait_loadcnt_dscnt 0x0
	v_fmac_f64_e32 v[96:97], v[98:99], v[100:101]
	s_and_not1_b32 exec_lo, exec_lo, s1
	s_cbranch_execnz .LBB45_145
; %bb.146:
	s_or_b32 exec_lo, exec_lo, s1
	v_mov_b32_e32 v9, 0
	ds_load_b64 v[98:99], v9 offset:272
	s_wait_dscnt 0x0
	v_mul_f64_e32 v[96:97], v[96:97], v[98:99]
	scratch_store_b64 off, v[96:97], off offset:272
.LBB45_147:
	s_wait_xcnt 0x0
	s_or_b32 exec_lo, exec_lo, s0
	s_wait_storecnt 0x0
	s_barrier_signal -1
	s_barrier_wait -1
	scratch_load_b64 v[96:97], off, off offset:280
	s_mov_b32 s0, exec_lo
	s_wait_loadcnt 0x0
	ds_store_b64 v1, v[96:97]
	s_wait_dscnt 0x0
	s_barrier_signal -1
	s_barrier_wait -1
	v_cmpx_gt_u32_e32 35, v0
	s_cbranch_execz .LBB45_151
; %bb.148:
	v_mov_b64_e32 v[96:97], 0
	v_dual_add_nc_u32 v9, -1, v0 :: v_dual_mov_b32 v13, v2
	v_add_nc_u32_e32 v11, 0x170, v2
	s_mov_b32 s1, 0
.LBB45_149:                             ; =>This Inner Loop Header: Depth=1
	scratch_load_b64 v[98:99], v13, off
	ds_load_b64 v[100:101], v11
	v_dual_add_nc_u32 v9, 1, v9 :: v_dual_add_nc_u32 v11, 8, v11
	s_wait_xcnt 0x0
	v_add_nc_u32_e32 v13, 8, v13
	s_delay_alu instid0(VALU_DEP_2)
	v_cmp_lt_u32_e32 vcc_lo, 33, v9
	s_or_b32 s1, vcc_lo, s1
	s_wait_loadcnt_dscnt 0x0
	v_fmac_f64_e32 v[96:97], v[98:99], v[100:101]
	s_and_not1_b32 exec_lo, exec_lo, s1
	s_cbranch_execnz .LBB45_149
; %bb.150:
	s_or_b32 exec_lo, exec_lo, s1
	v_mov_b32_e32 v9, 0
	ds_load_b64 v[98:99], v9 offset:280
	s_wait_dscnt 0x0
	v_mul_f64_e32 v[96:97], v[96:97], v[98:99]
	scratch_store_b64 off, v[96:97], off offset:280
.LBB45_151:
	s_wait_xcnt 0x0
	s_or_b32 exec_lo, exec_lo, s0
	s_wait_storecnt 0x0
	s_barrier_signal -1
	s_barrier_wait -1
	scratch_load_b64 v[96:97], off, off offset:288
	s_mov_b32 s0, exec_lo
	s_wait_loadcnt 0x0
	ds_store_b64 v1, v[96:97]
	s_wait_dscnt 0x0
	s_barrier_signal -1
	s_barrier_wait -1
	v_cmpx_gt_u32_e32 36, v0
	s_cbranch_execz .LBB45_155
; %bb.152:
	v_mov_b64_e32 v[96:97], 0
	v_dual_add_nc_u32 v9, -1, v0 :: v_dual_mov_b32 v13, v2
	v_add_nc_u32_e32 v11, 0x170, v2
	s_mov_b32 s1, 0
.LBB45_153:                             ; =>This Inner Loop Header: Depth=1
	scratch_load_b64 v[98:99], v13, off
	ds_load_b64 v[100:101], v11
	v_dual_add_nc_u32 v9, 1, v9 :: v_dual_add_nc_u32 v11, 8, v11
	s_wait_xcnt 0x0
	v_add_nc_u32_e32 v13, 8, v13
	s_delay_alu instid0(VALU_DEP_2)
	v_cmp_lt_u32_e32 vcc_lo, 34, v9
	s_or_b32 s1, vcc_lo, s1
	s_wait_loadcnt_dscnt 0x0
	v_fmac_f64_e32 v[96:97], v[98:99], v[100:101]
	s_and_not1_b32 exec_lo, exec_lo, s1
	s_cbranch_execnz .LBB45_153
; %bb.154:
	s_or_b32 exec_lo, exec_lo, s1
	v_mov_b32_e32 v9, 0
	ds_load_b64 v[98:99], v9 offset:288
	s_wait_dscnt 0x0
	v_mul_f64_e32 v[96:97], v[96:97], v[98:99]
	scratch_store_b64 off, v[96:97], off offset:288
.LBB45_155:
	s_wait_xcnt 0x0
	s_or_b32 exec_lo, exec_lo, s0
	s_wait_storecnt 0x0
	s_barrier_signal -1
	s_barrier_wait -1
	scratch_load_b64 v[96:97], off, off offset:296
	s_mov_b32 s0, exec_lo
	s_wait_loadcnt 0x0
	ds_store_b64 v1, v[96:97]
	s_wait_dscnt 0x0
	s_barrier_signal -1
	s_barrier_wait -1
	v_cmpx_gt_u32_e32 37, v0
	s_cbranch_execz .LBB45_159
; %bb.156:
	v_mov_b64_e32 v[96:97], 0
	v_dual_add_nc_u32 v9, -1, v0 :: v_dual_mov_b32 v13, v2
	v_add_nc_u32_e32 v11, 0x170, v2
	s_mov_b32 s1, 0
.LBB45_157:                             ; =>This Inner Loop Header: Depth=1
	scratch_load_b64 v[98:99], v13, off
	ds_load_b64 v[100:101], v11
	v_dual_add_nc_u32 v9, 1, v9 :: v_dual_add_nc_u32 v11, 8, v11
	s_wait_xcnt 0x0
	v_add_nc_u32_e32 v13, 8, v13
	s_delay_alu instid0(VALU_DEP_2)
	v_cmp_lt_u32_e32 vcc_lo, 35, v9
	s_or_b32 s1, vcc_lo, s1
	s_wait_loadcnt_dscnt 0x0
	v_fmac_f64_e32 v[96:97], v[98:99], v[100:101]
	s_and_not1_b32 exec_lo, exec_lo, s1
	s_cbranch_execnz .LBB45_157
; %bb.158:
	s_or_b32 exec_lo, exec_lo, s1
	v_mov_b32_e32 v9, 0
	ds_load_b64 v[98:99], v9 offset:296
	s_wait_dscnt 0x0
	v_mul_f64_e32 v[96:97], v[96:97], v[98:99]
	scratch_store_b64 off, v[96:97], off offset:296
.LBB45_159:
	s_wait_xcnt 0x0
	s_or_b32 exec_lo, exec_lo, s0
	s_wait_storecnt 0x0
	s_barrier_signal -1
	s_barrier_wait -1
	scratch_load_b64 v[96:97], off, off offset:304
	s_mov_b32 s0, exec_lo
	s_wait_loadcnt 0x0
	ds_store_b64 v1, v[96:97]
	s_wait_dscnt 0x0
	s_barrier_signal -1
	s_barrier_wait -1
	v_cmpx_gt_u32_e32 38, v0
	s_cbranch_execz .LBB45_163
; %bb.160:
	v_mov_b64_e32 v[96:97], 0
	v_dual_add_nc_u32 v9, -1, v0 :: v_dual_mov_b32 v13, v2
	v_add_nc_u32_e32 v11, 0x170, v2
	s_mov_b32 s1, 0
.LBB45_161:                             ; =>This Inner Loop Header: Depth=1
	scratch_load_b64 v[98:99], v13, off
	ds_load_b64 v[100:101], v11
	v_dual_add_nc_u32 v9, 1, v9 :: v_dual_add_nc_u32 v11, 8, v11
	s_wait_xcnt 0x0
	v_add_nc_u32_e32 v13, 8, v13
	s_delay_alu instid0(VALU_DEP_2)
	v_cmp_lt_u32_e32 vcc_lo, 36, v9
	s_or_b32 s1, vcc_lo, s1
	s_wait_loadcnt_dscnt 0x0
	v_fmac_f64_e32 v[96:97], v[98:99], v[100:101]
	s_and_not1_b32 exec_lo, exec_lo, s1
	s_cbranch_execnz .LBB45_161
; %bb.162:
	s_or_b32 exec_lo, exec_lo, s1
	v_mov_b32_e32 v9, 0
	ds_load_b64 v[98:99], v9 offset:304
	s_wait_dscnt 0x0
	v_mul_f64_e32 v[96:97], v[96:97], v[98:99]
	scratch_store_b64 off, v[96:97], off offset:304
.LBB45_163:
	s_wait_xcnt 0x0
	s_or_b32 exec_lo, exec_lo, s0
	s_wait_storecnt 0x0
	s_barrier_signal -1
	s_barrier_wait -1
	scratch_load_b64 v[96:97], off, off offset:312
	s_mov_b32 s0, exec_lo
	s_wait_loadcnt 0x0
	ds_store_b64 v1, v[96:97]
	s_wait_dscnt 0x0
	s_barrier_signal -1
	s_barrier_wait -1
	v_cmpx_gt_u32_e32 39, v0
	s_cbranch_execz .LBB45_167
; %bb.164:
	v_mov_b64_e32 v[96:97], 0
	v_dual_add_nc_u32 v9, -1, v0 :: v_dual_mov_b32 v13, v2
	v_add_nc_u32_e32 v11, 0x170, v2
	s_mov_b32 s1, 0
.LBB45_165:                             ; =>This Inner Loop Header: Depth=1
	scratch_load_b64 v[98:99], v13, off
	ds_load_b64 v[100:101], v11
	v_dual_add_nc_u32 v9, 1, v9 :: v_dual_add_nc_u32 v11, 8, v11
	s_wait_xcnt 0x0
	v_add_nc_u32_e32 v13, 8, v13
	s_delay_alu instid0(VALU_DEP_2)
	v_cmp_lt_u32_e32 vcc_lo, 37, v9
	s_or_b32 s1, vcc_lo, s1
	s_wait_loadcnt_dscnt 0x0
	v_fmac_f64_e32 v[96:97], v[98:99], v[100:101]
	s_and_not1_b32 exec_lo, exec_lo, s1
	s_cbranch_execnz .LBB45_165
; %bb.166:
	s_or_b32 exec_lo, exec_lo, s1
	v_mov_b32_e32 v9, 0
	ds_load_b64 v[98:99], v9 offset:312
	s_wait_dscnt 0x0
	v_mul_f64_e32 v[96:97], v[96:97], v[98:99]
	scratch_store_b64 off, v[96:97], off offset:312
.LBB45_167:
	s_wait_xcnt 0x0
	s_or_b32 exec_lo, exec_lo, s0
	s_wait_storecnt 0x0
	s_barrier_signal -1
	s_barrier_wait -1
	scratch_load_b64 v[96:97], off, off offset:320
	s_mov_b32 s0, exec_lo
	s_wait_loadcnt 0x0
	ds_store_b64 v1, v[96:97]
	s_wait_dscnt 0x0
	s_barrier_signal -1
	s_barrier_wait -1
	v_cmpx_gt_u32_e32 40, v0
	s_cbranch_execz .LBB45_171
; %bb.168:
	v_mov_b64_e32 v[96:97], 0
	v_dual_add_nc_u32 v9, -1, v0 :: v_dual_mov_b32 v13, v2
	v_add_nc_u32_e32 v11, 0x170, v2
	s_mov_b32 s1, 0
.LBB45_169:                             ; =>This Inner Loop Header: Depth=1
	scratch_load_b64 v[98:99], v13, off
	ds_load_b64 v[100:101], v11
	v_dual_add_nc_u32 v9, 1, v9 :: v_dual_add_nc_u32 v11, 8, v11
	s_wait_xcnt 0x0
	v_add_nc_u32_e32 v13, 8, v13
	s_delay_alu instid0(VALU_DEP_2)
	v_cmp_lt_u32_e32 vcc_lo, 38, v9
	s_or_b32 s1, vcc_lo, s1
	s_wait_loadcnt_dscnt 0x0
	v_fmac_f64_e32 v[96:97], v[98:99], v[100:101]
	s_and_not1_b32 exec_lo, exec_lo, s1
	s_cbranch_execnz .LBB45_169
; %bb.170:
	s_or_b32 exec_lo, exec_lo, s1
	v_mov_b32_e32 v9, 0
	ds_load_b64 v[98:99], v9 offset:320
	s_wait_dscnt 0x0
	v_mul_f64_e32 v[96:97], v[96:97], v[98:99]
	scratch_store_b64 off, v[96:97], off offset:320
.LBB45_171:
	s_wait_xcnt 0x0
	s_or_b32 exec_lo, exec_lo, s0
	s_wait_storecnt 0x0
	s_barrier_signal -1
	s_barrier_wait -1
	scratch_load_b64 v[96:97], off, off offset:328
	s_mov_b32 s0, exec_lo
	s_wait_loadcnt 0x0
	ds_store_b64 v1, v[96:97]
	s_wait_dscnt 0x0
	s_barrier_signal -1
	s_barrier_wait -1
	v_cmpx_gt_u32_e32 41, v0
	s_cbranch_execz .LBB45_175
; %bb.172:
	v_mov_b64_e32 v[96:97], 0
	v_dual_add_nc_u32 v9, -1, v0 :: v_dual_mov_b32 v13, v2
	v_add_nc_u32_e32 v11, 0x170, v2
	s_mov_b32 s1, 0
.LBB45_173:                             ; =>This Inner Loop Header: Depth=1
	scratch_load_b64 v[98:99], v13, off
	ds_load_b64 v[100:101], v11
	v_dual_add_nc_u32 v9, 1, v9 :: v_dual_add_nc_u32 v11, 8, v11
	s_wait_xcnt 0x0
	v_add_nc_u32_e32 v13, 8, v13
	s_delay_alu instid0(VALU_DEP_2)
	v_cmp_lt_u32_e32 vcc_lo, 39, v9
	s_or_b32 s1, vcc_lo, s1
	s_wait_loadcnt_dscnt 0x0
	v_fmac_f64_e32 v[96:97], v[98:99], v[100:101]
	s_and_not1_b32 exec_lo, exec_lo, s1
	s_cbranch_execnz .LBB45_173
; %bb.174:
	s_or_b32 exec_lo, exec_lo, s1
	v_mov_b32_e32 v9, 0
	ds_load_b64 v[98:99], v9 offset:328
	s_wait_dscnt 0x0
	v_mul_f64_e32 v[96:97], v[96:97], v[98:99]
	scratch_store_b64 off, v[96:97], off offset:328
.LBB45_175:
	s_wait_xcnt 0x0
	s_or_b32 exec_lo, exec_lo, s0
	s_wait_storecnt 0x0
	s_barrier_signal -1
	s_barrier_wait -1
	scratch_load_b64 v[96:97], off, off offset:336
	s_mov_b32 s0, exec_lo
	s_wait_loadcnt 0x0
	ds_store_b64 v1, v[96:97]
	s_wait_dscnt 0x0
	s_barrier_signal -1
	s_barrier_wait -1
	v_cmpx_gt_u32_e32 42, v0
	s_cbranch_execz .LBB45_179
; %bb.176:
	v_mov_b64_e32 v[96:97], 0
	v_dual_add_nc_u32 v9, -1, v0 :: v_dual_mov_b32 v13, v2
	v_add_nc_u32_e32 v11, 0x170, v2
	s_mov_b32 s1, 0
.LBB45_177:                             ; =>This Inner Loop Header: Depth=1
	scratch_load_b64 v[98:99], v13, off
	ds_load_b64 v[100:101], v11
	v_dual_add_nc_u32 v9, 1, v9 :: v_dual_add_nc_u32 v11, 8, v11
	s_wait_xcnt 0x0
	v_add_nc_u32_e32 v13, 8, v13
	s_delay_alu instid0(VALU_DEP_2)
	v_cmp_lt_u32_e32 vcc_lo, 40, v9
	s_or_b32 s1, vcc_lo, s1
	s_wait_loadcnt_dscnt 0x0
	v_fmac_f64_e32 v[96:97], v[98:99], v[100:101]
	s_and_not1_b32 exec_lo, exec_lo, s1
	s_cbranch_execnz .LBB45_177
; %bb.178:
	s_or_b32 exec_lo, exec_lo, s1
	v_mov_b32_e32 v9, 0
	ds_load_b64 v[98:99], v9 offset:336
	s_wait_dscnt 0x0
	v_mul_f64_e32 v[96:97], v[96:97], v[98:99]
	scratch_store_b64 off, v[96:97], off offset:336
.LBB45_179:
	s_wait_xcnt 0x0
	s_or_b32 exec_lo, exec_lo, s0
	s_wait_storecnt 0x0
	s_barrier_signal -1
	s_barrier_wait -1
	scratch_load_b64 v[96:97], off, off offset:344
	s_mov_b32 s0, exec_lo
	s_wait_loadcnt 0x0
	ds_store_b64 v1, v[96:97]
	s_wait_dscnt 0x0
	s_barrier_signal -1
	s_barrier_wait -1
	v_cmpx_gt_u32_e32 43, v0
	s_cbranch_execz .LBB45_183
; %bb.180:
	v_mov_b64_e32 v[96:97], 0
	v_dual_add_nc_u32 v9, -1, v0 :: v_dual_mov_b32 v13, v2
	v_add_nc_u32_e32 v11, 0x170, v2
	s_mov_b32 s1, 0
.LBB45_181:                             ; =>This Inner Loop Header: Depth=1
	scratch_load_b64 v[98:99], v13, off
	ds_load_b64 v[100:101], v11
	v_dual_add_nc_u32 v9, 1, v9 :: v_dual_add_nc_u32 v11, 8, v11
	s_wait_xcnt 0x0
	v_add_nc_u32_e32 v13, 8, v13
	s_delay_alu instid0(VALU_DEP_2)
	v_cmp_lt_u32_e32 vcc_lo, 41, v9
	s_or_b32 s1, vcc_lo, s1
	s_wait_loadcnt_dscnt 0x0
	v_fmac_f64_e32 v[96:97], v[98:99], v[100:101]
	s_and_not1_b32 exec_lo, exec_lo, s1
	s_cbranch_execnz .LBB45_181
; %bb.182:
	s_or_b32 exec_lo, exec_lo, s1
	v_mov_b32_e32 v9, 0
	ds_load_b64 v[98:99], v9 offset:344
	s_wait_dscnt 0x0
	v_mul_f64_e32 v[96:97], v[96:97], v[98:99]
	scratch_store_b64 off, v[96:97], off offset:344
.LBB45_183:
	s_wait_xcnt 0x0
	s_or_b32 exec_lo, exec_lo, s0
	s_wait_storecnt 0x0
	s_barrier_signal -1
	s_barrier_wait -1
	scratch_load_b64 v[96:97], off, off offset:352
	s_mov_b32 s0, exec_lo
	s_wait_loadcnt 0x0
	ds_store_b64 v1, v[96:97]
	s_wait_dscnt 0x0
	s_barrier_signal -1
	s_barrier_wait -1
	v_cmpx_gt_u32_e32 44, v0
	s_cbranch_execz .LBB45_187
; %bb.184:
	v_mov_b64_e32 v[96:97], 0
	v_dual_add_nc_u32 v9, -1, v0 :: v_dual_mov_b32 v13, v2
	v_add_nc_u32_e32 v11, 0x170, v2
	s_mov_b32 s1, 0
.LBB45_185:                             ; =>This Inner Loop Header: Depth=1
	scratch_load_b64 v[98:99], v13, off
	ds_load_b64 v[100:101], v11
	v_dual_add_nc_u32 v9, 1, v9 :: v_dual_add_nc_u32 v11, 8, v11
	s_wait_xcnt 0x0
	v_add_nc_u32_e32 v13, 8, v13
	s_delay_alu instid0(VALU_DEP_2)
	v_cmp_lt_u32_e32 vcc_lo, 42, v9
	s_or_b32 s1, vcc_lo, s1
	s_wait_loadcnt_dscnt 0x0
	v_fmac_f64_e32 v[96:97], v[98:99], v[100:101]
	s_and_not1_b32 exec_lo, exec_lo, s1
	s_cbranch_execnz .LBB45_185
; %bb.186:
	s_or_b32 exec_lo, exec_lo, s1
	v_mov_b32_e32 v9, 0
	ds_load_b64 v[98:99], v9 offset:352
	s_wait_dscnt 0x0
	v_mul_f64_e32 v[96:97], v[96:97], v[98:99]
	scratch_store_b64 off, v[96:97], off offset:352
.LBB45_187:
	s_wait_xcnt 0x0
	s_or_b32 exec_lo, exec_lo, s0
	s_wait_storecnt 0x0
	s_barrier_signal -1
	s_barrier_wait -1
	scratch_load_b64 v[96:97], off, off offset:360
	s_mov_b32 s0, exec_lo
	s_wait_loadcnt 0x0
	ds_store_b64 v1, v[96:97]
	s_wait_dscnt 0x0
	s_barrier_signal -1
	s_barrier_wait -1
	v_cmpx_ne_u32_e32 45, v0
	s_cbranch_execz .LBB45_191
; %bb.188:
	v_mov_b64_e32 v[96:97], 0
	s_mov_b32 s1, 0
.LBB45_189:                             ; =>This Inner Loop Header: Depth=1
	scratch_load_b64 v[98:99], v2, off
	ds_load_b64 v[100:101], v1
	v_dual_add_nc_u32 v3, 1, v3 :: v_dual_add_nc_u32 v1, 8, v1
	s_wait_xcnt 0x0
	v_add_nc_u32_e32 v2, 8, v2
	s_delay_alu instid0(VALU_DEP_2)
	v_cmp_lt_u32_e32 vcc_lo, 43, v3
	s_or_b32 s1, vcc_lo, s1
	s_wait_loadcnt_dscnt 0x0
	v_fmac_f64_e32 v[96:97], v[98:99], v[100:101]
	s_and_not1_b32 exec_lo, exec_lo, s1
	s_cbranch_execnz .LBB45_189
; %bb.190:
	s_or_b32 exec_lo, exec_lo, s1
	v_mov_b32_e32 v1, 0
	ds_load_b64 v[2:3], v1 offset:360
	s_wait_dscnt 0x0
	v_mul_f64_e32 v[2:3], v[96:97], v[2:3]
	scratch_store_b64 off, v[2:3], off offset:360
.LBB45_191:
	s_wait_xcnt 0x0
	s_or_b32 exec_lo, exec_lo, s0
	s_mov_b32 s1, -1
	s_wait_storecnt 0x0
	s_barrier_signal -1
	s_barrier_wait -1
.LBB45_192:
	s_and_b32 vcc_lo, exec_lo, s1
	s_cbranch_vccz .LBB45_194
; %bb.193:
	v_mov_b32_e32 v1, 0
	s_lshl_b64 s[0:1], s[18:19], 2
	s_delay_alu instid0(SALU_CYCLE_1)
	s_add_nc_u64 s[0:1], s[6:7], s[0:1]
	global_load_b32 v1, v1, s[0:1]
	s_wait_loadcnt 0x0
	v_cmp_ne_u32_e32 vcc_lo, 0, v1
	s_cbranch_vccz .LBB45_195
.LBB45_194:
	s_sendmsg sendmsg(MSG_DEALLOC_VGPRS)
	s_endpgm
.LBB45_195:
	s_wait_xcnt 0x0
	v_lshl_add_u32 v1, v0, 3, 0x170
	s_mov_b32 s0, exec_lo
	v_cmpx_eq_u32_e32 45, v0
	s_cbranch_execz .LBB45_197
; %bb.196:
	scratch_load_b64 v[2:3], off, off offset:352
	v_mov_b64_e32 v[96:97], 0
	scratch_store_b64 off, v[96:97], off offset:352
	s_wait_loadcnt 0x0
	ds_store_b64 v1, v[2:3]
.LBB45_197:
	s_wait_xcnt 0x0
	s_or_b32 exec_lo, exec_lo, s0
	s_wait_storecnt_dscnt 0x0
	s_barrier_signal -1
	s_barrier_wait -1
	scratch_load_b128 v[96:99], off, off offset:352
	v_mov_b32_e32 v2, 0
	s_mov_b32 s0, exec_lo
	ds_load_b64 v[100:101], v2 offset:728
	s_wait_loadcnt_dscnt 0x0
	v_fma_f64 v[98:99], v[98:99], v[100:101], 0
	s_delay_alu instid0(VALU_DEP_1)
	v_add_f64_e64 v[96:97], v[96:97], -v[98:99]
	scratch_store_b64 off, v[96:97], off offset:352
	s_wait_xcnt 0x0
	v_cmpx_lt_u32_e32 43, v0
	s_cbranch_execz .LBB45_199
; %bb.198:
	scratch_load_b64 v[96:97], off, off offset:344
	v_mov_b64_e32 v[98:99], 0
	scratch_store_b64 off, v[98:99], off offset:344
	s_wait_loadcnt 0x0
	ds_store_b64 v1, v[96:97]
.LBB45_199:
	s_wait_xcnt 0x0
	s_or_b32 exec_lo, exec_lo, s0
	s_wait_storecnt_dscnt 0x0
	s_barrier_signal -1
	s_barrier_wait -1
	s_clause 0x1
	scratch_load_b128 v[96:99], off, off offset:344
	scratch_load_b64 v[104:105], off, off offset:360
	ds_load_b128 v[100:103], v2 offset:720
	s_mov_b32 s0, exec_lo
	s_wait_loadcnt_dscnt 0x100
	v_fma_f64 v[2:3], v[98:99], v[100:101], 0
	s_wait_loadcnt 0x0
	s_delay_alu instid0(VALU_DEP_1) | instskip(NEXT) | instid1(VALU_DEP_1)
	v_fmac_f64_e32 v[2:3], v[104:105], v[102:103]
	v_add_f64_e64 v[2:3], v[96:97], -v[2:3]
	scratch_store_b64 off, v[2:3], off offset:344
	s_wait_xcnt 0x0
	v_cmpx_lt_u32_e32 42, v0
	s_cbranch_execz .LBB45_201
; %bb.200:
	scratch_load_b64 v[2:3], off, off offset:336
	v_mov_b64_e32 v[96:97], 0
	scratch_store_b64 off, v[96:97], off offset:336
	s_wait_loadcnt 0x0
	ds_store_b64 v1, v[2:3]
.LBB45_201:
	s_wait_xcnt 0x0
	s_or_b32 exec_lo, exec_lo, s0
	s_wait_storecnt_dscnt 0x0
	s_barrier_signal -1
	s_barrier_wait -1
	s_clause 0x1
	scratch_load_b128 v[96:99], off, off offset:336
	scratch_load_b128 v[100:103], off, off offset:352
	v_mov_b32_e32 v2, 0
	ds_load_2addr_b64 v[104:107], v2 offset0:89 offset1:90
	ds_load_b64 v[108:109], v2 offset:728
	s_mov_b32 s0, exec_lo
	s_wait_loadcnt_dscnt 0x101
	v_fma_f64 v[98:99], v[98:99], v[104:105], 0
	s_wait_loadcnt 0x0
	s_delay_alu instid0(VALU_DEP_1) | instskip(SKIP_1) | instid1(VALU_DEP_1)
	v_fmac_f64_e32 v[98:99], v[100:101], v[106:107]
	s_wait_dscnt 0x0
	v_fmac_f64_e32 v[98:99], v[102:103], v[108:109]
	s_delay_alu instid0(VALU_DEP_1)
	v_add_f64_e64 v[96:97], v[96:97], -v[98:99]
	scratch_store_b64 off, v[96:97], off offset:336
	s_wait_xcnt 0x0
	v_cmpx_lt_u32_e32 41, v0
	s_cbranch_execz .LBB45_203
; %bb.202:
	scratch_load_b64 v[96:97], off, off offset:328
	v_mov_b64_e32 v[98:99], 0
	scratch_store_b64 off, v[98:99], off offset:328
	s_wait_loadcnt 0x0
	ds_store_b64 v1, v[96:97]
.LBB45_203:
	s_wait_xcnt 0x0
	s_or_b32 exec_lo, exec_lo, s0
	s_wait_storecnt_dscnt 0x0
	s_barrier_signal -1
	s_barrier_wait -1
	s_clause 0x2
	scratch_load_b128 v[96:99], off, off offset:328
	scratch_load_b128 v[100:103], off, off offset:344
	scratch_load_b64 v[112:113], off, off offset:360
	ds_load_b128 v[104:107], v2 offset:704
	ds_load_b128 v[108:111], v2 offset:720
	s_mov_b32 s0, exec_lo
	s_wait_loadcnt_dscnt 0x201
	v_fma_f64 v[2:3], v[98:99], v[104:105], 0
	s_wait_loadcnt 0x1
	s_delay_alu instid0(VALU_DEP_1) | instskip(SKIP_1) | instid1(VALU_DEP_1)
	v_fmac_f64_e32 v[2:3], v[100:101], v[106:107]
	s_wait_dscnt 0x0
	v_fmac_f64_e32 v[2:3], v[102:103], v[108:109]
	s_wait_loadcnt 0x0
	s_delay_alu instid0(VALU_DEP_1) | instskip(NEXT) | instid1(VALU_DEP_1)
	v_fmac_f64_e32 v[2:3], v[112:113], v[110:111]
	v_add_f64_e64 v[2:3], v[96:97], -v[2:3]
	scratch_store_b64 off, v[2:3], off offset:328
	s_wait_xcnt 0x0
	v_cmpx_lt_u32_e32 40, v0
	s_cbranch_execz .LBB45_205
; %bb.204:
	scratch_load_b64 v[2:3], off, off offset:320
	v_mov_b64_e32 v[96:97], 0
	scratch_store_b64 off, v[96:97], off offset:320
	s_wait_loadcnt 0x0
	ds_store_b64 v1, v[2:3]
.LBB45_205:
	s_wait_xcnt 0x0
	s_or_b32 exec_lo, exec_lo, s0
	s_wait_storecnt_dscnt 0x0
	s_barrier_signal -1
	s_barrier_wait -1
	s_clause 0x2
	scratch_load_b128 v[96:99], off, off offset:320
	scratch_load_b128 v[100:103], off, off offset:336
	;; [unrolled: 1-line block ×3, first 2 shown]
	v_mov_b32_e32 v2, 0
	ds_load_2addr_b64 v[108:111], v2 offset0:87 offset1:88
	ds_load_2addr_b64 v[112:115], v2 offset0:89 offset1:90
	s_mov_b32 s0, exec_lo
	s_wait_loadcnt_dscnt 0x201
	v_fma_f64 v[98:99], v[98:99], v[108:109], 0
	s_wait_loadcnt 0x1
	s_delay_alu instid0(VALU_DEP_1) | instskip(SKIP_4) | instid1(VALU_DEP_1)
	v_fmac_f64_e32 v[98:99], v[100:101], v[110:111]
	ds_load_b64 v[100:101], v2 offset:728
	s_wait_dscnt 0x1
	v_fmac_f64_e32 v[98:99], v[102:103], v[112:113]
	s_wait_loadcnt 0x0
	v_fmac_f64_e32 v[98:99], v[104:105], v[114:115]
	s_wait_dscnt 0x0
	s_delay_alu instid0(VALU_DEP_1) | instskip(NEXT) | instid1(VALU_DEP_1)
	v_fmac_f64_e32 v[98:99], v[106:107], v[100:101]
	v_add_f64_e64 v[96:97], v[96:97], -v[98:99]
	scratch_store_b64 off, v[96:97], off offset:320
	s_wait_xcnt 0x0
	v_cmpx_lt_u32_e32 39, v0
	s_cbranch_execz .LBB45_207
; %bb.206:
	scratch_load_b64 v[96:97], off, off offset:312
	v_mov_b64_e32 v[98:99], 0
	scratch_store_b64 off, v[98:99], off offset:312
	s_wait_loadcnt 0x0
	ds_store_b64 v1, v[96:97]
.LBB45_207:
	s_wait_xcnt 0x0
	s_or_b32 exec_lo, exec_lo, s0
	s_wait_storecnt_dscnt 0x0
	s_barrier_signal -1
	s_barrier_wait -1
	s_clause 0x3
	scratch_load_b128 v[96:99], off, off offset:312
	scratch_load_b128 v[100:103], off, off offset:328
	scratch_load_b128 v[104:107], off, off offset:344
	scratch_load_b64 v[116:117], off, off offset:360
	ds_load_b128 v[108:111], v2 offset:688
	ds_load_b128 v[112:115], v2 offset:704
	s_mov_b32 s0, exec_lo
	s_wait_loadcnt_dscnt 0x301
	v_fma_f64 v[108:109], v[98:99], v[108:109], 0
	s_wait_loadcnt 0x2
	s_delay_alu instid0(VALU_DEP_1) | instskip(SKIP_4) | instid1(VALU_DEP_1)
	v_fmac_f64_e32 v[108:109], v[100:101], v[110:111]
	ds_load_b128 v[98:101], v2 offset:720
	s_wait_dscnt 0x1
	v_fmac_f64_e32 v[108:109], v[102:103], v[112:113]
	s_wait_loadcnt 0x1
	v_fmac_f64_e32 v[108:109], v[104:105], v[114:115]
	s_wait_dscnt 0x0
	s_delay_alu instid0(VALU_DEP_1) | instskip(SKIP_1) | instid1(VALU_DEP_1)
	v_fmac_f64_e32 v[108:109], v[106:107], v[98:99]
	s_wait_loadcnt 0x0
	v_fmac_f64_e32 v[108:109], v[116:117], v[100:101]
	s_delay_alu instid0(VALU_DEP_1)
	v_add_f64_e64 v[2:3], v[96:97], -v[108:109]
	scratch_store_b64 off, v[2:3], off offset:312
	s_wait_xcnt 0x0
	v_cmpx_lt_u32_e32 38, v0
	s_cbranch_execz .LBB45_209
; %bb.208:
	scratch_load_b64 v[2:3], off, off offset:304
	v_mov_b64_e32 v[96:97], 0
	scratch_store_b64 off, v[96:97], off offset:304
	s_wait_loadcnt 0x0
	ds_store_b64 v1, v[2:3]
.LBB45_209:
	s_wait_xcnt 0x0
	s_or_b32 exec_lo, exec_lo, s0
	s_wait_storecnt_dscnt 0x0
	s_barrier_signal -1
	s_barrier_wait -1
	s_clause 0x3
	scratch_load_b128 v[96:99], off, off offset:304
	scratch_load_b128 v[100:103], off, off offset:320
	;; [unrolled: 1-line block ×4, first 2 shown]
	v_mov_b32_e32 v2, 0
	ds_load_2addr_b64 v[112:115], v2 offset0:85 offset1:86
	ds_load_2addr_b64 v[116:119], v2 offset0:87 offset1:88
	s_mov_b32 s0, exec_lo
	s_wait_loadcnt_dscnt 0x301
	v_fma_f64 v[112:113], v[98:99], v[112:113], 0
	s_wait_loadcnt 0x2
	s_delay_alu instid0(VALU_DEP_1) | instskip(SKIP_1) | instid1(VALU_DEP_1)
	v_fmac_f64_e32 v[112:113], v[100:101], v[114:115]
	s_wait_dscnt 0x0
	v_fmac_f64_e32 v[112:113], v[102:103], v[116:117]
	ds_load_2addr_b64 v[98:101], v2 offset0:89 offset1:90
	ds_load_b64 v[102:103], v2 offset:728
	s_wait_loadcnt 0x1
	v_fmac_f64_e32 v[112:113], v[104:105], v[118:119]
	s_wait_dscnt 0x1
	s_delay_alu instid0(VALU_DEP_1) | instskip(SKIP_1) | instid1(VALU_DEP_1)
	v_fmac_f64_e32 v[112:113], v[106:107], v[98:99]
	s_wait_loadcnt 0x0
	v_fmac_f64_e32 v[112:113], v[108:109], v[100:101]
	s_wait_dscnt 0x0
	s_delay_alu instid0(VALU_DEP_1) | instskip(NEXT) | instid1(VALU_DEP_1)
	v_fmac_f64_e32 v[112:113], v[110:111], v[102:103]
	v_add_f64_e64 v[96:97], v[96:97], -v[112:113]
	scratch_store_b64 off, v[96:97], off offset:304
	s_wait_xcnt 0x0
	v_cmpx_lt_u32_e32 37, v0
	s_cbranch_execz .LBB45_211
; %bb.210:
	scratch_load_b64 v[96:97], off, off offset:296
	v_mov_b64_e32 v[98:99], 0
	scratch_store_b64 off, v[98:99], off offset:296
	s_wait_loadcnt 0x0
	ds_store_b64 v1, v[96:97]
.LBB45_211:
	s_wait_xcnt 0x0
	s_or_b32 exec_lo, exec_lo, s0
	s_wait_storecnt_dscnt 0x0
	s_barrier_signal -1
	s_barrier_wait -1
	s_clause 0x4
	scratch_load_b128 v[96:99], off, off offset:296
	scratch_load_b128 v[100:103], off, off offset:312
	scratch_load_b128 v[104:107], off, off offset:328
	scratch_load_b128 v[108:111], off, off offset:344
	scratch_load_b64 v[120:121], off, off offset:360
	ds_load_b128 v[112:115], v2 offset:672
	ds_load_b128 v[116:119], v2 offset:688
	s_mov_b32 s0, exec_lo
	s_wait_loadcnt_dscnt 0x401
	v_fma_f64 v[112:113], v[98:99], v[112:113], 0
	s_wait_loadcnt 0x3
	s_delay_alu instid0(VALU_DEP_1) | instskip(SKIP_1) | instid1(VALU_DEP_1)
	v_fmac_f64_e32 v[112:113], v[100:101], v[114:115]
	s_wait_dscnt 0x0
	v_fmac_f64_e32 v[112:113], v[102:103], v[116:117]
	s_wait_loadcnt 0x2
	s_delay_alu instid0(VALU_DEP_1)
	v_fmac_f64_e32 v[112:113], v[104:105], v[118:119]
	ds_load_b128 v[98:101], v2 offset:704
	ds_load_b128 v[102:105], v2 offset:720
	s_wait_dscnt 0x1
	v_fmac_f64_e32 v[112:113], v[106:107], v[98:99]
	s_wait_loadcnt 0x1
	s_delay_alu instid0(VALU_DEP_1) | instskip(SKIP_1) | instid1(VALU_DEP_1)
	v_fmac_f64_e32 v[112:113], v[108:109], v[100:101]
	s_wait_dscnt 0x0
	v_fmac_f64_e32 v[112:113], v[110:111], v[102:103]
	s_wait_loadcnt 0x0
	s_delay_alu instid0(VALU_DEP_1) | instskip(NEXT) | instid1(VALU_DEP_1)
	v_fmac_f64_e32 v[112:113], v[120:121], v[104:105]
	v_add_f64_e64 v[2:3], v[96:97], -v[112:113]
	scratch_store_b64 off, v[2:3], off offset:296
	s_wait_xcnt 0x0
	v_cmpx_lt_u32_e32 36, v0
	s_cbranch_execz .LBB45_213
; %bb.212:
	scratch_load_b64 v[2:3], off, off offset:288
	v_mov_b64_e32 v[96:97], 0
	scratch_store_b64 off, v[96:97], off offset:288
	s_wait_loadcnt 0x0
	ds_store_b64 v1, v[2:3]
.LBB45_213:
	s_wait_xcnt 0x0
	s_or_b32 exec_lo, exec_lo, s0
	s_wait_storecnt_dscnt 0x0
	s_barrier_signal -1
	s_barrier_wait -1
	s_clause 0x4
	scratch_load_b128 v[96:99], off, off offset:288
	scratch_load_b128 v[100:103], off, off offset:304
	;; [unrolled: 1-line block ×5, first 2 shown]
	v_mov_b32_e32 v2, 0
	ds_load_2addr_b64 v[116:119], v2 offset0:83 offset1:84
	ds_load_2addr_b64 v[120:123], v2 offset0:85 offset1:86
	s_mov_b32 s0, exec_lo
	s_wait_loadcnt_dscnt 0x401
	v_fma_f64 v[116:117], v[98:99], v[116:117], 0
	s_wait_loadcnt 0x3
	s_delay_alu instid0(VALU_DEP_1) | instskip(SKIP_1) | instid1(VALU_DEP_1)
	v_fmac_f64_e32 v[116:117], v[100:101], v[118:119]
	s_wait_dscnt 0x0
	v_fmac_f64_e32 v[116:117], v[102:103], v[120:121]
	s_wait_loadcnt 0x2
	s_delay_alu instid0(VALU_DEP_1)
	v_fmac_f64_e32 v[116:117], v[104:105], v[122:123]
	ds_load_2addr_b64 v[98:101], v2 offset0:87 offset1:88
	ds_load_2addr_b64 v[102:105], v2 offset0:89 offset1:90
	s_wait_dscnt 0x1
	v_fmac_f64_e32 v[116:117], v[106:107], v[98:99]
	ds_load_b64 v[98:99], v2 offset:728
	s_wait_loadcnt 0x1
	v_fmac_f64_e32 v[116:117], v[108:109], v[100:101]
	s_wait_dscnt 0x1
	s_delay_alu instid0(VALU_DEP_1) | instskip(SKIP_1) | instid1(VALU_DEP_1)
	v_fmac_f64_e32 v[116:117], v[110:111], v[102:103]
	s_wait_loadcnt 0x0
	v_fmac_f64_e32 v[116:117], v[112:113], v[104:105]
	s_wait_dscnt 0x0
	s_delay_alu instid0(VALU_DEP_1) | instskip(NEXT) | instid1(VALU_DEP_1)
	v_fmac_f64_e32 v[116:117], v[114:115], v[98:99]
	v_add_f64_e64 v[96:97], v[96:97], -v[116:117]
	scratch_store_b64 off, v[96:97], off offset:288
	s_wait_xcnt 0x0
	v_cmpx_lt_u32_e32 35, v0
	s_cbranch_execz .LBB45_215
; %bb.214:
	scratch_load_b64 v[96:97], off, off offset:280
	v_mov_b64_e32 v[98:99], 0
	scratch_store_b64 off, v[98:99], off offset:280
	s_wait_loadcnt 0x0
	ds_store_b64 v1, v[96:97]
.LBB45_215:
	s_wait_xcnt 0x0
	s_or_b32 exec_lo, exec_lo, s0
	s_wait_storecnt_dscnt 0x0
	s_barrier_signal -1
	s_barrier_wait -1
	s_clause 0x5
	scratch_load_b128 v[96:99], off, off offset:280
	scratch_load_b128 v[100:103], off, off offset:296
	;; [unrolled: 1-line block ×5, first 2 shown]
	scratch_load_b64 v[124:125], off, off offset:360
	ds_load_b128 v[116:119], v2 offset:656
	ds_load_b128 v[120:123], v2 offset:672
	s_mov_b32 s0, exec_lo
	s_wait_loadcnt_dscnt 0x501
	v_fma_f64 v[116:117], v[98:99], v[116:117], 0
	s_wait_loadcnt 0x4
	s_delay_alu instid0(VALU_DEP_1) | instskip(SKIP_1) | instid1(VALU_DEP_1)
	v_fmac_f64_e32 v[116:117], v[100:101], v[118:119]
	s_wait_dscnt 0x0
	v_fmac_f64_e32 v[116:117], v[102:103], v[120:121]
	s_wait_loadcnt 0x3
	s_delay_alu instid0(VALU_DEP_1)
	v_fmac_f64_e32 v[116:117], v[104:105], v[122:123]
	ds_load_b128 v[98:101], v2 offset:688
	ds_load_b128 v[102:105], v2 offset:704
	s_wait_dscnt 0x1
	v_fmac_f64_e32 v[116:117], v[106:107], v[98:99]
	s_wait_loadcnt 0x2
	s_delay_alu instid0(VALU_DEP_1) | instskip(SKIP_4) | instid1(VALU_DEP_1)
	v_fmac_f64_e32 v[116:117], v[108:109], v[100:101]
	ds_load_b128 v[98:101], v2 offset:720
	s_wait_dscnt 0x1
	v_fmac_f64_e32 v[116:117], v[110:111], v[102:103]
	s_wait_loadcnt 0x1
	v_fmac_f64_e32 v[116:117], v[112:113], v[104:105]
	s_wait_dscnt 0x0
	s_delay_alu instid0(VALU_DEP_1) | instskip(SKIP_1) | instid1(VALU_DEP_1)
	v_fmac_f64_e32 v[116:117], v[114:115], v[98:99]
	s_wait_loadcnt 0x0
	v_fmac_f64_e32 v[116:117], v[124:125], v[100:101]
	s_delay_alu instid0(VALU_DEP_1)
	v_add_f64_e64 v[2:3], v[96:97], -v[116:117]
	scratch_store_b64 off, v[2:3], off offset:280
	s_wait_xcnt 0x0
	v_cmpx_lt_u32_e32 34, v0
	s_cbranch_execz .LBB45_217
; %bb.216:
	scratch_load_b64 v[2:3], off, off offset:272
	v_mov_b64_e32 v[96:97], 0
	scratch_store_b64 off, v[96:97], off offset:272
	s_wait_loadcnt 0x0
	ds_store_b64 v1, v[2:3]
.LBB45_217:
	s_wait_xcnt 0x0
	s_or_b32 exec_lo, exec_lo, s0
	s_wait_storecnt_dscnt 0x0
	s_barrier_signal -1
	s_barrier_wait -1
	s_clause 0x5
	scratch_load_b128 v[96:99], off, off offset:272
	scratch_load_b128 v[100:103], off, off offset:288
	;; [unrolled: 1-line block ×6, first 2 shown]
	v_mov_b32_e32 v2, 0
	ds_load_2addr_b64 v[120:123], v2 offset0:81 offset1:82
	ds_load_2addr_b64 v[124:127], v2 offset0:83 offset1:84
	s_mov_b32 s0, exec_lo
	s_wait_loadcnt_dscnt 0x501
	v_fma_f64 v[120:121], v[98:99], v[120:121], 0
	s_wait_loadcnt 0x4
	s_delay_alu instid0(VALU_DEP_1) | instskip(SKIP_1) | instid1(VALU_DEP_1)
	v_fmac_f64_e32 v[120:121], v[100:101], v[122:123]
	s_wait_dscnt 0x0
	v_fmac_f64_e32 v[120:121], v[102:103], v[124:125]
	s_wait_loadcnt 0x3
	s_delay_alu instid0(VALU_DEP_1)
	v_fmac_f64_e32 v[120:121], v[104:105], v[126:127]
	ds_load_2addr_b64 v[98:101], v2 offset0:85 offset1:86
	ds_load_2addr_b64 v[102:105], v2 offset0:87 offset1:88
	s_wait_dscnt 0x1
	v_fmac_f64_e32 v[120:121], v[106:107], v[98:99]
	s_wait_loadcnt 0x2
	s_delay_alu instid0(VALU_DEP_1) | instskip(SKIP_1) | instid1(VALU_DEP_1)
	v_fmac_f64_e32 v[120:121], v[108:109], v[100:101]
	s_wait_dscnt 0x0
	v_fmac_f64_e32 v[120:121], v[110:111], v[102:103]
	ds_load_2addr_b64 v[98:101], v2 offset0:89 offset1:90
	ds_load_b64 v[102:103], v2 offset:728
	s_wait_loadcnt 0x1
	v_fmac_f64_e32 v[120:121], v[112:113], v[104:105]
	s_wait_dscnt 0x1
	s_delay_alu instid0(VALU_DEP_1) | instskip(SKIP_1) | instid1(VALU_DEP_1)
	v_fmac_f64_e32 v[120:121], v[114:115], v[98:99]
	s_wait_loadcnt 0x0
	v_fmac_f64_e32 v[120:121], v[116:117], v[100:101]
	s_wait_dscnt 0x0
	s_delay_alu instid0(VALU_DEP_1) | instskip(NEXT) | instid1(VALU_DEP_1)
	v_fmac_f64_e32 v[120:121], v[118:119], v[102:103]
	v_add_f64_e64 v[96:97], v[96:97], -v[120:121]
	scratch_store_b64 off, v[96:97], off offset:272
	s_wait_xcnt 0x0
	v_cmpx_lt_u32_e32 33, v0
	s_cbranch_execz .LBB45_219
; %bb.218:
	scratch_load_b64 v[96:97], off, off offset:264
	v_mov_b64_e32 v[98:99], 0
	scratch_store_b64 off, v[98:99], off offset:264
	s_wait_loadcnt 0x0
	ds_store_b64 v1, v[96:97]
.LBB45_219:
	s_wait_xcnt 0x0
	s_or_b32 exec_lo, exec_lo, s0
	s_wait_storecnt_dscnt 0x0
	s_barrier_signal -1
	s_barrier_wait -1
	s_clause 0x5
	scratch_load_b128 v[96:99], off, off offset:264
	scratch_load_b128 v[100:103], off, off offset:280
	;; [unrolled: 1-line block ×6, first 2 shown]
	ds_load_b128 v[120:123], v2 offset:640
	ds_load_b128 v[124:127], v2 offset:656
	s_mov_b32 s0, exec_lo
	s_wait_loadcnt_dscnt 0x501
	v_fma_f64 v[120:121], v[98:99], v[120:121], 0
	s_wait_loadcnt 0x4
	s_delay_alu instid0(VALU_DEP_1) | instskip(SKIP_4) | instid1(VALU_DEP_1)
	v_fmac_f64_e32 v[120:121], v[100:101], v[122:123]
	scratch_load_b64 v[122:123], off, off offset:360
	s_wait_dscnt 0x0
	v_fmac_f64_e32 v[120:121], v[102:103], v[124:125]
	s_wait_loadcnt 0x4
	v_fmac_f64_e32 v[120:121], v[104:105], v[126:127]
	ds_load_b128 v[98:101], v2 offset:672
	ds_load_b128 v[102:105], v2 offset:688
	s_wait_dscnt 0x1
	v_fmac_f64_e32 v[120:121], v[106:107], v[98:99]
	s_wait_loadcnt 0x3
	s_delay_alu instid0(VALU_DEP_1) | instskip(SKIP_1) | instid1(VALU_DEP_1)
	v_fmac_f64_e32 v[120:121], v[108:109], v[100:101]
	s_wait_dscnt 0x0
	v_fmac_f64_e32 v[120:121], v[110:111], v[102:103]
	s_wait_loadcnt 0x2
	s_delay_alu instid0(VALU_DEP_1)
	v_fmac_f64_e32 v[120:121], v[112:113], v[104:105]
	ds_load_b128 v[98:101], v2 offset:704
	ds_load_b128 v[102:105], v2 offset:720
	s_wait_dscnt 0x1
	v_fmac_f64_e32 v[120:121], v[114:115], v[98:99]
	s_wait_loadcnt 0x1
	s_delay_alu instid0(VALU_DEP_1) | instskip(SKIP_1) | instid1(VALU_DEP_1)
	v_fmac_f64_e32 v[120:121], v[116:117], v[100:101]
	s_wait_dscnt 0x0
	v_fmac_f64_e32 v[120:121], v[118:119], v[102:103]
	s_wait_loadcnt 0x0
	s_delay_alu instid0(VALU_DEP_1) | instskip(NEXT) | instid1(VALU_DEP_1)
	v_fmac_f64_e32 v[120:121], v[122:123], v[104:105]
	v_add_f64_e64 v[2:3], v[96:97], -v[120:121]
	scratch_store_b64 off, v[2:3], off offset:264
	s_wait_xcnt 0x0
	v_cmpx_lt_u32_e32 32, v0
	s_cbranch_execz .LBB45_221
; %bb.220:
	scratch_load_b64 v[2:3], off, off offset:256
	v_mov_b64_e32 v[96:97], 0
	scratch_store_b64 off, v[96:97], off offset:256
	s_wait_loadcnt 0x0
	ds_store_b64 v1, v[2:3]
.LBB45_221:
	s_wait_xcnt 0x0
	s_or_b32 exec_lo, exec_lo, s0
	s_wait_storecnt_dscnt 0x0
	s_barrier_signal -1
	s_barrier_wait -1
	s_clause 0x5
	scratch_load_b128 v[96:99], off, off offset:256
	scratch_load_b128 v[100:103], off, off offset:272
	;; [unrolled: 1-line block ×6, first 2 shown]
	v_mov_b32_e32 v2, 0
	ds_load_2addr_b64 v[120:123], v2 offset0:79 offset1:80
	ds_load_2addr_b64 v[124:127], v2 offset0:81 offset1:82
	s_mov_b32 s0, exec_lo
	s_wait_loadcnt_dscnt 0x501
	v_fma_f64 v[128:129], v[98:99], v[120:121], 0
	s_wait_loadcnt 0x4
	s_delay_alu instid0(VALU_DEP_1) | instskip(SKIP_4) | instid1(VALU_DEP_1)
	v_fmac_f64_e32 v[128:129], v[100:101], v[122:123]
	scratch_load_b128 v[98:101], off, off offset:352
	s_wait_dscnt 0x0
	v_fmac_f64_e32 v[128:129], v[102:103], v[124:125]
	s_wait_loadcnt 0x4
	v_fmac_f64_e32 v[128:129], v[104:105], v[126:127]
	ds_load_2addr_b64 v[102:105], v2 offset0:83 offset1:84
	ds_load_2addr_b64 v[120:123], v2 offset0:85 offset1:86
	s_wait_dscnt 0x1
	v_fmac_f64_e32 v[128:129], v[106:107], v[102:103]
	s_wait_loadcnt 0x3
	s_delay_alu instid0(VALU_DEP_1)
	v_fmac_f64_e32 v[128:129], v[108:109], v[104:105]
	ds_load_2addr_b64 v[102:105], v2 offset0:87 offset1:88
	ds_load_2addr_b64 v[106:109], v2 offset0:89 offset1:90
	s_wait_dscnt 0x2
	v_fmac_f64_e32 v[128:129], v[110:111], v[120:121]
	s_wait_loadcnt 0x2
	s_delay_alu instid0(VALU_DEP_1) | instskip(SKIP_1) | instid1(VALU_DEP_1)
	v_fmac_f64_e32 v[128:129], v[112:113], v[122:123]
	s_wait_dscnt 0x1
	v_fmac_f64_e32 v[128:129], v[114:115], v[102:103]
	s_wait_loadcnt 0x1
	s_delay_alu instid0(VALU_DEP_1) | instskip(SKIP_1) | instid1(VALU_DEP_1)
	v_fmac_f64_e32 v[128:129], v[116:117], v[104:105]
	s_wait_dscnt 0x0
	v_fmac_f64_e32 v[128:129], v[118:119], v[106:107]
	s_wait_loadcnt 0x0
	s_delay_alu instid0(VALU_DEP_1) | instskip(SKIP_3) | instid1(VALU_DEP_1)
	v_fmac_f64_e32 v[128:129], v[98:99], v[108:109]
	ds_load_b64 v[98:99], v2 offset:728
	s_wait_dscnt 0x0
	v_fmac_f64_e32 v[128:129], v[100:101], v[98:99]
	v_add_f64_e64 v[96:97], v[96:97], -v[128:129]
	scratch_store_b64 off, v[96:97], off offset:256
	s_wait_xcnt 0x0
	v_cmpx_lt_u32_e32 31, v0
	s_cbranch_execz .LBB45_223
; %bb.222:
	scratch_load_b64 v[96:97], off, off offset:248
	v_mov_b64_e32 v[98:99], 0
	scratch_store_b64 off, v[98:99], off offset:248
	s_wait_loadcnt 0x0
	ds_store_b64 v1, v[96:97]
.LBB45_223:
	s_wait_xcnt 0x0
	s_or_b32 exec_lo, exec_lo, s0
	s_wait_storecnt_dscnt 0x0
	s_barrier_signal -1
	s_barrier_wait -1
	s_clause 0x5
	scratch_load_b128 v[96:99], off, off offset:248
	scratch_load_b128 v[100:103], off, off offset:264
	;; [unrolled: 1-line block ×6, first 2 shown]
	ds_load_b128 v[120:123], v2 offset:624
	ds_load_b128 v[124:127], v2 offset:640
	s_mov_b32 s0, exec_lo
	s_wait_loadcnt_dscnt 0x501
	v_fma_f64 v[128:129], v[98:99], v[120:121], 0
	s_wait_loadcnt 0x4
	s_delay_alu instid0(VALU_DEP_1)
	v_fmac_f64_e32 v[128:129], v[100:101], v[122:123]
	scratch_load_b128 v[98:101], off, off offset:344
	s_wait_dscnt 0x0
	v_fmac_f64_e32 v[128:129], v[102:103], v[124:125]
	scratch_load_b64 v[124:125], off, off offset:360
	s_wait_loadcnt 0x5
	v_fmac_f64_e32 v[128:129], v[104:105], v[126:127]
	ds_load_b128 v[102:105], v2 offset:656
	ds_load_b128 v[120:123], v2 offset:672
	s_wait_dscnt 0x1
	v_fmac_f64_e32 v[128:129], v[106:107], v[102:103]
	s_wait_loadcnt 0x4
	s_delay_alu instid0(VALU_DEP_1)
	v_fmac_f64_e32 v[128:129], v[108:109], v[104:105]
	ds_load_b128 v[102:105], v2 offset:688
	ds_load_b128 v[106:109], v2 offset:704
	s_wait_dscnt 0x2
	v_fmac_f64_e32 v[128:129], v[110:111], v[120:121]
	s_wait_loadcnt 0x3
	s_delay_alu instid0(VALU_DEP_1) | instskip(SKIP_1) | instid1(VALU_DEP_1)
	v_fmac_f64_e32 v[128:129], v[112:113], v[122:123]
	s_wait_dscnt 0x1
	v_fmac_f64_e32 v[128:129], v[114:115], v[102:103]
	s_wait_loadcnt 0x2
	s_delay_alu instid0(VALU_DEP_1) | instskip(SKIP_4) | instid1(VALU_DEP_1)
	v_fmac_f64_e32 v[128:129], v[116:117], v[104:105]
	ds_load_b128 v[102:105], v2 offset:720
	s_wait_dscnt 0x1
	v_fmac_f64_e32 v[128:129], v[118:119], v[106:107]
	s_wait_loadcnt 0x1
	v_fmac_f64_e32 v[128:129], v[98:99], v[108:109]
	s_wait_dscnt 0x0
	s_delay_alu instid0(VALU_DEP_1) | instskip(SKIP_1) | instid1(VALU_DEP_1)
	v_fmac_f64_e32 v[128:129], v[100:101], v[102:103]
	s_wait_loadcnt 0x0
	v_fmac_f64_e32 v[128:129], v[124:125], v[104:105]
	s_delay_alu instid0(VALU_DEP_1)
	v_add_f64_e64 v[2:3], v[96:97], -v[128:129]
	scratch_store_b64 off, v[2:3], off offset:248
	s_wait_xcnt 0x0
	v_cmpx_lt_u32_e32 30, v0
	s_cbranch_execz .LBB45_225
; %bb.224:
	scratch_load_b64 v[2:3], off, off offset:240
	v_mov_b64_e32 v[96:97], 0
	scratch_store_b64 off, v[96:97], off offset:240
	s_wait_loadcnt 0x0
	ds_store_b64 v1, v[2:3]
.LBB45_225:
	s_wait_xcnt 0x0
	s_or_b32 exec_lo, exec_lo, s0
	s_wait_storecnt_dscnt 0x0
	s_barrier_signal -1
	s_barrier_wait -1
	s_clause 0x5
	scratch_load_b128 v[96:99], off, off offset:240
	scratch_load_b128 v[100:103], off, off offset:256
	;; [unrolled: 1-line block ×6, first 2 shown]
	v_mov_b32_e32 v2, 0
	ds_load_2addr_b64 v[120:123], v2 offset0:77 offset1:78
	ds_load_2addr_b64 v[124:127], v2 offset0:79 offset1:80
	s_mov_b32 s0, exec_lo
	s_wait_loadcnt_dscnt 0x501
	v_fma_f64 v[128:129], v[98:99], v[120:121], 0
	s_wait_loadcnt 0x4
	s_delay_alu instid0(VALU_DEP_1) | instskip(SKIP_4) | instid1(VALU_DEP_1)
	v_fmac_f64_e32 v[128:129], v[100:101], v[122:123]
	scratch_load_b128 v[98:101], off, off offset:336
	s_wait_dscnt 0x0
	v_fmac_f64_e32 v[128:129], v[102:103], v[124:125]
	s_wait_loadcnt 0x4
	v_fmac_f64_e32 v[128:129], v[104:105], v[126:127]
	scratch_load_b128 v[102:105], off, off offset:352
	ds_load_2addr_b64 v[120:123], v2 offset0:81 offset1:82
	ds_load_2addr_b64 v[124:127], v2 offset0:83 offset1:84
	s_wait_dscnt 0x1
	v_fmac_f64_e32 v[128:129], v[106:107], v[120:121]
	s_wait_loadcnt 0x4
	s_delay_alu instid0(VALU_DEP_1) | instskip(SKIP_1) | instid1(VALU_DEP_1)
	v_fmac_f64_e32 v[128:129], v[108:109], v[122:123]
	s_wait_dscnt 0x0
	v_fmac_f64_e32 v[128:129], v[110:111], v[124:125]
	s_wait_loadcnt 0x3
	s_delay_alu instid0(VALU_DEP_1)
	v_fmac_f64_e32 v[128:129], v[112:113], v[126:127]
	ds_load_2addr_b64 v[106:109], v2 offset0:85 offset1:86
	ds_load_2addr_b64 v[110:113], v2 offset0:87 offset1:88
	s_wait_dscnt 0x1
	v_fmac_f64_e32 v[128:129], v[114:115], v[106:107]
	s_wait_loadcnt 0x2
	s_delay_alu instid0(VALU_DEP_1) | instskip(SKIP_1) | instid1(VALU_DEP_1)
	v_fmac_f64_e32 v[128:129], v[116:117], v[108:109]
	s_wait_dscnt 0x0
	v_fmac_f64_e32 v[128:129], v[118:119], v[110:111]
	s_wait_loadcnt 0x1
	s_delay_alu instid0(VALU_DEP_1)
	v_fmac_f64_e32 v[128:129], v[98:99], v[112:113]
	ds_load_2addr_b64 v[106:109], v2 offset0:89 offset1:90
	ds_load_b64 v[98:99], v2 offset:728
	s_wait_dscnt 0x1
	v_fmac_f64_e32 v[128:129], v[100:101], v[106:107]
	s_wait_loadcnt 0x0
	s_delay_alu instid0(VALU_DEP_1) | instskip(SKIP_1) | instid1(VALU_DEP_1)
	v_fmac_f64_e32 v[128:129], v[102:103], v[108:109]
	s_wait_dscnt 0x0
	v_fmac_f64_e32 v[128:129], v[104:105], v[98:99]
	s_delay_alu instid0(VALU_DEP_1)
	v_add_f64_e64 v[96:97], v[96:97], -v[128:129]
	scratch_store_b64 off, v[96:97], off offset:240
	s_wait_xcnt 0x0
	v_cmpx_lt_u32_e32 29, v0
	s_cbranch_execz .LBB45_227
; %bb.226:
	scratch_load_b64 v[96:97], off, off offset:232
	v_mov_b64_e32 v[98:99], 0
	scratch_store_b64 off, v[98:99], off offset:232
	s_wait_loadcnt 0x0
	ds_store_b64 v1, v[96:97]
.LBB45_227:
	s_wait_xcnt 0x0
	s_or_b32 exec_lo, exec_lo, s0
	s_wait_storecnt_dscnt 0x0
	s_barrier_signal -1
	s_barrier_wait -1
	s_clause 0x5
	scratch_load_b128 v[96:99], off, off offset:232
	scratch_load_b128 v[100:103], off, off offset:248
	;; [unrolled: 1-line block ×6, first 2 shown]
	ds_load_b128 v[120:123], v2 offset:608
	ds_load_b128 v[124:127], v2 offset:624
	s_mov_b32 s0, exec_lo
	s_wait_loadcnt_dscnt 0x501
	v_fma_f64 v[128:129], v[98:99], v[120:121], 0
	s_wait_loadcnt 0x4
	s_delay_alu instid0(VALU_DEP_1) | instskip(SKIP_4) | instid1(VALU_DEP_1)
	v_fmac_f64_e32 v[128:129], v[100:101], v[122:123]
	scratch_load_b128 v[98:101], off, off offset:328
	s_wait_dscnt 0x0
	v_fmac_f64_e32 v[128:129], v[102:103], v[124:125]
	s_wait_loadcnt 0x4
	v_fmac_f64_e32 v[128:129], v[104:105], v[126:127]
	scratch_load_b128 v[102:105], off, off offset:344
	ds_load_b128 v[120:123], v2 offset:640
	ds_load_b128 v[124:127], v2 offset:656
	s_wait_dscnt 0x1
	v_fmac_f64_e32 v[128:129], v[106:107], v[120:121]
	scratch_load_b64 v[120:121], off, off offset:360
	s_wait_loadcnt 0x5
	v_fmac_f64_e32 v[128:129], v[108:109], v[122:123]
	s_wait_dscnt 0x0
	s_delay_alu instid0(VALU_DEP_1) | instskip(SKIP_1) | instid1(VALU_DEP_1)
	v_fmac_f64_e32 v[128:129], v[110:111], v[124:125]
	s_wait_loadcnt 0x4
	v_fmac_f64_e32 v[128:129], v[112:113], v[126:127]
	ds_load_b128 v[106:109], v2 offset:672
	ds_load_b128 v[110:113], v2 offset:688
	s_wait_dscnt 0x1
	v_fmac_f64_e32 v[128:129], v[114:115], v[106:107]
	s_wait_loadcnt 0x3
	s_delay_alu instid0(VALU_DEP_1) | instskip(SKIP_1) | instid1(VALU_DEP_1)
	v_fmac_f64_e32 v[128:129], v[116:117], v[108:109]
	s_wait_dscnt 0x0
	v_fmac_f64_e32 v[128:129], v[118:119], v[110:111]
	s_wait_loadcnt 0x2
	s_delay_alu instid0(VALU_DEP_1)
	v_fmac_f64_e32 v[128:129], v[98:99], v[112:113]
	ds_load_b128 v[106:109], v2 offset:704
	ds_load_b128 v[110:113], v2 offset:720
	s_wait_dscnt 0x1
	v_fmac_f64_e32 v[128:129], v[100:101], v[106:107]
	s_wait_loadcnt 0x1
	s_delay_alu instid0(VALU_DEP_1) | instskip(SKIP_1) | instid1(VALU_DEP_1)
	v_fmac_f64_e32 v[128:129], v[102:103], v[108:109]
	s_wait_dscnt 0x0
	v_fmac_f64_e32 v[128:129], v[104:105], v[110:111]
	s_wait_loadcnt 0x0
	s_delay_alu instid0(VALU_DEP_1) | instskip(NEXT) | instid1(VALU_DEP_1)
	v_fmac_f64_e32 v[128:129], v[120:121], v[112:113]
	v_add_f64_e64 v[2:3], v[96:97], -v[128:129]
	scratch_store_b64 off, v[2:3], off offset:232
	s_wait_xcnt 0x0
	v_cmpx_lt_u32_e32 28, v0
	s_cbranch_execz .LBB45_229
; %bb.228:
	scratch_load_b64 v[2:3], off, off offset:224
	v_mov_b64_e32 v[96:97], 0
	scratch_store_b64 off, v[96:97], off offset:224
	s_wait_loadcnt 0x0
	ds_store_b64 v1, v[2:3]
.LBB45_229:
	s_wait_xcnt 0x0
	s_or_b32 exec_lo, exec_lo, s0
	s_wait_storecnt_dscnt 0x0
	s_barrier_signal -1
	s_barrier_wait -1
	s_clause 0x5
	scratch_load_b128 v[96:99], off, off offset:224
	scratch_load_b128 v[100:103], off, off offset:240
	;; [unrolled: 1-line block ×6, first 2 shown]
	v_mov_b32_e32 v2, 0
	ds_load_2addr_b64 v[120:123], v2 offset0:75 offset1:76
	ds_load_2addr_b64 v[124:127], v2 offset0:77 offset1:78
	s_mov_b32 s0, exec_lo
	s_wait_loadcnt_dscnt 0x501
	v_fma_f64 v[128:129], v[98:99], v[120:121], 0
	s_wait_loadcnt 0x4
	s_delay_alu instid0(VALU_DEP_1) | instskip(SKIP_4) | instid1(VALU_DEP_1)
	v_fmac_f64_e32 v[128:129], v[100:101], v[122:123]
	scratch_load_b128 v[98:101], off, off offset:320
	s_wait_dscnt 0x0
	v_fmac_f64_e32 v[128:129], v[102:103], v[124:125]
	s_wait_loadcnt 0x4
	v_fmac_f64_e32 v[128:129], v[104:105], v[126:127]
	scratch_load_b128 v[102:105], off, off offset:336
	ds_load_2addr_b64 v[120:123], v2 offset0:79 offset1:80
	ds_load_2addr_b64 v[124:127], v2 offset0:81 offset1:82
	s_wait_dscnt 0x1
	v_fmac_f64_e32 v[128:129], v[106:107], v[120:121]
	s_wait_loadcnt 0x4
	s_delay_alu instid0(VALU_DEP_1) | instskip(SKIP_4) | instid1(VALU_DEP_1)
	v_fmac_f64_e32 v[128:129], v[108:109], v[122:123]
	scratch_load_b128 v[106:109], off, off offset:352
	s_wait_dscnt 0x0
	v_fmac_f64_e32 v[128:129], v[110:111], v[124:125]
	s_wait_loadcnt 0x4
	v_fmac_f64_e32 v[128:129], v[112:113], v[126:127]
	ds_load_2addr_b64 v[110:113], v2 offset0:83 offset1:84
	ds_load_2addr_b64 v[120:123], v2 offset0:85 offset1:86
	s_wait_dscnt 0x1
	v_fmac_f64_e32 v[128:129], v[114:115], v[110:111]
	s_wait_loadcnt 0x3
	s_delay_alu instid0(VALU_DEP_1)
	v_fmac_f64_e32 v[128:129], v[116:117], v[112:113]
	ds_load_2addr_b64 v[110:113], v2 offset0:87 offset1:88
	ds_load_2addr_b64 v[114:117], v2 offset0:89 offset1:90
	s_wait_dscnt 0x2
	v_fmac_f64_e32 v[128:129], v[118:119], v[120:121]
	s_wait_loadcnt 0x2
	s_delay_alu instid0(VALU_DEP_1) | instskip(SKIP_4) | instid1(VALU_DEP_1)
	v_fmac_f64_e32 v[128:129], v[98:99], v[122:123]
	ds_load_b64 v[98:99], v2 offset:728
	s_wait_dscnt 0x2
	v_fmac_f64_e32 v[128:129], v[100:101], v[110:111]
	s_wait_loadcnt 0x1
	v_fmac_f64_e32 v[128:129], v[102:103], v[112:113]
	s_wait_dscnt 0x1
	s_delay_alu instid0(VALU_DEP_1) | instskip(SKIP_1) | instid1(VALU_DEP_1)
	v_fmac_f64_e32 v[128:129], v[104:105], v[114:115]
	s_wait_loadcnt 0x0
	v_fmac_f64_e32 v[128:129], v[106:107], v[116:117]
	s_wait_dscnt 0x0
	s_delay_alu instid0(VALU_DEP_1) | instskip(NEXT) | instid1(VALU_DEP_1)
	v_fmac_f64_e32 v[128:129], v[108:109], v[98:99]
	v_add_f64_e64 v[96:97], v[96:97], -v[128:129]
	scratch_store_b64 off, v[96:97], off offset:224
	s_wait_xcnt 0x0
	v_cmpx_lt_u32_e32 27, v0
	s_cbranch_execz .LBB45_231
; %bb.230:
	scratch_load_b64 v[96:97], off, off offset:216
	v_mov_b64_e32 v[98:99], 0
	scratch_store_b64 off, v[98:99], off offset:216
	s_wait_loadcnt 0x0
	ds_store_b64 v1, v[96:97]
.LBB45_231:
	s_wait_xcnt 0x0
	s_or_b32 exec_lo, exec_lo, s0
	s_wait_storecnt_dscnt 0x0
	s_barrier_signal -1
	s_barrier_wait -1
	s_clause 0x5
	scratch_load_b128 v[96:99], off, off offset:216
	scratch_load_b128 v[100:103], off, off offset:232
	;; [unrolled: 1-line block ×6, first 2 shown]
	ds_load_b128 v[120:123], v2 offset:592
	ds_load_b128 v[124:127], v2 offset:608
	s_mov_b32 s0, exec_lo
	s_wait_loadcnt_dscnt 0x501
	v_fma_f64 v[128:129], v[98:99], v[120:121], 0
	s_wait_loadcnt 0x4
	s_delay_alu instid0(VALU_DEP_1) | instskip(SKIP_4) | instid1(VALU_DEP_1)
	v_fmac_f64_e32 v[128:129], v[100:101], v[122:123]
	scratch_load_b128 v[98:101], off, off offset:312
	s_wait_dscnt 0x0
	v_fmac_f64_e32 v[128:129], v[102:103], v[124:125]
	s_wait_loadcnt 0x4
	v_fmac_f64_e32 v[128:129], v[104:105], v[126:127]
	scratch_load_b128 v[102:105], off, off offset:328
	ds_load_b128 v[120:123], v2 offset:624
	ds_load_b128 v[124:127], v2 offset:640
	s_wait_dscnt 0x1
	v_fmac_f64_e32 v[128:129], v[106:107], v[120:121]
	s_wait_loadcnt 0x4
	s_delay_alu instid0(VALU_DEP_1)
	v_fmac_f64_e32 v[128:129], v[108:109], v[122:123]
	scratch_load_b128 v[106:109], off, off offset:344
	s_wait_dscnt 0x0
	v_fmac_f64_e32 v[128:129], v[110:111], v[124:125]
	scratch_load_b64 v[124:125], off, off offset:360
	s_wait_loadcnt 0x5
	v_fmac_f64_e32 v[128:129], v[112:113], v[126:127]
	ds_load_b128 v[110:113], v2 offset:656
	ds_load_b128 v[120:123], v2 offset:672
	s_wait_dscnt 0x1
	v_fmac_f64_e32 v[128:129], v[114:115], v[110:111]
	s_wait_loadcnt 0x4
	s_delay_alu instid0(VALU_DEP_1)
	v_fmac_f64_e32 v[128:129], v[116:117], v[112:113]
	ds_load_b128 v[110:113], v2 offset:688
	ds_load_b128 v[114:117], v2 offset:704
	s_wait_dscnt 0x2
	v_fmac_f64_e32 v[128:129], v[118:119], v[120:121]
	s_wait_loadcnt 0x3
	s_delay_alu instid0(VALU_DEP_1) | instskip(SKIP_1) | instid1(VALU_DEP_1)
	v_fmac_f64_e32 v[128:129], v[98:99], v[122:123]
	s_wait_dscnt 0x1
	v_fmac_f64_e32 v[128:129], v[100:101], v[110:111]
	ds_load_b128 v[98:101], v2 offset:720
	s_wait_loadcnt 0x2
	v_fmac_f64_e32 v[128:129], v[102:103], v[112:113]
	s_wait_dscnt 0x1
	s_delay_alu instid0(VALU_DEP_1) | instskip(SKIP_1) | instid1(VALU_DEP_1)
	v_fmac_f64_e32 v[128:129], v[104:105], v[114:115]
	s_wait_loadcnt 0x1
	v_fmac_f64_e32 v[128:129], v[106:107], v[116:117]
	s_wait_dscnt 0x0
	s_delay_alu instid0(VALU_DEP_1) | instskip(SKIP_1) | instid1(VALU_DEP_1)
	v_fmac_f64_e32 v[128:129], v[108:109], v[98:99]
	s_wait_loadcnt 0x0
	v_fmac_f64_e32 v[128:129], v[124:125], v[100:101]
	s_delay_alu instid0(VALU_DEP_1)
	v_add_f64_e64 v[2:3], v[96:97], -v[128:129]
	scratch_store_b64 off, v[2:3], off offset:216
	s_wait_xcnt 0x0
	v_cmpx_lt_u32_e32 26, v0
	s_cbranch_execz .LBB45_233
; %bb.232:
	scratch_load_b64 v[2:3], off, off offset:208
	v_mov_b64_e32 v[96:97], 0
	scratch_store_b64 off, v[96:97], off offset:208
	s_wait_loadcnt 0x0
	ds_store_b64 v1, v[2:3]
.LBB45_233:
	s_wait_xcnt 0x0
	s_or_b32 exec_lo, exec_lo, s0
	s_wait_storecnt_dscnt 0x0
	s_barrier_signal -1
	s_barrier_wait -1
	s_clause 0x5
	scratch_load_b128 v[96:99], off, off offset:208
	scratch_load_b128 v[100:103], off, off offset:224
	;; [unrolled: 1-line block ×6, first 2 shown]
	v_mov_b32_e32 v2, 0
	ds_load_2addr_b64 v[120:123], v2 offset0:73 offset1:74
	ds_load_2addr_b64 v[124:127], v2 offset0:75 offset1:76
	s_mov_b32 s0, exec_lo
	s_wait_loadcnt_dscnt 0x501
	v_fma_f64 v[128:129], v[98:99], v[120:121], 0
	s_wait_loadcnt 0x4
	s_delay_alu instid0(VALU_DEP_1) | instskip(SKIP_4) | instid1(VALU_DEP_1)
	v_fmac_f64_e32 v[128:129], v[100:101], v[122:123]
	scratch_load_b128 v[98:101], off, off offset:304
	s_wait_dscnt 0x0
	v_fmac_f64_e32 v[128:129], v[102:103], v[124:125]
	s_wait_loadcnt 0x4
	v_fmac_f64_e32 v[128:129], v[104:105], v[126:127]
	scratch_load_b128 v[102:105], off, off offset:320
	ds_load_2addr_b64 v[120:123], v2 offset0:77 offset1:78
	ds_load_2addr_b64 v[124:127], v2 offset0:79 offset1:80
	s_wait_dscnt 0x1
	v_fmac_f64_e32 v[128:129], v[106:107], v[120:121]
	s_wait_loadcnt 0x4
	s_delay_alu instid0(VALU_DEP_1) | instskip(SKIP_4) | instid1(VALU_DEP_1)
	v_fmac_f64_e32 v[128:129], v[108:109], v[122:123]
	scratch_load_b128 v[106:109], off, off offset:336
	s_wait_dscnt 0x0
	v_fmac_f64_e32 v[128:129], v[110:111], v[124:125]
	s_wait_loadcnt 0x4
	v_fmac_f64_e32 v[128:129], v[112:113], v[126:127]
	scratch_load_b128 v[110:113], off, off offset:352
	ds_load_2addr_b64 v[120:123], v2 offset0:81 offset1:82
	ds_load_2addr_b64 v[124:127], v2 offset0:83 offset1:84
	s_wait_dscnt 0x1
	v_fmac_f64_e32 v[128:129], v[114:115], v[120:121]
	s_wait_loadcnt 0x4
	s_delay_alu instid0(VALU_DEP_1) | instskip(SKIP_1) | instid1(VALU_DEP_1)
	v_fmac_f64_e32 v[128:129], v[116:117], v[122:123]
	s_wait_dscnt 0x0
	v_fmac_f64_e32 v[128:129], v[118:119], v[124:125]
	ds_load_2addr_b64 v[114:117], v2 offset0:85 offset1:86
	ds_load_2addr_b64 v[118:121], v2 offset0:87 offset1:88
	s_wait_loadcnt 0x3
	v_fmac_f64_e32 v[128:129], v[98:99], v[126:127]
	s_wait_dscnt 0x1
	s_delay_alu instid0(VALU_DEP_1) | instskip(SKIP_1) | instid1(VALU_DEP_1)
	v_fmac_f64_e32 v[128:129], v[100:101], v[114:115]
	s_wait_loadcnt 0x2
	v_fmac_f64_e32 v[128:129], v[102:103], v[116:117]
	ds_load_2addr_b64 v[98:101], v2 offset0:89 offset1:90
	ds_load_b64 v[102:103], v2 offset:728
	s_wait_dscnt 0x2
	v_fmac_f64_e32 v[128:129], v[104:105], v[118:119]
	s_wait_loadcnt 0x1
	s_delay_alu instid0(VALU_DEP_1) | instskip(SKIP_1) | instid1(VALU_DEP_1)
	v_fmac_f64_e32 v[128:129], v[106:107], v[120:121]
	s_wait_dscnt 0x1
	v_fmac_f64_e32 v[128:129], v[108:109], v[98:99]
	s_wait_loadcnt 0x0
	s_delay_alu instid0(VALU_DEP_1) | instskip(SKIP_1) | instid1(VALU_DEP_1)
	v_fmac_f64_e32 v[128:129], v[110:111], v[100:101]
	s_wait_dscnt 0x0
	v_fmac_f64_e32 v[128:129], v[112:113], v[102:103]
	s_delay_alu instid0(VALU_DEP_1)
	v_add_f64_e64 v[96:97], v[96:97], -v[128:129]
	scratch_store_b64 off, v[96:97], off offset:208
	s_wait_xcnt 0x0
	v_cmpx_lt_u32_e32 25, v0
	s_cbranch_execz .LBB45_235
; %bb.234:
	scratch_load_b64 v[96:97], off, off offset:200
	v_mov_b64_e32 v[98:99], 0
	scratch_store_b64 off, v[98:99], off offset:200
	s_wait_loadcnt 0x0
	ds_store_b64 v1, v[96:97]
.LBB45_235:
	s_wait_xcnt 0x0
	s_or_b32 exec_lo, exec_lo, s0
	s_wait_storecnt_dscnt 0x0
	s_barrier_signal -1
	s_barrier_wait -1
	s_clause 0x5
	scratch_load_b128 v[96:99], off, off offset:200
	scratch_load_b128 v[100:103], off, off offset:216
	;; [unrolled: 1-line block ×6, first 2 shown]
	ds_load_b128 v[120:123], v2 offset:576
	ds_load_b128 v[124:127], v2 offset:592
	s_mov_b32 s0, exec_lo
	s_wait_loadcnt_dscnt 0x501
	v_fma_f64 v[128:129], v[98:99], v[120:121], 0
	s_wait_loadcnt 0x4
	s_delay_alu instid0(VALU_DEP_1) | instskip(SKIP_4) | instid1(VALU_DEP_1)
	v_fmac_f64_e32 v[128:129], v[100:101], v[122:123]
	scratch_load_b128 v[98:101], off, off offset:296
	s_wait_dscnt 0x0
	v_fmac_f64_e32 v[128:129], v[102:103], v[124:125]
	s_wait_loadcnt 0x4
	v_fmac_f64_e32 v[128:129], v[104:105], v[126:127]
	scratch_load_b128 v[102:105], off, off offset:312
	ds_load_b128 v[120:123], v2 offset:608
	ds_load_b128 v[124:127], v2 offset:624
	s_wait_dscnt 0x1
	v_fmac_f64_e32 v[128:129], v[106:107], v[120:121]
	s_wait_loadcnt 0x4
	s_delay_alu instid0(VALU_DEP_1) | instskip(SKIP_4) | instid1(VALU_DEP_1)
	v_fmac_f64_e32 v[128:129], v[108:109], v[122:123]
	scratch_load_b128 v[106:109], off, off offset:328
	s_wait_dscnt 0x0
	v_fmac_f64_e32 v[128:129], v[110:111], v[124:125]
	s_wait_loadcnt 0x4
	v_fmac_f64_e32 v[128:129], v[112:113], v[126:127]
	scratch_load_b128 v[110:113], off, off offset:344
	ds_load_b128 v[120:123], v2 offset:640
	ds_load_b128 v[124:127], v2 offset:656
	s_wait_dscnt 0x1
	v_fmac_f64_e32 v[128:129], v[114:115], v[120:121]
	s_wait_loadcnt 0x4
	s_delay_alu instid0(VALU_DEP_1)
	v_fmac_f64_e32 v[128:129], v[116:117], v[122:123]
	scratch_load_b64 v[122:123], off, off offset:360
	s_wait_dscnt 0x0
	v_fmac_f64_e32 v[128:129], v[118:119], v[124:125]
	ds_load_b128 v[114:117], v2 offset:672
	ds_load_b128 v[118:121], v2 offset:688
	s_wait_loadcnt 0x4
	v_fmac_f64_e32 v[128:129], v[98:99], v[126:127]
	s_wait_dscnt 0x1
	s_delay_alu instid0(VALU_DEP_1) | instskip(SKIP_1) | instid1(VALU_DEP_1)
	v_fmac_f64_e32 v[128:129], v[100:101], v[114:115]
	s_wait_loadcnt 0x3
	v_fmac_f64_e32 v[128:129], v[102:103], v[116:117]
	s_wait_dscnt 0x0
	s_delay_alu instid0(VALU_DEP_1)
	v_fmac_f64_e32 v[128:129], v[104:105], v[118:119]
	ds_load_b128 v[98:101], v2 offset:704
	ds_load_b128 v[102:105], v2 offset:720
	s_wait_loadcnt 0x2
	v_fmac_f64_e32 v[128:129], v[106:107], v[120:121]
	s_wait_dscnt 0x1
	s_delay_alu instid0(VALU_DEP_1) | instskip(SKIP_1) | instid1(VALU_DEP_1)
	v_fmac_f64_e32 v[128:129], v[108:109], v[98:99]
	s_wait_loadcnt 0x1
	v_fmac_f64_e32 v[128:129], v[110:111], v[100:101]
	s_wait_dscnt 0x0
	s_delay_alu instid0(VALU_DEP_1) | instskip(SKIP_1) | instid1(VALU_DEP_1)
	v_fmac_f64_e32 v[128:129], v[112:113], v[102:103]
	s_wait_loadcnt 0x0
	v_fmac_f64_e32 v[128:129], v[122:123], v[104:105]
	s_delay_alu instid0(VALU_DEP_1)
	v_add_f64_e64 v[2:3], v[96:97], -v[128:129]
	scratch_store_b64 off, v[2:3], off offset:200
	s_wait_xcnt 0x0
	v_cmpx_lt_u32_e32 24, v0
	s_cbranch_execz .LBB45_237
; %bb.236:
	scratch_load_b64 v[2:3], off, off offset:192
	v_mov_b64_e32 v[96:97], 0
	scratch_store_b64 off, v[96:97], off offset:192
	s_wait_loadcnt 0x0
	ds_store_b64 v1, v[2:3]
.LBB45_237:
	s_wait_xcnt 0x0
	s_or_b32 exec_lo, exec_lo, s0
	s_wait_storecnt_dscnt 0x0
	s_barrier_signal -1
	s_barrier_wait -1
	s_clause 0x5
	scratch_load_b128 v[96:99], off, off offset:192
	scratch_load_b128 v[100:103], off, off offset:208
	;; [unrolled: 1-line block ×6, first 2 shown]
	v_mov_b32_e32 v2, 0
	ds_load_2addr_b64 v[120:123], v2 offset0:71 offset1:72
	ds_load_2addr_b64 v[124:127], v2 offset0:73 offset1:74
	s_mov_b32 s0, exec_lo
	s_wait_loadcnt_dscnt 0x501
	v_fma_f64 v[128:129], v[98:99], v[120:121], 0
	s_wait_loadcnt 0x4
	s_delay_alu instid0(VALU_DEP_1) | instskip(SKIP_4) | instid1(VALU_DEP_1)
	v_fmac_f64_e32 v[128:129], v[100:101], v[122:123]
	scratch_load_b128 v[98:101], off, off offset:288
	s_wait_dscnt 0x0
	v_fmac_f64_e32 v[128:129], v[102:103], v[124:125]
	s_wait_loadcnt 0x4
	v_fmac_f64_e32 v[128:129], v[104:105], v[126:127]
	scratch_load_b128 v[102:105], off, off offset:304
	ds_load_2addr_b64 v[120:123], v2 offset0:75 offset1:76
	ds_load_2addr_b64 v[124:127], v2 offset0:77 offset1:78
	s_wait_dscnt 0x1
	v_fmac_f64_e32 v[128:129], v[106:107], v[120:121]
	s_wait_loadcnt 0x4
	s_delay_alu instid0(VALU_DEP_1) | instskip(SKIP_4) | instid1(VALU_DEP_1)
	v_fmac_f64_e32 v[128:129], v[108:109], v[122:123]
	scratch_load_b128 v[106:109], off, off offset:320
	s_wait_dscnt 0x0
	v_fmac_f64_e32 v[128:129], v[110:111], v[124:125]
	s_wait_loadcnt 0x4
	v_fmac_f64_e32 v[128:129], v[112:113], v[126:127]
	scratch_load_b128 v[110:113], off, off offset:336
	ds_load_2addr_b64 v[120:123], v2 offset0:79 offset1:80
	ds_load_2addr_b64 v[124:127], v2 offset0:81 offset1:82
	s_wait_dscnt 0x1
	v_fmac_f64_e32 v[128:129], v[114:115], v[120:121]
	s_wait_loadcnt 0x4
	s_delay_alu instid0(VALU_DEP_1)
	v_fmac_f64_e32 v[128:129], v[116:117], v[122:123]
	scratch_load_b128 v[114:117], off, off offset:352
	s_wait_dscnt 0x0
	v_fmac_f64_e32 v[128:129], v[118:119], v[124:125]
	ds_load_2addr_b64 v[118:121], v2 offset0:83 offset1:84
	ds_load_2addr_b64 v[122:125], v2 offset0:85 offset1:86
	s_wait_loadcnt 0x4
	v_fmac_f64_e32 v[128:129], v[98:99], v[126:127]
	s_wait_dscnt 0x1
	s_delay_alu instid0(VALU_DEP_1) | instskip(SKIP_1) | instid1(VALU_DEP_1)
	v_fmac_f64_e32 v[128:129], v[100:101], v[118:119]
	s_wait_loadcnt 0x3
	v_fmac_f64_e32 v[128:129], v[102:103], v[120:121]
	s_wait_dscnt 0x0
	s_delay_alu instid0(VALU_DEP_1)
	v_fmac_f64_e32 v[128:129], v[104:105], v[122:123]
	ds_load_2addr_b64 v[98:101], v2 offset0:87 offset1:88
	ds_load_2addr_b64 v[102:105], v2 offset0:89 offset1:90
	s_wait_loadcnt 0x2
	v_fmac_f64_e32 v[128:129], v[106:107], v[124:125]
	s_wait_dscnt 0x1
	s_delay_alu instid0(VALU_DEP_1) | instskip(SKIP_4) | instid1(VALU_DEP_1)
	v_fmac_f64_e32 v[128:129], v[108:109], v[98:99]
	ds_load_b64 v[98:99], v2 offset:728
	s_wait_loadcnt 0x1
	v_fmac_f64_e32 v[128:129], v[110:111], v[100:101]
	s_wait_dscnt 0x1
	v_fmac_f64_e32 v[128:129], v[112:113], v[102:103]
	s_wait_loadcnt 0x0
	s_delay_alu instid0(VALU_DEP_1) | instskip(SKIP_1) | instid1(VALU_DEP_1)
	v_fmac_f64_e32 v[128:129], v[114:115], v[104:105]
	s_wait_dscnt 0x0
	v_fmac_f64_e32 v[128:129], v[116:117], v[98:99]
	s_delay_alu instid0(VALU_DEP_1)
	v_add_f64_e64 v[96:97], v[96:97], -v[128:129]
	scratch_store_b64 off, v[96:97], off offset:192
	s_wait_xcnt 0x0
	v_cmpx_lt_u32_e32 23, v0
	s_cbranch_execz .LBB45_239
; %bb.238:
	scratch_load_b64 v[96:97], off, off offset:184
	v_mov_b64_e32 v[98:99], 0
	scratch_store_b64 off, v[98:99], off offset:184
	s_wait_loadcnt 0x0
	ds_store_b64 v1, v[96:97]
.LBB45_239:
	s_wait_xcnt 0x0
	s_or_b32 exec_lo, exec_lo, s0
	s_wait_storecnt_dscnt 0x0
	s_barrier_signal -1
	s_barrier_wait -1
	s_clause 0x5
	scratch_load_b128 v[96:99], off, off offset:184
	scratch_load_b128 v[100:103], off, off offset:200
	;; [unrolled: 1-line block ×6, first 2 shown]
	ds_load_b128 v[120:123], v2 offset:560
	ds_load_b128 v[124:127], v2 offset:576
	scratch_load_b128 v[128:131], off, off offset:280
	s_mov_b32 s0, exec_lo
	s_wait_loadcnt_dscnt 0x601
	v_fma_f64 v[132:133], v[98:99], v[120:121], 0
	s_wait_loadcnt 0x5
	s_delay_alu instid0(VALU_DEP_1) | instskip(SKIP_4) | instid1(VALU_DEP_1)
	v_fmac_f64_e32 v[132:133], v[100:101], v[122:123]
	scratch_load_b128 v[98:101], off, off offset:296
	s_wait_dscnt 0x0
	v_fmac_f64_e32 v[132:133], v[102:103], v[124:125]
	s_wait_loadcnt 0x5
	v_fmac_f64_e32 v[132:133], v[104:105], v[126:127]
	ds_load_b128 v[102:105], v2 offset:592
	ds_load_b128 v[120:123], v2 offset:608
	s_wait_dscnt 0x1
	v_fmac_f64_e32 v[132:133], v[106:107], v[102:103]
	s_wait_loadcnt 0x4
	s_delay_alu instid0(VALU_DEP_1)
	v_fmac_f64_e32 v[132:133], v[108:109], v[104:105]
	s_clause 0x1
	scratch_load_b128 v[102:105], off, off offset:312
	scratch_load_b128 v[106:109], off, off offset:328
	s_wait_dscnt 0x0
	v_fmac_f64_e32 v[132:133], v[110:111], v[120:121]
	s_wait_loadcnt 0x5
	s_delay_alu instid0(VALU_DEP_1)
	v_fmac_f64_e32 v[132:133], v[112:113], v[122:123]
	ds_load_b128 v[110:113], v2 offset:624
	ds_load_b128 v[120:123], v2 offset:640
	s_wait_dscnt 0x1
	v_fmac_f64_e32 v[132:133], v[114:115], v[110:111]
	s_wait_loadcnt 0x4
	s_delay_alu instid0(VALU_DEP_1) | instskip(SKIP_4) | instid1(VALU_DEP_1)
	v_fmac_f64_e32 v[132:133], v[116:117], v[112:113]
	scratch_load_b128 v[110:113], off, off offset:344
	s_wait_dscnt 0x0
	v_fmac_f64_e32 v[132:133], v[118:119], v[120:121]
	s_wait_loadcnt 0x4
	v_fmac_f64_e32 v[132:133], v[128:129], v[122:123]
	scratch_load_b64 v[122:123], off, off offset:360
	ds_load_b128 v[114:117], v2 offset:656
	ds_load_b128 v[118:121], v2 offset:672
	s_wait_dscnt 0x1
	v_fmac_f64_e32 v[132:133], v[130:131], v[114:115]
	s_wait_loadcnt 0x4
	s_delay_alu instid0(VALU_DEP_1) | instskip(SKIP_1) | instid1(VALU_DEP_1)
	v_fmac_f64_e32 v[132:133], v[98:99], v[116:117]
	s_wait_dscnt 0x0
	v_fmac_f64_e32 v[132:133], v[100:101], v[118:119]
	ds_load_b128 v[98:101], v2 offset:688
	ds_load_b128 v[114:117], v2 offset:704
	s_wait_loadcnt 0x3
	v_fmac_f64_e32 v[132:133], v[102:103], v[120:121]
	s_wait_dscnt 0x1
	s_delay_alu instid0(VALU_DEP_1) | instskip(SKIP_1) | instid1(VALU_DEP_1)
	v_fmac_f64_e32 v[132:133], v[104:105], v[98:99]
	s_wait_loadcnt 0x2
	v_fmac_f64_e32 v[132:133], v[106:107], v[100:101]
	ds_load_b128 v[98:101], v2 offset:720
	s_wait_dscnt 0x1
	v_fmac_f64_e32 v[132:133], v[108:109], v[114:115]
	s_wait_loadcnt 0x1
	s_delay_alu instid0(VALU_DEP_1) | instskip(SKIP_1) | instid1(VALU_DEP_1)
	v_fmac_f64_e32 v[132:133], v[110:111], v[116:117]
	s_wait_dscnt 0x0
	v_fmac_f64_e32 v[132:133], v[112:113], v[98:99]
	s_wait_loadcnt 0x0
	s_delay_alu instid0(VALU_DEP_1) | instskip(NEXT) | instid1(VALU_DEP_1)
	v_fmac_f64_e32 v[132:133], v[122:123], v[100:101]
	v_add_f64_e64 v[2:3], v[96:97], -v[132:133]
	scratch_store_b64 off, v[2:3], off offset:184
	s_wait_xcnt 0x0
	v_cmpx_lt_u32_e32 22, v0
	s_cbranch_execz .LBB45_241
; %bb.240:
	scratch_load_b64 v[2:3], off, off offset:176
	v_mov_b64_e32 v[96:97], 0
	scratch_store_b64 off, v[96:97], off offset:176
	s_wait_loadcnt 0x0
	ds_store_b64 v1, v[2:3]
.LBB45_241:
	s_wait_xcnt 0x0
	s_or_b32 exec_lo, exec_lo, s0
	s_wait_storecnt_dscnt 0x0
	s_barrier_signal -1
	s_barrier_wait -1
	s_clause 0x5
	scratch_load_b128 v[96:99], off, off offset:176
	scratch_load_b128 v[100:103], off, off offset:192
	scratch_load_b128 v[104:107], off, off offset:208
	scratch_load_b128 v[108:111], off, off offset:224
	scratch_load_b128 v[112:115], off, off offset:240
	scratch_load_b128 v[116:119], off, off offset:256
	v_mov_b32_e32 v2, 0
	ds_load_2addr_b64 v[120:123], v2 offset0:69 offset1:70
	ds_load_2addr_b64 v[124:127], v2 offset0:71 offset1:72
	scratch_load_b128 v[128:131], off, off offset:272
	s_mov_b32 s0, exec_lo
	s_wait_loadcnt_dscnt 0x601
	v_fma_f64 v[132:133], v[98:99], v[120:121], 0
	s_wait_loadcnt 0x5
	s_delay_alu instid0(VALU_DEP_1) | instskip(SKIP_4) | instid1(VALU_DEP_1)
	v_fmac_f64_e32 v[132:133], v[100:101], v[122:123]
	scratch_load_b128 v[98:101], off, off offset:288
	s_wait_dscnt 0x0
	v_fmac_f64_e32 v[132:133], v[102:103], v[124:125]
	s_wait_loadcnt 0x5
	v_fmac_f64_e32 v[132:133], v[104:105], v[126:127]
	ds_load_2addr_b64 v[102:105], v2 offset0:73 offset1:74
	ds_load_2addr_b64 v[120:123], v2 offset0:75 offset1:76
	s_wait_dscnt 0x1
	v_fmac_f64_e32 v[132:133], v[106:107], v[102:103]
	s_wait_loadcnt 0x4
	s_delay_alu instid0(VALU_DEP_1)
	v_fmac_f64_e32 v[132:133], v[108:109], v[104:105]
	s_clause 0x1
	scratch_load_b128 v[102:105], off, off offset:304
	scratch_load_b128 v[106:109], off, off offset:320
	s_wait_dscnt 0x0
	v_fmac_f64_e32 v[132:133], v[110:111], v[120:121]
	s_wait_loadcnt 0x5
	s_delay_alu instid0(VALU_DEP_1)
	v_fmac_f64_e32 v[132:133], v[112:113], v[122:123]
	ds_load_2addr_b64 v[110:113], v2 offset0:77 offset1:78
	ds_load_2addr_b64 v[120:123], v2 offset0:79 offset1:80
	s_wait_dscnt 0x1
	v_fmac_f64_e32 v[132:133], v[114:115], v[110:111]
	s_wait_loadcnt 0x4
	s_delay_alu instid0(VALU_DEP_1)
	v_fmac_f64_e32 v[132:133], v[116:117], v[112:113]
	s_clause 0x1
	scratch_load_b128 v[110:113], off, off offset:336
	scratch_load_b128 v[114:117], off, off offset:352
	s_wait_dscnt 0x0
	v_fmac_f64_e32 v[132:133], v[118:119], v[120:121]
	s_wait_loadcnt 0x5
	s_delay_alu instid0(VALU_DEP_1)
	v_fmac_f64_e32 v[132:133], v[128:129], v[122:123]
	ds_load_2addr_b64 v[118:121], v2 offset0:81 offset1:82
	ds_load_2addr_b64 v[122:125], v2 offset0:83 offset1:84
	s_wait_dscnt 0x1
	v_fmac_f64_e32 v[132:133], v[130:131], v[118:119]
	s_wait_loadcnt 0x4
	s_delay_alu instid0(VALU_DEP_1) | instskip(SKIP_1) | instid1(VALU_DEP_1)
	v_fmac_f64_e32 v[132:133], v[98:99], v[120:121]
	s_wait_dscnt 0x0
	v_fmac_f64_e32 v[132:133], v[100:101], v[122:123]
	ds_load_2addr_b64 v[98:101], v2 offset0:85 offset1:86
	ds_load_2addr_b64 v[118:121], v2 offset0:87 offset1:88
	s_wait_loadcnt 0x3
	v_fmac_f64_e32 v[132:133], v[102:103], v[124:125]
	s_wait_dscnt 0x1
	s_delay_alu instid0(VALU_DEP_1) | instskip(SKIP_1) | instid1(VALU_DEP_1)
	v_fmac_f64_e32 v[132:133], v[104:105], v[98:99]
	s_wait_loadcnt 0x2
	v_fmac_f64_e32 v[132:133], v[106:107], v[100:101]
	ds_load_2addr_b64 v[98:101], v2 offset0:89 offset1:90
	ds_load_b64 v[102:103], v2 offset:728
	s_wait_dscnt 0x2
	v_fmac_f64_e32 v[132:133], v[108:109], v[118:119]
	s_wait_loadcnt 0x1
	s_delay_alu instid0(VALU_DEP_1) | instskip(SKIP_1) | instid1(VALU_DEP_1)
	v_fmac_f64_e32 v[132:133], v[110:111], v[120:121]
	s_wait_dscnt 0x1
	v_fmac_f64_e32 v[132:133], v[112:113], v[98:99]
	s_wait_loadcnt 0x0
	s_delay_alu instid0(VALU_DEP_1) | instskip(SKIP_1) | instid1(VALU_DEP_1)
	v_fmac_f64_e32 v[132:133], v[114:115], v[100:101]
	s_wait_dscnt 0x0
	v_fmac_f64_e32 v[132:133], v[116:117], v[102:103]
	s_delay_alu instid0(VALU_DEP_1)
	v_add_f64_e64 v[96:97], v[96:97], -v[132:133]
	scratch_store_b64 off, v[96:97], off offset:176
	s_wait_xcnt 0x0
	v_cmpx_lt_u32_e32 21, v0
	s_cbranch_execz .LBB45_243
; %bb.242:
	scratch_load_b64 v[96:97], off, off offset:168
	v_mov_b64_e32 v[98:99], 0
	scratch_store_b64 off, v[98:99], off offset:168
	s_wait_loadcnt 0x0
	ds_store_b64 v1, v[96:97]
.LBB45_243:
	s_wait_xcnt 0x0
	s_or_b32 exec_lo, exec_lo, s0
	s_wait_storecnt_dscnt 0x0
	s_barrier_signal -1
	s_barrier_wait -1
	s_clause 0x5
	scratch_load_b128 v[96:99], off, off offset:168
	scratch_load_b128 v[100:103], off, off offset:184
	;; [unrolled: 1-line block ×6, first 2 shown]
	ds_load_b128 v[120:123], v2 offset:544
	ds_load_b128 v[124:127], v2 offset:560
	scratch_load_b128 v[128:131], off, off offset:264
	s_mov_b32 s0, exec_lo
	s_wait_loadcnt_dscnt 0x601
	v_fma_f64 v[132:133], v[98:99], v[120:121], 0
	s_wait_loadcnt 0x5
	s_delay_alu instid0(VALU_DEP_1) | instskip(SKIP_4) | instid1(VALU_DEP_1)
	v_fmac_f64_e32 v[132:133], v[100:101], v[122:123]
	scratch_load_b128 v[98:101], off, off offset:280
	s_wait_dscnt 0x0
	v_fmac_f64_e32 v[132:133], v[102:103], v[124:125]
	s_wait_loadcnt 0x5
	v_fmac_f64_e32 v[132:133], v[104:105], v[126:127]
	ds_load_b128 v[102:105], v2 offset:576
	ds_load_b128 v[120:123], v2 offset:592
	s_wait_dscnt 0x1
	v_fmac_f64_e32 v[132:133], v[106:107], v[102:103]
	s_wait_loadcnt 0x4
	s_delay_alu instid0(VALU_DEP_1)
	v_fmac_f64_e32 v[132:133], v[108:109], v[104:105]
	s_clause 0x1
	scratch_load_b128 v[102:105], off, off offset:296
	scratch_load_b128 v[106:109], off, off offset:312
	s_wait_dscnt 0x0
	v_fmac_f64_e32 v[132:133], v[110:111], v[120:121]
	s_wait_loadcnt 0x5
	s_delay_alu instid0(VALU_DEP_1)
	v_fmac_f64_e32 v[132:133], v[112:113], v[122:123]
	ds_load_b128 v[110:113], v2 offset:608
	ds_load_b128 v[120:123], v2 offset:624
	s_wait_dscnt 0x1
	v_fmac_f64_e32 v[132:133], v[114:115], v[110:111]
	s_wait_loadcnt 0x4
	s_delay_alu instid0(VALU_DEP_1)
	v_fmac_f64_e32 v[132:133], v[116:117], v[112:113]
	s_clause 0x1
	scratch_load_b128 v[110:113], off, off offset:328
	scratch_load_b128 v[114:117], off, off offset:344
	s_wait_dscnt 0x0
	v_fmac_f64_e32 v[132:133], v[118:119], v[120:121]
	s_wait_loadcnt 0x5
	s_delay_alu instid0(VALU_DEP_1)
	v_fmac_f64_e32 v[132:133], v[128:129], v[122:123]
	ds_load_b128 v[118:121], v2 offset:640
	ds_load_b128 v[122:125], v2 offset:656
	scratch_load_b64 v[126:127], off, off offset:360
	s_wait_dscnt 0x1
	v_fmac_f64_e32 v[132:133], v[130:131], v[118:119]
	s_wait_loadcnt 0x5
	s_delay_alu instid0(VALU_DEP_1) | instskip(SKIP_1) | instid1(VALU_DEP_1)
	v_fmac_f64_e32 v[132:133], v[98:99], v[120:121]
	s_wait_dscnt 0x0
	v_fmac_f64_e32 v[132:133], v[100:101], v[122:123]
	ds_load_b128 v[98:101], v2 offset:672
	ds_load_b128 v[118:121], v2 offset:688
	s_wait_loadcnt 0x4
	v_fmac_f64_e32 v[132:133], v[102:103], v[124:125]
	s_wait_dscnt 0x1
	s_delay_alu instid0(VALU_DEP_1) | instskip(SKIP_1) | instid1(VALU_DEP_1)
	v_fmac_f64_e32 v[132:133], v[104:105], v[98:99]
	s_wait_loadcnt 0x3
	v_fmac_f64_e32 v[132:133], v[106:107], v[100:101]
	ds_load_b128 v[98:101], v2 offset:704
	ds_load_b128 v[102:105], v2 offset:720
	s_wait_dscnt 0x2
	v_fmac_f64_e32 v[132:133], v[108:109], v[118:119]
	s_wait_loadcnt 0x2
	s_delay_alu instid0(VALU_DEP_1) | instskip(SKIP_1) | instid1(VALU_DEP_1)
	v_fmac_f64_e32 v[132:133], v[110:111], v[120:121]
	s_wait_dscnt 0x1
	v_fmac_f64_e32 v[132:133], v[112:113], v[98:99]
	s_wait_loadcnt 0x1
	s_delay_alu instid0(VALU_DEP_1) | instskip(SKIP_1) | instid1(VALU_DEP_1)
	v_fmac_f64_e32 v[132:133], v[114:115], v[100:101]
	s_wait_dscnt 0x0
	v_fmac_f64_e32 v[132:133], v[116:117], v[102:103]
	s_wait_loadcnt 0x0
	s_delay_alu instid0(VALU_DEP_1) | instskip(NEXT) | instid1(VALU_DEP_1)
	v_fmac_f64_e32 v[132:133], v[126:127], v[104:105]
	v_add_f64_e64 v[2:3], v[96:97], -v[132:133]
	scratch_store_b64 off, v[2:3], off offset:168
	s_wait_xcnt 0x0
	v_cmpx_lt_u32_e32 20, v0
	s_cbranch_execz .LBB45_245
; %bb.244:
	scratch_load_b64 v[2:3], off, off offset:160
	v_mov_b64_e32 v[96:97], 0
	scratch_store_b64 off, v[96:97], off offset:160
	s_wait_loadcnt 0x0
	ds_store_b64 v1, v[2:3]
.LBB45_245:
	s_wait_xcnt 0x0
	s_or_b32 exec_lo, exec_lo, s0
	s_wait_storecnt_dscnt 0x0
	s_barrier_signal -1
	s_barrier_wait -1
	s_clause 0x5
	scratch_load_b128 v[96:99], off, off offset:160
	scratch_load_b128 v[100:103], off, off offset:176
	;; [unrolled: 1-line block ×6, first 2 shown]
	v_mov_b32_e32 v2, 0
	ds_load_2addr_b64 v[120:123], v2 offset0:67 offset1:68
	ds_load_2addr_b64 v[124:127], v2 offset0:69 offset1:70
	scratch_load_b128 v[128:131], off, off offset:256
	s_mov_b32 s0, exec_lo
	s_wait_loadcnt_dscnt 0x601
	v_fma_f64 v[132:133], v[98:99], v[120:121], 0
	s_wait_loadcnt 0x5
	s_delay_alu instid0(VALU_DEP_1) | instskip(SKIP_4) | instid1(VALU_DEP_1)
	v_fmac_f64_e32 v[132:133], v[100:101], v[122:123]
	scratch_load_b128 v[98:101], off, off offset:272
	s_wait_dscnt 0x0
	v_fmac_f64_e32 v[132:133], v[102:103], v[124:125]
	s_wait_loadcnt 0x5
	v_fmac_f64_e32 v[132:133], v[104:105], v[126:127]
	ds_load_2addr_b64 v[102:105], v2 offset0:71 offset1:72
	ds_load_2addr_b64 v[120:123], v2 offset0:73 offset1:74
	s_wait_dscnt 0x1
	v_fmac_f64_e32 v[132:133], v[106:107], v[102:103]
	s_wait_loadcnt 0x4
	s_delay_alu instid0(VALU_DEP_1)
	v_fmac_f64_e32 v[132:133], v[108:109], v[104:105]
	s_clause 0x1
	scratch_load_b128 v[102:105], off, off offset:288
	scratch_load_b128 v[106:109], off, off offset:304
	s_wait_dscnt 0x0
	v_fmac_f64_e32 v[132:133], v[110:111], v[120:121]
	s_wait_loadcnt 0x5
	s_delay_alu instid0(VALU_DEP_1)
	v_fmac_f64_e32 v[132:133], v[112:113], v[122:123]
	ds_load_2addr_b64 v[110:113], v2 offset0:75 offset1:76
	ds_load_2addr_b64 v[120:123], v2 offset0:77 offset1:78
	s_wait_dscnt 0x1
	v_fmac_f64_e32 v[132:133], v[114:115], v[110:111]
	s_wait_loadcnt 0x4
	s_delay_alu instid0(VALU_DEP_1)
	v_fmac_f64_e32 v[132:133], v[116:117], v[112:113]
	s_clause 0x1
	scratch_load_b128 v[110:113], off, off offset:320
	scratch_load_b128 v[114:117], off, off offset:336
	s_wait_dscnt 0x0
	v_fmac_f64_e32 v[132:133], v[118:119], v[120:121]
	s_wait_loadcnt 0x5
	s_delay_alu instid0(VALU_DEP_1)
	v_fmac_f64_e32 v[132:133], v[128:129], v[122:123]
	ds_load_2addr_b64 v[118:121], v2 offset0:79 offset1:80
	ds_load_2addr_b64 v[122:125], v2 offset0:81 offset1:82
	s_wait_dscnt 0x1
	v_fmac_f64_e32 v[132:133], v[130:131], v[118:119]
	s_wait_loadcnt 0x4
	s_delay_alu instid0(VALU_DEP_1) | instskip(SKIP_4) | instid1(VALU_DEP_1)
	v_fmac_f64_e32 v[132:133], v[98:99], v[120:121]
	scratch_load_b128 v[118:121], off, off offset:352
	s_wait_dscnt 0x0
	v_fmac_f64_e32 v[132:133], v[100:101], v[122:123]
	s_wait_loadcnt 0x4
	v_fmac_f64_e32 v[132:133], v[102:103], v[124:125]
	ds_load_2addr_b64 v[98:101], v2 offset0:83 offset1:84
	ds_load_2addr_b64 v[122:125], v2 offset0:85 offset1:86
	s_wait_dscnt 0x1
	v_fmac_f64_e32 v[132:133], v[104:105], v[98:99]
	s_wait_loadcnt 0x3
	s_delay_alu instid0(VALU_DEP_1)
	v_fmac_f64_e32 v[132:133], v[106:107], v[100:101]
	ds_load_2addr_b64 v[98:101], v2 offset0:87 offset1:88
	ds_load_2addr_b64 v[102:105], v2 offset0:89 offset1:90
	s_wait_dscnt 0x2
	v_fmac_f64_e32 v[132:133], v[108:109], v[122:123]
	s_wait_loadcnt 0x2
	s_delay_alu instid0(VALU_DEP_1) | instskip(SKIP_1) | instid1(VALU_DEP_1)
	v_fmac_f64_e32 v[132:133], v[110:111], v[124:125]
	s_wait_dscnt 0x1
	v_fmac_f64_e32 v[132:133], v[112:113], v[98:99]
	ds_load_b64 v[98:99], v2 offset:728
	s_wait_loadcnt 0x1
	v_fmac_f64_e32 v[132:133], v[114:115], v[100:101]
	s_wait_dscnt 0x1
	s_delay_alu instid0(VALU_DEP_1) | instskip(SKIP_1) | instid1(VALU_DEP_1)
	v_fmac_f64_e32 v[132:133], v[116:117], v[102:103]
	s_wait_loadcnt 0x0
	v_fmac_f64_e32 v[132:133], v[118:119], v[104:105]
	s_wait_dscnt 0x0
	s_delay_alu instid0(VALU_DEP_1) | instskip(NEXT) | instid1(VALU_DEP_1)
	v_fmac_f64_e32 v[132:133], v[120:121], v[98:99]
	v_add_f64_e64 v[96:97], v[96:97], -v[132:133]
	scratch_store_b64 off, v[96:97], off offset:160
	s_wait_xcnt 0x0
	v_cmpx_lt_u32_e32 19, v0
	s_cbranch_execz .LBB45_247
; %bb.246:
	scratch_load_b64 v[96:97], off, off offset:152
	v_mov_b64_e32 v[98:99], 0
	scratch_store_b64 off, v[98:99], off offset:152
	s_wait_loadcnt 0x0
	ds_store_b64 v1, v[96:97]
.LBB45_247:
	s_wait_xcnt 0x0
	s_or_b32 exec_lo, exec_lo, s0
	s_wait_storecnt_dscnt 0x0
	s_barrier_signal -1
	s_barrier_wait -1
	s_clause 0x5
	scratch_load_b128 v[96:99], off, off offset:152
	scratch_load_b128 v[100:103], off, off offset:168
	;; [unrolled: 1-line block ×6, first 2 shown]
	ds_load_b128 v[120:123], v2 offset:528
	ds_load_b128 v[124:127], v2 offset:544
	scratch_load_b128 v[128:131], off, off offset:248
	s_mov_b32 s0, exec_lo
	s_wait_loadcnt_dscnt 0x601
	v_fma_f64 v[132:133], v[98:99], v[120:121], 0
	s_wait_loadcnt 0x5
	s_delay_alu instid0(VALU_DEP_1) | instskip(SKIP_4) | instid1(VALU_DEP_1)
	v_fmac_f64_e32 v[132:133], v[100:101], v[122:123]
	scratch_load_b128 v[98:101], off, off offset:264
	s_wait_dscnt 0x0
	v_fmac_f64_e32 v[132:133], v[102:103], v[124:125]
	s_wait_loadcnt 0x5
	v_fmac_f64_e32 v[132:133], v[104:105], v[126:127]
	ds_load_b128 v[102:105], v2 offset:560
	ds_load_b128 v[120:123], v2 offset:576
	scratch_load_b128 v[124:127], off, off offset:280
	s_wait_dscnt 0x1
	v_fmac_f64_e32 v[132:133], v[106:107], v[102:103]
	s_wait_loadcnt 0x5
	s_delay_alu instid0(VALU_DEP_1) | instskip(SKIP_4) | instid1(VALU_DEP_1)
	v_fmac_f64_e32 v[132:133], v[108:109], v[104:105]
	scratch_load_b128 v[102:105], off, off offset:296
	s_wait_dscnt 0x0
	v_fmac_f64_e32 v[132:133], v[110:111], v[120:121]
	s_wait_loadcnt 0x5
	v_fmac_f64_e32 v[132:133], v[112:113], v[122:123]
	ds_load_b128 v[106:109], v2 offset:592
	ds_load_b128 v[110:113], v2 offset:608
	s_wait_dscnt 0x1
	v_fmac_f64_e32 v[132:133], v[114:115], v[106:107]
	s_wait_loadcnt 0x4
	s_delay_alu instid0(VALU_DEP_1) | instskip(SKIP_4) | instid1(VALU_DEP_1)
	v_fmac_f64_e32 v[132:133], v[116:117], v[108:109]
	scratch_load_b128 v[106:109], off, off offset:312
	s_wait_dscnt 0x0
	v_fmac_f64_e32 v[132:133], v[118:119], v[110:111]
	s_wait_loadcnt 0x4
	v_fmac_f64_e32 v[132:133], v[128:129], v[112:113]
	scratch_load_b128 v[110:113], off, off offset:328
	ds_load_b128 v[114:117], v2 offset:624
	ds_load_b128 v[118:121], v2 offset:640
	scratch_load_b64 v[122:123], off, off offset:360
	s_wait_dscnt 0x1
	v_fmac_f64_e32 v[132:133], v[130:131], v[114:115]
	s_wait_loadcnt 0x5
	s_delay_alu instid0(VALU_DEP_1) | instskip(SKIP_4) | instid1(VALU_DEP_1)
	v_fmac_f64_e32 v[132:133], v[98:99], v[116:117]
	scratch_load_b128 v[114:117], off, off offset:344
	s_wait_dscnt 0x0
	v_fmac_f64_e32 v[132:133], v[100:101], v[118:119]
	s_wait_loadcnt 0x5
	v_fmac_f64_e32 v[132:133], v[124:125], v[120:121]
	ds_load_b128 v[98:101], v2 offset:656
	ds_load_b128 v[118:121], v2 offset:672
	s_wait_dscnt 0x1
	v_fmac_f64_e32 v[132:133], v[126:127], v[98:99]
	s_wait_loadcnt 0x4
	s_delay_alu instid0(VALU_DEP_1) | instskip(SKIP_1) | instid1(VALU_DEP_1)
	v_fmac_f64_e32 v[132:133], v[102:103], v[100:101]
	s_wait_dscnt 0x0
	v_fmac_f64_e32 v[132:133], v[104:105], v[118:119]
	ds_load_b128 v[98:101], v2 offset:688
	ds_load_b128 v[102:105], v2 offset:704
	s_wait_loadcnt 0x3
	v_fmac_f64_e32 v[132:133], v[106:107], v[120:121]
	s_wait_dscnt 0x1
	s_delay_alu instid0(VALU_DEP_1) | instskip(SKIP_1) | instid1(VALU_DEP_1)
	v_fmac_f64_e32 v[132:133], v[108:109], v[98:99]
	s_wait_loadcnt 0x2
	v_fmac_f64_e32 v[132:133], v[110:111], v[100:101]
	ds_load_b128 v[98:101], v2 offset:720
	s_wait_dscnt 0x1
	v_fmac_f64_e32 v[132:133], v[112:113], v[102:103]
	s_wait_loadcnt 0x0
	s_delay_alu instid0(VALU_DEP_1) | instskip(SKIP_1) | instid1(VALU_DEP_1)
	v_fmac_f64_e32 v[132:133], v[114:115], v[104:105]
	s_wait_dscnt 0x0
	v_fmac_f64_e32 v[132:133], v[116:117], v[98:99]
	s_delay_alu instid0(VALU_DEP_1) | instskip(NEXT) | instid1(VALU_DEP_1)
	v_fmac_f64_e32 v[132:133], v[122:123], v[100:101]
	v_add_f64_e64 v[2:3], v[96:97], -v[132:133]
	scratch_store_b64 off, v[2:3], off offset:152
	s_wait_xcnt 0x0
	v_cmpx_lt_u32_e32 18, v0
	s_cbranch_execz .LBB45_249
; %bb.248:
	scratch_load_b64 v[2:3], off, off offset:144
	v_mov_b64_e32 v[96:97], 0
	scratch_store_b64 off, v[96:97], off offset:144
	s_wait_loadcnt 0x0
	ds_store_b64 v1, v[2:3]
.LBB45_249:
	s_wait_xcnt 0x0
	s_or_b32 exec_lo, exec_lo, s0
	s_wait_storecnt_dscnt 0x0
	s_barrier_signal -1
	s_barrier_wait -1
	s_clause 0x5
	scratch_load_b128 v[96:99], off, off offset:144
	scratch_load_b128 v[100:103], off, off offset:160
	scratch_load_b128 v[104:107], off, off offset:176
	scratch_load_b128 v[108:111], off, off offset:192
	scratch_load_b128 v[112:115], off, off offset:208
	scratch_load_b128 v[116:119], off, off offset:224
	v_mov_b32_e32 v2, 0
	ds_load_2addr_b64 v[120:123], v2 offset0:65 offset1:66
	ds_load_2addr_b64 v[124:127], v2 offset0:67 offset1:68
	scratch_load_b128 v[128:131], off, off offset:240
	s_mov_b32 s0, exec_lo
	s_wait_loadcnt_dscnt 0x601
	v_fma_f64 v[132:133], v[98:99], v[120:121], 0
	s_wait_loadcnt 0x5
	s_delay_alu instid0(VALU_DEP_1) | instskip(SKIP_4) | instid1(VALU_DEP_1)
	v_fmac_f64_e32 v[132:133], v[100:101], v[122:123]
	scratch_load_b128 v[98:101], off, off offset:256
	s_wait_dscnt 0x0
	v_fmac_f64_e32 v[132:133], v[102:103], v[124:125]
	s_wait_loadcnt 0x5
	v_fmac_f64_e32 v[132:133], v[104:105], v[126:127]
	ds_load_2addr_b64 v[102:105], v2 offset0:69 offset1:70
	ds_load_2addr_b64 v[120:123], v2 offset0:71 offset1:72
	scratch_load_b128 v[124:127], off, off offset:272
	s_wait_dscnt 0x1
	v_fmac_f64_e32 v[132:133], v[106:107], v[102:103]
	s_wait_loadcnt 0x5
	s_delay_alu instid0(VALU_DEP_1) | instskip(SKIP_4) | instid1(VALU_DEP_1)
	v_fmac_f64_e32 v[132:133], v[108:109], v[104:105]
	scratch_load_b128 v[102:105], off, off offset:288
	s_wait_dscnt 0x0
	v_fmac_f64_e32 v[132:133], v[110:111], v[120:121]
	s_wait_loadcnt 0x5
	v_fmac_f64_e32 v[132:133], v[112:113], v[122:123]
	ds_load_2addr_b64 v[106:109], v2 offset0:73 offset1:74
	ds_load_2addr_b64 v[110:113], v2 offset0:75 offset1:76
	s_wait_dscnt 0x1
	v_fmac_f64_e32 v[132:133], v[114:115], v[106:107]
	s_wait_loadcnt 0x4
	s_delay_alu instid0(VALU_DEP_1) | instskip(SKIP_4) | instid1(VALU_DEP_1)
	v_fmac_f64_e32 v[132:133], v[116:117], v[108:109]
	scratch_load_b128 v[106:109], off, off offset:304
	s_wait_dscnt 0x0
	v_fmac_f64_e32 v[132:133], v[118:119], v[110:111]
	s_wait_loadcnt 0x4
	v_fmac_f64_e32 v[132:133], v[128:129], v[112:113]
	scratch_load_b128 v[110:113], off, off offset:320
	ds_load_2addr_b64 v[114:117], v2 offset0:77 offset1:78
	ds_load_2addr_b64 v[118:121], v2 offset0:79 offset1:80
	s_wait_dscnt 0x1
	v_fmac_f64_e32 v[132:133], v[130:131], v[114:115]
	s_wait_loadcnt 0x4
	s_delay_alu instid0(VALU_DEP_1)
	v_fmac_f64_e32 v[132:133], v[98:99], v[116:117]
	scratch_load_b128 v[114:117], off, off offset:336
	s_wait_dscnt 0x0
	v_fmac_f64_e32 v[132:133], v[100:101], v[118:119]
	scratch_load_b128 v[98:101], off, off offset:352
	s_wait_loadcnt 0x5
	v_fmac_f64_e32 v[132:133], v[124:125], v[120:121]
	ds_load_2addr_b64 v[118:121], v2 offset0:81 offset1:82
	ds_load_2addr_b64 v[122:125], v2 offset0:83 offset1:84
	s_wait_dscnt 0x1
	v_fmac_f64_e32 v[132:133], v[126:127], v[118:119]
	s_wait_loadcnt 0x4
	s_delay_alu instid0(VALU_DEP_1) | instskip(SKIP_1) | instid1(VALU_DEP_1)
	v_fmac_f64_e32 v[132:133], v[102:103], v[120:121]
	s_wait_dscnt 0x0
	v_fmac_f64_e32 v[132:133], v[104:105], v[122:123]
	ds_load_2addr_b64 v[102:105], v2 offset0:85 offset1:86
	ds_load_2addr_b64 v[118:121], v2 offset0:87 offset1:88
	s_wait_loadcnt 0x3
	v_fmac_f64_e32 v[132:133], v[106:107], v[124:125]
	s_wait_dscnt 0x1
	s_delay_alu instid0(VALU_DEP_1) | instskip(SKIP_1) | instid1(VALU_DEP_1)
	v_fmac_f64_e32 v[132:133], v[108:109], v[102:103]
	s_wait_loadcnt 0x2
	v_fmac_f64_e32 v[132:133], v[110:111], v[104:105]
	ds_load_2addr_b64 v[102:105], v2 offset0:89 offset1:90
	ds_load_b64 v[106:107], v2 offset:728
	s_wait_dscnt 0x2
	v_fmac_f64_e32 v[132:133], v[112:113], v[118:119]
	s_wait_loadcnt 0x1
	s_delay_alu instid0(VALU_DEP_1) | instskip(SKIP_1) | instid1(VALU_DEP_1)
	v_fmac_f64_e32 v[132:133], v[114:115], v[120:121]
	s_wait_dscnt 0x1
	v_fmac_f64_e32 v[132:133], v[116:117], v[102:103]
	s_wait_loadcnt 0x0
	s_delay_alu instid0(VALU_DEP_1) | instskip(SKIP_1) | instid1(VALU_DEP_1)
	v_fmac_f64_e32 v[132:133], v[98:99], v[104:105]
	s_wait_dscnt 0x0
	v_fmac_f64_e32 v[132:133], v[100:101], v[106:107]
	s_delay_alu instid0(VALU_DEP_1)
	v_add_f64_e64 v[96:97], v[96:97], -v[132:133]
	scratch_store_b64 off, v[96:97], off offset:144
	s_wait_xcnt 0x0
	v_cmpx_lt_u32_e32 17, v0
	s_cbranch_execz .LBB45_251
; %bb.250:
	scratch_load_b64 v[96:97], off, off offset:136
	v_mov_b64_e32 v[98:99], 0
	scratch_store_b64 off, v[98:99], off offset:136
	s_wait_loadcnt 0x0
	ds_store_b64 v1, v[96:97]
.LBB45_251:
	s_wait_xcnt 0x0
	s_or_b32 exec_lo, exec_lo, s0
	s_wait_storecnt_dscnt 0x0
	s_barrier_signal -1
	s_barrier_wait -1
	s_clause 0x5
	scratch_load_b128 v[96:99], off, off offset:136
	scratch_load_b128 v[100:103], off, off offset:152
	;; [unrolled: 1-line block ×6, first 2 shown]
	ds_load_b128 v[120:123], v2 offset:512
	ds_load_b128 v[124:127], v2 offset:528
	scratch_load_b128 v[128:131], off, off offset:232
	s_mov_b32 s0, exec_lo
	s_wait_loadcnt_dscnt 0x601
	v_fma_f64 v[132:133], v[98:99], v[120:121], 0
	s_wait_loadcnt 0x5
	s_delay_alu instid0(VALU_DEP_1) | instskip(SKIP_4) | instid1(VALU_DEP_1)
	v_fmac_f64_e32 v[132:133], v[100:101], v[122:123]
	scratch_load_b128 v[98:101], off, off offset:248
	s_wait_dscnt 0x0
	v_fmac_f64_e32 v[132:133], v[102:103], v[124:125]
	s_wait_loadcnt 0x5
	v_fmac_f64_e32 v[132:133], v[104:105], v[126:127]
	ds_load_b128 v[102:105], v2 offset:544
	ds_load_b128 v[120:123], v2 offset:560
	scratch_load_b128 v[124:127], off, off offset:264
	s_wait_dscnt 0x1
	v_fmac_f64_e32 v[132:133], v[106:107], v[102:103]
	s_wait_loadcnt 0x5
	s_delay_alu instid0(VALU_DEP_1) | instskip(SKIP_4) | instid1(VALU_DEP_1)
	v_fmac_f64_e32 v[132:133], v[108:109], v[104:105]
	scratch_load_b128 v[102:105], off, off offset:280
	s_wait_dscnt 0x0
	v_fmac_f64_e32 v[132:133], v[110:111], v[120:121]
	s_wait_loadcnt 0x5
	v_fmac_f64_e32 v[132:133], v[112:113], v[122:123]
	ds_load_b128 v[106:109], v2 offset:576
	ds_load_b128 v[110:113], v2 offset:592
	s_wait_dscnt 0x1
	v_fmac_f64_e32 v[132:133], v[114:115], v[106:107]
	s_wait_loadcnt 0x4
	s_delay_alu instid0(VALU_DEP_1) | instskip(SKIP_4) | instid1(VALU_DEP_1)
	v_fmac_f64_e32 v[132:133], v[116:117], v[108:109]
	scratch_load_b128 v[106:109], off, off offset:296
	s_wait_dscnt 0x0
	v_fmac_f64_e32 v[132:133], v[118:119], v[110:111]
	s_wait_loadcnt 0x4
	v_fmac_f64_e32 v[132:133], v[128:129], v[112:113]
	scratch_load_b128 v[110:113], off, off offset:312
	ds_load_b128 v[114:117], v2 offset:608
	ds_load_b128 v[118:121], v2 offset:624
	s_wait_dscnt 0x1
	v_fmac_f64_e32 v[132:133], v[130:131], v[114:115]
	s_wait_loadcnt 0x4
	s_delay_alu instid0(VALU_DEP_1)
	v_fmac_f64_e32 v[132:133], v[98:99], v[116:117]
	scratch_load_b128 v[114:117], off, off offset:328
	s_wait_dscnt 0x0
	v_fmac_f64_e32 v[132:133], v[100:101], v[118:119]
	scratch_load_b128 v[98:101], off, off offset:344
	s_wait_loadcnt 0x5
	v_fmac_f64_e32 v[132:133], v[124:125], v[120:121]
	ds_load_b128 v[118:121], v2 offset:640
	ds_load_b128 v[122:125], v2 offset:656
	s_wait_dscnt 0x1
	v_fmac_f64_e32 v[132:133], v[126:127], v[118:119]
	scratch_load_b64 v[126:127], off, off offset:360
	s_wait_loadcnt 0x5
	v_fmac_f64_e32 v[132:133], v[102:103], v[120:121]
	s_wait_dscnt 0x0
	s_delay_alu instid0(VALU_DEP_1)
	v_fmac_f64_e32 v[132:133], v[104:105], v[122:123]
	ds_load_b128 v[102:105], v2 offset:672
	ds_load_b128 v[118:121], v2 offset:688
	s_wait_loadcnt 0x4
	v_fmac_f64_e32 v[132:133], v[106:107], v[124:125]
	s_wait_dscnt 0x1
	s_delay_alu instid0(VALU_DEP_1) | instskip(SKIP_1) | instid1(VALU_DEP_1)
	v_fmac_f64_e32 v[132:133], v[108:109], v[102:103]
	s_wait_loadcnt 0x3
	v_fmac_f64_e32 v[132:133], v[110:111], v[104:105]
	ds_load_b128 v[102:105], v2 offset:704
	ds_load_b128 v[106:109], v2 offset:720
	s_wait_dscnt 0x2
	v_fmac_f64_e32 v[132:133], v[112:113], v[118:119]
	s_wait_loadcnt 0x2
	s_delay_alu instid0(VALU_DEP_1) | instskip(SKIP_1) | instid1(VALU_DEP_1)
	v_fmac_f64_e32 v[132:133], v[114:115], v[120:121]
	s_wait_dscnt 0x1
	v_fmac_f64_e32 v[132:133], v[116:117], v[102:103]
	s_wait_loadcnt 0x1
	s_delay_alu instid0(VALU_DEP_1) | instskip(SKIP_1) | instid1(VALU_DEP_1)
	v_fmac_f64_e32 v[132:133], v[98:99], v[104:105]
	s_wait_dscnt 0x0
	v_fmac_f64_e32 v[132:133], v[100:101], v[106:107]
	s_wait_loadcnt 0x0
	s_delay_alu instid0(VALU_DEP_1) | instskip(NEXT) | instid1(VALU_DEP_1)
	v_fmac_f64_e32 v[132:133], v[126:127], v[108:109]
	v_add_f64_e64 v[2:3], v[96:97], -v[132:133]
	scratch_store_b64 off, v[2:3], off offset:136
	s_wait_xcnt 0x0
	v_cmpx_lt_u32_e32 16, v0
	s_cbranch_execz .LBB45_253
; %bb.252:
	scratch_load_b64 v[2:3], off, off offset:128
	v_mov_b64_e32 v[96:97], 0
	scratch_store_b64 off, v[96:97], off offset:128
	s_wait_loadcnt 0x0
	ds_store_b64 v1, v[2:3]
.LBB45_253:
	s_wait_xcnt 0x0
	s_or_b32 exec_lo, exec_lo, s0
	s_wait_storecnt_dscnt 0x0
	s_barrier_signal -1
	s_barrier_wait -1
	s_clause 0x5
	scratch_load_b128 v[96:99], off, off offset:128
	scratch_load_b128 v[100:103], off, off offset:144
	;; [unrolled: 1-line block ×6, first 2 shown]
	v_mov_b32_e32 v2, 0
	ds_load_2addr_b64 v[120:123], v2 offset0:63 offset1:64
	ds_load_2addr_b64 v[124:127], v2 offset0:65 offset1:66
	scratch_load_b128 v[128:131], off, off offset:224
	s_mov_b32 s0, exec_lo
	s_wait_loadcnt_dscnt 0x601
	v_fma_f64 v[132:133], v[98:99], v[120:121], 0
	s_wait_loadcnt 0x5
	s_delay_alu instid0(VALU_DEP_1) | instskip(SKIP_4) | instid1(VALU_DEP_1)
	v_fmac_f64_e32 v[132:133], v[100:101], v[122:123]
	scratch_load_b128 v[98:101], off, off offset:240
	s_wait_dscnt 0x0
	v_fmac_f64_e32 v[132:133], v[102:103], v[124:125]
	s_wait_loadcnt 0x5
	v_fmac_f64_e32 v[132:133], v[104:105], v[126:127]
	ds_load_2addr_b64 v[102:105], v2 offset0:67 offset1:68
	ds_load_2addr_b64 v[120:123], v2 offset0:69 offset1:70
	scratch_load_b128 v[124:127], off, off offset:256
	s_wait_dscnt 0x1
	v_fmac_f64_e32 v[132:133], v[106:107], v[102:103]
	s_wait_loadcnt 0x5
	s_delay_alu instid0(VALU_DEP_1) | instskip(SKIP_4) | instid1(VALU_DEP_1)
	v_fmac_f64_e32 v[132:133], v[108:109], v[104:105]
	scratch_load_b128 v[102:105], off, off offset:272
	s_wait_dscnt 0x0
	v_fmac_f64_e32 v[132:133], v[110:111], v[120:121]
	s_wait_loadcnt 0x5
	v_fmac_f64_e32 v[132:133], v[112:113], v[122:123]
	ds_load_2addr_b64 v[106:109], v2 offset0:71 offset1:72
	ds_load_2addr_b64 v[110:113], v2 offset0:73 offset1:74
	s_wait_dscnt 0x1
	v_fmac_f64_e32 v[132:133], v[114:115], v[106:107]
	s_wait_loadcnt 0x4
	s_delay_alu instid0(VALU_DEP_1) | instskip(SKIP_4) | instid1(VALU_DEP_1)
	v_fmac_f64_e32 v[132:133], v[116:117], v[108:109]
	scratch_load_b128 v[106:109], off, off offset:288
	s_wait_dscnt 0x0
	v_fmac_f64_e32 v[132:133], v[118:119], v[110:111]
	s_wait_loadcnt 0x4
	v_fmac_f64_e32 v[132:133], v[128:129], v[112:113]
	scratch_load_b128 v[110:113], off, off offset:304
	ds_load_2addr_b64 v[114:117], v2 offset0:75 offset1:76
	ds_load_2addr_b64 v[118:121], v2 offset0:77 offset1:78
	s_wait_dscnt 0x1
	v_fmac_f64_e32 v[132:133], v[130:131], v[114:115]
	s_wait_loadcnt 0x4
	s_delay_alu instid0(VALU_DEP_1)
	v_fmac_f64_e32 v[132:133], v[98:99], v[116:117]
	scratch_load_b128 v[114:117], off, off offset:320
	s_wait_dscnt 0x0
	v_fmac_f64_e32 v[132:133], v[100:101], v[118:119]
	scratch_load_b128 v[98:101], off, off offset:336
	s_wait_loadcnt 0x5
	v_fmac_f64_e32 v[132:133], v[124:125], v[120:121]
	ds_load_2addr_b64 v[118:121], v2 offset0:79 offset1:80
	ds_load_2addr_b64 v[122:125], v2 offset0:81 offset1:82
	s_wait_dscnt 0x1
	v_fmac_f64_e32 v[132:133], v[126:127], v[118:119]
	s_wait_loadcnt 0x4
	s_delay_alu instid0(VALU_DEP_1) | instskip(SKIP_4) | instid1(VALU_DEP_1)
	v_fmac_f64_e32 v[132:133], v[102:103], v[120:121]
	scratch_load_b128 v[118:121], off, off offset:352
	s_wait_dscnt 0x0
	v_fmac_f64_e32 v[132:133], v[104:105], v[122:123]
	s_wait_loadcnt 0x4
	v_fmac_f64_e32 v[132:133], v[106:107], v[124:125]
	ds_load_2addr_b64 v[102:105], v2 offset0:83 offset1:84
	ds_load_2addr_b64 v[122:125], v2 offset0:85 offset1:86
	s_wait_dscnt 0x1
	v_fmac_f64_e32 v[132:133], v[108:109], v[102:103]
	s_wait_loadcnt 0x3
	s_delay_alu instid0(VALU_DEP_1)
	v_fmac_f64_e32 v[132:133], v[110:111], v[104:105]
	ds_load_2addr_b64 v[102:105], v2 offset0:87 offset1:88
	ds_load_2addr_b64 v[106:109], v2 offset0:89 offset1:90
	s_wait_dscnt 0x2
	v_fmac_f64_e32 v[132:133], v[112:113], v[122:123]
	s_wait_loadcnt 0x2
	s_delay_alu instid0(VALU_DEP_1) | instskip(SKIP_1) | instid1(VALU_DEP_1)
	v_fmac_f64_e32 v[132:133], v[114:115], v[124:125]
	s_wait_dscnt 0x1
	v_fmac_f64_e32 v[132:133], v[116:117], v[102:103]
	s_wait_loadcnt 0x1
	s_delay_alu instid0(VALU_DEP_1) | instskip(SKIP_4) | instid1(VALU_DEP_1)
	v_fmac_f64_e32 v[132:133], v[98:99], v[104:105]
	ds_load_b64 v[98:99], v2 offset:728
	s_wait_dscnt 0x1
	v_fmac_f64_e32 v[132:133], v[100:101], v[106:107]
	s_wait_loadcnt 0x0
	v_fmac_f64_e32 v[132:133], v[118:119], v[108:109]
	s_wait_dscnt 0x0
	s_delay_alu instid0(VALU_DEP_1) | instskip(NEXT) | instid1(VALU_DEP_1)
	v_fmac_f64_e32 v[132:133], v[120:121], v[98:99]
	v_add_f64_e64 v[96:97], v[96:97], -v[132:133]
	scratch_store_b64 off, v[96:97], off offset:128
	s_wait_xcnt 0x0
	v_cmpx_lt_u32_e32 15, v0
	s_cbranch_execz .LBB45_255
; %bb.254:
	scratch_load_b64 v[96:97], off, off offset:120
	v_mov_b64_e32 v[98:99], 0
	scratch_store_b64 off, v[98:99], off offset:120
	s_wait_loadcnt 0x0
	ds_store_b64 v1, v[96:97]
.LBB45_255:
	s_wait_xcnt 0x0
	s_or_b32 exec_lo, exec_lo, s0
	s_wait_storecnt_dscnt 0x0
	s_barrier_signal -1
	s_barrier_wait -1
	s_clause 0x5
	scratch_load_b128 v[96:99], off, off offset:120
	scratch_load_b128 v[100:103], off, off offset:136
	;; [unrolled: 1-line block ×6, first 2 shown]
	ds_load_b128 v[120:123], v2 offset:496
	ds_load_b128 v[124:127], v2 offset:512
	scratch_load_b128 v[128:131], off, off offset:216
	s_mov_b32 s0, exec_lo
	s_wait_loadcnt_dscnt 0x601
	v_fma_f64 v[132:133], v[98:99], v[120:121], 0
	s_wait_loadcnt 0x5
	s_delay_alu instid0(VALU_DEP_1) | instskip(SKIP_4) | instid1(VALU_DEP_1)
	v_fmac_f64_e32 v[132:133], v[100:101], v[122:123]
	scratch_load_b128 v[98:101], off, off offset:232
	s_wait_dscnt 0x0
	v_fmac_f64_e32 v[132:133], v[102:103], v[124:125]
	s_wait_loadcnt 0x5
	v_fmac_f64_e32 v[132:133], v[104:105], v[126:127]
	ds_load_b128 v[102:105], v2 offset:528
	ds_load_b128 v[120:123], v2 offset:544
	scratch_load_b128 v[124:127], off, off offset:248
	s_wait_dscnt 0x1
	v_fmac_f64_e32 v[132:133], v[106:107], v[102:103]
	s_wait_loadcnt 0x5
	s_delay_alu instid0(VALU_DEP_1) | instskip(SKIP_4) | instid1(VALU_DEP_1)
	v_fmac_f64_e32 v[132:133], v[108:109], v[104:105]
	scratch_load_b128 v[102:105], off, off offset:264
	s_wait_dscnt 0x0
	v_fmac_f64_e32 v[132:133], v[110:111], v[120:121]
	s_wait_loadcnt 0x5
	v_fmac_f64_e32 v[132:133], v[112:113], v[122:123]
	ds_load_b128 v[106:109], v2 offset:560
	ds_load_b128 v[110:113], v2 offset:576
	scratch_load_b128 v[120:123], off, off offset:280
	s_wait_dscnt 0x1
	v_fmac_f64_e32 v[132:133], v[114:115], v[106:107]
	s_wait_loadcnt 0x5
	s_delay_alu instid0(VALU_DEP_1) | instskip(SKIP_4) | instid1(VALU_DEP_1)
	v_fmac_f64_e32 v[132:133], v[116:117], v[108:109]
	scratch_load_b128 v[106:109], off, off offset:296
	s_wait_dscnt 0x0
	v_fmac_f64_e32 v[132:133], v[118:119], v[110:111]
	s_wait_loadcnt 0x5
	v_fmac_f64_e32 v[132:133], v[128:129], v[112:113]
	ds_load_b128 v[110:113], v2 offset:592
	ds_load_b128 v[114:117], v2 offset:608
	s_wait_dscnt 0x1
	v_fmac_f64_e32 v[132:133], v[130:131], v[110:111]
	s_wait_loadcnt 0x4
	s_delay_alu instid0(VALU_DEP_1)
	v_fmac_f64_e32 v[132:133], v[98:99], v[112:113]
	scratch_load_b128 v[110:113], off, off offset:312
	s_wait_dscnt 0x0
	v_fmac_f64_e32 v[132:133], v[100:101], v[114:115]
	scratch_load_b128 v[98:101], off, off offset:328
	s_wait_loadcnt 0x5
	v_fmac_f64_e32 v[132:133], v[124:125], v[116:117]
	ds_load_b128 v[114:117], v2 offset:624
	ds_load_b128 v[128:131], v2 offset:640
	scratch_load_b64 v[124:125], off, off offset:360
	s_wait_dscnt 0x1
	v_fmac_f64_e32 v[132:133], v[126:127], v[114:115]
	s_wait_loadcnt 0x5
	s_delay_alu instid0(VALU_DEP_1) | instskip(SKIP_4) | instid1(VALU_DEP_1)
	v_fmac_f64_e32 v[132:133], v[102:103], v[116:117]
	scratch_load_b128 v[114:117], off, off offset:344
	s_wait_dscnt 0x0
	v_fmac_f64_e32 v[132:133], v[104:105], v[128:129]
	s_wait_loadcnt 0x5
	v_fmac_f64_e32 v[132:133], v[120:121], v[130:131]
	ds_load_b128 v[102:105], v2 offset:656
	ds_load_b128 v[118:121], v2 offset:672
	s_wait_dscnt 0x1
	v_fmac_f64_e32 v[132:133], v[122:123], v[102:103]
	s_wait_loadcnt 0x4
	s_delay_alu instid0(VALU_DEP_1) | instskip(SKIP_1) | instid1(VALU_DEP_1)
	v_fmac_f64_e32 v[132:133], v[106:107], v[104:105]
	s_wait_dscnt 0x0
	v_fmac_f64_e32 v[132:133], v[108:109], v[118:119]
	ds_load_b128 v[102:105], v2 offset:688
	ds_load_b128 v[106:109], v2 offset:704
	s_wait_loadcnt 0x3
	v_fmac_f64_e32 v[132:133], v[110:111], v[120:121]
	s_wait_dscnt 0x1
	s_delay_alu instid0(VALU_DEP_1) | instskip(SKIP_1) | instid1(VALU_DEP_1)
	v_fmac_f64_e32 v[132:133], v[112:113], v[102:103]
	s_wait_loadcnt 0x2
	v_fmac_f64_e32 v[132:133], v[98:99], v[104:105]
	s_wait_dscnt 0x0
	s_delay_alu instid0(VALU_DEP_1) | instskip(SKIP_4) | instid1(VALU_DEP_1)
	v_fmac_f64_e32 v[132:133], v[100:101], v[106:107]
	ds_load_b128 v[98:101], v2 offset:720
	s_wait_loadcnt 0x0
	v_fmac_f64_e32 v[132:133], v[114:115], v[108:109]
	s_wait_dscnt 0x0
	v_fmac_f64_e32 v[132:133], v[116:117], v[98:99]
	s_delay_alu instid0(VALU_DEP_1) | instskip(NEXT) | instid1(VALU_DEP_1)
	v_fmac_f64_e32 v[132:133], v[124:125], v[100:101]
	v_add_f64_e64 v[2:3], v[96:97], -v[132:133]
	scratch_store_b64 off, v[2:3], off offset:120
	s_wait_xcnt 0x0
	v_cmpx_lt_u32_e32 14, v0
	s_cbranch_execz .LBB45_257
; %bb.256:
	scratch_load_b64 v[2:3], off, off offset:112
	v_mov_b64_e32 v[96:97], 0
	scratch_store_b64 off, v[96:97], off offset:112
	s_wait_loadcnt 0x0
	ds_store_b64 v1, v[2:3]
.LBB45_257:
	s_wait_xcnt 0x0
	s_or_b32 exec_lo, exec_lo, s0
	s_wait_storecnt_dscnt 0x0
	s_barrier_signal -1
	s_barrier_wait -1
	s_clause 0x5
	scratch_load_b128 v[96:99], off, off offset:112
	scratch_load_b128 v[100:103], off, off offset:128
	;; [unrolled: 1-line block ×6, first 2 shown]
	v_mov_b32_e32 v2, 0
	ds_load_2addr_b64 v[120:123], v2 offset0:61 offset1:62
	ds_load_2addr_b64 v[124:127], v2 offset0:63 offset1:64
	scratch_load_b128 v[128:131], off, off offset:208
	s_mov_b32 s0, exec_lo
	s_wait_loadcnt_dscnt 0x601
	v_fma_f64 v[132:133], v[98:99], v[120:121], 0
	s_wait_loadcnt 0x5
	s_delay_alu instid0(VALU_DEP_1) | instskip(SKIP_4) | instid1(VALU_DEP_1)
	v_fmac_f64_e32 v[132:133], v[100:101], v[122:123]
	scratch_load_b128 v[98:101], off, off offset:224
	s_wait_dscnt 0x0
	v_fmac_f64_e32 v[132:133], v[102:103], v[124:125]
	s_wait_loadcnt 0x5
	v_fmac_f64_e32 v[132:133], v[104:105], v[126:127]
	ds_load_2addr_b64 v[102:105], v2 offset0:65 offset1:66
	ds_load_2addr_b64 v[120:123], v2 offset0:67 offset1:68
	scratch_load_b128 v[124:127], off, off offset:240
	s_wait_dscnt 0x1
	v_fmac_f64_e32 v[132:133], v[106:107], v[102:103]
	s_wait_loadcnt 0x5
	s_delay_alu instid0(VALU_DEP_1) | instskip(SKIP_4) | instid1(VALU_DEP_1)
	v_fmac_f64_e32 v[132:133], v[108:109], v[104:105]
	scratch_load_b128 v[102:105], off, off offset:256
	s_wait_dscnt 0x0
	v_fmac_f64_e32 v[132:133], v[110:111], v[120:121]
	s_wait_loadcnt 0x5
	v_fmac_f64_e32 v[132:133], v[112:113], v[122:123]
	ds_load_2addr_b64 v[106:109], v2 offset0:69 offset1:70
	ds_load_2addr_b64 v[110:113], v2 offset0:71 offset1:72
	scratch_load_b128 v[120:123], off, off offset:272
	s_wait_dscnt 0x1
	v_fmac_f64_e32 v[132:133], v[114:115], v[106:107]
	s_wait_loadcnt 0x5
	s_delay_alu instid0(VALU_DEP_1) | instskip(SKIP_4) | instid1(VALU_DEP_1)
	v_fmac_f64_e32 v[132:133], v[116:117], v[108:109]
	scratch_load_b128 v[106:109], off, off offset:288
	s_wait_dscnt 0x0
	v_fmac_f64_e32 v[132:133], v[118:119], v[110:111]
	s_wait_loadcnt 0x5
	v_fmac_f64_e32 v[132:133], v[128:129], v[112:113]
	ds_load_2addr_b64 v[110:113], v2 offset0:73 offset1:74
	ds_load_2addr_b64 v[114:117], v2 offset0:75 offset1:76
	s_wait_dscnt 0x1
	v_fmac_f64_e32 v[132:133], v[130:131], v[110:111]
	s_wait_loadcnt 0x4
	s_delay_alu instid0(VALU_DEP_1)
	v_fmac_f64_e32 v[132:133], v[98:99], v[112:113]
	scratch_load_b128 v[110:113], off, off offset:304
	s_wait_dscnt 0x0
	v_fmac_f64_e32 v[132:133], v[100:101], v[114:115]
	scratch_load_b128 v[98:101], off, off offset:320
	s_wait_loadcnt 0x5
	v_fmac_f64_e32 v[132:133], v[124:125], v[116:117]
	ds_load_2addr_b64 v[114:117], v2 offset0:77 offset1:78
	ds_load_2addr_b64 v[128:131], v2 offset0:79 offset1:80
	s_wait_dscnt 0x1
	v_fmac_f64_e32 v[132:133], v[126:127], v[114:115]
	s_wait_loadcnt 0x4
	s_delay_alu instid0(VALU_DEP_1)
	v_fmac_f64_e32 v[132:133], v[102:103], v[116:117]
	scratch_load_b128 v[114:117], off, off offset:336
	s_wait_dscnt 0x0
	v_fmac_f64_e32 v[132:133], v[104:105], v[128:129]
	scratch_load_b128 v[102:105], off, off offset:352
	s_wait_loadcnt 0x5
	v_fmac_f64_e32 v[132:133], v[120:121], v[130:131]
	ds_load_2addr_b64 v[118:121], v2 offset0:81 offset1:82
	ds_load_2addr_b64 v[124:127], v2 offset0:83 offset1:84
	s_wait_dscnt 0x1
	v_fmac_f64_e32 v[132:133], v[122:123], v[118:119]
	s_wait_loadcnt 0x4
	s_delay_alu instid0(VALU_DEP_1) | instskip(SKIP_1) | instid1(VALU_DEP_1)
	v_fmac_f64_e32 v[132:133], v[106:107], v[120:121]
	s_wait_dscnt 0x0
	v_fmac_f64_e32 v[132:133], v[108:109], v[124:125]
	ds_load_2addr_b64 v[106:109], v2 offset0:85 offset1:86
	ds_load_2addr_b64 v[118:121], v2 offset0:87 offset1:88
	s_wait_loadcnt 0x3
	v_fmac_f64_e32 v[132:133], v[110:111], v[126:127]
	s_wait_dscnt 0x1
	s_delay_alu instid0(VALU_DEP_1) | instskip(SKIP_1) | instid1(VALU_DEP_1)
	v_fmac_f64_e32 v[132:133], v[112:113], v[106:107]
	s_wait_loadcnt 0x2
	v_fmac_f64_e32 v[132:133], v[98:99], v[108:109]
	s_wait_dscnt 0x0
	s_delay_alu instid0(VALU_DEP_1)
	v_fmac_f64_e32 v[132:133], v[100:101], v[118:119]
	ds_load_2addr_b64 v[98:101], v2 offset0:89 offset1:90
	ds_load_b64 v[106:107], v2 offset:728
	s_wait_loadcnt 0x1
	v_fmac_f64_e32 v[132:133], v[114:115], v[120:121]
	s_wait_dscnt 0x1
	s_delay_alu instid0(VALU_DEP_1) | instskip(SKIP_1) | instid1(VALU_DEP_1)
	v_fmac_f64_e32 v[132:133], v[116:117], v[98:99]
	s_wait_loadcnt 0x0
	v_fmac_f64_e32 v[132:133], v[102:103], v[100:101]
	s_wait_dscnt 0x0
	s_delay_alu instid0(VALU_DEP_1) | instskip(NEXT) | instid1(VALU_DEP_1)
	v_fmac_f64_e32 v[132:133], v[104:105], v[106:107]
	v_add_f64_e64 v[96:97], v[96:97], -v[132:133]
	scratch_store_b64 off, v[96:97], off offset:112
	s_wait_xcnt 0x0
	v_cmpx_lt_u32_e32 13, v0
	s_cbranch_execz .LBB45_259
; %bb.258:
	scratch_load_b64 v[96:97], off, off offset:104
	v_mov_b64_e32 v[98:99], 0
	scratch_store_b64 off, v[98:99], off offset:104
	s_wait_loadcnt 0x0
	ds_store_b64 v1, v[96:97]
.LBB45_259:
	s_wait_xcnt 0x0
	s_or_b32 exec_lo, exec_lo, s0
	s_wait_storecnt_dscnt 0x0
	s_barrier_signal -1
	s_barrier_wait -1
	s_clause 0x5
	scratch_load_b128 v[96:99], off, off offset:104
	scratch_load_b128 v[100:103], off, off offset:120
	;; [unrolled: 1-line block ×6, first 2 shown]
	ds_load_b128 v[120:123], v2 offset:480
	ds_load_b128 v[124:127], v2 offset:496
	scratch_load_b128 v[128:131], off, off offset:200
	s_mov_b32 s0, exec_lo
	s_wait_loadcnt_dscnt 0x601
	v_fma_f64 v[132:133], v[98:99], v[120:121], 0
	s_wait_loadcnt 0x5
	s_delay_alu instid0(VALU_DEP_1) | instskip(SKIP_4) | instid1(VALU_DEP_1)
	v_fmac_f64_e32 v[132:133], v[100:101], v[122:123]
	scratch_load_b128 v[98:101], off, off offset:216
	s_wait_dscnt 0x0
	v_fmac_f64_e32 v[132:133], v[102:103], v[124:125]
	s_wait_loadcnt 0x5
	v_fmac_f64_e32 v[132:133], v[104:105], v[126:127]
	ds_load_b128 v[102:105], v2 offset:512
	ds_load_b128 v[120:123], v2 offset:528
	scratch_load_b128 v[124:127], off, off offset:232
	s_wait_dscnt 0x1
	v_fmac_f64_e32 v[132:133], v[106:107], v[102:103]
	s_wait_loadcnt 0x5
	s_delay_alu instid0(VALU_DEP_1) | instskip(SKIP_4) | instid1(VALU_DEP_1)
	v_fmac_f64_e32 v[132:133], v[108:109], v[104:105]
	scratch_load_b128 v[102:105], off, off offset:248
	s_wait_dscnt 0x0
	v_fmac_f64_e32 v[132:133], v[110:111], v[120:121]
	s_wait_loadcnt 0x5
	v_fmac_f64_e32 v[132:133], v[112:113], v[122:123]
	ds_load_b128 v[106:109], v2 offset:544
	ds_load_b128 v[110:113], v2 offset:560
	scratch_load_b128 v[120:123], off, off offset:264
	s_wait_dscnt 0x1
	v_fmac_f64_e32 v[132:133], v[114:115], v[106:107]
	s_wait_loadcnt 0x5
	s_delay_alu instid0(VALU_DEP_1) | instskip(SKIP_4) | instid1(VALU_DEP_1)
	v_fmac_f64_e32 v[132:133], v[116:117], v[108:109]
	scratch_load_b128 v[106:109], off, off offset:280
	s_wait_dscnt 0x0
	v_fmac_f64_e32 v[132:133], v[118:119], v[110:111]
	s_wait_loadcnt 0x5
	v_fmac_f64_e32 v[132:133], v[128:129], v[112:113]
	ds_load_b128 v[110:113], v2 offset:576
	ds_load_b128 v[114:117], v2 offset:592
	s_wait_dscnt 0x1
	v_fmac_f64_e32 v[132:133], v[130:131], v[110:111]
	s_wait_loadcnt 0x4
	s_delay_alu instid0(VALU_DEP_1)
	v_fmac_f64_e32 v[132:133], v[98:99], v[112:113]
	scratch_load_b128 v[110:113], off, off offset:296
	s_wait_dscnt 0x0
	v_fmac_f64_e32 v[132:133], v[100:101], v[114:115]
	scratch_load_b128 v[98:101], off, off offset:312
	s_wait_loadcnt 0x5
	v_fmac_f64_e32 v[132:133], v[124:125], v[116:117]
	ds_load_b128 v[114:117], v2 offset:608
	ds_load_b128 v[128:131], v2 offset:624
	s_wait_dscnt 0x1
	v_fmac_f64_e32 v[132:133], v[126:127], v[114:115]
	s_wait_loadcnt 0x4
	s_delay_alu instid0(VALU_DEP_1)
	v_fmac_f64_e32 v[132:133], v[102:103], v[116:117]
	scratch_load_b128 v[114:117], off, off offset:328
	s_wait_dscnt 0x0
	v_fmac_f64_e32 v[132:133], v[104:105], v[128:129]
	scratch_load_b128 v[102:105], off, off offset:344
	s_wait_loadcnt 0x5
	v_fmac_f64_e32 v[132:133], v[120:121], v[130:131]
	ds_load_b128 v[118:121], v2 offset:640
	ds_load_b128 v[124:127], v2 offset:656
	s_wait_dscnt 0x1
	v_fmac_f64_e32 v[132:133], v[122:123], v[118:119]
	scratch_load_b64 v[122:123], off, off offset:360
	s_wait_loadcnt 0x5
	v_fmac_f64_e32 v[132:133], v[106:107], v[120:121]
	s_wait_dscnt 0x0
	s_delay_alu instid0(VALU_DEP_1)
	v_fmac_f64_e32 v[132:133], v[108:109], v[124:125]
	ds_load_b128 v[106:109], v2 offset:672
	ds_load_b128 v[118:121], v2 offset:688
	s_wait_loadcnt 0x4
	v_fmac_f64_e32 v[132:133], v[110:111], v[126:127]
	s_wait_dscnt 0x1
	s_delay_alu instid0(VALU_DEP_1) | instskip(SKIP_1) | instid1(VALU_DEP_1)
	v_fmac_f64_e32 v[132:133], v[112:113], v[106:107]
	s_wait_loadcnt 0x3
	v_fmac_f64_e32 v[132:133], v[98:99], v[108:109]
	s_wait_dscnt 0x0
	s_delay_alu instid0(VALU_DEP_1)
	v_fmac_f64_e32 v[132:133], v[100:101], v[118:119]
	ds_load_b128 v[98:101], v2 offset:704
	ds_load_b128 v[106:109], v2 offset:720
	s_wait_loadcnt 0x2
	v_fmac_f64_e32 v[132:133], v[114:115], v[120:121]
	s_wait_dscnt 0x1
	s_delay_alu instid0(VALU_DEP_1) | instskip(SKIP_1) | instid1(VALU_DEP_1)
	v_fmac_f64_e32 v[132:133], v[116:117], v[98:99]
	s_wait_loadcnt 0x1
	v_fmac_f64_e32 v[132:133], v[102:103], v[100:101]
	s_wait_dscnt 0x0
	s_delay_alu instid0(VALU_DEP_1) | instskip(SKIP_1) | instid1(VALU_DEP_1)
	v_fmac_f64_e32 v[132:133], v[104:105], v[106:107]
	s_wait_loadcnt 0x0
	v_fmac_f64_e32 v[132:133], v[122:123], v[108:109]
	s_delay_alu instid0(VALU_DEP_1)
	v_add_f64_e64 v[2:3], v[96:97], -v[132:133]
	scratch_store_b64 off, v[2:3], off offset:104
	s_wait_xcnt 0x0
	v_cmpx_lt_u32_e32 12, v0
	s_cbranch_execz .LBB45_261
; %bb.260:
	scratch_load_b64 v[2:3], off, off offset:96
	v_mov_b64_e32 v[96:97], 0
	scratch_store_b64 off, v[96:97], off offset:96
	s_wait_loadcnt 0x0
	ds_store_b64 v1, v[2:3]
.LBB45_261:
	s_wait_xcnt 0x0
	s_or_b32 exec_lo, exec_lo, s0
	s_wait_storecnt_dscnt 0x0
	s_barrier_signal -1
	s_barrier_wait -1
	s_clause 0x5
	scratch_load_b128 v[96:99], off, off offset:96
	scratch_load_b128 v[100:103], off, off offset:112
	;; [unrolled: 1-line block ×6, first 2 shown]
	v_mov_b32_e32 v2, 0
	ds_load_2addr_b64 v[120:123], v2 offset0:59 offset1:60
	ds_load_2addr_b64 v[124:127], v2 offset0:61 offset1:62
	scratch_load_b128 v[128:131], off, off offset:192
	s_mov_b32 s0, exec_lo
	s_wait_loadcnt_dscnt 0x601
	v_fma_f64 v[132:133], v[98:99], v[120:121], 0
	s_wait_loadcnt 0x5
	s_delay_alu instid0(VALU_DEP_1) | instskip(SKIP_4) | instid1(VALU_DEP_1)
	v_fmac_f64_e32 v[132:133], v[100:101], v[122:123]
	scratch_load_b128 v[98:101], off, off offset:208
	s_wait_dscnt 0x0
	v_fmac_f64_e32 v[132:133], v[102:103], v[124:125]
	s_wait_loadcnt 0x5
	v_fmac_f64_e32 v[132:133], v[104:105], v[126:127]
	ds_load_2addr_b64 v[102:105], v2 offset0:63 offset1:64
	ds_load_2addr_b64 v[120:123], v2 offset0:65 offset1:66
	scratch_load_b128 v[124:127], off, off offset:224
	s_wait_dscnt 0x1
	v_fmac_f64_e32 v[132:133], v[106:107], v[102:103]
	s_wait_loadcnt 0x5
	s_delay_alu instid0(VALU_DEP_1) | instskip(SKIP_4) | instid1(VALU_DEP_1)
	v_fmac_f64_e32 v[132:133], v[108:109], v[104:105]
	scratch_load_b128 v[102:105], off, off offset:240
	s_wait_dscnt 0x0
	v_fmac_f64_e32 v[132:133], v[110:111], v[120:121]
	s_wait_loadcnt 0x5
	v_fmac_f64_e32 v[132:133], v[112:113], v[122:123]
	ds_load_2addr_b64 v[106:109], v2 offset0:67 offset1:68
	ds_load_2addr_b64 v[110:113], v2 offset0:69 offset1:70
	scratch_load_b128 v[120:123], off, off offset:256
	s_wait_dscnt 0x1
	v_fmac_f64_e32 v[132:133], v[114:115], v[106:107]
	s_wait_loadcnt 0x5
	s_delay_alu instid0(VALU_DEP_1) | instskip(SKIP_4) | instid1(VALU_DEP_1)
	v_fmac_f64_e32 v[132:133], v[116:117], v[108:109]
	scratch_load_b128 v[106:109], off, off offset:272
	s_wait_dscnt 0x0
	v_fmac_f64_e32 v[132:133], v[118:119], v[110:111]
	s_wait_loadcnt 0x5
	v_fmac_f64_e32 v[132:133], v[128:129], v[112:113]
	ds_load_2addr_b64 v[110:113], v2 offset0:71 offset1:72
	ds_load_2addr_b64 v[114:117], v2 offset0:73 offset1:74
	s_wait_dscnt 0x1
	v_fmac_f64_e32 v[132:133], v[130:131], v[110:111]
	s_wait_loadcnt 0x4
	s_delay_alu instid0(VALU_DEP_1)
	v_fmac_f64_e32 v[132:133], v[98:99], v[112:113]
	scratch_load_b128 v[110:113], off, off offset:288
	s_wait_dscnt 0x0
	v_fmac_f64_e32 v[132:133], v[100:101], v[114:115]
	scratch_load_b128 v[98:101], off, off offset:304
	s_wait_loadcnt 0x5
	v_fmac_f64_e32 v[132:133], v[124:125], v[116:117]
	ds_load_2addr_b64 v[114:117], v2 offset0:75 offset1:76
	ds_load_2addr_b64 v[128:131], v2 offset0:77 offset1:78
	s_wait_dscnt 0x1
	v_fmac_f64_e32 v[132:133], v[126:127], v[114:115]
	s_wait_loadcnt 0x4
	s_delay_alu instid0(VALU_DEP_1)
	v_fmac_f64_e32 v[132:133], v[102:103], v[116:117]
	scratch_load_b128 v[114:117], off, off offset:320
	s_wait_dscnt 0x0
	v_fmac_f64_e32 v[132:133], v[104:105], v[128:129]
	scratch_load_b128 v[102:105], off, off offset:336
	s_wait_loadcnt 0x5
	v_fmac_f64_e32 v[132:133], v[120:121], v[130:131]
	ds_load_2addr_b64 v[118:121], v2 offset0:79 offset1:80
	ds_load_2addr_b64 v[124:127], v2 offset0:81 offset1:82
	s_wait_dscnt 0x1
	v_fmac_f64_e32 v[132:133], v[122:123], v[118:119]
	s_wait_loadcnt 0x4
	s_delay_alu instid0(VALU_DEP_1)
	v_fmac_f64_e32 v[132:133], v[106:107], v[120:121]
	scratch_load_b128 v[118:121], off, off offset:352
	s_wait_dscnt 0x0
	v_fmac_f64_e32 v[132:133], v[108:109], v[124:125]
	ds_load_2addr_b64 v[106:109], v2 offset0:83 offset1:84
	ds_load_2addr_b64 v[122:125], v2 offset0:85 offset1:86
	s_wait_loadcnt 0x4
	v_fmac_f64_e32 v[132:133], v[110:111], v[126:127]
	s_wait_dscnt 0x1
	s_delay_alu instid0(VALU_DEP_1) | instskip(SKIP_1) | instid1(VALU_DEP_1)
	v_fmac_f64_e32 v[132:133], v[112:113], v[106:107]
	s_wait_loadcnt 0x3
	v_fmac_f64_e32 v[132:133], v[98:99], v[108:109]
	s_wait_dscnt 0x0
	s_delay_alu instid0(VALU_DEP_1)
	v_fmac_f64_e32 v[132:133], v[100:101], v[122:123]
	ds_load_2addr_b64 v[98:101], v2 offset0:87 offset1:88
	ds_load_2addr_b64 v[106:109], v2 offset0:89 offset1:90
	s_wait_loadcnt 0x2
	v_fmac_f64_e32 v[132:133], v[114:115], v[124:125]
	s_wait_dscnt 0x1
	s_delay_alu instid0(VALU_DEP_1) | instskip(SKIP_4) | instid1(VALU_DEP_1)
	v_fmac_f64_e32 v[132:133], v[116:117], v[98:99]
	ds_load_b64 v[98:99], v2 offset:728
	s_wait_loadcnt 0x1
	v_fmac_f64_e32 v[132:133], v[102:103], v[100:101]
	s_wait_dscnt 0x1
	v_fmac_f64_e32 v[132:133], v[104:105], v[106:107]
	s_wait_loadcnt 0x0
	s_delay_alu instid0(VALU_DEP_1) | instskip(SKIP_1) | instid1(VALU_DEP_1)
	v_fmac_f64_e32 v[132:133], v[118:119], v[108:109]
	s_wait_dscnt 0x0
	v_fmac_f64_e32 v[132:133], v[120:121], v[98:99]
	s_delay_alu instid0(VALU_DEP_1)
	v_add_f64_e64 v[96:97], v[96:97], -v[132:133]
	scratch_store_b64 off, v[96:97], off offset:96
	s_wait_xcnt 0x0
	v_cmpx_lt_u32_e32 11, v0
	s_cbranch_execz .LBB45_263
; %bb.262:
	scratch_load_b64 v[96:97], off, off offset:88
	v_mov_b64_e32 v[98:99], 0
	scratch_store_b64 off, v[98:99], off offset:88
	s_wait_loadcnt 0x0
	ds_store_b64 v1, v[96:97]
.LBB45_263:
	s_wait_xcnt 0x0
	s_or_b32 exec_lo, exec_lo, s0
	s_wait_storecnt_dscnt 0x0
	s_barrier_signal -1
	s_barrier_wait -1
	s_clause 0x5
	scratch_load_b128 v[96:99], off, off offset:88
	scratch_load_b128 v[100:103], off, off offset:104
	;; [unrolled: 1-line block ×6, first 2 shown]
	ds_load_b128 v[120:123], v2 offset:464
	ds_load_b128 v[124:127], v2 offset:480
	scratch_load_b128 v[128:131], off, off offset:184
	s_mov_b32 s0, exec_lo
	s_wait_loadcnt_dscnt 0x601
	v_fma_f64 v[132:133], v[98:99], v[120:121], 0
	s_wait_loadcnt 0x5
	s_delay_alu instid0(VALU_DEP_1) | instskip(SKIP_4) | instid1(VALU_DEP_1)
	v_fmac_f64_e32 v[132:133], v[100:101], v[122:123]
	scratch_load_b128 v[98:101], off, off offset:200
	s_wait_dscnt 0x0
	v_fmac_f64_e32 v[132:133], v[102:103], v[124:125]
	s_wait_loadcnt 0x5
	v_fmac_f64_e32 v[132:133], v[104:105], v[126:127]
	ds_load_b128 v[102:105], v2 offset:496
	ds_load_b128 v[120:123], v2 offset:512
	scratch_load_b128 v[124:127], off, off offset:216
	s_wait_dscnt 0x1
	v_fmac_f64_e32 v[132:133], v[106:107], v[102:103]
	s_wait_loadcnt 0x5
	s_delay_alu instid0(VALU_DEP_1) | instskip(SKIP_4) | instid1(VALU_DEP_1)
	v_fmac_f64_e32 v[132:133], v[108:109], v[104:105]
	scratch_load_b128 v[102:105], off, off offset:232
	s_wait_dscnt 0x0
	v_fmac_f64_e32 v[132:133], v[110:111], v[120:121]
	s_wait_loadcnt 0x5
	v_fmac_f64_e32 v[132:133], v[112:113], v[122:123]
	ds_load_b128 v[106:109], v2 offset:528
	ds_load_b128 v[110:113], v2 offset:544
	scratch_load_b128 v[120:123], off, off offset:248
	s_wait_dscnt 0x1
	v_fmac_f64_e32 v[132:133], v[114:115], v[106:107]
	s_wait_loadcnt 0x5
	s_delay_alu instid0(VALU_DEP_1) | instskip(SKIP_4) | instid1(VALU_DEP_1)
	v_fmac_f64_e32 v[132:133], v[116:117], v[108:109]
	scratch_load_b128 v[106:109], off, off offset:264
	s_wait_dscnt 0x0
	v_fmac_f64_e32 v[132:133], v[118:119], v[110:111]
	s_wait_loadcnt 0x5
	v_fmac_f64_e32 v[132:133], v[128:129], v[112:113]
	ds_load_b128 v[110:113], v2 offset:560
	ds_load_b128 v[114:117], v2 offset:576
	s_wait_dscnt 0x1
	v_fmac_f64_e32 v[132:133], v[130:131], v[110:111]
	scratch_load_b128 v[128:131], off, off offset:280
	s_wait_loadcnt 0x5
	v_fmac_f64_e32 v[132:133], v[98:99], v[112:113]
	s_wait_dscnt 0x0
	s_delay_alu instid0(VALU_DEP_1)
	v_fmac_f64_e32 v[132:133], v[100:101], v[114:115]
	scratch_load_b128 v[98:101], off, off offset:296
	s_wait_loadcnt 0x5
	v_fmac_f64_e32 v[132:133], v[124:125], v[116:117]
	ds_load_b128 v[110:113], v2 offset:592
	ds_load_b128 v[114:117], v2 offset:608
	s_wait_dscnt 0x1
	v_fmac_f64_e32 v[132:133], v[126:127], v[110:111]
	s_wait_loadcnt 0x4
	s_delay_alu instid0(VALU_DEP_1)
	v_fmac_f64_e32 v[132:133], v[102:103], v[112:113]
	scratch_load_b128 v[110:113], off, off offset:312
	s_wait_dscnt 0x0
	v_fmac_f64_e32 v[132:133], v[104:105], v[114:115]
	scratch_load_b128 v[102:105], off, off offset:328
	s_wait_loadcnt 0x5
	v_fmac_f64_e32 v[132:133], v[120:121], v[116:117]
	ds_load_b128 v[114:117], v2 offset:624
	ds_load_b128 v[118:121], v2 offset:640
	s_wait_dscnt 0x1
	v_fmac_f64_e32 v[132:133], v[122:123], v[114:115]
	scratch_load_b64 v[122:123], off, off offset:360
	s_wait_loadcnt 0x5
	v_fmac_f64_e32 v[132:133], v[106:107], v[116:117]
	scratch_load_b128 v[114:117], off, off offset:344
	s_wait_dscnt 0x0
	v_fmac_f64_e32 v[132:133], v[108:109], v[118:119]
	s_wait_loadcnt 0x5
	s_delay_alu instid0(VALU_DEP_1)
	v_fmac_f64_e32 v[132:133], v[128:129], v[120:121]
	ds_load_b128 v[106:109], v2 offset:656
	ds_load_b128 v[118:121], v2 offset:672
	s_wait_dscnt 0x1
	v_fmac_f64_e32 v[132:133], v[130:131], v[106:107]
	s_wait_loadcnt 0x4
	s_delay_alu instid0(VALU_DEP_1) | instskip(SKIP_1) | instid1(VALU_DEP_1)
	v_fmac_f64_e32 v[132:133], v[98:99], v[108:109]
	s_wait_dscnt 0x0
	v_fmac_f64_e32 v[132:133], v[100:101], v[118:119]
	ds_load_b128 v[98:101], v2 offset:688
	ds_load_b128 v[106:109], v2 offset:704
	s_wait_loadcnt 0x3
	v_fmac_f64_e32 v[132:133], v[110:111], v[120:121]
	s_wait_dscnt 0x1
	s_delay_alu instid0(VALU_DEP_1) | instskip(SKIP_1) | instid1(VALU_DEP_1)
	v_fmac_f64_e32 v[132:133], v[112:113], v[98:99]
	s_wait_loadcnt 0x2
	v_fmac_f64_e32 v[132:133], v[102:103], v[100:101]
	ds_load_b128 v[98:101], v2 offset:720
	s_wait_dscnt 0x1
	v_fmac_f64_e32 v[132:133], v[104:105], v[106:107]
	s_wait_loadcnt 0x0
	s_delay_alu instid0(VALU_DEP_1) | instskip(SKIP_1) | instid1(VALU_DEP_1)
	v_fmac_f64_e32 v[132:133], v[114:115], v[108:109]
	s_wait_dscnt 0x0
	v_fmac_f64_e32 v[132:133], v[116:117], v[98:99]
	s_delay_alu instid0(VALU_DEP_1) | instskip(NEXT) | instid1(VALU_DEP_1)
	v_fmac_f64_e32 v[132:133], v[122:123], v[100:101]
	v_add_f64_e64 v[2:3], v[96:97], -v[132:133]
	scratch_store_b64 off, v[2:3], off offset:88
	s_wait_xcnt 0x0
	v_cmpx_lt_u32_e32 10, v0
	s_cbranch_execz .LBB45_265
; %bb.264:
	scratch_load_b64 v[2:3], off, off offset:80
	v_mov_b64_e32 v[96:97], 0
	scratch_store_b64 off, v[96:97], off offset:80
	s_wait_loadcnt 0x0
	ds_store_b64 v1, v[2:3]
.LBB45_265:
	s_wait_xcnt 0x0
	s_or_b32 exec_lo, exec_lo, s0
	s_wait_storecnt_dscnt 0x0
	s_barrier_signal -1
	s_barrier_wait -1
	s_clause 0x5
	scratch_load_b128 v[96:99], off, off offset:80
	scratch_load_b128 v[100:103], off, off offset:96
	;; [unrolled: 1-line block ×6, first 2 shown]
	v_mov_b32_e32 v2, 0
	ds_load_2addr_b64 v[120:123], v2 offset0:57 offset1:58
	ds_load_2addr_b64 v[124:127], v2 offset0:59 offset1:60
	scratch_load_b128 v[128:131], off, off offset:176
	s_mov_b32 s0, exec_lo
	s_wait_loadcnt_dscnt 0x601
	v_fma_f64 v[132:133], v[98:99], v[120:121], 0
	s_wait_loadcnt 0x5
	s_delay_alu instid0(VALU_DEP_1) | instskip(SKIP_4) | instid1(VALU_DEP_1)
	v_fmac_f64_e32 v[132:133], v[100:101], v[122:123]
	scratch_load_b128 v[98:101], off, off offset:192
	s_wait_dscnt 0x0
	v_fmac_f64_e32 v[132:133], v[102:103], v[124:125]
	s_wait_loadcnt 0x5
	v_fmac_f64_e32 v[132:133], v[104:105], v[126:127]
	ds_load_2addr_b64 v[102:105], v2 offset0:61 offset1:62
	ds_load_2addr_b64 v[120:123], v2 offset0:63 offset1:64
	scratch_load_b128 v[124:127], off, off offset:208
	s_wait_dscnt 0x1
	v_fmac_f64_e32 v[132:133], v[106:107], v[102:103]
	s_wait_loadcnt 0x5
	s_delay_alu instid0(VALU_DEP_1) | instskip(SKIP_4) | instid1(VALU_DEP_1)
	v_fmac_f64_e32 v[132:133], v[108:109], v[104:105]
	scratch_load_b128 v[102:105], off, off offset:224
	s_wait_dscnt 0x0
	v_fmac_f64_e32 v[132:133], v[110:111], v[120:121]
	s_wait_loadcnt 0x5
	v_fmac_f64_e32 v[132:133], v[112:113], v[122:123]
	ds_load_2addr_b64 v[106:109], v2 offset0:65 offset1:66
	ds_load_2addr_b64 v[110:113], v2 offset0:67 offset1:68
	scratch_load_b128 v[120:123], off, off offset:240
	s_wait_dscnt 0x1
	v_fmac_f64_e32 v[132:133], v[114:115], v[106:107]
	s_wait_loadcnt 0x5
	s_delay_alu instid0(VALU_DEP_1) | instskip(SKIP_4) | instid1(VALU_DEP_1)
	v_fmac_f64_e32 v[132:133], v[116:117], v[108:109]
	scratch_load_b128 v[106:109], off, off offset:256
	s_wait_dscnt 0x0
	v_fmac_f64_e32 v[132:133], v[118:119], v[110:111]
	s_wait_loadcnt 0x5
	v_fmac_f64_e32 v[132:133], v[128:129], v[112:113]
	ds_load_2addr_b64 v[110:113], v2 offset0:69 offset1:70
	ds_load_2addr_b64 v[114:117], v2 offset0:71 offset1:72
	s_wait_dscnt 0x1
	v_fmac_f64_e32 v[132:133], v[130:131], v[110:111]
	scratch_load_b128 v[128:131], off, off offset:272
	s_wait_loadcnt 0x5
	v_fmac_f64_e32 v[132:133], v[98:99], v[112:113]
	s_wait_dscnt 0x0
	s_delay_alu instid0(VALU_DEP_1)
	v_fmac_f64_e32 v[132:133], v[100:101], v[114:115]
	scratch_load_b128 v[98:101], off, off offset:288
	s_wait_loadcnt 0x5
	v_fmac_f64_e32 v[132:133], v[124:125], v[116:117]
	ds_load_2addr_b64 v[110:113], v2 offset0:73 offset1:74
	ds_load_2addr_b64 v[114:117], v2 offset0:75 offset1:76
	s_wait_dscnt 0x1
	v_fmac_f64_e32 v[132:133], v[126:127], v[110:111]
	s_wait_loadcnt 0x4
	s_delay_alu instid0(VALU_DEP_1)
	v_fmac_f64_e32 v[132:133], v[102:103], v[112:113]
	scratch_load_b128 v[110:113], off, off offset:304
	s_wait_dscnt 0x0
	v_fmac_f64_e32 v[132:133], v[104:105], v[114:115]
	scratch_load_b128 v[102:105], off, off offset:320
	s_wait_loadcnt 0x5
	v_fmac_f64_e32 v[132:133], v[120:121], v[116:117]
	ds_load_2addr_b64 v[114:117], v2 offset0:77 offset1:78
	ds_load_2addr_b64 v[118:121], v2 offset0:79 offset1:80
	s_wait_dscnt 0x1
	v_fmac_f64_e32 v[132:133], v[122:123], v[114:115]
	s_wait_loadcnt 0x4
	s_delay_alu instid0(VALU_DEP_1)
	v_fmac_f64_e32 v[132:133], v[106:107], v[116:117]
	scratch_load_b128 v[114:117], off, off offset:336
	s_wait_dscnt 0x0
	v_fmac_f64_e32 v[132:133], v[108:109], v[118:119]
	scratch_load_b128 v[106:109], off, off offset:352
	s_wait_loadcnt 0x5
	v_fmac_f64_e32 v[132:133], v[128:129], v[120:121]
	ds_load_2addr_b64 v[118:121], v2 offset0:81 offset1:82
	ds_load_2addr_b64 v[122:125], v2 offset0:83 offset1:84
	s_wait_dscnt 0x1
	v_fmac_f64_e32 v[132:133], v[130:131], v[118:119]
	s_wait_loadcnt 0x4
	s_delay_alu instid0(VALU_DEP_1) | instskip(SKIP_1) | instid1(VALU_DEP_1)
	v_fmac_f64_e32 v[132:133], v[98:99], v[120:121]
	s_wait_dscnt 0x0
	v_fmac_f64_e32 v[132:133], v[100:101], v[122:123]
	ds_load_2addr_b64 v[98:101], v2 offset0:85 offset1:86
	ds_load_2addr_b64 v[118:121], v2 offset0:87 offset1:88
	s_wait_loadcnt 0x3
	v_fmac_f64_e32 v[132:133], v[110:111], v[124:125]
	s_wait_dscnt 0x1
	s_delay_alu instid0(VALU_DEP_1) | instskip(SKIP_1) | instid1(VALU_DEP_1)
	v_fmac_f64_e32 v[132:133], v[112:113], v[98:99]
	s_wait_loadcnt 0x2
	v_fmac_f64_e32 v[132:133], v[102:103], v[100:101]
	ds_load_2addr_b64 v[98:101], v2 offset0:89 offset1:90
	ds_load_b64 v[102:103], v2 offset:728
	s_wait_dscnt 0x2
	v_fmac_f64_e32 v[132:133], v[104:105], v[118:119]
	s_wait_loadcnt 0x1
	s_delay_alu instid0(VALU_DEP_1) | instskip(SKIP_1) | instid1(VALU_DEP_1)
	v_fmac_f64_e32 v[132:133], v[114:115], v[120:121]
	s_wait_dscnt 0x1
	v_fmac_f64_e32 v[132:133], v[116:117], v[98:99]
	s_wait_loadcnt 0x0
	s_delay_alu instid0(VALU_DEP_1) | instskip(SKIP_1) | instid1(VALU_DEP_1)
	v_fmac_f64_e32 v[132:133], v[106:107], v[100:101]
	s_wait_dscnt 0x0
	v_fmac_f64_e32 v[132:133], v[108:109], v[102:103]
	s_delay_alu instid0(VALU_DEP_1)
	v_add_f64_e64 v[96:97], v[96:97], -v[132:133]
	scratch_store_b64 off, v[96:97], off offset:80
	s_wait_xcnt 0x0
	v_cmpx_lt_u32_e32 9, v0
	s_cbranch_execz .LBB45_267
; %bb.266:
	scratch_load_b64 v[96:97], off, off offset:72
	v_mov_b64_e32 v[98:99], 0
	scratch_store_b64 off, v[98:99], off offset:72
	s_wait_loadcnt 0x0
	ds_store_b64 v1, v[96:97]
.LBB45_267:
	s_wait_xcnt 0x0
	s_or_b32 exec_lo, exec_lo, s0
	s_wait_storecnt_dscnt 0x0
	s_barrier_signal -1
	s_barrier_wait -1
	s_clause 0x5
	scratch_load_b128 v[96:99], off, off offset:72
	scratch_load_b128 v[100:103], off, off offset:88
	;; [unrolled: 1-line block ×6, first 2 shown]
	ds_load_b128 v[120:123], v2 offset:448
	ds_load_b128 v[124:127], v2 offset:464
	scratch_load_b128 v[128:131], off, off offset:168
	s_mov_b32 s0, exec_lo
	s_wait_loadcnt_dscnt 0x601
	v_fma_f64 v[132:133], v[98:99], v[120:121], 0
	s_wait_loadcnt 0x5
	s_delay_alu instid0(VALU_DEP_1) | instskip(SKIP_4) | instid1(VALU_DEP_1)
	v_fmac_f64_e32 v[132:133], v[100:101], v[122:123]
	scratch_load_b128 v[98:101], off, off offset:184
	s_wait_dscnt 0x0
	v_fmac_f64_e32 v[132:133], v[102:103], v[124:125]
	s_wait_loadcnt 0x5
	v_fmac_f64_e32 v[132:133], v[104:105], v[126:127]
	ds_load_b128 v[102:105], v2 offset:480
	ds_load_b128 v[120:123], v2 offset:496
	scratch_load_b128 v[124:127], off, off offset:200
	s_wait_dscnt 0x1
	v_fmac_f64_e32 v[132:133], v[106:107], v[102:103]
	s_wait_loadcnt 0x5
	s_delay_alu instid0(VALU_DEP_1) | instskip(SKIP_4) | instid1(VALU_DEP_1)
	v_fmac_f64_e32 v[132:133], v[108:109], v[104:105]
	scratch_load_b128 v[102:105], off, off offset:216
	s_wait_dscnt 0x0
	v_fmac_f64_e32 v[132:133], v[110:111], v[120:121]
	s_wait_loadcnt 0x5
	v_fmac_f64_e32 v[132:133], v[112:113], v[122:123]
	ds_load_b128 v[106:109], v2 offset:512
	ds_load_b128 v[110:113], v2 offset:528
	scratch_load_b128 v[120:123], off, off offset:232
	s_wait_dscnt 0x1
	v_fmac_f64_e32 v[132:133], v[114:115], v[106:107]
	s_wait_loadcnt 0x5
	s_delay_alu instid0(VALU_DEP_1) | instskip(SKIP_4) | instid1(VALU_DEP_1)
	v_fmac_f64_e32 v[132:133], v[116:117], v[108:109]
	scratch_load_b128 v[106:109], off, off offset:248
	s_wait_dscnt 0x0
	v_fmac_f64_e32 v[132:133], v[118:119], v[110:111]
	s_wait_loadcnt 0x5
	v_fmac_f64_e32 v[132:133], v[128:129], v[112:113]
	ds_load_b128 v[110:113], v2 offset:544
	ds_load_b128 v[114:117], v2 offset:560
	s_wait_dscnt 0x1
	v_fmac_f64_e32 v[132:133], v[130:131], v[110:111]
	scratch_load_b128 v[128:131], off, off offset:264
	s_wait_loadcnt 0x5
	v_fmac_f64_e32 v[132:133], v[98:99], v[112:113]
	s_wait_dscnt 0x0
	s_delay_alu instid0(VALU_DEP_1)
	v_fmac_f64_e32 v[132:133], v[100:101], v[114:115]
	scratch_load_b128 v[98:101], off, off offset:280
	s_wait_loadcnt 0x5
	v_fmac_f64_e32 v[132:133], v[124:125], v[116:117]
	ds_load_b128 v[110:113], v2 offset:576
	ds_load_b128 v[114:117], v2 offset:592
	s_wait_dscnt 0x1
	v_fmac_f64_e32 v[132:133], v[126:127], v[110:111]
	s_wait_loadcnt 0x4
	s_delay_alu instid0(VALU_DEP_1)
	v_fmac_f64_e32 v[132:133], v[102:103], v[112:113]
	scratch_load_b128 v[110:113], off, off offset:296
	s_wait_dscnt 0x0
	v_fmac_f64_e32 v[132:133], v[104:105], v[114:115]
	scratch_load_b128 v[102:105], off, off offset:312
	s_wait_loadcnt 0x5
	v_fmac_f64_e32 v[132:133], v[120:121], v[116:117]
	ds_load_b128 v[114:117], v2 offset:608
	ds_load_b128 v[118:121], v2 offset:624
	s_wait_dscnt 0x1
	v_fmac_f64_e32 v[132:133], v[122:123], v[114:115]
	s_wait_loadcnt 0x4
	s_delay_alu instid0(VALU_DEP_1)
	v_fmac_f64_e32 v[132:133], v[106:107], v[116:117]
	scratch_load_b128 v[114:117], off, off offset:328
	s_wait_dscnt 0x0
	v_fmac_f64_e32 v[132:133], v[108:109], v[118:119]
	scratch_load_b128 v[106:109], off, off offset:344
	s_wait_loadcnt 0x5
	v_fmac_f64_e32 v[132:133], v[128:129], v[120:121]
	ds_load_b128 v[118:121], v2 offset:640
	ds_load_b128 v[122:125], v2 offset:656
	scratch_load_b64 v[126:127], off, off offset:360
	s_wait_dscnt 0x1
	v_fmac_f64_e32 v[132:133], v[130:131], v[118:119]
	s_wait_loadcnt 0x5
	s_delay_alu instid0(VALU_DEP_1) | instskip(SKIP_1) | instid1(VALU_DEP_1)
	v_fmac_f64_e32 v[132:133], v[98:99], v[120:121]
	s_wait_dscnt 0x0
	v_fmac_f64_e32 v[132:133], v[100:101], v[122:123]
	ds_load_b128 v[98:101], v2 offset:672
	ds_load_b128 v[118:121], v2 offset:688
	s_wait_loadcnt 0x4
	v_fmac_f64_e32 v[132:133], v[110:111], v[124:125]
	s_wait_dscnt 0x1
	s_delay_alu instid0(VALU_DEP_1) | instskip(SKIP_1) | instid1(VALU_DEP_1)
	v_fmac_f64_e32 v[132:133], v[112:113], v[98:99]
	s_wait_loadcnt 0x3
	v_fmac_f64_e32 v[132:133], v[102:103], v[100:101]
	s_wait_dscnt 0x0
	s_delay_alu instid0(VALU_DEP_1)
	v_fmac_f64_e32 v[132:133], v[104:105], v[118:119]
	ds_load_b128 v[98:101], v2 offset:704
	ds_load_b128 v[102:105], v2 offset:720
	s_wait_loadcnt 0x2
	v_fmac_f64_e32 v[132:133], v[114:115], v[120:121]
	s_wait_dscnt 0x1
	s_delay_alu instid0(VALU_DEP_1) | instskip(SKIP_1) | instid1(VALU_DEP_1)
	v_fmac_f64_e32 v[132:133], v[116:117], v[98:99]
	s_wait_loadcnt 0x1
	v_fmac_f64_e32 v[132:133], v[106:107], v[100:101]
	s_wait_dscnt 0x0
	s_delay_alu instid0(VALU_DEP_1) | instskip(SKIP_1) | instid1(VALU_DEP_1)
	v_fmac_f64_e32 v[132:133], v[108:109], v[102:103]
	s_wait_loadcnt 0x0
	v_fmac_f64_e32 v[132:133], v[126:127], v[104:105]
	s_delay_alu instid0(VALU_DEP_1)
	v_add_f64_e64 v[2:3], v[96:97], -v[132:133]
	scratch_store_b64 off, v[2:3], off offset:72
	s_wait_xcnt 0x0
	v_cmpx_lt_u32_e32 8, v0
	s_cbranch_execz .LBB45_269
; %bb.268:
	scratch_load_b64 v[2:3], off, off offset:64
	v_mov_b64_e32 v[96:97], 0
	scratch_store_b64 off, v[96:97], off offset:64
	s_wait_loadcnt 0x0
	ds_store_b64 v1, v[2:3]
.LBB45_269:
	s_wait_xcnt 0x0
	s_or_b32 exec_lo, exec_lo, s0
	s_wait_storecnt_dscnt 0x0
	s_barrier_signal -1
	s_barrier_wait -1
	s_clause 0x5
	scratch_load_b128 v[96:99], off, off offset:64
	scratch_load_b128 v[100:103], off, off offset:80
	;; [unrolled: 1-line block ×6, first 2 shown]
	v_mov_b32_e32 v2, 0
	ds_load_2addr_b64 v[120:123], v2 offset0:55 offset1:56
	ds_load_2addr_b64 v[124:127], v2 offset0:57 offset1:58
	scratch_load_b128 v[128:131], off, off offset:160
	s_mov_b32 s0, exec_lo
	s_wait_loadcnt_dscnt 0x601
	v_fma_f64 v[132:133], v[98:99], v[120:121], 0
	s_wait_loadcnt 0x5
	s_delay_alu instid0(VALU_DEP_1) | instskip(SKIP_4) | instid1(VALU_DEP_1)
	v_fmac_f64_e32 v[132:133], v[100:101], v[122:123]
	scratch_load_b128 v[98:101], off, off offset:176
	s_wait_dscnt 0x0
	v_fmac_f64_e32 v[132:133], v[102:103], v[124:125]
	s_wait_loadcnt 0x5
	v_fmac_f64_e32 v[132:133], v[104:105], v[126:127]
	ds_load_2addr_b64 v[102:105], v2 offset0:59 offset1:60
	ds_load_2addr_b64 v[120:123], v2 offset0:61 offset1:62
	scratch_load_b128 v[124:127], off, off offset:192
	s_wait_dscnt 0x1
	v_fmac_f64_e32 v[132:133], v[106:107], v[102:103]
	s_wait_loadcnt 0x5
	s_delay_alu instid0(VALU_DEP_1) | instskip(SKIP_4) | instid1(VALU_DEP_1)
	v_fmac_f64_e32 v[132:133], v[108:109], v[104:105]
	scratch_load_b128 v[102:105], off, off offset:208
	s_wait_dscnt 0x0
	v_fmac_f64_e32 v[132:133], v[110:111], v[120:121]
	s_wait_loadcnt 0x5
	v_fmac_f64_e32 v[132:133], v[112:113], v[122:123]
	ds_load_2addr_b64 v[106:109], v2 offset0:63 offset1:64
	ds_load_2addr_b64 v[110:113], v2 offset0:65 offset1:66
	scratch_load_b128 v[120:123], off, off offset:224
	s_wait_dscnt 0x1
	v_fmac_f64_e32 v[132:133], v[114:115], v[106:107]
	s_wait_loadcnt 0x5
	s_delay_alu instid0(VALU_DEP_1) | instskip(SKIP_4) | instid1(VALU_DEP_1)
	v_fmac_f64_e32 v[132:133], v[116:117], v[108:109]
	scratch_load_b128 v[106:109], off, off offset:240
	s_wait_dscnt 0x0
	v_fmac_f64_e32 v[132:133], v[118:119], v[110:111]
	s_wait_loadcnt 0x5
	v_fmac_f64_e32 v[132:133], v[128:129], v[112:113]
	ds_load_2addr_b64 v[110:113], v2 offset0:67 offset1:68
	ds_load_2addr_b64 v[114:117], v2 offset0:69 offset1:70
	s_wait_dscnt 0x1
	v_fmac_f64_e32 v[132:133], v[130:131], v[110:111]
	scratch_load_b128 v[128:131], off, off offset:256
	s_wait_loadcnt 0x5
	v_fmac_f64_e32 v[132:133], v[98:99], v[112:113]
	s_wait_dscnt 0x0
	s_delay_alu instid0(VALU_DEP_1)
	v_fmac_f64_e32 v[132:133], v[100:101], v[114:115]
	scratch_load_b128 v[98:101], off, off offset:272
	s_wait_loadcnt 0x5
	v_fmac_f64_e32 v[132:133], v[124:125], v[116:117]
	ds_load_2addr_b64 v[110:113], v2 offset0:71 offset1:72
	ds_load_2addr_b64 v[114:117], v2 offset0:73 offset1:74
	s_wait_dscnt 0x1
	v_fmac_f64_e32 v[132:133], v[126:127], v[110:111]
	s_wait_loadcnt 0x4
	s_delay_alu instid0(VALU_DEP_1)
	v_fmac_f64_e32 v[132:133], v[102:103], v[112:113]
	scratch_load_b128 v[110:113], off, off offset:288
	s_wait_dscnt 0x0
	v_fmac_f64_e32 v[132:133], v[104:105], v[114:115]
	scratch_load_b128 v[102:105], off, off offset:304
	s_wait_loadcnt 0x5
	v_fmac_f64_e32 v[132:133], v[120:121], v[116:117]
	ds_load_2addr_b64 v[114:117], v2 offset0:75 offset1:76
	ds_load_2addr_b64 v[118:121], v2 offset0:77 offset1:78
	s_wait_dscnt 0x1
	v_fmac_f64_e32 v[132:133], v[122:123], v[114:115]
	s_wait_loadcnt 0x4
	s_delay_alu instid0(VALU_DEP_1)
	v_fmac_f64_e32 v[132:133], v[106:107], v[116:117]
	scratch_load_b128 v[114:117], off, off offset:320
	s_wait_dscnt 0x0
	v_fmac_f64_e32 v[132:133], v[108:109], v[118:119]
	scratch_load_b128 v[106:109], off, off offset:336
	s_wait_loadcnt 0x5
	v_fmac_f64_e32 v[132:133], v[128:129], v[120:121]
	ds_load_2addr_b64 v[118:121], v2 offset0:79 offset1:80
	ds_load_2addr_b64 v[122:125], v2 offset0:81 offset1:82
	s_wait_dscnt 0x1
	v_fmac_f64_e32 v[132:133], v[130:131], v[118:119]
	s_wait_loadcnt 0x4
	s_delay_alu instid0(VALU_DEP_1) | instskip(SKIP_4) | instid1(VALU_DEP_1)
	v_fmac_f64_e32 v[132:133], v[98:99], v[120:121]
	scratch_load_b128 v[118:121], off, off offset:352
	s_wait_dscnt 0x0
	v_fmac_f64_e32 v[132:133], v[100:101], v[122:123]
	s_wait_loadcnt 0x4
	v_fmac_f64_e32 v[132:133], v[110:111], v[124:125]
	ds_load_2addr_b64 v[98:101], v2 offset0:83 offset1:84
	ds_load_2addr_b64 v[122:125], v2 offset0:85 offset1:86
	s_wait_dscnt 0x1
	v_fmac_f64_e32 v[132:133], v[112:113], v[98:99]
	s_wait_loadcnt 0x3
	s_delay_alu instid0(VALU_DEP_1) | instskip(SKIP_1) | instid1(VALU_DEP_1)
	v_fmac_f64_e32 v[132:133], v[102:103], v[100:101]
	s_wait_dscnt 0x0
	v_fmac_f64_e32 v[132:133], v[104:105], v[122:123]
	ds_load_2addr_b64 v[98:101], v2 offset0:87 offset1:88
	ds_load_2addr_b64 v[102:105], v2 offset0:89 offset1:90
	s_wait_loadcnt 0x2
	v_fmac_f64_e32 v[132:133], v[114:115], v[124:125]
	s_wait_dscnt 0x1
	s_delay_alu instid0(VALU_DEP_1) | instskip(SKIP_4) | instid1(VALU_DEP_1)
	v_fmac_f64_e32 v[132:133], v[116:117], v[98:99]
	ds_load_b64 v[98:99], v2 offset:728
	s_wait_loadcnt 0x1
	v_fmac_f64_e32 v[132:133], v[106:107], v[100:101]
	s_wait_dscnt 0x1
	v_fmac_f64_e32 v[132:133], v[108:109], v[102:103]
	s_wait_loadcnt 0x0
	s_delay_alu instid0(VALU_DEP_1) | instskip(SKIP_1) | instid1(VALU_DEP_1)
	v_fmac_f64_e32 v[132:133], v[118:119], v[104:105]
	s_wait_dscnt 0x0
	v_fmac_f64_e32 v[132:133], v[120:121], v[98:99]
	s_delay_alu instid0(VALU_DEP_1)
	v_add_f64_e64 v[96:97], v[96:97], -v[132:133]
	scratch_store_b64 off, v[96:97], off offset:64
	s_wait_xcnt 0x0
	v_cmpx_lt_u32_e32 7, v0
	s_cbranch_execz .LBB45_271
; %bb.270:
	scratch_load_b64 v[96:97], off, off offset:56
	v_mov_b64_e32 v[98:99], 0
	scratch_store_b64 off, v[98:99], off offset:56
	s_wait_loadcnt 0x0
	ds_store_b64 v1, v[96:97]
.LBB45_271:
	s_wait_xcnt 0x0
	s_or_b32 exec_lo, exec_lo, s0
	s_wait_storecnt_dscnt 0x0
	s_barrier_signal -1
	s_barrier_wait -1
	s_clause 0x5
	scratch_load_b128 v[96:99], off, off offset:56
	scratch_load_b128 v[100:103], off, off offset:72
	;; [unrolled: 1-line block ×6, first 2 shown]
	ds_load_b128 v[120:123], v2 offset:432
	ds_load_b128 v[124:127], v2 offset:448
	scratch_load_b128 v[128:131], off, off offset:152
	s_mov_b32 s0, exec_lo
	s_wait_loadcnt_dscnt 0x601
	v_fma_f64 v[132:133], v[98:99], v[120:121], 0
	s_wait_loadcnt 0x5
	s_delay_alu instid0(VALU_DEP_1) | instskip(SKIP_4) | instid1(VALU_DEP_1)
	v_fmac_f64_e32 v[132:133], v[100:101], v[122:123]
	scratch_load_b128 v[98:101], off, off offset:168
	s_wait_dscnt 0x0
	v_fmac_f64_e32 v[132:133], v[102:103], v[124:125]
	s_wait_loadcnt 0x5
	v_fmac_f64_e32 v[132:133], v[104:105], v[126:127]
	ds_load_b128 v[102:105], v2 offset:464
	ds_load_b128 v[120:123], v2 offset:480
	scratch_load_b128 v[124:127], off, off offset:184
	s_wait_dscnt 0x1
	v_fmac_f64_e32 v[132:133], v[106:107], v[102:103]
	s_wait_loadcnt 0x5
	s_delay_alu instid0(VALU_DEP_1) | instskip(SKIP_4) | instid1(VALU_DEP_1)
	v_fmac_f64_e32 v[132:133], v[108:109], v[104:105]
	scratch_load_b128 v[102:105], off, off offset:200
	s_wait_dscnt 0x0
	v_fmac_f64_e32 v[132:133], v[110:111], v[120:121]
	s_wait_loadcnt 0x5
	v_fmac_f64_e32 v[132:133], v[112:113], v[122:123]
	ds_load_b128 v[106:109], v2 offset:496
	ds_load_b128 v[110:113], v2 offset:512
	scratch_load_b128 v[120:123], off, off offset:216
	s_wait_dscnt 0x1
	v_fmac_f64_e32 v[132:133], v[114:115], v[106:107]
	s_wait_loadcnt 0x5
	s_delay_alu instid0(VALU_DEP_1) | instskip(SKIP_4) | instid1(VALU_DEP_1)
	v_fmac_f64_e32 v[132:133], v[116:117], v[108:109]
	scratch_load_b128 v[106:109], off, off offset:232
	s_wait_dscnt 0x0
	v_fmac_f64_e32 v[132:133], v[118:119], v[110:111]
	s_wait_loadcnt 0x5
	v_fmac_f64_e32 v[132:133], v[128:129], v[112:113]
	ds_load_b128 v[110:113], v2 offset:528
	ds_load_b128 v[114:117], v2 offset:544
	s_wait_dscnt 0x1
	v_fmac_f64_e32 v[132:133], v[130:131], v[110:111]
	scratch_load_b128 v[128:131], off, off offset:248
	s_wait_loadcnt 0x5
	v_fmac_f64_e32 v[132:133], v[98:99], v[112:113]
	s_wait_dscnt 0x0
	s_delay_alu instid0(VALU_DEP_1)
	v_fmac_f64_e32 v[132:133], v[100:101], v[114:115]
	scratch_load_b128 v[98:101], off, off offset:264
	s_wait_loadcnt 0x5
	v_fmac_f64_e32 v[132:133], v[124:125], v[116:117]
	ds_load_b128 v[110:113], v2 offset:560
	ds_load_b128 v[114:117], v2 offset:576
	s_wait_dscnt 0x1
	v_fmac_f64_e32 v[132:133], v[126:127], v[110:111]
	scratch_load_b128 v[124:127], off, off offset:280
	s_wait_loadcnt 0x5
	v_fmac_f64_e32 v[132:133], v[102:103], v[112:113]
	s_wait_dscnt 0x0
	s_delay_alu instid0(VALU_DEP_1)
	v_fmac_f64_e32 v[132:133], v[104:105], v[114:115]
	scratch_load_b128 v[102:105], off, off offset:296
	s_wait_loadcnt 0x5
	v_fmac_f64_e32 v[132:133], v[120:121], v[116:117]
	ds_load_b128 v[110:113], v2 offset:592
	ds_load_b128 v[114:117], v2 offset:608
	s_wait_dscnt 0x1
	v_fmac_f64_e32 v[132:133], v[122:123], v[110:111]
	s_wait_loadcnt 0x4
	s_delay_alu instid0(VALU_DEP_1)
	v_fmac_f64_e32 v[132:133], v[106:107], v[112:113]
	scratch_load_b128 v[110:113], off, off offset:312
	s_wait_dscnt 0x0
	v_fmac_f64_e32 v[132:133], v[108:109], v[114:115]
	scratch_load_b128 v[106:109], off, off offset:328
	s_wait_loadcnt 0x5
	v_fmac_f64_e32 v[132:133], v[128:129], v[116:117]
	ds_load_b128 v[114:117], v2 offset:624
	ds_load_b128 v[118:121], v2 offset:640
	scratch_load_b64 v[122:123], off, off offset:360
	s_wait_dscnt 0x1
	v_fmac_f64_e32 v[132:133], v[130:131], v[114:115]
	s_wait_loadcnt 0x5
	s_delay_alu instid0(VALU_DEP_1) | instskip(SKIP_4) | instid1(VALU_DEP_1)
	v_fmac_f64_e32 v[132:133], v[98:99], v[116:117]
	scratch_load_b128 v[114:117], off, off offset:344
	s_wait_dscnt 0x0
	v_fmac_f64_e32 v[132:133], v[100:101], v[118:119]
	s_wait_loadcnt 0x5
	v_fmac_f64_e32 v[132:133], v[124:125], v[120:121]
	ds_load_b128 v[98:101], v2 offset:656
	ds_load_b128 v[118:121], v2 offset:672
	s_wait_dscnt 0x1
	v_fmac_f64_e32 v[132:133], v[126:127], v[98:99]
	s_wait_loadcnt 0x4
	s_delay_alu instid0(VALU_DEP_1) | instskip(SKIP_1) | instid1(VALU_DEP_1)
	v_fmac_f64_e32 v[132:133], v[102:103], v[100:101]
	s_wait_dscnt 0x0
	v_fmac_f64_e32 v[132:133], v[104:105], v[118:119]
	ds_load_b128 v[98:101], v2 offset:688
	ds_load_b128 v[102:105], v2 offset:704
	s_wait_loadcnt 0x3
	v_fmac_f64_e32 v[132:133], v[110:111], v[120:121]
	s_wait_dscnt 0x1
	s_delay_alu instid0(VALU_DEP_1) | instskip(SKIP_1) | instid1(VALU_DEP_1)
	v_fmac_f64_e32 v[132:133], v[112:113], v[98:99]
	s_wait_loadcnt 0x2
	v_fmac_f64_e32 v[132:133], v[106:107], v[100:101]
	ds_load_b128 v[98:101], v2 offset:720
	s_wait_dscnt 0x1
	v_fmac_f64_e32 v[132:133], v[108:109], v[102:103]
	s_wait_loadcnt 0x0
	s_delay_alu instid0(VALU_DEP_1) | instskip(SKIP_1) | instid1(VALU_DEP_1)
	v_fmac_f64_e32 v[132:133], v[114:115], v[104:105]
	s_wait_dscnt 0x0
	v_fmac_f64_e32 v[132:133], v[116:117], v[98:99]
	s_delay_alu instid0(VALU_DEP_1) | instskip(NEXT) | instid1(VALU_DEP_1)
	v_fmac_f64_e32 v[132:133], v[122:123], v[100:101]
	v_add_f64_e64 v[2:3], v[96:97], -v[132:133]
	scratch_store_b64 off, v[2:3], off offset:56
	s_wait_xcnt 0x0
	v_cmpx_lt_u32_e32 6, v0
	s_cbranch_execz .LBB45_273
; %bb.272:
	scratch_load_b64 v[2:3], off, off offset:48
	v_mov_b64_e32 v[96:97], 0
	scratch_store_b64 off, v[96:97], off offset:48
	s_wait_loadcnt 0x0
	ds_store_b64 v1, v[2:3]
.LBB45_273:
	s_wait_xcnt 0x0
	s_or_b32 exec_lo, exec_lo, s0
	s_wait_storecnt_dscnt 0x0
	s_barrier_signal -1
	s_barrier_wait -1
	s_clause 0x5
	scratch_load_b128 v[96:99], off, off offset:48
	scratch_load_b128 v[100:103], off, off offset:64
	;; [unrolled: 1-line block ×6, first 2 shown]
	v_mov_b32_e32 v2, 0
	ds_load_2addr_b64 v[120:123], v2 offset0:53 offset1:54
	ds_load_2addr_b64 v[124:127], v2 offset0:55 offset1:56
	scratch_load_b128 v[128:131], off, off offset:144
	s_mov_b32 s0, exec_lo
	s_wait_loadcnt_dscnt 0x601
	v_fma_f64 v[132:133], v[98:99], v[120:121], 0
	s_wait_loadcnt 0x5
	s_delay_alu instid0(VALU_DEP_1) | instskip(SKIP_4) | instid1(VALU_DEP_1)
	v_fmac_f64_e32 v[132:133], v[100:101], v[122:123]
	scratch_load_b128 v[98:101], off, off offset:160
	s_wait_dscnt 0x0
	v_fmac_f64_e32 v[132:133], v[102:103], v[124:125]
	s_wait_loadcnt 0x5
	v_fmac_f64_e32 v[132:133], v[104:105], v[126:127]
	ds_load_2addr_b64 v[102:105], v2 offset0:57 offset1:58
	ds_load_2addr_b64 v[120:123], v2 offset0:59 offset1:60
	scratch_load_b128 v[124:127], off, off offset:176
	s_wait_dscnt 0x1
	v_fmac_f64_e32 v[132:133], v[106:107], v[102:103]
	s_wait_loadcnt 0x5
	s_delay_alu instid0(VALU_DEP_1) | instskip(SKIP_4) | instid1(VALU_DEP_1)
	v_fmac_f64_e32 v[132:133], v[108:109], v[104:105]
	scratch_load_b128 v[102:105], off, off offset:192
	s_wait_dscnt 0x0
	v_fmac_f64_e32 v[132:133], v[110:111], v[120:121]
	s_wait_loadcnt 0x5
	v_fmac_f64_e32 v[132:133], v[112:113], v[122:123]
	ds_load_2addr_b64 v[106:109], v2 offset0:61 offset1:62
	ds_load_2addr_b64 v[110:113], v2 offset0:63 offset1:64
	scratch_load_b128 v[120:123], off, off offset:208
	s_wait_dscnt 0x1
	v_fmac_f64_e32 v[132:133], v[114:115], v[106:107]
	s_wait_loadcnt 0x5
	s_delay_alu instid0(VALU_DEP_1) | instskip(SKIP_4) | instid1(VALU_DEP_1)
	v_fmac_f64_e32 v[132:133], v[116:117], v[108:109]
	scratch_load_b128 v[106:109], off, off offset:224
	s_wait_dscnt 0x0
	v_fmac_f64_e32 v[132:133], v[118:119], v[110:111]
	s_wait_loadcnt 0x5
	v_fmac_f64_e32 v[132:133], v[128:129], v[112:113]
	ds_load_2addr_b64 v[110:113], v2 offset0:65 offset1:66
	ds_load_2addr_b64 v[114:117], v2 offset0:67 offset1:68
	s_wait_dscnt 0x1
	v_fmac_f64_e32 v[132:133], v[130:131], v[110:111]
	scratch_load_b128 v[128:131], off, off offset:240
	s_wait_loadcnt 0x5
	v_fmac_f64_e32 v[132:133], v[98:99], v[112:113]
	s_wait_dscnt 0x0
	s_delay_alu instid0(VALU_DEP_1)
	v_fmac_f64_e32 v[132:133], v[100:101], v[114:115]
	scratch_load_b128 v[98:101], off, off offset:256
	s_wait_loadcnt 0x5
	v_fmac_f64_e32 v[132:133], v[124:125], v[116:117]
	ds_load_2addr_b64 v[110:113], v2 offset0:69 offset1:70
	ds_load_2addr_b64 v[114:117], v2 offset0:71 offset1:72
	s_wait_dscnt 0x1
	v_fmac_f64_e32 v[132:133], v[126:127], v[110:111]
	scratch_load_b128 v[124:127], off, off offset:272
	s_wait_loadcnt 0x5
	v_fmac_f64_e32 v[132:133], v[102:103], v[112:113]
	s_wait_dscnt 0x0
	s_delay_alu instid0(VALU_DEP_1)
	v_fmac_f64_e32 v[132:133], v[104:105], v[114:115]
	scratch_load_b128 v[102:105], off, off offset:288
	s_wait_loadcnt 0x5
	v_fmac_f64_e32 v[132:133], v[120:121], v[116:117]
	ds_load_2addr_b64 v[110:113], v2 offset0:73 offset1:74
	ds_load_2addr_b64 v[114:117], v2 offset0:75 offset1:76
	s_wait_dscnt 0x1
	v_fmac_f64_e32 v[132:133], v[122:123], v[110:111]
	s_wait_loadcnt 0x4
	s_delay_alu instid0(VALU_DEP_1)
	v_fmac_f64_e32 v[132:133], v[106:107], v[112:113]
	scratch_load_b128 v[110:113], off, off offset:304
	s_wait_dscnt 0x0
	v_fmac_f64_e32 v[132:133], v[108:109], v[114:115]
	scratch_load_b128 v[106:109], off, off offset:320
	s_wait_loadcnt 0x5
	v_fmac_f64_e32 v[132:133], v[128:129], v[116:117]
	ds_load_2addr_b64 v[114:117], v2 offset0:77 offset1:78
	ds_load_2addr_b64 v[118:121], v2 offset0:79 offset1:80
	s_wait_dscnt 0x1
	v_fmac_f64_e32 v[132:133], v[130:131], v[114:115]
	s_wait_loadcnt 0x4
	s_delay_alu instid0(VALU_DEP_1)
	v_fmac_f64_e32 v[132:133], v[98:99], v[116:117]
	scratch_load_b128 v[114:117], off, off offset:336
	s_wait_dscnt 0x0
	v_fmac_f64_e32 v[132:133], v[100:101], v[118:119]
	scratch_load_b128 v[98:101], off, off offset:352
	s_wait_loadcnt 0x5
	v_fmac_f64_e32 v[132:133], v[124:125], v[120:121]
	ds_load_2addr_b64 v[118:121], v2 offset0:81 offset1:82
	ds_load_2addr_b64 v[122:125], v2 offset0:83 offset1:84
	s_wait_dscnt 0x1
	v_fmac_f64_e32 v[132:133], v[126:127], v[118:119]
	s_wait_loadcnt 0x4
	s_delay_alu instid0(VALU_DEP_1) | instskip(SKIP_1) | instid1(VALU_DEP_1)
	v_fmac_f64_e32 v[132:133], v[102:103], v[120:121]
	s_wait_dscnt 0x0
	v_fmac_f64_e32 v[132:133], v[104:105], v[122:123]
	ds_load_2addr_b64 v[102:105], v2 offset0:85 offset1:86
	ds_load_2addr_b64 v[118:121], v2 offset0:87 offset1:88
	s_wait_loadcnt 0x3
	v_fmac_f64_e32 v[132:133], v[110:111], v[124:125]
	s_wait_dscnt 0x1
	s_delay_alu instid0(VALU_DEP_1) | instskip(SKIP_1) | instid1(VALU_DEP_1)
	v_fmac_f64_e32 v[132:133], v[112:113], v[102:103]
	s_wait_loadcnt 0x2
	v_fmac_f64_e32 v[132:133], v[106:107], v[104:105]
	ds_load_2addr_b64 v[102:105], v2 offset0:89 offset1:90
	ds_load_b64 v[106:107], v2 offset:728
	s_wait_dscnt 0x2
	v_fmac_f64_e32 v[132:133], v[108:109], v[118:119]
	s_wait_loadcnt 0x1
	s_delay_alu instid0(VALU_DEP_1) | instskip(SKIP_1) | instid1(VALU_DEP_1)
	v_fmac_f64_e32 v[132:133], v[114:115], v[120:121]
	s_wait_dscnt 0x1
	v_fmac_f64_e32 v[132:133], v[116:117], v[102:103]
	s_wait_loadcnt 0x0
	s_delay_alu instid0(VALU_DEP_1) | instskip(SKIP_1) | instid1(VALU_DEP_1)
	v_fmac_f64_e32 v[132:133], v[98:99], v[104:105]
	s_wait_dscnt 0x0
	v_fmac_f64_e32 v[132:133], v[100:101], v[106:107]
	s_delay_alu instid0(VALU_DEP_1)
	v_add_f64_e64 v[96:97], v[96:97], -v[132:133]
	scratch_store_b64 off, v[96:97], off offset:48
	s_wait_xcnt 0x0
	v_cmpx_lt_u32_e32 5, v0
	s_cbranch_execz .LBB45_275
; %bb.274:
	scratch_load_b64 v[96:97], off, off offset:40
	v_mov_b64_e32 v[98:99], 0
	scratch_store_b64 off, v[98:99], off offset:40
	s_wait_loadcnt 0x0
	ds_store_b64 v1, v[96:97]
.LBB45_275:
	s_wait_xcnt 0x0
	s_or_b32 exec_lo, exec_lo, s0
	s_wait_storecnt_dscnt 0x0
	s_barrier_signal -1
	s_barrier_wait -1
	s_clause 0x5
	scratch_load_b128 v[96:99], off, off offset:40
	scratch_load_b128 v[100:103], off, off offset:56
	;; [unrolled: 1-line block ×6, first 2 shown]
	ds_load_b128 v[120:123], v2 offset:416
	ds_load_b128 v[124:127], v2 offset:432
	scratch_load_b128 v[128:131], off, off offset:136
	s_mov_b32 s0, exec_lo
	s_wait_loadcnt_dscnt 0x601
	v_fma_f64 v[132:133], v[98:99], v[120:121], 0
	s_wait_loadcnt 0x5
	s_delay_alu instid0(VALU_DEP_1) | instskip(SKIP_4) | instid1(VALU_DEP_1)
	v_fmac_f64_e32 v[132:133], v[100:101], v[122:123]
	scratch_load_b128 v[98:101], off, off offset:152
	s_wait_dscnt 0x0
	v_fmac_f64_e32 v[132:133], v[102:103], v[124:125]
	s_wait_loadcnt 0x5
	v_fmac_f64_e32 v[132:133], v[104:105], v[126:127]
	ds_load_b128 v[102:105], v2 offset:448
	ds_load_b128 v[120:123], v2 offset:464
	scratch_load_b128 v[124:127], off, off offset:168
	s_wait_dscnt 0x1
	v_fmac_f64_e32 v[132:133], v[106:107], v[102:103]
	s_wait_loadcnt 0x5
	s_delay_alu instid0(VALU_DEP_1) | instskip(SKIP_4) | instid1(VALU_DEP_1)
	v_fmac_f64_e32 v[132:133], v[108:109], v[104:105]
	scratch_load_b128 v[102:105], off, off offset:184
	s_wait_dscnt 0x0
	v_fmac_f64_e32 v[132:133], v[110:111], v[120:121]
	s_wait_loadcnt 0x5
	v_fmac_f64_e32 v[132:133], v[112:113], v[122:123]
	ds_load_b128 v[106:109], v2 offset:480
	ds_load_b128 v[110:113], v2 offset:496
	scratch_load_b128 v[120:123], off, off offset:200
	s_wait_dscnt 0x1
	v_fmac_f64_e32 v[132:133], v[114:115], v[106:107]
	s_wait_loadcnt 0x5
	s_delay_alu instid0(VALU_DEP_1) | instskip(SKIP_4) | instid1(VALU_DEP_1)
	v_fmac_f64_e32 v[132:133], v[116:117], v[108:109]
	scratch_load_b128 v[106:109], off, off offset:216
	s_wait_dscnt 0x0
	v_fmac_f64_e32 v[132:133], v[118:119], v[110:111]
	s_wait_loadcnt 0x5
	v_fmac_f64_e32 v[132:133], v[128:129], v[112:113]
	ds_load_b128 v[110:113], v2 offset:512
	ds_load_b128 v[114:117], v2 offset:528
	s_wait_dscnt 0x1
	v_fmac_f64_e32 v[132:133], v[130:131], v[110:111]
	scratch_load_b128 v[128:131], off, off offset:232
	s_wait_loadcnt 0x5
	v_fmac_f64_e32 v[132:133], v[98:99], v[112:113]
	s_wait_dscnt 0x0
	s_delay_alu instid0(VALU_DEP_1)
	v_fmac_f64_e32 v[132:133], v[100:101], v[114:115]
	scratch_load_b128 v[98:101], off, off offset:248
	s_wait_loadcnt 0x5
	v_fmac_f64_e32 v[132:133], v[124:125], v[116:117]
	ds_load_b128 v[110:113], v2 offset:544
	ds_load_b128 v[114:117], v2 offset:560
	s_wait_dscnt 0x1
	v_fmac_f64_e32 v[132:133], v[126:127], v[110:111]
	scratch_load_b128 v[124:127], off, off offset:264
	s_wait_loadcnt 0x5
	v_fmac_f64_e32 v[132:133], v[102:103], v[112:113]
	s_wait_dscnt 0x0
	s_delay_alu instid0(VALU_DEP_1)
	v_fmac_f64_e32 v[132:133], v[104:105], v[114:115]
	scratch_load_b128 v[102:105], off, off offset:280
	s_wait_loadcnt 0x5
	v_fmac_f64_e32 v[132:133], v[120:121], v[116:117]
	ds_load_b128 v[110:113], v2 offset:576
	ds_load_b128 v[114:117], v2 offset:592
	s_wait_dscnt 0x1
	v_fmac_f64_e32 v[132:133], v[122:123], v[110:111]
	s_wait_loadcnt 0x4
	s_delay_alu instid0(VALU_DEP_1)
	v_fmac_f64_e32 v[132:133], v[106:107], v[112:113]
	scratch_load_b128 v[110:113], off, off offset:296
	s_wait_dscnt 0x0
	v_fmac_f64_e32 v[132:133], v[108:109], v[114:115]
	scratch_load_b128 v[106:109], off, off offset:312
	s_wait_loadcnt 0x5
	v_fmac_f64_e32 v[132:133], v[128:129], v[116:117]
	ds_load_b128 v[114:117], v2 offset:608
	ds_load_b128 v[118:121], v2 offset:624
	s_wait_dscnt 0x1
	v_fmac_f64_e32 v[132:133], v[130:131], v[114:115]
	s_wait_loadcnt 0x4
	s_delay_alu instid0(VALU_DEP_1)
	v_fmac_f64_e32 v[132:133], v[98:99], v[116:117]
	scratch_load_b128 v[114:117], off, off offset:328
	s_wait_dscnt 0x0
	v_fmac_f64_e32 v[132:133], v[100:101], v[118:119]
	scratch_load_b128 v[98:101], off, off offset:344
	s_wait_loadcnt 0x5
	v_fmac_f64_e32 v[132:133], v[124:125], v[120:121]
	ds_load_b128 v[118:121], v2 offset:640
	ds_load_b128 v[122:125], v2 offset:656
	s_wait_dscnt 0x1
	v_fmac_f64_e32 v[132:133], v[126:127], v[118:119]
	scratch_load_b64 v[126:127], off, off offset:360
	s_wait_loadcnt 0x5
	v_fmac_f64_e32 v[132:133], v[102:103], v[120:121]
	s_wait_dscnt 0x0
	s_delay_alu instid0(VALU_DEP_1)
	v_fmac_f64_e32 v[132:133], v[104:105], v[122:123]
	ds_load_b128 v[102:105], v2 offset:672
	ds_load_b128 v[118:121], v2 offset:688
	s_wait_loadcnt 0x4
	v_fmac_f64_e32 v[132:133], v[110:111], v[124:125]
	s_wait_dscnt 0x1
	s_delay_alu instid0(VALU_DEP_1) | instskip(SKIP_1) | instid1(VALU_DEP_1)
	v_fmac_f64_e32 v[132:133], v[112:113], v[102:103]
	s_wait_loadcnt 0x3
	v_fmac_f64_e32 v[132:133], v[106:107], v[104:105]
	s_wait_dscnt 0x0
	s_delay_alu instid0(VALU_DEP_1)
	v_fmac_f64_e32 v[132:133], v[108:109], v[118:119]
	ds_load_b128 v[102:105], v2 offset:704
	ds_load_b128 v[106:109], v2 offset:720
	s_wait_loadcnt 0x2
	v_fmac_f64_e32 v[132:133], v[114:115], v[120:121]
	s_wait_dscnt 0x1
	s_delay_alu instid0(VALU_DEP_1) | instskip(SKIP_1) | instid1(VALU_DEP_1)
	v_fmac_f64_e32 v[132:133], v[116:117], v[102:103]
	s_wait_loadcnt 0x1
	v_fmac_f64_e32 v[132:133], v[98:99], v[104:105]
	s_wait_dscnt 0x0
	s_delay_alu instid0(VALU_DEP_1) | instskip(SKIP_1) | instid1(VALU_DEP_1)
	v_fmac_f64_e32 v[132:133], v[100:101], v[106:107]
	s_wait_loadcnt 0x0
	v_fmac_f64_e32 v[132:133], v[126:127], v[108:109]
	s_delay_alu instid0(VALU_DEP_1)
	v_add_f64_e64 v[2:3], v[96:97], -v[132:133]
	scratch_store_b64 off, v[2:3], off offset:40
	s_wait_xcnt 0x0
	v_cmpx_lt_u32_e32 4, v0
	s_cbranch_execz .LBB45_277
; %bb.276:
	scratch_load_b64 v[2:3], off, off offset:32
	v_mov_b64_e32 v[96:97], 0
	scratch_store_b64 off, v[96:97], off offset:32
	s_wait_loadcnt 0x0
	ds_store_b64 v1, v[2:3]
.LBB45_277:
	s_wait_xcnt 0x0
	s_or_b32 exec_lo, exec_lo, s0
	s_wait_storecnt_dscnt 0x0
	s_barrier_signal -1
	s_barrier_wait -1
	s_clause 0x5
	scratch_load_b128 v[96:99], off, off offset:32
	scratch_load_b128 v[100:103], off, off offset:48
	scratch_load_b128 v[104:107], off, off offset:64
	scratch_load_b128 v[108:111], off, off offset:80
	scratch_load_b128 v[112:115], off, off offset:96
	scratch_load_b128 v[116:119], off, off offset:112
	v_mov_b32_e32 v2, 0
	ds_load_2addr_b64 v[120:123], v2 offset0:51 offset1:52
	ds_load_2addr_b64 v[124:127], v2 offset0:53 offset1:54
	scratch_load_b128 v[128:131], off, off offset:128
	s_mov_b32 s0, exec_lo
	s_wait_loadcnt_dscnt 0x601
	v_fma_f64 v[132:133], v[98:99], v[120:121], 0
	s_wait_loadcnt 0x5
	s_delay_alu instid0(VALU_DEP_1) | instskip(SKIP_4) | instid1(VALU_DEP_1)
	v_fmac_f64_e32 v[132:133], v[100:101], v[122:123]
	scratch_load_b128 v[98:101], off, off offset:144
	s_wait_dscnt 0x0
	v_fmac_f64_e32 v[132:133], v[102:103], v[124:125]
	s_wait_loadcnt 0x5
	v_fmac_f64_e32 v[132:133], v[104:105], v[126:127]
	ds_load_2addr_b64 v[102:105], v2 offset0:55 offset1:56
	ds_load_2addr_b64 v[120:123], v2 offset0:57 offset1:58
	scratch_load_b128 v[124:127], off, off offset:160
	s_wait_dscnt 0x1
	v_fmac_f64_e32 v[132:133], v[106:107], v[102:103]
	s_wait_loadcnt 0x5
	s_delay_alu instid0(VALU_DEP_1) | instskip(SKIP_4) | instid1(VALU_DEP_1)
	v_fmac_f64_e32 v[132:133], v[108:109], v[104:105]
	scratch_load_b128 v[102:105], off, off offset:176
	s_wait_dscnt 0x0
	v_fmac_f64_e32 v[132:133], v[110:111], v[120:121]
	s_wait_loadcnt 0x5
	v_fmac_f64_e32 v[132:133], v[112:113], v[122:123]
	ds_load_2addr_b64 v[106:109], v2 offset0:59 offset1:60
	ds_load_2addr_b64 v[110:113], v2 offset0:61 offset1:62
	scratch_load_b128 v[120:123], off, off offset:192
	s_wait_dscnt 0x1
	v_fmac_f64_e32 v[132:133], v[114:115], v[106:107]
	s_wait_loadcnt 0x5
	s_delay_alu instid0(VALU_DEP_1) | instskip(SKIP_4) | instid1(VALU_DEP_1)
	v_fmac_f64_e32 v[132:133], v[116:117], v[108:109]
	scratch_load_b128 v[106:109], off, off offset:208
	s_wait_dscnt 0x0
	v_fmac_f64_e32 v[132:133], v[118:119], v[110:111]
	s_wait_loadcnt 0x5
	v_fmac_f64_e32 v[132:133], v[128:129], v[112:113]
	ds_load_2addr_b64 v[110:113], v2 offset0:63 offset1:64
	ds_load_2addr_b64 v[114:117], v2 offset0:65 offset1:66
	s_wait_dscnt 0x1
	v_fmac_f64_e32 v[132:133], v[130:131], v[110:111]
	scratch_load_b128 v[128:131], off, off offset:224
	s_wait_loadcnt 0x5
	v_fmac_f64_e32 v[132:133], v[98:99], v[112:113]
	s_wait_dscnt 0x0
	s_delay_alu instid0(VALU_DEP_1)
	v_fmac_f64_e32 v[132:133], v[100:101], v[114:115]
	scratch_load_b128 v[98:101], off, off offset:240
	s_wait_loadcnt 0x5
	v_fmac_f64_e32 v[132:133], v[124:125], v[116:117]
	ds_load_2addr_b64 v[110:113], v2 offset0:67 offset1:68
	ds_load_2addr_b64 v[114:117], v2 offset0:69 offset1:70
	s_wait_dscnt 0x1
	v_fmac_f64_e32 v[132:133], v[126:127], v[110:111]
	scratch_load_b128 v[124:127], off, off offset:256
	s_wait_loadcnt 0x5
	v_fmac_f64_e32 v[132:133], v[102:103], v[112:113]
	s_wait_dscnt 0x0
	s_delay_alu instid0(VALU_DEP_1)
	v_fmac_f64_e32 v[132:133], v[104:105], v[114:115]
	scratch_load_b128 v[102:105], off, off offset:272
	s_wait_loadcnt 0x5
	v_fmac_f64_e32 v[132:133], v[120:121], v[116:117]
	ds_load_2addr_b64 v[110:113], v2 offset0:71 offset1:72
	ds_load_2addr_b64 v[114:117], v2 offset0:73 offset1:74
	s_wait_dscnt 0x1
	v_fmac_f64_e32 v[132:133], v[122:123], v[110:111]
	s_wait_loadcnt 0x4
	s_delay_alu instid0(VALU_DEP_1)
	v_fmac_f64_e32 v[132:133], v[106:107], v[112:113]
	scratch_load_b128 v[110:113], off, off offset:288
	s_wait_dscnt 0x0
	v_fmac_f64_e32 v[132:133], v[108:109], v[114:115]
	scratch_load_b128 v[106:109], off, off offset:304
	s_wait_loadcnt 0x5
	v_fmac_f64_e32 v[132:133], v[128:129], v[116:117]
	ds_load_2addr_b64 v[114:117], v2 offset0:75 offset1:76
	ds_load_2addr_b64 v[118:121], v2 offset0:77 offset1:78
	s_wait_dscnt 0x1
	v_fmac_f64_e32 v[132:133], v[130:131], v[114:115]
	s_wait_loadcnt 0x4
	s_delay_alu instid0(VALU_DEP_1)
	v_fmac_f64_e32 v[132:133], v[98:99], v[116:117]
	scratch_load_b128 v[114:117], off, off offset:320
	s_wait_dscnt 0x0
	v_fmac_f64_e32 v[132:133], v[100:101], v[118:119]
	scratch_load_b128 v[98:101], off, off offset:336
	s_wait_loadcnt 0x5
	v_fmac_f64_e32 v[132:133], v[124:125], v[120:121]
	ds_load_2addr_b64 v[118:121], v2 offset0:79 offset1:80
	ds_load_2addr_b64 v[122:125], v2 offset0:81 offset1:82
	s_wait_dscnt 0x1
	v_fmac_f64_e32 v[132:133], v[126:127], v[118:119]
	s_wait_loadcnt 0x4
	s_delay_alu instid0(VALU_DEP_1) | instskip(SKIP_4) | instid1(VALU_DEP_1)
	v_fmac_f64_e32 v[132:133], v[102:103], v[120:121]
	scratch_load_b128 v[118:121], off, off offset:352
	s_wait_dscnt 0x0
	v_fmac_f64_e32 v[132:133], v[104:105], v[122:123]
	s_wait_loadcnt 0x4
	v_fmac_f64_e32 v[132:133], v[110:111], v[124:125]
	ds_load_2addr_b64 v[102:105], v2 offset0:83 offset1:84
	ds_load_2addr_b64 v[122:125], v2 offset0:85 offset1:86
	s_wait_dscnt 0x1
	v_fmac_f64_e32 v[132:133], v[112:113], v[102:103]
	s_wait_loadcnt 0x3
	s_delay_alu instid0(VALU_DEP_1) | instskip(SKIP_1) | instid1(VALU_DEP_1)
	v_fmac_f64_e32 v[132:133], v[106:107], v[104:105]
	s_wait_dscnt 0x0
	v_fmac_f64_e32 v[132:133], v[108:109], v[122:123]
	ds_load_2addr_b64 v[102:105], v2 offset0:87 offset1:88
	ds_load_2addr_b64 v[106:109], v2 offset0:89 offset1:90
	s_wait_loadcnt 0x2
	v_fmac_f64_e32 v[132:133], v[114:115], v[124:125]
	s_wait_dscnt 0x1
	s_delay_alu instid0(VALU_DEP_1) | instskip(SKIP_1) | instid1(VALU_DEP_1)
	v_fmac_f64_e32 v[132:133], v[116:117], v[102:103]
	s_wait_loadcnt 0x1
	v_fmac_f64_e32 v[132:133], v[98:99], v[104:105]
	ds_load_b64 v[98:99], v2 offset:728
	s_wait_dscnt 0x1
	v_fmac_f64_e32 v[132:133], v[100:101], v[106:107]
	s_wait_loadcnt 0x0
	s_delay_alu instid0(VALU_DEP_1) | instskip(SKIP_1) | instid1(VALU_DEP_1)
	v_fmac_f64_e32 v[132:133], v[118:119], v[108:109]
	s_wait_dscnt 0x0
	v_fmac_f64_e32 v[132:133], v[120:121], v[98:99]
	s_delay_alu instid0(VALU_DEP_1)
	v_add_f64_e64 v[96:97], v[96:97], -v[132:133]
	scratch_store_b64 off, v[96:97], off offset:32
	s_wait_xcnt 0x0
	v_cmpx_lt_u32_e32 3, v0
	s_cbranch_execz .LBB45_279
; %bb.278:
	scratch_load_b64 v[96:97], off, off offset:24
	v_mov_b64_e32 v[98:99], 0
	scratch_store_b64 off, v[98:99], off offset:24
	s_wait_loadcnt 0x0
	ds_store_b64 v1, v[96:97]
.LBB45_279:
	s_wait_xcnt 0x0
	s_or_b32 exec_lo, exec_lo, s0
	s_wait_storecnt_dscnt 0x0
	s_barrier_signal -1
	s_barrier_wait -1
	s_clause 0x5
	scratch_load_b128 v[96:99], off, off offset:24
	scratch_load_b128 v[100:103], off, off offset:40
	;; [unrolled: 1-line block ×6, first 2 shown]
	ds_load_b128 v[120:123], v2 offset:400
	ds_load_b128 v[124:127], v2 offset:416
	scratch_load_b128 v[128:131], off, off offset:120
	s_mov_b32 s0, exec_lo
	s_wait_loadcnt_dscnt 0x601
	v_fma_f64 v[132:133], v[98:99], v[120:121], 0
	s_wait_loadcnt 0x5
	s_delay_alu instid0(VALU_DEP_1) | instskip(SKIP_4) | instid1(VALU_DEP_1)
	v_fmac_f64_e32 v[132:133], v[100:101], v[122:123]
	scratch_load_b128 v[98:101], off, off offset:136
	s_wait_dscnt 0x0
	v_fmac_f64_e32 v[132:133], v[102:103], v[124:125]
	s_wait_loadcnt 0x5
	v_fmac_f64_e32 v[132:133], v[104:105], v[126:127]
	ds_load_b128 v[102:105], v2 offset:432
	ds_load_b128 v[120:123], v2 offset:448
	scratch_load_b128 v[124:127], off, off offset:152
	s_wait_dscnt 0x1
	v_fmac_f64_e32 v[132:133], v[106:107], v[102:103]
	s_wait_loadcnt 0x5
	s_delay_alu instid0(VALU_DEP_1) | instskip(SKIP_4) | instid1(VALU_DEP_1)
	v_fmac_f64_e32 v[132:133], v[108:109], v[104:105]
	scratch_load_b128 v[102:105], off, off offset:168
	s_wait_dscnt 0x0
	v_fmac_f64_e32 v[132:133], v[110:111], v[120:121]
	s_wait_loadcnt 0x5
	v_fmac_f64_e32 v[132:133], v[112:113], v[122:123]
	ds_load_b128 v[106:109], v2 offset:464
	ds_load_b128 v[110:113], v2 offset:480
	scratch_load_b128 v[120:123], off, off offset:184
	s_wait_dscnt 0x1
	v_fmac_f64_e32 v[132:133], v[114:115], v[106:107]
	s_wait_loadcnt 0x5
	s_delay_alu instid0(VALU_DEP_1) | instskip(SKIP_4) | instid1(VALU_DEP_1)
	v_fmac_f64_e32 v[132:133], v[116:117], v[108:109]
	scratch_load_b128 v[106:109], off, off offset:200
	s_wait_dscnt 0x0
	v_fmac_f64_e32 v[132:133], v[118:119], v[110:111]
	s_wait_loadcnt 0x5
	v_fmac_f64_e32 v[132:133], v[128:129], v[112:113]
	ds_load_b128 v[110:113], v2 offset:496
	ds_load_b128 v[114:117], v2 offset:512
	s_wait_dscnt 0x1
	v_fmac_f64_e32 v[132:133], v[130:131], v[110:111]
	scratch_load_b128 v[128:131], off, off offset:216
	s_wait_loadcnt 0x5
	v_fmac_f64_e32 v[132:133], v[98:99], v[112:113]
	s_wait_dscnt 0x0
	s_delay_alu instid0(VALU_DEP_1)
	v_fmac_f64_e32 v[132:133], v[100:101], v[114:115]
	scratch_load_b128 v[98:101], off, off offset:232
	s_wait_loadcnt 0x5
	v_fmac_f64_e32 v[132:133], v[124:125], v[116:117]
	ds_load_b128 v[110:113], v2 offset:528
	ds_load_b128 v[114:117], v2 offset:544
	s_wait_dscnt 0x1
	v_fmac_f64_e32 v[132:133], v[126:127], v[110:111]
	scratch_load_b128 v[124:127], off, off offset:248
	s_wait_loadcnt 0x5
	v_fmac_f64_e32 v[132:133], v[102:103], v[112:113]
	s_wait_dscnt 0x0
	s_delay_alu instid0(VALU_DEP_1)
	v_fmac_f64_e32 v[132:133], v[104:105], v[114:115]
	scratch_load_b128 v[102:105], off, off offset:264
	s_wait_loadcnt 0x5
	v_fmac_f64_e32 v[132:133], v[120:121], v[116:117]
	ds_load_b128 v[110:113], v2 offset:560
	ds_load_b128 v[114:117], v2 offset:576
	scratch_load_b128 v[118:121], off, off offset:280
	s_wait_dscnt 0x1
	v_fmac_f64_e32 v[132:133], v[122:123], v[110:111]
	s_wait_loadcnt 0x5
	s_delay_alu instid0(VALU_DEP_1) | instskip(SKIP_1) | instid1(VALU_DEP_1)
	v_fmac_f64_e32 v[132:133], v[106:107], v[112:113]
	s_wait_dscnt 0x0
	v_fmac_f64_e32 v[132:133], v[108:109], v[114:115]
	scratch_load_b128 v[106:109], off, off offset:296
	s_wait_loadcnt 0x5
	v_fmac_f64_e32 v[132:133], v[128:129], v[116:117]
	ds_load_b128 v[110:113], v2 offset:592
	ds_load_b128 v[114:117], v2 offset:608
	s_wait_dscnt 0x1
	v_fmac_f64_e32 v[132:133], v[130:131], v[110:111]
	s_wait_loadcnt 0x4
	s_delay_alu instid0(VALU_DEP_1)
	v_fmac_f64_e32 v[132:133], v[98:99], v[112:113]
	scratch_load_b128 v[110:113], off, off offset:312
	s_wait_dscnt 0x0
	v_fmac_f64_e32 v[132:133], v[100:101], v[114:115]
	scratch_load_b128 v[98:101], off, off offset:328
	s_wait_loadcnt 0x5
	v_fmac_f64_e32 v[132:133], v[124:125], v[116:117]
	ds_load_b128 v[114:117], v2 offset:624
	ds_load_b128 v[122:125], v2 offset:640
	s_wait_dscnt 0x1
	v_fmac_f64_e32 v[132:133], v[126:127], v[114:115]
	s_wait_loadcnt 0x4
	s_delay_alu instid0(VALU_DEP_1) | instskip(SKIP_4) | instid1(VALU_DEP_1)
	v_fmac_f64_e32 v[132:133], v[102:103], v[116:117]
	scratch_load_b128 v[114:117], off, off offset:344
	s_wait_dscnt 0x0
	v_fmac_f64_e32 v[132:133], v[104:105], v[122:123]
	s_wait_loadcnt 0x4
	v_fmac_f64_e32 v[132:133], v[118:119], v[124:125]
	scratch_load_b64 v[118:119], off, off offset:360
	ds_load_b128 v[102:105], v2 offset:656
	ds_load_b128 v[122:125], v2 offset:672
	s_wait_dscnt 0x1
	v_fmac_f64_e32 v[132:133], v[120:121], v[102:103]
	s_wait_loadcnt 0x4
	s_delay_alu instid0(VALU_DEP_1) | instskip(SKIP_1) | instid1(VALU_DEP_1)
	v_fmac_f64_e32 v[132:133], v[106:107], v[104:105]
	s_wait_dscnt 0x0
	v_fmac_f64_e32 v[132:133], v[108:109], v[122:123]
	ds_load_b128 v[102:105], v2 offset:688
	ds_load_b128 v[106:109], v2 offset:704
	s_wait_loadcnt 0x3
	v_fmac_f64_e32 v[132:133], v[110:111], v[124:125]
	s_wait_dscnt 0x1
	s_delay_alu instid0(VALU_DEP_1) | instskip(SKIP_1) | instid1(VALU_DEP_1)
	v_fmac_f64_e32 v[132:133], v[112:113], v[102:103]
	s_wait_loadcnt 0x2
	v_fmac_f64_e32 v[132:133], v[98:99], v[104:105]
	s_wait_dscnt 0x0
	s_delay_alu instid0(VALU_DEP_1) | instskip(SKIP_4) | instid1(VALU_DEP_1)
	v_fmac_f64_e32 v[132:133], v[100:101], v[106:107]
	ds_load_b128 v[98:101], v2 offset:720
	s_wait_loadcnt 0x1
	v_fmac_f64_e32 v[132:133], v[114:115], v[108:109]
	s_wait_dscnt 0x0
	v_fmac_f64_e32 v[132:133], v[116:117], v[98:99]
	s_wait_loadcnt 0x0
	s_delay_alu instid0(VALU_DEP_1) | instskip(NEXT) | instid1(VALU_DEP_1)
	v_fmac_f64_e32 v[132:133], v[118:119], v[100:101]
	v_add_f64_e64 v[2:3], v[96:97], -v[132:133]
	scratch_store_b64 off, v[2:3], off offset:24
	s_wait_xcnt 0x0
	v_cmpx_lt_u32_e32 2, v0
	s_cbranch_execz .LBB45_281
; %bb.280:
	scratch_load_b64 v[2:3], off, off offset:16
	v_mov_b64_e32 v[96:97], 0
	scratch_store_b64 off, v[96:97], off offset:16
	s_wait_loadcnt 0x0
	ds_store_b64 v1, v[2:3]
.LBB45_281:
	s_wait_xcnt 0x0
	s_or_b32 exec_lo, exec_lo, s0
	s_wait_storecnt_dscnt 0x0
	s_barrier_signal -1
	s_barrier_wait -1
	s_clause 0x5
	scratch_load_b128 v[96:99], off, off offset:16
	scratch_load_b128 v[100:103], off, off offset:32
	;; [unrolled: 1-line block ×6, first 2 shown]
	v_mov_b32_e32 v2, 0
	ds_load_2addr_b64 v[120:123], v2 offset0:49 offset1:50
	ds_load_2addr_b64 v[124:127], v2 offset0:51 offset1:52
	scratch_load_b128 v[128:131], off, off offset:112
	s_mov_b32 s0, exec_lo
	s_wait_loadcnt_dscnt 0x601
	v_fma_f64 v[132:133], v[98:99], v[120:121], 0
	s_wait_loadcnt 0x5
	s_delay_alu instid0(VALU_DEP_1) | instskip(SKIP_4) | instid1(VALU_DEP_1)
	v_fmac_f64_e32 v[132:133], v[100:101], v[122:123]
	scratch_load_b128 v[98:101], off, off offset:128
	s_wait_dscnt 0x0
	v_fmac_f64_e32 v[132:133], v[102:103], v[124:125]
	s_wait_loadcnt 0x5
	v_fmac_f64_e32 v[132:133], v[104:105], v[126:127]
	ds_load_2addr_b64 v[102:105], v2 offset0:53 offset1:54
	ds_load_2addr_b64 v[120:123], v2 offset0:55 offset1:56
	scratch_load_b128 v[124:127], off, off offset:144
	s_wait_dscnt 0x1
	v_fmac_f64_e32 v[132:133], v[106:107], v[102:103]
	s_wait_loadcnt 0x5
	s_delay_alu instid0(VALU_DEP_1) | instskip(SKIP_4) | instid1(VALU_DEP_1)
	v_fmac_f64_e32 v[132:133], v[108:109], v[104:105]
	scratch_load_b128 v[102:105], off, off offset:160
	s_wait_dscnt 0x0
	v_fmac_f64_e32 v[132:133], v[110:111], v[120:121]
	s_wait_loadcnt 0x5
	v_fmac_f64_e32 v[132:133], v[112:113], v[122:123]
	ds_load_2addr_b64 v[106:109], v2 offset0:57 offset1:58
	ds_load_2addr_b64 v[110:113], v2 offset0:59 offset1:60
	scratch_load_b128 v[120:123], off, off offset:176
	s_wait_dscnt 0x1
	v_fmac_f64_e32 v[132:133], v[114:115], v[106:107]
	s_wait_loadcnt 0x5
	s_delay_alu instid0(VALU_DEP_1) | instskip(SKIP_4) | instid1(VALU_DEP_1)
	v_fmac_f64_e32 v[132:133], v[116:117], v[108:109]
	scratch_load_b128 v[106:109], off, off offset:192
	s_wait_dscnt 0x0
	v_fmac_f64_e32 v[132:133], v[118:119], v[110:111]
	s_wait_loadcnt 0x5
	v_fmac_f64_e32 v[132:133], v[128:129], v[112:113]
	ds_load_2addr_b64 v[110:113], v2 offset0:61 offset1:62
	ds_load_2addr_b64 v[114:117], v2 offset0:63 offset1:64
	s_wait_dscnt 0x1
	v_fmac_f64_e32 v[132:133], v[130:131], v[110:111]
	scratch_load_b128 v[128:131], off, off offset:208
	s_wait_loadcnt 0x5
	v_fmac_f64_e32 v[132:133], v[98:99], v[112:113]
	s_wait_dscnt 0x0
	s_delay_alu instid0(VALU_DEP_1)
	v_fmac_f64_e32 v[132:133], v[100:101], v[114:115]
	scratch_load_b128 v[98:101], off, off offset:224
	s_wait_loadcnt 0x5
	v_fmac_f64_e32 v[132:133], v[124:125], v[116:117]
	ds_load_2addr_b64 v[110:113], v2 offset0:65 offset1:66
	ds_load_2addr_b64 v[114:117], v2 offset0:67 offset1:68
	s_wait_dscnt 0x1
	v_fmac_f64_e32 v[132:133], v[126:127], v[110:111]
	scratch_load_b128 v[124:127], off, off offset:240
	s_wait_loadcnt 0x5
	v_fmac_f64_e32 v[132:133], v[102:103], v[112:113]
	s_wait_dscnt 0x0
	s_delay_alu instid0(VALU_DEP_1)
	v_fmac_f64_e32 v[132:133], v[104:105], v[114:115]
	scratch_load_b128 v[102:105], off, off offset:256
	s_wait_loadcnt 0x5
	v_fmac_f64_e32 v[132:133], v[120:121], v[116:117]
	ds_load_2addr_b64 v[110:113], v2 offset0:69 offset1:70
	ds_load_2addr_b64 v[114:117], v2 offset0:71 offset1:72
	scratch_load_b128 v[118:121], off, off offset:272
	s_wait_dscnt 0x1
	v_fmac_f64_e32 v[132:133], v[122:123], v[110:111]
	s_wait_loadcnt 0x5
	s_delay_alu instid0(VALU_DEP_1) | instskip(SKIP_1) | instid1(VALU_DEP_1)
	v_fmac_f64_e32 v[132:133], v[106:107], v[112:113]
	s_wait_dscnt 0x0
	v_fmac_f64_e32 v[132:133], v[108:109], v[114:115]
	scratch_load_b128 v[106:109], off, off offset:288
	s_wait_loadcnt 0x5
	v_fmac_f64_e32 v[132:133], v[128:129], v[116:117]
	ds_load_2addr_b64 v[110:113], v2 offset0:73 offset1:74
	ds_load_2addr_b64 v[114:117], v2 offset0:75 offset1:76
	s_wait_dscnt 0x1
	v_fmac_f64_e32 v[132:133], v[130:131], v[110:111]
	s_wait_loadcnt 0x4
	s_delay_alu instid0(VALU_DEP_1)
	v_fmac_f64_e32 v[132:133], v[98:99], v[112:113]
	scratch_load_b128 v[110:113], off, off offset:304
	s_wait_dscnt 0x0
	v_fmac_f64_e32 v[132:133], v[100:101], v[114:115]
	scratch_load_b128 v[98:101], off, off offset:320
	s_wait_loadcnt 0x5
	v_fmac_f64_e32 v[132:133], v[124:125], v[116:117]
	ds_load_2addr_b64 v[114:117], v2 offset0:77 offset1:78
	ds_load_2addr_b64 v[122:125], v2 offset0:79 offset1:80
	s_wait_dscnt 0x1
	v_fmac_f64_e32 v[132:133], v[126:127], v[114:115]
	s_wait_loadcnt 0x4
	s_delay_alu instid0(VALU_DEP_1)
	v_fmac_f64_e32 v[132:133], v[102:103], v[116:117]
	scratch_load_b128 v[114:117], off, off offset:336
	s_wait_dscnt 0x0
	v_fmac_f64_e32 v[132:133], v[104:105], v[122:123]
	scratch_load_b128 v[102:105], off, off offset:352
	s_wait_loadcnt 0x5
	v_fmac_f64_e32 v[132:133], v[118:119], v[124:125]
	ds_load_2addr_b64 v[122:125], v2 offset0:81 offset1:82
	ds_load_2addr_b64 v[126:129], v2 offset0:83 offset1:84
	s_wait_dscnt 0x1
	v_fmac_f64_e32 v[132:133], v[120:121], v[122:123]
	s_wait_loadcnt 0x4
	s_delay_alu instid0(VALU_DEP_1) | instskip(SKIP_1) | instid1(VALU_DEP_1)
	v_fmac_f64_e32 v[132:133], v[106:107], v[124:125]
	s_wait_dscnt 0x0
	v_fmac_f64_e32 v[132:133], v[108:109], v[126:127]
	ds_load_2addr_b64 v[106:109], v2 offset0:85 offset1:86
	ds_load_2addr_b64 v[118:121], v2 offset0:87 offset1:88
	s_wait_loadcnt 0x3
	v_fmac_f64_e32 v[132:133], v[110:111], v[128:129]
	s_wait_dscnt 0x1
	s_delay_alu instid0(VALU_DEP_1) | instskip(SKIP_1) | instid1(VALU_DEP_1)
	v_fmac_f64_e32 v[132:133], v[112:113], v[106:107]
	s_wait_loadcnt 0x2
	v_fmac_f64_e32 v[132:133], v[98:99], v[108:109]
	s_wait_dscnt 0x0
	s_delay_alu instid0(VALU_DEP_1)
	v_fmac_f64_e32 v[132:133], v[100:101], v[118:119]
	ds_load_2addr_b64 v[98:101], v2 offset0:89 offset1:90
	ds_load_b64 v[106:107], v2 offset:728
	s_wait_loadcnt 0x1
	v_fmac_f64_e32 v[132:133], v[114:115], v[120:121]
	s_wait_dscnt 0x1
	s_delay_alu instid0(VALU_DEP_1) | instskip(SKIP_1) | instid1(VALU_DEP_1)
	v_fmac_f64_e32 v[132:133], v[116:117], v[98:99]
	s_wait_loadcnt 0x0
	v_fmac_f64_e32 v[132:133], v[102:103], v[100:101]
	s_wait_dscnt 0x0
	s_delay_alu instid0(VALU_DEP_1) | instskip(NEXT) | instid1(VALU_DEP_1)
	v_fmac_f64_e32 v[132:133], v[104:105], v[106:107]
	v_add_f64_e64 v[96:97], v[96:97], -v[132:133]
	scratch_store_b64 off, v[96:97], off offset:16
	s_wait_xcnt 0x0
	v_cmpx_lt_u32_e32 1, v0
	s_cbranch_execz .LBB45_283
; %bb.282:
	scratch_load_b64 v[96:97], off, off offset:8
	v_mov_b64_e32 v[98:99], 0
	scratch_store_b64 off, v[98:99], off offset:8
	s_wait_loadcnt 0x0
	ds_store_b64 v1, v[96:97]
.LBB45_283:
	s_wait_xcnt 0x0
	s_or_b32 exec_lo, exec_lo, s0
	s_wait_storecnt_dscnt 0x0
	s_barrier_signal -1
	s_barrier_wait -1
	s_clause 0x4
	scratch_load_b128 v[96:99], off, off offset:8
	scratch_load_b128 v[100:103], off, off offset:24
	;; [unrolled: 1-line block ×5, first 2 shown]
	ds_load_b128 v[116:119], v2 offset:384
	ds_load_b128 v[120:123], v2 offset:400
	scratch_load_b128 v[124:127], off, off offset:88
	v_dual_ashrrev_i32 v9, 31, v8 :: v_dual_ashrrev_i32 v11, 31, v10
	v_dual_ashrrev_i32 v13, 31, v12 :: v_dual_ashrrev_i32 v15, 31, v14
	;; [unrolled: 1-line block ×21, first 2 shown]
	v_ashrrev_i32_e32 v93, 31, v92
	s_mov_b32 s0, exec_lo
	v_ashrrev_i32_e32 v43, 31, v42
	s_wait_loadcnt_dscnt 0x501
	v_fma_f64 v[128:129], v[98:99], v[116:117], 0
	s_wait_loadcnt 0x4
	s_delay_alu instid0(VALU_DEP_1) | instskip(SKIP_4) | instid1(VALU_DEP_1)
	v_fmac_f64_e32 v[128:129], v[100:101], v[118:119]
	scratch_load_b128 v[98:101], off, off offset:104
	s_wait_dscnt 0x0
	v_fmac_f64_e32 v[128:129], v[102:103], v[120:121]
	s_wait_loadcnt 0x4
	v_fmac_f64_e32 v[128:129], v[104:105], v[122:123]
	ds_load_b128 v[102:105], v2 offset:416
	ds_load_b128 v[116:119], v2 offset:432
	scratch_load_b128 v[120:123], off, off offset:120
	s_wait_dscnt 0x1
	v_fmac_f64_e32 v[128:129], v[106:107], v[102:103]
	s_wait_loadcnt 0x4
	s_delay_alu instid0(VALU_DEP_1) | instskip(SKIP_4) | instid1(VALU_DEP_1)
	v_fmac_f64_e32 v[128:129], v[108:109], v[104:105]
	scratch_load_b128 v[102:105], off, off offset:136
	s_wait_dscnt 0x0
	v_fmac_f64_e32 v[128:129], v[110:111], v[116:117]
	s_wait_loadcnt 0x4
	v_fmac_f64_e32 v[128:129], v[112:113], v[118:119]
	ds_load_b128 v[106:109], v2 offset:448
	ds_load_b128 v[110:113], v2 offset:464
	s_wait_dscnt 0x1
	v_fmac_f64_e32 v[128:129], v[114:115], v[106:107]
	scratch_load_b128 v[114:117], off, off offset:152
	s_wait_loadcnt 0x4
	v_fmac_f64_e32 v[128:129], v[124:125], v[108:109]
	scratch_load_b128 v[106:109], off, off offset:168
	s_wait_dscnt 0x0
	v_fmac_f64_e32 v[128:129], v[126:127], v[110:111]
	s_wait_loadcnt 0x4
	s_delay_alu instid0(VALU_DEP_1)
	v_fmac_f64_e32 v[128:129], v[98:99], v[112:113]
	ds_load_b128 v[110:113], v2 offset:480
	ds_load_b128 v[124:127], v2 offset:496
	s_wait_dscnt 0x1
	v_fmac_f64_e32 v[128:129], v[100:101], v[110:111]
	scratch_load_b128 v[98:101], off, off offset:184
	s_wait_loadcnt 0x4
	v_fmac_f64_e32 v[128:129], v[120:121], v[112:113]
	scratch_load_b128 v[110:113], off, off offset:200
	s_wait_dscnt 0x0
	v_fmac_f64_e32 v[128:129], v[122:123], v[124:125]
	ds_load_b128 v[118:121], v2 offset:512
	ds_load_b128 v[122:125], v2 offset:528
	s_wait_loadcnt 0x4
	v_fmac_f64_e32 v[128:129], v[102:103], v[126:127]
	s_wait_dscnt 0x1
	s_delay_alu instid0(VALU_DEP_1) | instskip(SKIP_4) | instid1(VALU_DEP_1)
	v_fmac_f64_e32 v[128:129], v[104:105], v[118:119]
	scratch_load_b128 v[102:105], off, off offset:216
	s_wait_loadcnt 0x4
	v_fmac_f64_e32 v[128:129], v[114:115], v[120:121]
	s_wait_dscnt 0x0
	v_fmac_f64_e32 v[128:129], v[116:117], v[122:123]
	scratch_load_b128 v[114:117], off, off offset:232
	s_wait_loadcnt 0x4
	v_fmac_f64_e32 v[128:129], v[106:107], v[124:125]
	ds_load_b128 v[118:121], v2 offset:544
	ds_load_b128 v[122:125], v2 offset:560
	s_wait_dscnt 0x1
	v_fmac_f64_e32 v[128:129], v[108:109], v[118:119]
	scratch_load_b128 v[106:109], off, off offset:248
	s_wait_loadcnt 0x4
	v_fmac_f64_e32 v[128:129], v[98:99], v[120:121]
	scratch_load_b128 v[118:121], off, off offset:264
	s_wait_dscnt 0x0
	v_fmac_f64_e32 v[128:129], v[100:101], v[122:123]
	s_wait_loadcnt 0x4
	s_delay_alu instid0(VALU_DEP_1)
	v_fmac_f64_e32 v[128:129], v[110:111], v[124:125]
	ds_load_b128 v[98:101], v2 offset:576
	ds_load_b128 v[122:125], v2 offset:592
	s_wait_dscnt 0x1
	v_fmac_f64_e32 v[128:129], v[112:113], v[98:99]
	scratch_load_b128 v[110:113], off, off offset:280
	s_wait_loadcnt 0x4
	v_fmac_f64_e32 v[128:129], v[102:103], v[100:101]
	scratch_load_b128 v[98:101], off, off offset:296
	s_wait_dscnt 0x0
	v_fmac_f64_e32 v[128:129], v[104:105], v[122:123]
	s_wait_loadcnt 0x4
	s_delay_alu instid0(VALU_DEP_1)
	;; [unrolled: 13-line block ×3, first 2 shown]
	v_fmac_f64_e32 v[128:129], v[118:119], v[124:125]
	ds_load_b128 v[106:109], v2 offset:640
	ds_load_b128 v[122:125], v2 offset:656
	scratch_load_b64 v[126:127], off, off offset:360
	s_wait_dscnt 0x1
	v_fmac_f64_e32 v[128:129], v[120:121], v[106:107]
	scratch_load_b128 v[118:121], off, off offset:344
	s_wait_loadcnt 0x5
	v_fmac_f64_e32 v[128:129], v[110:111], v[108:109]
	s_wait_dscnt 0x0
	s_delay_alu instid0(VALU_DEP_1)
	v_fmac_f64_e32 v[128:129], v[112:113], v[122:123]
	ds_load_b128 v[106:109], v2 offset:672
	ds_load_b128 v[110:113], v2 offset:688
	s_wait_loadcnt 0x4
	v_fmac_f64_e32 v[128:129], v[98:99], v[124:125]
	s_wait_dscnt 0x1
	s_delay_alu instid0(VALU_DEP_1) | instskip(SKIP_1) | instid1(VALU_DEP_1)
	v_fmac_f64_e32 v[128:129], v[100:101], v[106:107]
	s_wait_loadcnt 0x3
	v_fmac_f64_e32 v[128:129], v[114:115], v[108:109]
	ds_load_b128 v[98:101], v2 offset:704
	ds_load_b128 v[106:109], v2 offset:720
	s_wait_dscnt 0x2
	v_fmac_f64_e32 v[128:129], v[116:117], v[110:111]
	s_wait_loadcnt 0x2
	s_delay_alu instid0(VALU_DEP_1) | instskip(SKIP_1) | instid1(VALU_DEP_1)
	v_fmac_f64_e32 v[128:129], v[102:103], v[112:113]
	s_wait_dscnt 0x1
	v_fmac_f64_e32 v[128:129], v[104:105], v[98:99]
	s_wait_loadcnt 0x0
	s_delay_alu instid0(VALU_DEP_1) | instskip(SKIP_1) | instid1(VALU_DEP_1)
	v_fmac_f64_e32 v[128:129], v[118:119], v[100:101]
	s_wait_dscnt 0x0
	v_fmac_f64_e32 v[128:129], v[120:121], v[106:107]
	s_delay_alu instid0(VALU_DEP_1) | instskip(NEXT) | instid1(VALU_DEP_1)
	v_fmac_f64_e32 v[128:129], v[126:127], v[108:109]
	v_add_f64_e64 v[2:3], v[96:97], -v[128:129]
	scratch_store_b64 off, v[2:3], off offset:8
	s_wait_xcnt 0x0
	v_cmpx_ne_u32_e32 0, v0
	s_cbranch_execz .LBB45_285
; %bb.284:
	scratch_load_b64 v[2:3], off, off
	v_mov_b64_e32 v[96:97], 0
	scratch_store_b64 off, v[96:97], off
	s_wait_loadcnt 0x0
	ds_store_b64 v1, v[2:3]
.LBB45_285:
	s_wait_xcnt 0x0
	s_or_b32 exec_lo, exec_lo, s0
	s_wait_storecnt_dscnt 0x0
	s_barrier_signal -1
	s_barrier_wait -1
	s_clause 0x5
	scratch_load_b128 v[98:101], off, off
	scratch_load_b128 v[0:3], off, off offset:16
	scratch_load_b128 v[102:105], off, off offset:32
	;; [unrolled: 1-line block ×5, first 2 shown]
	v_mov_b32_e32 v96, 0
	scratch_load_b128 v[122:125], off, off offset:96
	s_and_b32 vcc_lo, exec_lo, s20
	ds_load_2addr_b64 v[118:121], v96 offset0:47 offset1:48
	s_wait_loadcnt_dscnt 0x600
	v_fma_f64 v[128:129], v[100:101], v[118:119], 0
	s_wait_loadcnt 0x5
	s_delay_alu instid0(VALU_DEP_1)
	v_fmac_f64_e32 v[128:129], v[0:1], v[120:121]
	ds_load_2addr_b64 v[118:121], v96 offset0:49 offset1:50
	s_wait_dscnt 0x0
	v_fmac_f64_e32 v[128:129], v[2:3], v[118:119]
	scratch_load_b128 v[0:3], off, off offset:112
	s_wait_loadcnt 0x5
	v_fmac_f64_e32 v[128:129], v[102:103], v[120:121]
	ds_load_2addr_b64 v[100:103], v96 offset0:51 offset1:52
	scratch_load_b128 v[118:121], off, off offset:128
	s_wait_dscnt 0x0
	v_fmac_f64_e32 v[128:129], v[104:105], v[100:101]
	s_wait_loadcnt 0x5
	s_delay_alu instid0(VALU_DEP_1)
	v_fmac_f64_e32 v[128:129], v[106:107], v[102:103]
	ds_load_2addr_b64 v[100:103], v96 offset0:53 offset1:54
	scratch_load_b128 v[104:107], off, off offset:144
	s_wait_dscnt 0x0
	v_fmac_f64_e32 v[128:129], v[108:109], v[100:101]
	s_wait_loadcnt 0x5
	s_delay_alu instid0(VALU_DEP_1)
	;; [unrolled: 7-line block ×4, first 2 shown]
	v_fmac_f64_e32 v[128:129], v[122:123], v[102:103]
	ds_load_2addr_b64 v[100:103], v96 offset0:59 offset1:60
	s_wait_dscnt 0x0
	v_fmac_f64_e32 v[128:129], v[124:125], v[100:101]
	scratch_load_b128 v[122:125], off, off offset:192
	s_wait_loadcnt 0x5
	v_fmac_f64_e32 v[128:129], v[0:1], v[102:103]
	ds_load_2addr_b64 v[100:103], v96 offset0:61 offset1:62
	s_wait_dscnt 0x0
	v_fmac_f64_e32 v[128:129], v[2:3], v[100:101]
	scratch_load_b128 v[0:3], off, off offset:208
	s_wait_loadcnt 0x5
	v_fmac_f64_e32 v[128:129], v[118:119], v[102:103]
	ds_load_2addr_b64 v[100:103], v96 offset0:63 offset1:64
	scratch_load_b128 v[116:119], off, off offset:224
	s_wait_dscnt 0x0
	v_fmac_f64_e32 v[128:129], v[120:121], v[100:101]
	s_wait_loadcnt 0x5
	s_delay_alu instid0(VALU_DEP_1)
	v_fmac_f64_e32 v[128:129], v[104:105], v[102:103]
	ds_load_2addr_b64 v[100:103], v96 offset0:65 offset1:66
	s_wait_dscnt 0x0
	v_fmac_f64_e32 v[128:129], v[106:107], v[100:101]
	scratch_load_b128 v[104:107], off, off offset:240
	s_wait_loadcnt 0x5
	v_fmac_f64_e32 v[128:129], v[108:109], v[102:103]
	ds_load_2addr_b64 v[100:103], v96 offset0:67 offset1:68
	s_wait_dscnt 0x0
	v_fmac_f64_e32 v[128:129], v[110:111], v[100:101]
	scratch_load_b128 v[108:111], off, off offset:256
	s_wait_loadcnt 0x5
	;; [unrolled: 6-line block ×3, first 2 shown]
	v_fmac_f64_e32 v[128:129], v[122:123], v[102:103]
	ds_load_2addr_b64 v[100:103], v96 offset0:71 offset1:72
	scratch_load_b128 v[120:123], off, off offset:288
	s_wait_dscnt 0x0
	v_fmac_f64_e32 v[128:129], v[124:125], v[100:101]
	scratch_load_b128 v[124:127], off, off offset:304
	s_wait_loadcnt 0x6
	v_fmac_f64_e32 v[128:129], v[0:1], v[102:103]
	ds_load_2addr_b64 v[100:103], v96 offset0:73 offset1:74
	s_wait_dscnt 0x0
	v_fmac_f64_e32 v[128:129], v[2:3], v[100:101]
	ds_load_2addr_b64 v[0:3], v96 offset0:75 offset1:76
	s_wait_loadcnt 0x5
	v_fmac_f64_e32 v[128:129], v[116:117], v[102:103]
	scratch_load_b128 v[100:103], off, off offset:320
	s_wait_dscnt 0x0
	v_fmac_f64_e32 v[128:129], v[118:119], v[0:1]
	ds_load_2addr_b64 v[116:119], v96 offset0:79 offset1:80
	s_wait_loadcnt 0x5
	v_fmac_f64_e32 v[128:129], v[104:105], v[2:3]
	ds_load_2addr_b64 v[0:3], v96 offset0:77 offset1:78
	s_wait_dscnt 0x0
	v_fmac_f64_e32 v[128:129], v[106:107], v[0:1]
	scratch_load_b128 v[104:107], off, off offset:336
	s_wait_loadcnt 0x5
	v_fmac_f64_e32 v[128:129], v[108:109], v[2:3]
	scratch_load_b128 v[0:3], off, off offset:352
	v_fmac_f64_e32 v[128:129], v[110:111], v[116:117]
	ds_load_2addr_b64 v[108:111], v96 offset0:81 offset1:82
	s_wait_loadcnt 0x5
	v_fmac_f64_e32 v[128:129], v[112:113], v[118:119]
	s_wait_dscnt 0x0
	s_delay_alu instid0(VALU_DEP_1) | instskip(SKIP_1) | instid1(VALU_DEP_1)
	v_fmac_f64_e32 v[128:129], v[114:115], v[108:109]
	s_wait_loadcnt 0x4
	v_fmac_f64_e32 v[128:129], v[120:121], v[110:111]
	ds_load_2addr_b64 v[108:111], v96 offset0:83 offset1:84
	s_wait_dscnt 0x0
	v_fmac_f64_e32 v[128:129], v[122:123], v[108:109]
	s_wait_loadcnt 0x3
	s_delay_alu instid0(VALU_DEP_1) | instskip(SKIP_4) | instid1(VALU_DEP_1)
	v_fmac_f64_e32 v[128:129], v[124:125], v[110:111]
	ds_load_2addr_b64 v[108:111], v96 offset0:85 offset1:86
	s_wait_dscnt 0x0
	v_fmac_f64_e32 v[128:129], v[126:127], v[108:109]
	s_wait_loadcnt 0x2
	v_fmac_f64_e32 v[128:129], v[100:101], v[110:111]
	ds_load_2addr_b64 v[108:111], v96 offset0:87 offset1:88
	s_wait_dscnt 0x0
	v_fmac_f64_e32 v[128:129], v[102:103], v[108:109]
	ds_load_2addr_b64 v[100:103], v96 offset0:89 offset1:90
	s_wait_loadcnt 0x1
	v_fmac_f64_e32 v[128:129], v[104:105], v[110:111]
	s_wait_dscnt 0x0
	s_delay_alu instid0(VALU_DEP_1) | instskip(SKIP_4) | instid1(VALU_DEP_1)
	v_fmac_f64_e32 v[128:129], v[106:107], v[100:101]
	ds_load_b64 v[100:101], v96 offset:728
	s_wait_loadcnt 0x0
	v_fmac_f64_e32 v[128:129], v[0:1], v[102:103]
	s_wait_dscnt 0x0
	v_fmac_f64_e32 v[128:129], v[2:3], v[100:101]
	s_delay_alu instid0(VALU_DEP_1)
	v_add_f64_e64 v[118:119], v[98:99], -v[128:129]
	scratch_store_b64 off, v[118:119], off
	s_cbranch_vccz .LBB45_376
; %bb.286:
	global_load_b32 v2, v96, s[16:17] offset:176
	s_wait_loadcnt 0x0
	v_cmp_ne_u32_e32 vcc_lo, 45, v2
	s_cbranch_vccz .LBB45_288
; %bb.287:
	v_lshlrev_b32_e32 v2, 3, v2
	s_wait_xcnt 0x0
	s_delay_alu instid0(VALU_DEP_1)
	v_mov_b32_e32 v96, v2
	scratch_load_b64 v[2:3], v96, off offset:-8
	s_wait_loadcnt 0x0
	scratch_store_b64 off, v[2:3], off offset:352
	scratch_store_b64 v96, v[0:1], off offset:-8
.LBB45_288:
	s_wait_xcnt 0x0
	v_mov_b32_e32 v0, 0
	global_load_b32 v1, v0, s[16:17] offset:172
	s_wait_loadcnt 0x0
	v_cmp_eq_u32_e32 vcc_lo, 44, v1
	s_cbranch_vccnz .LBB45_290
; %bb.289:
	v_lshlrev_b32_e32 v1, 3, v1
	scratch_load_b64 v[2:3], v1, off offset:-8
	scratch_load_b64 v[96:97], off, off offset:344
	s_wait_loadcnt 0x1
	scratch_store_b64 off, v[2:3], off offset:344
	s_wait_loadcnt 0x0
	scratch_store_b64 v1, v[96:97], off offset:-8
.LBB45_290:
	global_load_b32 v0, v0, s[16:17] offset:168
	s_wait_loadcnt 0x0
	v_cmp_eq_u32_e32 vcc_lo, 43, v0
	s_cbranch_vccnz .LBB45_292
; %bb.291:
	s_wait_xcnt 0x0
	v_lshlrev_b32_e32 v0, 3, v0
	s_delay_alu instid0(VALU_DEP_1)
	v_mov_b32_e32 v96, v0
	scratch_load_b64 v[0:1], v96, off offset:-8
	scratch_load_b64 v[2:3], off, off offset:336
	s_wait_loadcnt 0x1
	scratch_store_b64 off, v[0:1], off offset:336
	s_wait_loadcnt 0x0
	scratch_store_b64 v96, v[2:3], off offset:-8
.LBB45_292:
	s_wait_xcnt 0x0
	v_mov_b32_e32 v0, 0
	global_load_b32 v1, v0, s[16:17] offset:164
	s_wait_loadcnt 0x0
	v_cmp_eq_u32_e32 vcc_lo, 42, v1
	s_cbranch_vccnz .LBB45_294
; %bb.293:
	v_lshlrev_b32_e32 v1, 3, v1
	scratch_load_b64 v[2:3], v1, off offset:-8
	scratch_load_b64 v[96:97], off, off offset:328
	s_wait_loadcnt 0x1
	scratch_store_b64 off, v[2:3], off offset:328
	s_wait_loadcnt 0x0
	scratch_store_b64 v1, v[96:97], off offset:-8
.LBB45_294:
	global_load_b32 v0, v0, s[16:17] offset:160
	s_wait_loadcnt 0x0
	v_cmp_eq_u32_e32 vcc_lo, 41, v0
	s_cbranch_vccnz .LBB45_296
; %bb.295:
	s_wait_xcnt 0x0
	v_lshlrev_b32_e32 v0, 3, v0
	s_delay_alu instid0(VALU_DEP_1)
	v_mov_b32_e32 v96, v0
	scratch_load_b64 v[0:1], v96, off offset:-8
	scratch_load_b64 v[2:3], off, off offset:320
	s_wait_loadcnt 0x1
	scratch_store_b64 off, v[0:1], off offset:320
	s_wait_loadcnt 0x0
	scratch_store_b64 v96, v[2:3], off offset:-8
.LBB45_296:
	;; [unrolled: 31-line block ×21, first 2 shown]
	s_wait_xcnt 0x0
	v_mov_b32_e32 v0, 0
	global_load_b32 v1, v0, s[16:17] offset:4
	s_wait_loadcnt 0x0
	v_cmp_eq_u32_e32 vcc_lo, 2, v1
	s_cbranch_vccnz .LBB45_374
; %bb.373:
	v_lshlrev_b32_e32 v1, 3, v1
	scratch_load_b64 v[2:3], v1, off offset:-8
	scratch_load_b64 v[96:97], off, off offset:8
	s_wait_loadcnt 0x1
	scratch_store_b64 off, v[2:3], off offset:8
	s_wait_loadcnt 0x0
	scratch_store_b64 v1, v[96:97], off offset:-8
.LBB45_374:
	global_load_b32 v0, v0, s[16:17]
	scratch_load_b64 v[118:119], off, off
	s_wait_loadcnt 0x1
	v_cmp_eq_u32_e32 vcc_lo, 1, v0
	s_cbranch_vccnz .LBB45_376
; %bb.375:
	s_wait_xcnt 0x1
	v_lshlrev_b32_e32 v0, 3, v0
	s_delay_alu instid0(VALU_DEP_1)
	v_mov_b32_e32 v2, v0
	scratch_load_b64 v[0:1], v2, off offset:-8
	s_wait_loadcnt 0x0
	scratch_store_b64 off, v[0:1], off
	scratch_store_b64 v2, v[118:119], off offset:-8
	scratch_load_b64 v[118:119], off, off
.LBB45_376:
	v_lshl_add_u64 v[122:123], v[8:9], 3, s[2:3]
	v_lshl_add_u64 v[120:121], v[10:11], 3, s[2:3]
	;; [unrolled: 1-line block ×41, first 2 shown]
	s_clause 0x6
	scratch_load_b128 v[66:69], off, off offset:8
	scratch_load_b128 v[70:73], off, off offset:24
	;; [unrolled: 1-line block ×7, first 2 shown]
	s_wait_loadcnt 0x7
	global_store_b64 v[4:5], v[118:119], off
	s_wait_xcnt 0x9
	v_lshl_add_u64 v[0:1], v[34:35], 3, s[2:3]
	v_lshl_add_u64 v[34:35], v[64:65], 3, s[2:3]
	;; [unrolled: 1-line block ×3, first 2 shown]
	scratch_load_b128 v[124:127], off, off offset:120
	s_wait_loadcnt 0x7
	s_clause 0x1
	global_store_b64 v[6:7], v[66:67], off
	global_store_b64 v[122:123], v[68:69], off
	s_wait_loadcnt 0x6
	s_clause 0x1
	global_store_b64 v[120:121], v[70:71], off
	global_store_b64 v[116:117], v[72:73], off
	;; [unrolled: 4-line block ×7, first 2 shown]
	s_clause 0xe
	scratch_load_b128 v[4:7], off, off offset:136
	scratch_load_b128 v[66:69], off, off offset:152
	;; [unrolled: 1-line block ×14, first 2 shown]
	scratch_load_b64 v[94:95], off, off offset:360
	s_wait_loadcnt 0xf
	s_clause 0x1
	global_store_b64 v[0:1], v[124:125], off
	global_store_b64 v[2:3], v[126:127], off
	s_wait_loadcnt 0xe
	s_clause 0x1
	global_store_b64 v[8:9], v[4:5], off
	global_store_b64 v[10:11], v[6:7], off
	;; [unrolled: 4-line block ×15, first 2 shown]
	s_wait_loadcnt 0x0
	global_store_b64 v[64:65], v[94:95], off
	s_sendmsg sendmsg(MSG_DEALLOC_VGPRS)
	s_endpgm
	.section	.rodata,"a",@progbits
	.p2align	6, 0x0
	.amdhsa_kernel _ZN9rocsolver6v33100L18getri_kernel_smallILi46EdPdEEvT1_iilPiilS4_bb
		.amdhsa_group_segment_fixed_size 744
		.amdhsa_private_segment_fixed_size 384
		.amdhsa_kernarg_size 60
		.amdhsa_user_sgpr_count 2
		.amdhsa_user_sgpr_dispatch_ptr 0
		.amdhsa_user_sgpr_queue_ptr 0
		.amdhsa_user_sgpr_kernarg_segment_ptr 1
		.amdhsa_user_sgpr_dispatch_id 0
		.amdhsa_user_sgpr_kernarg_preload_length 0
		.amdhsa_user_sgpr_kernarg_preload_offset 0
		.amdhsa_user_sgpr_private_segment_size 0
		.amdhsa_wavefront_size32 1
		.amdhsa_uses_dynamic_stack 0
		.amdhsa_enable_private_segment 1
		.amdhsa_system_sgpr_workgroup_id_x 1
		.amdhsa_system_sgpr_workgroup_id_y 0
		.amdhsa_system_sgpr_workgroup_id_z 0
		.amdhsa_system_sgpr_workgroup_info 0
		.amdhsa_system_vgpr_workitem_id 0
		.amdhsa_next_free_vgpr 134
		.amdhsa_next_free_sgpr 21
		.amdhsa_named_barrier_count 0
		.amdhsa_reserve_vcc 1
		.amdhsa_float_round_mode_32 0
		.amdhsa_float_round_mode_16_64 0
		.amdhsa_float_denorm_mode_32 3
		.amdhsa_float_denorm_mode_16_64 3
		.amdhsa_fp16_overflow 0
		.amdhsa_memory_ordered 1
		.amdhsa_forward_progress 1
		.amdhsa_inst_pref_size 255
		.amdhsa_round_robin_scheduling 0
		.amdhsa_exception_fp_ieee_invalid_op 0
		.amdhsa_exception_fp_denorm_src 0
		.amdhsa_exception_fp_ieee_div_zero 0
		.amdhsa_exception_fp_ieee_overflow 0
		.amdhsa_exception_fp_ieee_underflow 0
		.amdhsa_exception_fp_ieee_inexact 0
		.amdhsa_exception_int_div_zero 0
	.end_amdhsa_kernel
	.section	.text._ZN9rocsolver6v33100L18getri_kernel_smallILi46EdPdEEvT1_iilPiilS4_bb,"axG",@progbits,_ZN9rocsolver6v33100L18getri_kernel_smallILi46EdPdEEvT1_iilPiilS4_bb,comdat
.Lfunc_end45:
	.size	_ZN9rocsolver6v33100L18getri_kernel_smallILi46EdPdEEvT1_iilPiilS4_bb, .Lfunc_end45-_ZN9rocsolver6v33100L18getri_kernel_smallILi46EdPdEEvT1_iilPiilS4_bb
                                        ; -- End function
	.set _ZN9rocsolver6v33100L18getri_kernel_smallILi46EdPdEEvT1_iilPiilS4_bb.num_vgpr, 134
	.set _ZN9rocsolver6v33100L18getri_kernel_smallILi46EdPdEEvT1_iilPiilS4_bb.num_agpr, 0
	.set _ZN9rocsolver6v33100L18getri_kernel_smallILi46EdPdEEvT1_iilPiilS4_bb.numbered_sgpr, 21
	.set _ZN9rocsolver6v33100L18getri_kernel_smallILi46EdPdEEvT1_iilPiilS4_bb.num_named_barrier, 0
	.set _ZN9rocsolver6v33100L18getri_kernel_smallILi46EdPdEEvT1_iilPiilS4_bb.private_seg_size, 384
	.set _ZN9rocsolver6v33100L18getri_kernel_smallILi46EdPdEEvT1_iilPiilS4_bb.uses_vcc, 1
	.set _ZN9rocsolver6v33100L18getri_kernel_smallILi46EdPdEEvT1_iilPiilS4_bb.uses_flat_scratch, 1
	.set _ZN9rocsolver6v33100L18getri_kernel_smallILi46EdPdEEvT1_iilPiilS4_bb.has_dyn_sized_stack, 0
	.set _ZN9rocsolver6v33100L18getri_kernel_smallILi46EdPdEEvT1_iilPiilS4_bb.has_recursion, 0
	.set _ZN9rocsolver6v33100L18getri_kernel_smallILi46EdPdEEvT1_iilPiilS4_bb.has_indirect_call, 0
	.section	.AMDGPU.csdata,"",@progbits
; Kernel info:
; codeLenInByte = 42072
; TotalNumSgprs: 23
; NumVgprs: 134
; ScratchSize: 384
; MemoryBound: 0
; FloatMode: 240
; IeeeMode: 1
; LDSByteSize: 744 bytes/workgroup (compile time only)
; SGPRBlocks: 0
; VGPRBlocks: 8
; NumSGPRsForWavesPerEU: 23
; NumVGPRsForWavesPerEU: 134
; NamedBarCnt: 0
; Occupancy: 7
; WaveLimiterHint : 1
; COMPUTE_PGM_RSRC2:SCRATCH_EN: 1
; COMPUTE_PGM_RSRC2:USER_SGPR: 2
; COMPUTE_PGM_RSRC2:TRAP_HANDLER: 0
; COMPUTE_PGM_RSRC2:TGID_X_EN: 1
; COMPUTE_PGM_RSRC2:TGID_Y_EN: 0
; COMPUTE_PGM_RSRC2:TGID_Z_EN: 0
; COMPUTE_PGM_RSRC2:TIDIG_COMP_CNT: 0
	.section	.text._ZN9rocsolver6v33100L18getri_kernel_smallILi47EdPdEEvT1_iilPiilS4_bb,"axG",@progbits,_ZN9rocsolver6v33100L18getri_kernel_smallILi47EdPdEEvT1_iilPiilS4_bb,comdat
	.globl	_ZN9rocsolver6v33100L18getri_kernel_smallILi47EdPdEEvT1_iilPiilS4_bb ; -- Begin function _ZN9rocsolver6v33100L18getri_kernel_smallILi47EdPdEEvT1_iilPiilS4_bb
	.p2align	8
	.type	_ZN9rocsolver6v33100L18getri_kernel_smallILi47EdPdEEvT1_iilPiilS4_bb,@function
_ZN9rocsolver6v33100L18getri_kernel_smallILi47EdPdEEvT1_iilPiilS4_bb: ; @_ZN9rocsolver6v33100L18getri_kernel_smallILi47EdPdEEvT1_iilPiilS4_bb
; %bb.0:
	s_mov_b32 s2, exec_lo
	v_cmpx_gt_u32_e32 47, v0
	s_cbranch_execz .LBB46_198
; %bb.1:
	s_clause 0x2
	s_load_b32 s2, s[0:1], 0x38
	s_load_b128 s[12:15], s[0:1], 0x10
	s_load_b128 s[4:7], s[0:1], 0x28
	s_getreg_b32 s9, hwreg(HW_REG_IB_STS2, 6, 4)
                                        ; implicit-def: $sgpr16_sgpr17
	s_wait_kmcnt 0x0
	s_bitcmp1_b32 s2, 8
	s_cselect_b32 s20, -1, 0
	s_bfe_u32 s3, ttmp6, 0x4000c
	s_and_b32 s8, ttmp6, 15
	s_add_co_i32 s3, s3, 1
	s_delay_alu instid0(SALU_CYCLE_1) | instskip(NEXT) | instid1(SALU_CYCLE_1)
	s_mul_i32 s3, ttmp9, s3
	s_add_co_i32 s8, s8, s3
	s_cmp_eq_u32 s9, 0
	s_cselect_b32 s18, ttmp9, s8
	s_bfe_u32 s2, s2, 0x10008
	s_ashr_i32 s19, s18, 31
	s_cmp_eq_u32 s2, 0
	s_cbranch_scc1 .LBB46_3
; %bb.2:
	s_load_b32 s2, s[0:1], 0x20
	s_mul_u64 s[4:5], s[4:5], s[18:19]
	s_delay_alu instid0(SALU_CYCLE_1) | instskip(NEXT) | instid1(SALU_CYCLE_1)
	s_lshl_b64 s[4:5], s[4:5], 2
	s_add_nc_u64 s[4:5], s[14:15], s[4:5]
	s_wait_kmcnt 0x0
	s_ashr_i32 s3, s2, 31
	s_delay_alu instid0(SALU_CYCLE_1) | instskip(NEXT) | instid1(SALU_CYCLE_1)
	s_lshl_b64 s[2:3], s[2:3], 2
	s_add_nc_u64 s[16:17], s[4:5], s[2:3]
.LBB46_3:
	s_clause 0x1
	s_load_b128 s[8:11], s[0:1], 0x0
	s_load_b32 s4, s[0:1], 0x38
	s_wait_xcnt 0x0
	s_mul_u64 s[0:1], s[12:13], s[18:19]
	v_dual_mov_b32 v3, 0 :: v_dual_lshlrev_b32 v2, 3, v0
	s_lshl_b64 s[0:1], s[0:1], 3
	s_wait_kmcnt 0x0
	s_ashr_i32 s3, s10, 31
	s_mov_b32 s2, s10
	v_add3_u32 v8, s11, s11, v0
	s_add_nc_u64 s[0:1], s[8:9], s[0:1]
	s_lshl_b64 s[2:3], s[2:3], 3
	s_delay_alu instid0(SALU_CYCLE_1) | instskip(NEXT) | instid1(VALU_DEP_1)
	s_add_nc_u64 s[2:3], s[0:1], s[2:3]
	v_add_nc_u32_e32 v10, s11, v8
	v_add_nc_u64_e32 v[4:5], s[2:3], v[2:3]
	s_ashr_i32 s1, s11, 31
	s_mov_b32 s0, s11
	s_bitcmp0_b32 s4, 0
	v_add_nc_u32_e32 v12, s11, v10
	s_delay_alu instid0(VALU_DEP_2) | instskip(SKIP_1) | instid1(VALU_DEP_2)
	v_lshl_add_u64 v[6:7], s[0:1], 3, v[4:5]
	s_mov_b32 s1, -1
	v_add_nc_u32_e32 v14, s11, v12
	s_clause 0x1
	global_load_b64 v[70:71], v0, s[2:3] scale_offset
	global_load_b64 v[72:73], v[6:7], off
	v_add_nc_u32_e32 v16, s11, v14
	s_clause 0x1
	global_load_b64 v[74:75], v8, s[2:3] scale_offset
	global_load_b64 v[76:77], v10, s[2:3] scale_offset
	v_add_nc_u32_e32 v18, s11, v16
	s_delay_alu instid0(VALU_DEP_1)
	v_add_nc_u32_e32 v20, s11, v18
	s_clause 0x3
	global_load_b64 v[78:79], v12, s[2:3] scale_offset
	global_load_b64 v[80:81], v14, s[2:3] scale_offset
	;; [unrolled: 1-line block ×4, first 2 shown]
	v_add_nc_u32_e32 v22, s11, v20
	s_delay_alu instid0(VALU_DEP_1) | instskip(NEXT) | instid1(VALU_DEP_1)
	v_add_nc_u32_e32 v24, s11, v22
	v_add_nc_u32_e32 v26, s11, v24
	s_delay_alu instid0(VALU_DEP_1) | instskip(SKIP_4) | instid1(VALU_DEP_1)
	v_add_nc_u32_e32 v28, s11, v26
	s_clause 0x1
	global_load_b64 v[86:87], v20, s[2:3] scale_offset
	global_load_b64 v[88:89], v22, s[2:3] scale_offset
	v_add_nc_u32_e32 v30, s11, v28
	v_add_nc_u32_e32 v32, s11, v30
	s_clause 0x3
	global_load_b64 v[90:91], v24, s[2:3] scale_offset
	global_load_b64 v[92:93], v26, s[2:3] scale_offset
	;; [unrolled: 1-line block ×4, first 2 shown]
	v_add_nc_u32_e32 v34, s11, v32
	s_delay_alu instid0(VALU_DEP_1) | instskip(NEXT) | instid1(VALU_DEP_1)
	v_add_nc_u32_e32 v36, s11, v34
	v_add_nc_u32_e32 v38, s11, v36
	s_delay_alu instid0(VALU_DEP_1) | instskip(SKIP_4) | instid1(VALU_DEP_1)
	v_add_nc_u32_e32 v40, s11, v38
	s_clause 0x1
	global_load_b64 v[98:99], v32, s[2:3] scale_offset
	global_load_b64 v[100:101], v34, s[2:3] scale_offset
	v_add_nc_u32_e32 v42, s11, v40
	v_add_nc_u32_e32 v44, s11, v42
	s_clause 0x1
	global_load_b64 v[102:103], v36, s[2:3] scale_offset
	global_load_b64 v[104:105], v38, s[2:3] scale_offset
	v_add_nc_u32_e32 v46, s11, v44
	s_delay_alu instid0(VALU_DEP_1) | instskip(NEXT) | instid1(VALU_DEP_1)
	v_add_nc_u32_e32 v48, s11, v46
	v_add_nc_u32_e32 v50, s11, v48
	s_delay_alu instid0(VALU_DEP_1)
	v_add_nc_u32_e32 v52, s11, v50
	s_clause 0x3
	global_load_b64 v[106:107], v40, s[2:3] scale_offset
	global_load_b64 v[108:109], v42, s[2:3] scale_offset
	;; [unrolled: 1-line block ×4, first 2 shown]
	v_add_nc_u32_e32 v54, s11, v52
	s_delay_alu instid0(VALU_DEP_1)
	v_add_nc_u32_e32 v56, s11, v54
	s_clause 0x3
	global_load_b64 v[114:115], v48, s[2:3] scale_offset
	global_load_b64 v[116:117], v50, s[2:3] scale_offset
	global_load_b64 v[118:119], v52, s[2:3] scale_offset
	global_load_b64 v[120:121], v54, s[2:3] scale_offset
	v_add_nc_u32_e32 v58, s11, v56
	s_delay_alu instid0(VALU_DEP_1) | instskip(NEXT) | instid1(VALU_DEP_1)
	v_add_nc_u32_e32 v60, s11, v58
	v_add_nc_u32_e32 v62, s11, v60
	s_delay_alu instid0(VALU_DEP_1) | instskip(NEXT) | instid1(VALU_DEP_1)
	v_add_nc_u32_e32 v64, s11, v62
	v_add_nc_u32_e32 v66, s11, v64
	s_delay_alu instid0(VALU_DEP_1)
	v_add_nc_u32_e32 v68, s11, v66
	s_wait_loadcnt 0x18
	scratch_store_b128 off, v[70:73], off
	s_wait_xcnt 0x0
	v_add_nc_u32_e32 v70, s11, v68
	s_clause 0x1
	global_load_b64 v[122:123], v56, s[2:3] scale_offset
	global_load_b64 v[124:125], v58, s[2:3] scale_offset
	s_wait_loadcnt 0x18
	scratch_store_b128 off, v[74:77], off offset:16
	s_clause 0x1
	global_load_b64 v[126:127], v60, s[2:3] scale_offset
	global_load_b64 v[128:129], v62, s[2:3] scale_offset
	v_add_nc_u32_e32 v72, s11, v70
	s_wait_xcnt 0x2
	s_delay_alu instid0(VALU_DEP_1)
	v_add_nc_u32_e32 v74, s11, v72
	s_wait_loadcnt 0x18
	scratch_store_b128 off, v[78:81], off offset:32
	s_clause 0x1
	global_load_b64 v[130:131], v64, s[2:3] scale_offset
	global_load_b64 v[132:133], v66, s[2:3] scale_offset
	s_wait_loadcnt 0x18
	scratch_store_b128 off, v[82:85], off offset:48
	v_add_nc_u32_e32 v76, s11, v74
	s_clause 0x1
	global_load_b64 v[134:135], v68, s[2:3] scale_offset
	global_load_b64 v[136:137], v70, s[2:3] scale_offset
	s_wait_xcnt 0x5
	v_add_nc_u32_e32 v78, s11, v76
	s_delay_alu instid0(VALU_DEP_1) | instskip(SKIP_1) | instid1(VALU_DEP_1)
	v_add_nc_u32_e32 v80, s11, v78
	s_wait_xcnt 0x2
	v_add_nc_u32_e32 v82, s11, v80
	s_wait_loadcnt 0x18
	scratch_store_b128 off, v[86:89], off offset:64
	v_add_nc_u32_e32 v84, s11, v82
	s_wait_xcnt 0x0
	s_delay_alu instid0(VALU_DEP_1)
	v_add_nc_u32_e32 v86, s11, v84
	s_wait_loadcnt 0x16
	scratch_store_b128 off, v[90:93], off offset:80
	s_wait_loadcnt 0x14
	scratch_store_b128 off, v[94:97], off offset:96
	v_add_nc_u32_e32 v88, s11, v86
	s_wait_xcnt 0x1
	s_delay_alu instid0(VALU_DEP_1) | instskip(NEXT) | instid1(VALU_DEP_1)
	v_add_nc_u32_e32 v90, s11, v88
	v_add_nc_u32_e32 v92, s11, v90
	s_wait_xcnt 0x0
	s_delay_alu instid0(VALU_DEP_1)
	v_add_nc_u32_e32 v94, s11, v92
	s_wait_loadcnt 0x12
	scratch_store_b128 off, v[98:101], off offset:112
	v_add_nc_u32_e32 v96, s11, v94
	s_wait_loadcnt 0x10
	scratch_store_b128 off, v[102:105], off offset:128
	s_wait_loadcnt 0xe
	scratch_store_b128 off, v[106:109], off offset:144
	;; [unrolled: 2-line block ×4, first 2 shown]
	s_clause 0x3
	global_load_b64 v[98:99], v72, s[2:3] scale_offset
	global_load_b64 v[100:101], v74, s[2:3] scale_offset
	;; [unrolled: 1-line block ×4, first 2 shown]
	s_wait_loadcnt 0xc
	scratch_store_b128 off, v[118:121], off offset:192
	s_wait_loadcnt 0xa
	scratch_store_b128 off, v[122:125], off offset:208
	s_clause 0x3
	global_load_b64 v[106:107], v80, s[2:3] scale_offset
	global_load_b64 v[108:109], v82, s[2:3] scale_offset
	;; [unrolled: 1-line block ×4, first 2 shown]
	s_wait_loadcnt 0xc
	scratch_store_b128 off, v[126:129], off offset:224
	s_wait_loadcnt 0xa
	scratch_store_b128 off, v[130:133], off offset:240
	s_clause 0x1
	global_load_b64 v[114:115], v88, s[2:3] scale_offset
	global_load_b64 v[116:117], v90, s[2:3] scale_offset
	s_wait_loadcnt 0xa
	scratch_store_b128 off, v[134:137], off offset:256
	s_clause 0x2
	global_load_b64 v[118:119], v92, s[2:3] scale_offset
	global_load_b64 v[120:121], v94, s[2:3] scale_offset
	;; [unrolled: 1-line block ×3, first 2 shown]
	s_wait_loadcnt 0xb
	scratch_store_b128 off, v[98:101], off offset:272
	s_wait_loadcnt 0x9
	scratch_store_b128 off, v[102:105], off offset:288
	;; [unrolled: 2-line block ×6, first 2 shown]
	s_wait_loadcnt 0x0
	scratch_store_b64 off, v[122:123], off offset:368
	s_cbranch_scc1 .LBB46_196
; %bb.4:
	v_cmp_eq_u32_e64 s0, 0, v0
	s_wait_xcnt 0x0
	s_and_saveexec_b32 s1, s0
; %bb.5:
	v_mov_b32_e32 v1, 0
	ds_store_b32 v1, v1 offset:376
; %bb.6:
	s_or_b32 exec_lo, exec_lo, s1
	s_wait_storecnt_dscnt 0x0
	s_barrier_signal -1
	s_barrier_wait -1
	scratch_load_b64 v[98:99], v0, off scale_offset
	s_mov_b32 s4, exec_lo
	s_wait_loadcnt 0x0
	v_cmpx_eq_f64_e32 0, v[98:99]
	s_cbranch_execz .LBB46_10
; %bb.7:
	v_mov_b32_e32 v1, 0
	s_mov_b32 s5, 0
	ds_load_b32 v3, v1 offset:376
	s_wait_dscnt 0x0
	v_readfirstlane_b32 s1, v3
	v_add_nc_u32_e32 v3, 1, v0
	s_cmp_eq_u32 s1, 0
	s_delay_alu instid0(VALU_DEP_1) | instskip(SKIP_1) | instid1(SALU_CYCLE_1)
	v_cmp_gt_i32_e32 vcc_lo, s1, v3
	s_cselect_b32 s8, -1, 0
	s_or_b32 s8, s8, vcc_lo
	s_delay_alu instid0(SALU_CYCLE_1)
	s_and_b32 exec_lo, exec_lo, s8
	s_cbranch_execz .LBB46_10
; %bb.8:
	v_mov_b32_e32 v9, s1
.LBB46_9:                               ; =>This Inner Loop Header: Depth=1
	ds_cmpstore_rtn_b32 v9, v1, v3, v9 offset:376
	s_wait_dscnt 0x0
	v_cmp_ne_u32_e32 vcc_lo, 0, v9
	v_cmp_le_i32_e64 s1, v9, v3
	s_and_b32 s1, vcc_lo, s1
	s_delay_alu instid0(SALU_CYCLE_1) | instskip(NEXT) | instid1(SALU_CYCLE_1)
	s_and_b32 s1, exec_lo, s1
	s_or_b32 s5, s1, s5
	s_delay_alu instid0(SALU_CYCLE_1)
	s_and_not1_b32 exec_lo, exec_lo, s5
	s_cbranch_execnz .LBB46_9
.LBB46_10:
	s_or_b32 exec_lo, exec_lo, s4
	v_mov_b32_e32 v1, 0
	s_barrier_signal -1
	s_barrier_wait -1
	ds_load_b32 v3, v1 offset:376
	s_and_saveexec_b32 s1, s0
	s_cbranch_execz .LBB46_12
; %bb.11:
	s_lshl_b64 s[4:5], s[18:19], 2
	s_delay_alu instid0(SALU_CYCLE_1)
	s_add_nc_u64 s[4:5], s[6:7], s[4:5]
	s_wait_dscnt 0x0
	global_store_b32 v1, v3, s[4:5]
.LBB46_12:
	s_wait_xcnt 0x0
	s_or_b32 exec_lo, exec_lo, s1
	s_wait_dscnt 0x0
	v_cmp_ne_u32_e32 vcc_lo, 0, v3
	s_mov_b32 s1, 0
	s_cbranch_vccnz .LBB46_196
; %bb.13:
	v_lshl_add_u32 v3, v0, 3, 0
	v_add_nc_u32_e32 v1, 0x180, v2
	scratch_load_b64 v[98:99], v3, off
	s_wait_loadcnt 0x0
	v_div_scale_f64 v[100:101], null, v[98:99], v[98:99], 1.0
	v_div_scale_f64 v[106:107], vcc_lo, 1.0, v[98:99], 1.0
	s_delay_alu instid0(VALU_DEP_2) | instskip(SKIP_1) | instid1(TRANS32_DEP_1)
	v_rcp_f64_e32 v[102:103], v[100:101]
	v_nop
	v_fma_f64 v[104:105], -v[100:101], v[102:103], 1.0
	s_delay_alu instid0(VALU_DEP_1) | instskip(NEXT) | instid1(VALU_DEP_1)
	v_fmac_f64_e32 v[102:103], v[102:103], v[104:105]
	v_fma_f64 v[104:105], -v[100:101], v[102:103], 1.0
	s_delay_alu instid0(VALU_DEP_1) | instskip(NEXT) | instid1(VALU_DEP_1)
	v_fmac_f64_e32 v[102:103], v[102:103], v[104:105]
	v_mul_f64_e32 v[104:105], v[106:107], v[102:103]
	s_delay_alu instid0(VALU_DEP_1) | instskip(NEXT) | instid1(VALU_DEP_1)
	v_fma_f64 v[100:101], -v[100:101], v[104:105], v[106:107]
	v_div_fmas_f64 v[100:101], v[100:101], v[102:103], v[104:105]
	s_delay_alu instid0(VALU_DEP_1)
	v_div_fixup_f64 v[98:99], v[100:101], v[98:99], 1.0
	scratch_store_b64 v3, v[98:99], off
	scratch_load_b64 v[100:101], off, off offset:8
	s_wait_xcnt 0x1
	v_xor_b32_e32 v99, 0x80000000, v99
	s_wait_loadcnt 0x0
	ds_store_2addr_b64 v2, v[98:99], v[100:101] offset1:48
	s_wait_storecnt_dscnt 0x0
	s_barrier_signal -1
	s_barrier_wait -1
	s_wait_xcnt 0x0
	s_and_saveexec_b32 s1, s0
	s_cbranch_execz .LBB46_15
; %bb.14:
	scratch_load_b64 v[98:99], v3, off
	ds_load_b64 v[100:101], v1
	s_wait_loadcnt_dscnt 0x0
	v_fma_f64 v[98:99], v[98:99], v[100:101], 0
	v_mov_b32_e32 v9, 0
	ds_load_b64 v[102:103], v9 offset:8
	s_wait_dscnt 0x0
	v_mul_f64_e32 v[98:99], v[98:99], v[102:103]
	scratch_store_b64 off, v[98:99], off offset:8
.LBB46_15:
	s_wait_xcnt 0x0
	s_or_b32 exec_lo, exec_lo, s1
	s_wait_storecnt 0x0
	s_barrier_signal -1
	s_barrier_wait -1
	scratch_load_b64 v[98:99], off, off offset:16
	s_mov_b32 s1, exec_lo
	s_wait_loadcnt 0x0
	ds_store_b64 v1, v[98:99]
	s_wait_dscnt 0x0
	s_barrier_signal -1
	s_barrier_wait -1
	v_cmpx_gt_u32_e32 2, v0
	s_cbranch_execz .LBB46_19
; %bb.16:
	scratch_load_b64 v[98:99], v3, off
	ds_load_b64 v[100:101], v1
	s_wait_loadcnt_dscnt 0x0
	v_fma_f64 v[98:99], v[98:99], v[100:101], 0
	s_and_saveexec_b32 s4, s0
	s_cbranch_execz .LBB46_18
; %bb.17:
	scratch_load_b64 v[100:101], off, off offset:8
	v_mov_b32_e32 v3, 0
	ds_load_b64 v[102:103], v3 offset:392
	s_wait_loadcnt_dscnt 0x0
	v_fmac_f64_e32 v[98:99], v[100:101], v[102:103]
.LBB46_18:
	s_or_b32 exec_lo, exec_lo, s4
	v_mov_b32_e32 v3, 0
	ds_load_b64 v[100:101], v3 offset:16
	s_wait_dscnt 0x0
	v_mul_f64_e32 v[98:99], v[98:99], v[100:101]
	scratch_store_b64 off, v[98:99], off offset:16
.LBB46_19:
	s_wait_xcnt 0x0
	s_or_b32 exec_lo, exec_lo, s1
	s_wait_storecnt 0x0
	s_barrier_signal -1
	s_barrier_wait -1
	scratch_load_b64 v[98:99], off, off offset:24
	v_add_nc_u32_e32 v3, -1, v0
	s_mov_b32 s0, exec_lo
	s_wait_loadcnt 0x0
	ds_store_b64 v1, v[98:99]
	s_wait_dscnt 0x0
	s_barrier_signal -1
	s_barrier_wait -1
	v_cmpx_gt_u32_e32 3, v0
	s_cbranch_execz .LBB46_23
; %bb.20:
	v_mov_b64_e32 v[98:99], 0
	v_dual_add_nc_u32 v9, -1, v0 :: v_dual_mov_b32 v13, v2
	v_add_nc_u32_e32 v11, 0x180, v2
	s_mov_b32 s1, 0
.LBB46_21:                              ; =>This Inner Loop Header: Depth=1
	scratch_load_b64 v[100:101], v13, off
	ds_load_b64 v[102:103], v11
	v_dual_add_nc_u32 v9, 1, v9 :: v_dual_add_nc_u32 v11, 8, v11
	s_wait_xcnt 0x0
	v_add_nc_u32_e32 v13, 8, v13
	s_delay_alu instid0(VALU_DEP_2)
	v_cmp_lt_u32_e32 vcc_lo, 1, v9
	s_or_b32 s1, vcc_lo, s1
	s_wait_loadcnt_dscnt 0x0
	v_fmac_f64_e32 v[98:99], v[100:101], v[102:103]
	s_and_not1_b32 exec_lo, exec_lo, s1
	s_cbranch_execnz .LBB46_21
; %bb.22:
	s_or_b32 exec_lo, exec_lo, s1
	v_mov_b32_e32 v9, 0
	ds_load_b64 v[100:101], v9 offset:24
	s_wait_dscnt 0x0
	v_mul_f64_e32 v[98:99], v[98:99], v[100:101]
	scratch_store_b64 off, v[98:99], off offset:24
.LBB46_23:
	s_wait_xcnt 0x0
	s_or_b32 exec_lo, exec_lo, s0
	s_wait_storecnt 0x0
	s_barrier_signal -1
	s_barrier_wait -1
	scratch_load_b64 v[98:99], off, off offset:32
	s_mov_b32 s0, exec_lo
	s_wait_loadcnt 0x0
	ds_store_b64 v1, v[98:99]
	s_wait_dscnt 0x0
	s_barrier_signal -1
	s_barrier_wait -1
	v_cmpx_gt_u32_e32 4, v0
	s_cbranch_execz .LBB46_27
; %bb.24:
	v_mov_b64_e32 v[98:99], 0
	v_dual_add_nc_u32 v9, -1, v0 :: v_dual_mov_b32 v13, v2
	v_add_nc_u32_e32 v11, 0x180, v2
	s_mov_b32 s1, 0
.LBB46_25:                              ; =>This Inner Loop Header: Depth=1
	scratch_load_b64 v[100:101], v13, off
	ds_load_b64 v[102:103], v11
	v_dual_add_nc_u32 v9, 1, v9 :: v_dual_add_nc_u32 v11, 8, v11
	s_wait_xcnt 0x0
	v_add_nc_u32_e32 v13, 8, v13
	s_delay_alu instid0(VALU_DEP_2)
	v_cmp_lt_u32_e32 vcc_lo, 2, v9
	s_or_b32 s1, vcc_lo, s1
	s_wait_loadcnt_dscnt 0x0
	v_fmac_f64_e32 v[98:99], v[100:101], v[102:103]
	s_and_not1_b32 exec_lo, exec_lo, s1
	s_cbranch_execnz .LBB46_25
; %bb.26:
	s_or_b32 exec_lo, exec_lo, s1
	v_mov_b32_e32 v9, 0
	ds_load_b64 v[100:101], v9 offset:32
	s_wait_dscnt 0x0
	v_mul_f64_e32 v[98:99], v[98:99], v[100:101]
	scratch_store_b64 off, v[98:99], off offset:32
.LBB46_27:
	s_wait_xcnt 0x0
	s_or_b32 exec_lo, exec_lo, s0
	s_wait_storecnt 0x0
	s_barrier_signal -1
	s_barrier_wait -1
	scratch_load_b64 v[98:99], off, off offset:40
	;; [unrolled: 40-line block ×20, first 2 shown]
	s_mov_b32 s0, exec_lo
	s_wait_loadcnt 0x0
	ds_store_b64 v1, v[98:99]
	s_wait_dscnt 0x0
	s_barrier_signal -1
	s_barrier_wait -1
	v_cmpx_gt_u32_e32 23, v0
	s_cbranch_execz .LBB46_103
; %bb.100:
	v_mov_b64_e32 v[98:99], 0
	v_dual_add_nc_u32 v9, -1, v0 :: v_dual_mov_b32 v13, v2
	v_add_nc_u32_e32 v11, 0x180, v2
	s_mov_b32 s1, 0
.LBB46_101:                             ; =>This Inner Loop Header: Depth=1
	scratch_load_b64 v[100:101], v13, off
	ds_load_b64 v[102:103], v11
	v_dual_add_nc_u32 v9, 1, v9 :: v_dual_add_nc_u32 v11, 8, v11
	s_wait_xcnt 0x0
	v_add_nc_u32_e32 v13, 8, v13
	s_delay_alu instid0(VALU_DEP_2)
	v_cmp_lt_u32_e32 vcc_lo, 21, v9
	s_or_b32 s1, vcc_lo, s1
	s_wait_loadcnt_dscnt 0x0
	v_fmac_f64_e32 v[98:99], v[100:101], v[102:103]
	s_and_not1_b32 exec_lo, exec_lo, s1
	s_cbranch_execnz .LBB46_101
; %bb.102:
	s_or_b32 exec_lo, exec_lo, s1
	v_mov_b32_e32 v9, 0
	ds_load_b64 v[100:101], v9 offset:184
	s_wait_dscnt 0x0
	v_mul_f64_e32 v[98:99], v[98:99], v[100:101]
	scratch_store_b64 off, v[98:99], off offset:184
.LBB46_103:
	s_wait_xcnt 0x0
	s_or_b32 exec_lo, exec_lo, s0
	s_wait_storecnt 0x0
	s_barrier_signal -1
	s_barrier_wait -1
	scratch_load_b64 v[98:99], off, off offset:192
	s_mov_b32 s0, exec_lo
	s_wait_loadcnt 0x0
	ds_store_b64 v1, v[98:99]
	s_wait_dscnt 0x0
	s_barrier_signal -1
	s_barrier_wait -1
	v_cmpx_gt_u32_e32 24, v0
	s_cbranch_execz .LBB46_107
; %bb.104:
	v_mov_b64_e32 v[98:99], 0
	v_dual_add_nc_u32 v9, -1, v0 :: v_dual_mov_b32 v13, v2
	v_add_nc_u32_e32 v11, 0x180, v2
	s_mov_b32 s1, 0
.LBB46_105:                             ; =>This Inner Loop Header: Depth=1
	scratch_load_b64 v[100:101], v13, off
	ds_load_b64 v[102:103], v11
	v_dual_add_nc_u32 v9, 1, v9 :: v_dual_add_nc_u32 v11, 8, v11
	s_wait_xcnt 0x0
	v_add_nc_u32_e32 v13, 8, v13
	s_delay_alu instid0(VALU_DEP_2)
	v_cmp_lt_u32_e32 vcc_lo, 22, v9
	s_or_b32 s1, vcc_lo, s1
	s_wait_loadcnt_dscnt 0x0
	v_fmac_f64_e32 v[98:99], v[100:101], v[102:103]
	s_and_not1_b32 exec_lo, exec_lo, s1
	s_cbranch_execnz .LBB46_105
; %bb.106:
	s_or_b32 exec_lo, exec_lo, s1
	v_mov_b32_e32 v9, 0
	ds_load_b64 v[100:101], v9 offset:192
	s_wait_dscnt 0x0
	v_mul_f64_e32 v[98:99], v[98:99], v[100:101]
	scratch_store_b64 off, v[98:99], off offset:192
.LBB46_107:
	s_wait_xcnt 0x0
	s_or_b32 exec_lo, exec_lo, s0
	s_wait_storecnt 0x0
	s_barrier_signal -1
	s_barrier_wait -1
	scratch_load_b64 v[98:99], off, off offset:200
	;; [unrolled: 40-line block ×23, first 2 shown]
	s_mov_b32 s0, exec_lo
	s_wait_loadcnt 0x0
	ds_store_b64 v1, v[98:99]
	s_wait_dscnt 0x0
	s_barrier_signal -1
	s_barrier_wait -1
	v_cmpx_ne_u32_e32 46, v0
	s_cbranch_execz .LBB46_195
; %bb.192:
	v_mov_b64_e32 v[98:99], 0
	s_mov_b32 s1, 0
.LBB46_193:                             ; =>This Inner Loop Header: Depth=1
	scratch_load_b64 v[100:101], v2, off
	ds_load_b64 v[102:103], v1
	v_dual_add_nc_u32 v3, 1, v3 :: v_dual_add_nc_u32 v1, 8, v1
	s_wait_xcnt 0x0
	v_add_nc_u32_e32 v2, 8, v2
	s_delay_alu instid0(VALU_DEP_2)
	v_cmp_lt_u32_e32 vcc_lo, 44, v3
	s_or_b32 s1, vcc_lo, s1
	s_wait_loadcnt_dscnt 0x0
	v_fmac_f64_e32 v[98:99], v[100:101], v[102:103]
	s_and_not1_b32 exec_lo, exec_lo, s1
	s_cbranch_execnz .LBB46_193
; %bb.194:
	s_or_b32 exec_lo, exec_lo, s1
	v_mov_b32_e32 v1, 0
	ds_load_b64 v[2:3], v1 offset:368
	s_wait_dscnt 0x0
	v_mul_f64_e32 v[2:3], v[98:99], v[2:3]
	scratch_store_b64 off, v[2:3], off offset:368
.LBB46_195:
	s_wait_xcnt 0x0
	s_or_b32 exec_lo, exec_lo, s0
	s_mov_b32 s1, -1
	s_wait_storecnt 0x0
	s_barrier_signal -1
	s_barrier_wait -1
.LBB46_196:
	s_and_b32 vcc_lo, exec_lo, s1
	s_cbranch_vccz .LBB46_198
; %bb.197:
	v_mov_b32_e32 v1, 0
	s_lshl_b64 s[0:1], s[18:19], 2
	s_delay_alu instid0(SALU_CYCLE_1)
	s_add_nc_u64 s[0:1], s[6:7], s[0:1]
	global_load_b32 v1, v1, s[0:1]
	s_wait_loadcnt 0x0
	v_cmp_ne_u32_e32 vcc_lo, 0, v1
	s_cbranch_vccz .LBB46_199
.LBB46_198:
	s_sendmsg sendmsg(MSG_DEALLOC_VGPRS)
	s_endpgm
.LBB46_199:
	s_wait_xcnt 0x0
	v_lshl_add_u32 v1, v0, 3, 0x180
	s_mov_b32 s0, exec_lo
	v_cmpx_eq_u32_e32 46, v0
	s_cbranch_execz .LBB46_201
; %bb.200:
	scratch_load_b64 v[2:3], off, off offset:360
	v_mov_b64_e32 v[98:99], 0
	scratch_store_b64 off, v[98:99], off offset:360
	s_wait_loadcnt 0x0
	ds_store_b64 v1, v[2:3]
.LBB46_201:
	s_wait_xcnt 0x0
	s_or_b32 exec_lo, exec_lo, s0
	s_wait_storecnt_dscnt 0x0
	s_barrier_signal -1
	s_barrier_wait -1
	scratch_load_b128 v[98:101], off, off offset:360
	v_mov_b32_e32 v2, 0
	s_mov_b32 s0, exec_lo
	ds_load_b64 v[102:103], v2 offset:752
	s_wait_loadcnt_dscnt 0x0
	v_fma_f64 v[100:101], v[100:101], v[102:103], 0
	s_delay_alu instid0(VALU_DEP_1)
	v_add_f64_e64 v[98:99], v[98:99], -v[100:101]
	scratch_store_b64 off, v[98:99], off offset:360
	s_wait_xcnt 0x0
	v_cmpx_lt_u32_e32 44, v0
	s_cbranch_execz .LBB46_203
; %bb.202:
	scratch_load_b64 v[98:99], off, off offset:352
	v_mov_b64_e32 v[100:101], 0
	scratch_store_b64 off, v[100:101], off offset:352
	s_wait_loadcnt 0x0
	ds_store_b64 v1, v[98:99]
.LBB46_203:
	s_wait_xcnt 0x0
	s_or_b32 exec_lo, exec_lo, s0
	s_wait_storecnt_dscnt 0x0
	s_barrier_signal -1
	s_barrier_wait -1
	s_clause 0x1
	scratch_load_b128 v[98:101], off, off offset:352
	scratch_load_b64 v[106:107], off, off offset:368
	ds_load_2addr_b64 v[102:105], v2 offset0:93 offset1:94
	s_mov_b32 s0, exec_lo
	s_wait_loadcnt_dscnt 0x100
	v_fma_f64 v[2:3], v[100:101], v[102:103], 0
	s_wait_loadcnt 0x0
	s_delay_alu instid0(VALU_DEP_1) | instskip(NEXT) | instid1(VALU_DEP_1)
	v_fmac_f64_e32 v[2:3], v[106:107], v[104:105]
	v_add_f64_e64 v[2:3], v[98:99], -v[2:3]
	scratch_store_b64 off, v[2:3], off offset:352
	s_wait_xcnt 0x0
	v_cmpx_lt_u32_e32 43, v0
	s_cbranch_execz .LBB46_205
; %bb.204:
	scratch_load_b64 v[2:3], off, off offset:344
	v_mov_b64_e32 v[98:99], 0
	scratch_store_b64 off, v[98:99], off offset:344
	s_wait_loadcnt 0x0
	ds_store_b64 v1, v[2:3]
.LBB46_205:
	s_wait_xcnt 0x0
	s_or_b32 exec_lo, exec_lo, s0
	s_wait_storecnt_dscnt 0x0
	s_barrier_signal -1
	s_barrier_wait -1
	s_clause 0x1
	scratch_load_b128 v[98:101], off, off offset:344
	scratch_load_b128 v[102:105], off, off offset:360
	v_mov_b32_e32 v2, 0
	ds_load_b128 v[106:109], v2 offset:736
	ds_load_b64 v[110:111], v2 offset:752
	s_mov_b32 s0, exec_lo
	s_wait_loadcnt_dscnt 0x101
	v_fma_f64 v[100:101], v[100:101], v[106:107], 0
	s_wait_loadcnt 0x0
	s_delay_alu instid0(VALU_DEP_1) | instskip(SKIP_1) | instid1(VALU_DEP_1)
	v_fmac_f64_e32 v[100:101], v[102:103], v[108:109]
	s_wait_dscnt 0x0
	v_fmac_f64_e32 v[100:101], v[104:105], v[110:111]
	s_delay_alu instid0(VALU_DEP_1)
	v_add_f64_e64 v[98:99], v[98:99], -v[100:101]
	scratch_store_b64 off, v[98:99], off offset:344
	s_wait_xcnt 0x0
	v_cmpx_lt_u32_e32 42, v0
	s_cbranch_execz .LBB46_207
; %bb.206:
	scratch_load_b64 v[98:99], off, off offset:336
	v_mov_b64_e32 v[100:101], 0
	scratch_store_b64 off, v[100:101], off offset:336
	s_wait_loadcnt 0x0
	ds_store_b64 v1, v[98:99]
.LBB46_207:
	s_wait_xcnt 0x0
	s_or_b32 exec_lo, exec_lo, s0
	s_wait_storecnt_dscnt 0x0
	s_barrier_signal -1
	s_barrier_wait -1
	s_clause 0x2
	scratch_load_b128 v[98:101], off, off offset:336
	scratch_load_b128 v[102:105], off, off offset:352
	scratch_load_b64 v[114:115], off, off offset:368
	ds_load_2addr_b64 v[106:109], v2 offset0:91 offset1:92
	ds_load_2addr_b64 v[110:113], v2 offset0:93 offset1:94
	s_mov_b32 s0, exec_lo
	s_wait_loadcnt_dscnt 0x201
	v_fma_f64 v[2:3], v[100:101], v[106:107], 0
	s_wait_loadcnt 0x1
	s_delay_alu instid0(VALU_DEP_1) | instskip(SKIP_1) | instid1(VALU_DEP_1)
	v_fmac_f64_e32 v[2:3], v[102:103], v[108:109]
	s_wait_dscnt 0x0
	v_fmac_f64_e32 v[2:3], v[104:105], v[110:111]
	s_wait_loadcnt 0x0
	s_delay_alu instid0(VALU_DEP_1) | instskip(NEXT) | instid1(VALU_DEP_1)
	v_fmac_f64_e32 v[2:3], v[114:115], v[112:113]
	v_add_f64_e64 v[2:3], v[98:99], -v[2:3]
	scratch_store_b64 off, v[2:3], off offset:336
	s_wait_xcnt 0x0
	v_cmpx_lt_u32_e32 41, v0
	s_cbranch_execz .LBB46_209
; %bb.208:
	scratch_load_b64 v[2:3], off, off offset:328
	v_mov_b64_e32 v[98:99], 0
	scratch_store_b64 off, v[98:99], off offset:328
	s_wait_loadcnt 0x0
	ds_store_b64 v1, v[2:3]
.LBB46_209:
	s_wait_xcnt 0x0
	s_or_b32 exec_lo, exec_lo, s0
	s_wait_storecnt_dscnt 0x0
	s_barrier_signal -1
	s_barrier_wait -1
	s_clause 0x2
	scratch_load_b128 v[98:101], off, off offset:328
	scratch_load_b128 v[102:105], off, off offset:344
	;; [unrolled: 1-line block ×3, first 2 shown]
	v_mov_b32_e32 v2, 0
	ds_load_b128 v[110:113], v2 offset:720
	ds_load_b128 v[114:117], v2 offset:736
	s_mov_b32 s0, exec_lo
	s_wait_loadcnt_dscnt 0x201
	v_fma_f64 v[100:101], v[100:101], v[110:111], 0
	s_wait_loadcnt 0x1
	s_delay_alu instid0(VALU_DEP_1) | instskip(SKIP_4) | instid1(VALU_DEP_1)
	v_fmac_f64_e32 v[100:101], v[102:103], v[112:113]
	ds_load_b64 v[102:103], v2 offset:752
	s_wait_dscnt 0x1
	v_fmac_f64_e32 v[100:101], v[104:105], v[114:115]
	s_wait_loadcnt 0x0
	v_fmac_f64_e32 v[100:101], v[106:107], v[116:117]
	s_wait_dscnt 0x0
	s_delay_alu instid0(VALU_DEP_1) | instskip(NEXT) | instid1(VALU_DEP_1)
	v_fmac_f64_e32 v[100:101], v[108:109], v[102:103]
	v_add_f64_e64 v[98:99], v[98:99], -v[100:101]
	scratch_store_b64 off, v[98:99], off offset:328
	s_wait_xcnt 0x0
	v_cmpx_lt_u32_e32 40, v0
	s_cbranch_execz .LBB46_211
; %bb.210:
	scratch_load_b64 v[98:99], off, off offset:320
	v_mov_b64_e32 v[100:101], 0
	scratch_store_b64 off, v[100:101], off offset:320
	s_wait_loadcnt 0x0
	ds_store_b64 v1, v[98:99]
.LBB46_211:
	s_wait_xcnt 0x0
	s_or_b32 exec_lo, exec_lo, s0
	s_wait_storecnt_dscnt 0x0
	s_barrier_signal -1
	s_barrier_wait -1
	s_clause 0x3
	scratch_load_b128 v[98:101], off, off offset:320
	scratch_load_b128 v[102:105], off, off offset:336
	;; [unrolled: 1-line block ×3, first 2 shown]
	scratch_load_b64 v[118:119], off, off offset:368
	ds_load_2addr_b64 v[110:113], v2 offset0:89 offset1:90
	ds_load_2addr_b64 v[114:117], v2 offset0:91 offset1:92
	s_mov_b32 s0, exec_lo
	s_wait_loadcnt_dscnt 0x301
	v_fma_f64 v[110:111], v[100:101], v[110:111], 0
	s_wait_loadcnt 0x2
	s_delay_alu instid0(VALU_DEP_1) | instskip(SKIP_4) | instid1(VALU_DEP_1)
	v_fmac_f64_e32 v[110:111], v[102:103], v[112:113]
	ds_load_2addr_b64 v[100:103], v2 offset0:93 offset1:94
	s_wait_dscnt 0x1
	v_fmac_f64_e32 v[110:111], v[104:105], v[114:115]
	s_wait_loadcnt 0x1
	v_fmac_f64_e32 v[110:111], v[106:107], v[116:117]
	s_wait_dscnt 0x0
	s_delay_alu instid0(VALU_DEP_1) | instskip(SKIP_1) | instid1(VALU_DEP_1)
	v_fmac_f64_e32 v[110:111], v[108:109], v[100:101]
	s_wait_loadcnt 0x0
	v_fmac_f64_e32 v[110:111], v[118:119], v[102:103]
	s_delay_alu instid0(VALU_DEP_1)
	v_add_f64_e64 v[2:3], v[98:99], -v[110:111]
	scratch_store_b64 off, v[2:3], off offset:320
	s_wait_xcnt 0x0
	v_cmpx_lt_u32_e32 39, v0
	s_cbranch_execz .LBB46_213
; %bb.212:
	scratch_load_b64 v[2:3], off, off offset:312
	v_mov_b64_e32 v[98:99], 0
	scratch_store_b64 off, v[98:99], off offset:312
	s_wait_loadcnt 0x0
	ds_store_b64 v1, v[2:3]
.LBB46_213:
	s_wait_xcnt 0x0
	s_or_b32 exec_lo, exec_lo, s0
	s_wait_storecnt_dscnt 0x0
	s_barrier_signal -1
	s_barrier_wait -1
	s_clause 0x3
	scratch_load_b128 v[98:101], off, off offset:312
	scratch_load_b128 v[102:105], off, off offset:328
	;; [unrolled: 1-line block ×4, first 2 shown]
	v_mov_b32_e32 v2, 0
	ds_load_b128 v[114:117], v2 offset:704
	ds_load_b128 v[118:121], v2 offset:720
	s_mov_b32 s0, exec_lo
	s_wait_loadcnt_dscnt 0x301
	v_fma_f64 v[114:115], v[100:101], v[114:115], 0
	s_wait_loadcnt 0x2
	s_delay_alu instid0(VALU_DEP_1) | instskip(SKIP_1) | instid1(VALU_DEP_1)
	v_fmac_f64_e32 v[114:115], v[102:103], v[116:117]
	s_wait_dscnt 0x0
	v_fmac_f64_e32 v[114:115], v[104:105], v[118:119]
	ds_load_b128 v[100:103], v2 offset:736
	ds_load_b64 v[104:105], v2 offset:752
	s_wait_loadcnt 0x1
	v_fmac_f64_e32 v[114:115], v[106:107], v[120:121]
	s_wait_dscnt 0x1
	s_delay_alu instid0(VALU_DEP_1) | instskip(SKIP_1) | instid1(VALU_DEP_1)
	v_fmac_f64_e32 v[114:115], v[108:109], v[100:101]
	s_wait_loadcnt 0x0
	v_fmac_f64_e32 v[114:115], v[110:111], v[102:103]
	s_wait_dscnt 0x0
	s_delay_alu instid0(VALU_DEP_1) | instskip(NEXT) | instid1(VALU_DEP_1)
	v_fmac_f64_e32 v[114:115], v[112:113], v[104:105]
	v_add_f64_e64 v[98:99], v[98:99], -v[114:115]
	scratch_store_b64 off, v[98:99], off offset:312
	s_wait_xcnt 0x0
	v_cmpx_lt_u32_e32 38, v0
	s_cbranch_execz .LBB46_215
; %bb.214:
	scratch_load_b64 v[98:99], off, off offset:304
	v_mov_b64_e32 v[100:101], 0
	scratch_store_b64 off, v[100:101], off offset:304
	s_wait_loadcnt 0x0
	ds_store_b64 v1, v[98:99]
.LBB46_215:
	s_wait_xcnt 0x0
	s_or_b32 exec_lo, exec_lo, s0
	s_wait_storecnt_dscnt 0x0
	s_barrier_signal -1
	s_barrier_wait -1
	s_clause 0x4
	scratch_load_b128 v[98:101], off, off offset:304
	scratch_load_b128 v[102:105], off, off offset:320
	;; [unrolled: 1-line block ×4, first 2 shown]
	scratch_load_b64 v[122:123], off, off offset:368
	ds_load_2addr_b64 v[114:117], v2 offset0:87 offset1:88
	ds_load_2addr_b64 v[118:121], v2 offset0:89 offset1:90
	s_mov_b32 s0, exec_lo
	s_wait_loadcnt_dscnt 0x401
	v_fma_f64 v[114:115], v[100:101], v[114:115], 0
	s_wait_loadcnt 0x3
	s_delay_alu instid0(VALU_DEP_1) | instskip(SKIP_1) | instid1(VALU_DEP_1)
	v_fmac_f64_e32 v[114:115], v[102:103], v[116:117]
	s_wait_dscnt 0x0
	v_fmac_f64_e32 v[114:115], v[104:105], v[118:119]
	s_wait_loadcnt 0x2
	s_delay_alu instid0(VALU_DEP_1)
	v_fmac_f64_e32 v[114:115], v[106:107], v[120:121]
	ds_load_2addr_b64 v[100:103], v2 offset0:91 offset1:92
	ds_load_2addr_b64 v[104:107], v2 offset0:93 offset1:94
	s_wait_dscnt 0x1
	v_fmac_f64_e32 v[114:115], v[108:109], v[100:101]
	s_wait_loadcnt 0x1
	s_delay_alu instid0(VALU_DEP_1) | instskip(SKIP_1) | instid1(VALU_DEP_1)
	v_fmac_f64_e32 v[114:115], v[110:111], v[102:103]
	s_wait_dscnt 0x0
	v_fmac_f64_e32 v[114:115], v[112:113], v[104:105]
	s_wait_loadcnt 0x0
	s_delay_alu instid0(VALU_DEP_1) | instskip(NEXT) | instid1(VALU_DEP_1)
	v_fmac_f64_e32 v[114:115], v[122:123], v[106:107]
	v_add_f64_e64 v[2:3], v[98:99], -v[114:115]
	scratch_store_b64 off, v[2:3], off offset:304
	s_wait_xcnt 0x0
	v_cmpx_lt_u32_e32 37, v0
	s_cbranch_execz .LBB46_217
; %bb.216:
	scratch_load_b64 v[2:3], off, off offset:296
	v_mov_b64_e32 v[98:99], 0
	scratch_store_b64 off, v[98:99], off offset:296
	s_wait_loadcnt 0x0
	ds_store_b64 v1, v[2:3]
.LBB46_217:
	s_wait_xcnt 0x0
	s_or_b32 exec_lo, exec_lo, s0
	s_wait_storecnt_dscnt 0x0
	s_barrier_signal -1
	s_barrier_wait -1
	s_clause 0x4
	scratch_load_b128 v[98:101], off, off offset:296
	scratch_load_b128 v[102:105], off, off offset:312
	;; [unrolled: 1-line block ×5, first 2 shown]
	v_mov_b32_e32 v2, 0
	ds_load_b128 v[118:121], v2 offset:688
	ds_load_b128 v[122:125], v2 offset:704
	s_mov_b32 s0, exec_lo
	s_wait_loadcnt_dscnt 0x401
	v_fma_f64 v[118:119], v[100:101], v[118:119], 0
	s_wait_loadcnt 0x3
	s_delay_alu instid0(VALU_DEP_1) | instskip(SKIP_1) | instid1(VALU_DEP_1)
	v_fmac_f64_e32 v[118:119], v[102:103], v[120:121]
	s_wait_dscnt 0x0
	v_fmac_f64_e32 v[118:119], v[104:105], v[122:123]
	s_wait_loadcnt 0x2
	s_delay_alu instid0(VALU_DEP_1)
	v_fmac_f64_e32 v[118:119], v[106:107], v[124:125]
	ds_load_b128 v[100:103], v2 offset:720
	ds_load_b128 v[104:107], v2 offset:736
	s_wait_dscnt 0x1
	v_fmac_f64_e32 v[118:119], v[108:109], v[100:101]
	ds_load_b64 v[100:101], v2 offset:752
	s_wait_loadcnt 0x1
	v_fmac_f64_e32 v[118:119], v[110:111], v[102:103]
	s_wait_dscnt 0x1
	s_delay_alu instid0(VALU_DEP_1) | instskip(SKIP_1) | instid1(VALU_DEP_1)
	v_fmac_f64_e32 v[118:119], v[112:113], v[104:105]
	s_wait_loadcnt 0x0
	v_fmac_f64_e32 v[118:119], v[114:115], v[106:107]
	s_wait_dscnt 0x0
	s_delay_alu instid0(VALU_DEP_1) | instskip(NEXT) | instid1(VALU_DEP_1)
	v_fmac_f64_e32 v[118:119], v[116:117], v[100:101]
	v_add_f64_e64 v[98:99], v[98:99], -v[118:119]
	scratch_store_b64 off, v[98:99], off offset:296
	s_wait_xcnt 0x0
	v_cmpx_lt_u32_e32 36, v0
	s_cbranch_execz .LBB46_219
; %bb.218:
	scratch_load_b64 v[98:99], off, off offset:288
	v_mov_b64_e32 v[100:101], 0
	scratch_store_b64 off, v[100:101], off offset:288
	s_wait_loadcnt 0x0
	ds_store_b64 v1, v[98:99]
.LBB46_219:
	s_wait_xcnt 0x0
	s_or_b32 exec_lo, exec_lo, s0
	s_wait_storecnt_dscnt 0x0
	s_barrier_signal -1
	s_barrier_wait -1
	s_clause 0x5
	scratch_load_b128 v[98:101], off, off offset:288
	scratch_load_b128 v[102:105], off, off offset:304
	;; [unrolled: 1-line block ×5, first 2 shown]
	scratch_load_b64 v[126:127], off, off offset:368
	ds_load_2addr_b64 v[118:121], v2 offset0:85 offset1:86
	ds_load_2addr_b64 v[122:125], v2 offset0:87 offset1:88
	s_mov_b32 s0, exec_lo
	s_wait_loadcnt_dscnt 0x501
	v_fma_f64 v[118:119], v[100:101], v[118:119], 0
	s_wait_loadcnt 0x4
	s_delay_alu instid0(VALU_DEP_1) | instskip(SKIP_1) | instid1(VALU_DEP_1)
	v_fmac_f64_e32 v[118:119], v[102:103], v[120:121]
	s_wait_dscnt 0x0
	v_fmac_f64_e32 v[118:119], v[104:105], v[122:123]
	s_wait_loadcnt 0x3
	s_delay_alu instid0(VALU_DEP_1)
	v_fmac_f64_e32 v[118:119], v[106:107], v[124:125]
	ds_load_2addr_b64 v[100:103], v2 offset0:89 offset1:90
	ds_load_2addr_b64 v[104:107], v2 offset0:91 offset1:92
	s_wait_dscnt 0x1
	v_fmac_f64_e32 v[118:119], v[108:109], v[100:101]
	s_wait_loadcnt 0x2
	s_delay_alu instid0(VALU_DEP_1) | instskip(SKIP_4) | instid1(VALU_DEP_1)
	v_fmac_f64_e32 v[118:119], v[110:111], v[102:103]
	ds_load_2addr_b64 v[100:103], v2 offset0:93 offset1:94
	s_wait_dscnt 0x1
	v_fmac_f64_e32 v[118:119], v[112:113], v[104:105]
	s_wait_loadcnt 0x1
	v_fmac_f64_e32 v[118:119], v[114:115], v[106:107]
	s_wait_dscnt 0x0
	s_delay_alu instid0(VALU_DEP_1) | instskip(SKIP_1) | instid1(VALU_DEP_1)
	v_fmac_f64_e32 v[118:119], v[116:117], v[100:101]
	s_wait_loadcnt 0x0
	v_fmac_f64_e32 v[118:119], v[126:127], v[102:103]
	s_delay_alu instid0(VALU_DEP_1)
	v_add_f64_e64 v[2:3], v[98:99], -v[118:119]
	scratch_store_b64 off, v[2:3], off offset:288
	s_wait_xcnt 0x0
	v_cmpx_lt_u32_e32 35, v0
	s_cbranch_execz .LBB46_221
; %bb.220:
	scratch_load_b64 v[2:3], off, off offset:280
	v_mov_b64_e32 v[98:99], 0
	scratch_store_b64 off, v[98:99], off offset:280
	s_wait_loadcnt 0x0
	ds_store_b64 v1, v[2:3]
.LBB46_221:
	s_wait_xcnt 0x0
	s_or_b32 exec_lo, exec_lo, s0
	s_wait_storecnt_dscnt 0x0
	s_barrier_signal -1
	s_barrier_wait -1
	s_clause 0x5
	scratch_load_b128 v[98:101], off, off offset:280
	scratch_load_b128 v[102:105], off, off offset:296
	;; [unrolled: 1-line block ×6, first 2 shown]
	v_mov_b32_e32 v2, 0
	ds_load_b128 v[122:125], v2 offset:672
	ds_load_b128 v[126:129], v2 offset:688
	s_mov_b32 s0, exec_lo
	s_wait_loadcnt_dscnt 0x501
	v_fma_f64 v[122:123], v[100:101], v[122:123], 0
	s_wait_loadcnt 0x4
	s_delay_alu instid0(VALU_DEP_1) | instskip(SKIP_1) | instid1(VALU_DEP_1)
	v_fmac_f64_e32 v[122:123], v[102:103], v[124:125]
	s_wait_dscnt 0x0
	v_fmac_f64_e32 v[122:123], v[104:105], v[126:127]
	s_wait_loadcnt 0x3
	s_delay_alu instid0(VALU_DEP_1)
	v_fmac_f64_e32 v[122:123], v[106:107], v[128:129]
	ds_load_b128 v[100:103], v2 offset:704
	ds_load_b128 v[104:107], v2 offset:720
	s_wait_dscnt 0x1
	v_fmac_f64_e32 v[122:123], v[108:109], v[100:101]
	s_wait_loadcnt 0x2
	s_delay_alu instid0(VALU_DEP_1) | instskip(SKIP_1) | instid1(VALU_DEP_1)
	v_fmac_f64_e32 v[122:123], v[110:111], v[102:103]
	s_wait_dscnt 0x0
	v_fmac_f64_e32 v[122:123], v[112:113], v[104:105]
	ds_load_b128 v[100:103], v2 offset:736
	ds_load_b64 v[104:105], v2 offset:752
	s_wait_loadcnt 0x1
	v_fmac_f64_e32 v[122:123], v[114:115], v[106:107]
	s_wait_dscnt 0x1
	s_delay_alu instid0(VALU_DEP_1) | instskip(SKIP_1) | instid1(VALU_DEP_1)
	v_fmac_f64_e32 v[122:123], v[116:117], v[100:101]
	s_wait_loadcnt 0x0
	v_fmac_f64_e32 v[122:123], v[118:119], v[102:103]
	s_wait_dscnt 0x0
	s_delay_alu instid0(VALU_DEP_1) | instskip(NEXT) | instid1(VALU_DEP_1)
	v_fmac_f64_e32 v[122:123], v[120:121], v[104:105]
	v_add_f64_e64 v[98:99], v[98:99], -v[122:123]
	scratch_store_b64 off, v[98:99], off offset:280
	s_wait_xcnt 0x0
	v_cmpx_lt_u32_e32 34, v0
	s_cbranch_execz .LBB46_223
; %bb.222:
	scratch_load_b64 v[98:99], off, off offset:272
	v_mov_b64_e32 v[100:101], 0
	scratch_store_b64 off, v[100:101], off offset:272
	s_wait_loadcnt 0x0
	ds_store_b64 v1, v[98:99]
.LBB46_223:
	s_wait_xcnt 0x0
	s_or_b32 exec_lo, exec_lo, s0
	s_wait_storecnt_dscnt 0x0
	s_barrier_signal -1
	s_barrier_wait -1
	s_clause 0x5
	scratch_load_b128 v[98:101], off, off offset:272
	scratch_load_b128 v[102:105], off, off offset:288
	;; [unrolled: 1-line block ×6, first 2 shown]
	ds_load_2addr_b64 v[122:125], v2 offset0:83 offset1:84
	ds_load_2addr_b64 v[126:129], v2 offset0:85 offset1:86
	s_mov_b32 s0, exec_lo
	s_wait_loadcnt_dscnt 0x501
	v_fma_f64 v[122:123], v[100:101], v[122:123], 0
	s_wait_loadcnt 0x4
	s_delay_alu instid0(VALU_DEP_1) | instskip(SKIP_4) | instid1(VALU_DEP_1)
	v_fmac_f64_e32 v[122:123], v[102:103], v[124:125]
	scratch_load_b64 v[124:125], off, off offset:368
	s_wait_dscnt 0x0
	v_fmac_f64_e32 v[122:123], v[104:105], v[126:127]
	s_wait_loadcnt 0x4
	v_fmac_f64_e32 v[122:123], v[106:107], v[128:129]
	ds_load_2addr_b64 v[100:103], v2 offset0:87 offset1:88
	ds_load_2addr_b64 v[104:107], v2 offset0:89 offset1:90
	s_wait_dscnt 0x1
	v_fmac_f64_e32 v[122:123], v[108:109], v[100:101]
	s_wait_loadcnt 0x3
	s_delay_alu instid0(VALU_DEP_1) | instskip(SKIP_1) | instid1(VALU_DEP_1)
	v_fmac_f64_e32 v[122:123], v[110:111], v[102:103]
	s_wait_dscnt 0x0
	v_fmac_f64_e32 v[122:123], v[112:113], v[104:105]
	s_wait_loadcnt 0x2
	s_delay_alu instid0(VALU_DEP_1)
	v_fmac_f64_e32 v[122:123], v[114:115], v[106:107]
	ds_load_2addr_b64 v[100:103], v2 offset0:91 offset1:92
	ds_load_2addr_b64 v[104:107], v2 offset0:93 offset1:94
	s_wait_dscnt 0x1
	v_fmac_f64_e32 v[122:123], v[116:117], v[100:101]
	s_wait_loadcnt 0x1
	s_delay_alu instid0(VALU_DEP_1) | instskip(SKIP_1) | instid1(VALU_DEP_1)
	v_fmac_f64_e32 v[122:123], v[118:119], v[102:103]
	s_wait_dscnt 0x0
	v_fmac_f64_e32 v[122:123], v[120:121], v[104:105]
	s_wait_loadcnt 0x0
	s_delay_alu instid0(VALU_DEP_1) | instskip(NEXT) | instid1(VALU_DEP_1)
	v_fmac_f64_e32 v[122:123], v[124:125], v[106:107]
	v_add_f64_e64 v[2:3], v[98:99], -v[122:123]
	scratch_store_b64 off, v[2:3], off offset:272
	s_wait_xcnt 0x0
	v_cmpx_lt_u32_e32 33, v0
	s_cbranch_execz .LBB46_225
; %bb.224:
	scratch_load_b64 v[2:3], off, off offset:264
	v_mov_b64_e32 v[98:99], 0
	scratch_store_b64 off, v[98:99], off offset:264
	s_wait_loadcnt 0x0
	ds_store_b64 v1, v[2:3]
.LBB46_225:
	s_wait_xcnt 0x0
	s_or_b32 exec_lo, exec_lo, s0
	s_wait_storecnt_dscnt 0x0
	s_barrier_signal -1
	s_barrier_wait -1
	s_clause 0x5
	scratch_load_b128 v[98:101], off, off offset:264
	scratch_load_b128 v[102:105], off, off offset:280
	;; [unrolled: 1-line block ×6, first 2 shown]
	v_mov_b32_e32 v2, 0
	ds_load_b128 v[122:125], v2 offset:656
	ds_load_b128 v[126:129], v2 offset:672
	s_mov_b32 s0, exec_lo
	s_wait_loadcnt_dscnt 0x501
	v_fma_f64 v[130:131], v[100:101], v[122:123], 0
	s_wait_loadcnt 0x4
	s_delay_alu instid0(VALU_DEP_1) | instskip(SKIP_4) | instid1(VALU_DEP_1)
	v_fmac_f64_e32 v[130:131], v[102:103], v[124:125]
	scratch_load_b128 v[100:103], off, off offset:360
	s_wait_dscnt 0x0
	v_fmac_f64_e32 v[130:131], v[104:105], v[126:127]
	s_wait_loadcnt 0x4
	v_fmac_f64_e32 v[130:131], v[106:107], v[128:129]
	ds_load_b128 v[104:107], v2 offset:688
	ds_load_b128 v[122:125], v2 offset:704
	s_wait_dscnt 0x1
	v_fmac_f64_e32 v[130:131], v[108:109], v[104:105]
	s_wait_loadcnt 0x3
	s_delay_alu instid0(VALU_DEP_1)
	v_fmac_f64_e32 v[130:131], v[110:111], v[106:107]
	ds_load_b128 v[104:107], v2 offset:720
	ds_load_b128 v[108:111], v2 offset:736
	s_wait_dscnt 0x2
	v_fmac_f64_e32 v[130:131], v[112:113], v[122:123]
	s_wait_loadcnt 0x2
	s_delay_alu instid0(VALU_DEP_1) | instskip(SKIP_1) | instid1(VALU_DEP_1)
	v_fmac_f64_e32 v[130:131], v[114:115], v[124:125]
	s_wait_dscnt 0x1
	v_fmac_f64_e32 v[130:131], v[116:117], v[104:105]
	s_wait_loadcnt 0x1
	s_delay_alu instid0(VALU_DEP_1) | instskip(SKIP_1) | instid1(VALU_DEP_1)
	v_fmac_f64_e32 v[130:131], v[118:119], v[106:107]
	s_wait_dscnt 0x0
	v_fmac_f64_e32 v[130:131], v[120:121], v[108:109]
	s_wait_loadcnt 0x0
	s_delay_alu instid0(VALU_DEP_1) | instskip(SKIP_3) | instid1(VALU_DEP_1)
	v_fmac_f64_e32 v[130:131], v[100:101], v[110:111]
	ds_load_b64 v[100:101], v2 offset:752
	s_wait_dscnt 0x0
	v_fmac_f64_e32 v[130:131], v[102:103], v[100:101]
	v_add_f64_e64 v[98:99], v[98:99], -v[130:131]
	scratch_store_b64 off, v[98:99], off offset:264
	s_wait_xcnt 0x0
	v_cmpx_lt_u32_e32 32, v0
	s_cbranch_execz .LBB46_227
; %bb.226:
	scratch_load_b64 v[98:99], off, off offset:256
	v_mov_b64_e32 v[100:101], 0
	scratch_store_b64 off, v[100:101], off offset:256
	s_wait_loadcnt 0x0
	ds_store_b64 v1, v[98:99]
.LBB46_227:
	s_wait_xcnt 0x0
	s_or_b32 exec_lo, exec_lo, s0
	s_wait_storecnt_dscnt 0x0
	s_barrier_signal -1
	s_barrier_wait -1
	s_clause 0x5
	scratch_load_b128 v[98:101], off, off offset:256
	scratch_load_b128 v[102:105], off, off offset:272
	;; [unrolled: 1-line block ×6, first 2 shown]
	ds_load_2addr_b64 v[122:125], v2 offset0:81 offset1:82
	ds_load_2addr_b64 v[126:129], v2 offset0:83 offset1:84
	s_mov_b32 s0, exec_lo
	s_wait_loadcnt_dscnt 0x501
	v_fma_f64 v[130:131], v[100:101], v[122:123], 0
	s_wait_loadcnt 0x4
	s_delay_alu instid0(VALU_DEP_1)
	v_fmac_f64_e32 v[130:131], v[102:103], v[124:125]
	scratch_load_b128 v[100:103], off, off offset:352
	s_wait_dscnt 0x0
	v_fmac_f64_e32 v[130:131], v[104:105], v[126:127]
	scratch_load_b64 v[126:127], off, off offset:368
	s_wait_loadcnt 0x5
	v_fmac_f64_e32 v[130:131], v[106:107], v[128:129]
	ds_load_2addr_b64 v[104:107], v2 offset0:85 offset1:86
	ds_load_2addr_b64 v[122:125], v2 offset0:87 offset1:88
	s_wait_dscnt 0x1
	v_fmac_f64_e32 v[130:131], v[108:109], v[104:105]
	s_wait_loadcnt 0x4
	s_delay_alu instid0(VALU_DEP_1)
	v_fmac_f64_e32 v[130:131], v[110:111], v[106:107]
	ds_load_2addr_b64 v[104:107], v2 offset0:89 offset1:90
	ds_load_2addr_b64 v[108:111], v2 offset0:91 offset1:92
	s_wait_dscnt 0x2
	v_fmac_f64_e32 v[130:131], v[112:113], v[122:123]
	s_wait_loadcnt 0x3
	s_delay_alu instid0(VALU_DEP_1) | instskip(SKIP_1) | instid1(VALU_DEP_1)
	v_fmac_f64_e32 v[130:131], v[114:115], v[124:125]
	s_wait_dscnt 0x1
	v_fmac_f64_e32 v[130:131], v[116:117], v[104:105]
	s_wait_loadcnt 0x2
	s_delay_alu instid0(VALU_DEP_1) | instskip(SKIP_4) | instid1(VALU_DEP_1)
	v_fmac_f64_e32 v[130:131], v[118:119], v[106:107]
	ds_load_2addr_b64 v[104:107], v2 offset0:93 offset1:94
	s_wait_dscnt 0x1
	v_fmac_f64_e32 v[130:131], v[120:121], v[108:109]
	s_wait_loadcnt 0x1
	v_fmac_f64_e32 v[130:131], v[100:101], v[110:111]
	s_wait_dscnt 0x0
	s_delay_alu instid0(VALU_DEP_1) | instskip(SKIP_1) | instid1(VALU_DEP_1)
	v_fmac_f64_e32 v[130:131], v[102:103], v[104:105]
	s_wait_loadcnt 0x0
	v_fmac_f64_e32 v[130:131], v[126:127], v[106:107]
	s_delay_alu instid0(VALU_DEP_1)
	v_add_f64_e64 v[2:3], v[98:99], -v[130:131]
	scratch_store_b64 off, v[2:3], off offset:256
	s_wait_xcnt 0x0
	v_cmpx_lt_u32_e32 31, v0
	s_cbranch_execz .LBB46_229
; %bb.228:
	scratch_load_b64 v[2:3], off, off offset:248
	v_mov_b64_e32 v[98:99], 0
	scratch_store_b64 off, v[98:99], off offset:248
	s_wait_loadcnt 0x0
	ds_store_b64 v1, v[2:3]
.LBB46_229:
	s_wait_xcnt 0x0
	s_or_b32 exec_lo, exec_lo, s0
	s_wait_storecnt_dscnt 0x0
	s_barrier_signal -1
	s_barrier_wait -1
	s_clause 0x5
	scratch_load_b128 v[98:101], off, off offset:248
	scratch_load_b128 v[102:105], off, off offset:264
	;; [unrolled: 1-line block ×6, first 2 shown]
	v_mov_b32_e32 v2, 0
	ds_load_b128 v[122:125], v2 offset:640
	ds_load_b128 v[126:129], v2 offset:656
	s_mov_b32 s0, exec_lo
	s_wait_loadcnt_dscnt 0x501
	v_fma_f64 v[130:131], v[100:101], v[122:123], 0
	s_wait_loadcnt 0x4
	s_delay_alu instid0(VALU_DEP_1) | instskip(SKIP_4) | instid1(VALU_DEP_1)
	v_fmac_f64_e32 v[130:131], v[102:103], v[124:125]
	scratch_load_b128 v[100:103], off, off offset:344
	s_wait_dscnt 0x0
	v_fmac_f64_e32 v[130:131], v[104:105], v[126:127]
	s_wait_loadcnt 0x4
	v_fmac_f64_e32 v[130:131], v[106:107], v[128:129]
	scratch_load_b128 v[104:107], off, off offset:360
	ds_load_b128 v[122:125], v2 offset:672
	ds_load_b128 v[126:129], v2 offset:688
	s_wait_dscnt 0x1
	v_fmac_f64_e32 v[130:131], v[108:109], v[122:123]
	s_wait_loadcnt 0x4
	s_delay_alu instid0(VALU_DEP_1) | instskip(SKIP_1) | instid1(VALU_DEP_1)
	v_fmac_f64_e32 v[130:131], v[110:111], v[124:125]
	s_wait_dscnt 0x0
	v_fmac_f64_e32 v[130:131], v[112:113], v[126:127]
	s_wait_loadcnt 0x3
	s_delay_alu instid0(VALU_DEP_1)
	v_fmac_f64_e32 v[130:131], v[114:115], v[128:129]
	ds_load_b128 v[108:111], v2 offset:704
	ds_load_b128 v[112:115], v2 offset:720
	s_wait_dscnt 0x1
	v_fmac_f64_e32 v[130:131], v[116:117], v[108:109]
	s_wait_loadcnt 0x2
	s_delay_alu instid0(VALU_DEP_1) | instskip(SKIP_1) | instid1(VALU_DEP_1)
	v_fmac_f64_e32 v[130:131], v[118:119], v[110:111]
	s_wait_dscnt 0x0
	v_fmac_f64_e32 v[130:131], v[120:121], v[112:113]
	s_wait_loadcnt 0x1
	s_delay_alu instid0(VALU_DEP_1)
	v_fmac_f64_e32 v[130:131], v[100:101], v[114:115]
	ds_load_b128 v[108:111], v2 offset:736
	ds_load_b64 v[100:101], v2 offset:752
	s_wait_dscnt 0x1
	v_fmac_f64_e32 v[130:131], v[102:103], v[108:109]
	s_wait_loadcnt 0x0
	s_delay_alu instid0(VALU_DEP_1) | instskip(SKIP_1) | instid1(VALU_DEP_1)
	v_fmac_f64_e32 v[130:131], v[104:105], v[110:111]
	s_wait_dscnt 0x0
	v_fmac_f64_e32 v[130:131], v[106:107], v[100:101]
	s_delay_alu instid0(VALU_DEP_1)
	v_add_f64_e64 v[98:99], v[98:99], -v[130:131]
	scratch_store_b64 off, v[98:99], off offset:248
	s_wait_xcnt 0x0
	v_cmpx_lt_u32_e32 30, v0
	s_cbranch_execz .LBB46_231
; %bb.230:
	scratch_load_b64 v[98:99], off, off offset:240
	v_mov_b64_e32 v[100:101], 0
	scratch_store_b64 off, v[100:101], off offset:240
	s_wait_loadcnt 0x0
	ds_store_b64 v1, v[98:99]
.LBB46_231:
	s_wait_xcnt 0x0
	s_or_b32 exec_lo, exec_lo, s0
	s_wait_storecnt_dscnt 0x0
	s_barrier_signal -1
	s_barrier_wait -1
	s_clause 0x5
	scratch_load_b128 v[98:101], off, off offset:240
	scratch_load_b128 v[102:105], off, off offset:256
	;; [unrolled: 1-line block ×6, first 2 shown]
	ds_load_2addr_b64 v[122:125], v2 offset0:79 offset1:80
	ds_load_2addr_b64 v[126:129], v2 offset0:81 offset1:82
	s_mov_b32 s0, exec_lo
	s_wait_loadcnt_dscnt 0x501
	v_fma_f64 v[130:131], v[100:101], v[122:123], 0
	s_wait_loadcnt 0x4
	s_delay_alu instid0(VALU_DEP_1) | instskip(SKIP_4) | instid1(VALU_DEP_1)
	v_fmac_f64_e32 v[130:131], v[102:103], v[124:125]
	scratch_load_b128 v[100:103], off, off offset:336
	s_wait_dscnt 0x0
	v_fmac_f64_e32 v[130:131], v[104:105], v[126:127]
	s_wait_loadcnt 0x4
	v_fmac_f64_e32 v[130:131], v[106:107], v[128:129]
	scratch_load_b128 v[104:107], off, off offset:352
	ds_load_2addr_b64 v[122:125], v2 offset0:83 offset1:84
	ds_load_2addr_b64 v[126:129], v2 offset0:85 offset1:86
	s_wait_dscnt 0x1
	v_fmac_f64_e32 v[130:131], v[108:109], v[122:123]
	scratch_load_b64 v[122:123], off, off offset:368
	s_wait_loadcnt 0x5
	v_fmac_f64_e32 v[130:131], v[110:111], v[124:125]
	s_wait_dscnt 0x0
	s_delay_alu instid0(VALU_DEP_1) | instskip(SKIP_1) | instid1(VALU_DEP_1)
	v_fmac_f64_e32 v[130:131], v[112:113], v[126:127]
	s_wait_loadcnt 0x4
	v_fmac_f64_e32 v[130:131], v[114:115], v[128:129]
	ds_load_2addr_b64 v[108:111], v2 offset0:87 offset1:88
	ds_load_2addr_b64 v[112:115], v2 offset0:89 offset1:90
	s_wait_dscnt 0x1
	v_fmac_f64_e32 v[130:131], v[116:117], v[108:109]
	s_wait_loadcnt 0x3
	s_delay_alu instid0(VALU_DEP_1) | instskip(SKIP_1) | instid1(VALU_DEP_1)
	v_fmac_f64_e32 v[130:131], v[118:119], v[110:111]
	s_wait_dscnt 0x0
	v_fmac_f64_e32 v[130:131], v[120:121], v[112:113]
	s_wait_loadcnt 0x2
	s_delay_alu instid0(VALU_DEP_1)
	v_fmac_f64_e32 v[130:131], v[100:101], v[114:115]
	ds_load_2addr_b64 v[108:111], v2 offset0:91 offset1:92
	ds_load_2addr_b64 v[112:115], v2 offset0:93 offset1:94
	s_wait_dscnt 0x1
	v_fmac_f64_e32 v[130:131], v[102:103], v[108:109]
	s_wait_loadcnt 0x1
	s_delay_alu instid0(VALU_DEP_1) | instskip(SKIP_1) | instid1(VALU_DEP_1)
	v_fmac_f64_e32 v[130:131], v[104:105], v[110:111]
	s_wait_dscnt 0x0
	v_fmac_f64_e32 v[130:131], v[106:107], v[112:113]
	s_wait_loadcnt 0x0
	s_delay_alu instid0(VALU_DEP_1) | instskip(NEXT) | instid1(VALU_DEP_1)
	v_fmac_f64_e32 v[130:131], v[122:123], v[114:115]
	v_add_f64_e64 v[2:3], v[98:99], -v[130:131]
	scratch_store_b64 off, v[2:3], off offset:240
	s_wait_xcnt 0x0
	v_cmpx_lt_u32_e32 29, v0
	s_cbranch_execz .LBB46_233
; %bb.232:
	scratch_load_b64 v[2:3], off, off offset:232
	v_mov_b64_e32 v[98:99], 0
	scratch_store_b64 off, v[98:99], off offset:232
	s_wait_loadcnt 0x0
	ds_store_b64 v1, v[2:3]
.LBB46_233:
	s_wait_xcnt 0x0
	s_or_b32 exec_lo, exec_lo, s0
	s_wait_storecnt_dscnt 0x0
	s_barrier_signal -1
	s_barrier_wait -1
	s_clause 0x5
	scratch_load_b128 v[98:101], off, off offset:232
	scratch_load_b128 v[102:105], off, off offset:248
	;; [unrolled: 1-line block ×6, first 2 shown]
	v_mov_b32_e32 v2, 0
	ds_load_b128 v[122:125], v2 offset:624
	ds_load_b128 v[126:129], v2 offset:640
	s_mov_b32 s0, exec_lo
	s_wait_loadcnt_dscnt 0x501
	v_fma_f64 v[130:131], v[100:101], v[122:123], 0
	s_wait_loadcnt 0x4
	s_delay_alu instid0(VALU_DEP_1) | instskip(SKIP_4) | instid1(VALU_DEP_1)
	v_fmac_f64_e32 v[130:131], v[102:103], v[124:125]
	scratch_load_b128 v[100:103], off, off offset:328
	s_wait_dscnt 0x0
	v_fmac_f64_e32 v[130:131], v[104:105], v[126:127]
	s_wait_loadcnt 0x4
	v_fmac_f64_e32 v[130:131], v[106:107], v[128:129]
	scratch_load_b128 v[104:107], off, off offset:344
	ds_load_b128 v[122:125], v2 offset:656
	ds_load_b128 v[126:129], v2 offset:672
	s_wait_dscnt 0x1
	v_fmac_f64_e32 v[130:131], v[108:109], v[122:123]
	s_wait_loadcnt 0x4
	s_delay_alu instid0(VALU_DEP_1) | instskip(SKIP_4) | instid1(VALU_DEP_1)
	v_fmac_f64_e32 v[130:131], v[110:111], v[124:125]
	scratch_load_b128 v[108:111], off, off offset:360
	s_wait_dscnt 0x0
	v_fmac_f64_e32 v[130:131], v[112:113], v[126:127]
	s_wait_loadcnt 0x4
	v_fmac_f64_e32 v[130:131], v[114:115], v[128:129]
	ds_load_b128 v[112:115], v2 offset:688
	ds_load_b128 v[122:125], v2 offset:704
	s_wait_dscnt 0x1
	v_fmac_f64_e32 v[130:131], v[116:117], v[112:113]
	s_wait_loadcnt 0x3
	s_delay_alu instid0(VALU_DEP_1)
	v_fmac_f64_e32 v[130:131], v[118:119], v[114:115]
	ds_load_b128 v[112:115], v2 offset:720
	ds_load_b128 v[116:119], v2 offset:736
	s_wait_dscnt 0x2
	v_fmac_f64_e32 v[130:131], v[120:121], v[122:123]
	s_wait_loadcnt 0x2
	s_delay_alu instid0(VALU_DEP_1) | instskip(SKIP_4) | instid1(VALU_DEP_1)
	v_fmac_f64_e32 v[130:131], v[100:101], v[124:125]
	ds_load_b64 v[100:101], v2 offset:752
	s_wait_dscnt 0x2
	v_fmac_f64_e32 v[130:131], v[102:103], v[112:113]
	s_wait_loadcnt 0x1
	v_fmac_f64_e32 v[130:131], v[104:105], v[114:115]
	s_wait_dscnt 0x1
	s_delay_alu instid0(VALU_DEP_1) | instskip(SKIP_1) | instid1(VALU_DEP_1)
	v_fmac_f64_e32 v[130:131], v[106:107], v[116:117]
	s_wait_loadcnt 0x0
	v_fmac_f64_e32 v[130:131], v[108:109], v[118:119]
	s_wait_dscnt 0x0
	s_delay_alu instid0(VALU_DEP_1) | instskip(NEXT) | instid1(VALU_DEP_1)
	v_fmac_f64_e32 v[130:131], v[110:111], v[100:101]
	v_add_f64_e64 v[98:99], v[98:99], -v[130:131]
	scratch_store_b64 off, v[98:99], off offset:232
	s_wait_xcnt 0x0
	v_cmpx_lt_u32_e32 28, v0
	s_cbranch_execz .LBB46_235
; %bb.234:
	scratch_load_b64 v[98:99], off, off offset:224
	v_mov_b64_e32 v[100:101], 0
	scratch_store_b64 off, v[100:101], off offset:224
	s_wait_loadcnt 0x0
	ds_store_b64 v1, v[98:99]
.LBB46_235:
	s_wait_xcnt 0x0
	s_or_b32 exec_lo, exec_lo, s0
	s_wait_storecnt_dscnt 0x0
	s_barrier_signal -1
	s_barrier_wait -1
	s_clause 0x5
	scratch_load_b128 v[98:101], off, off offset:224
	scratch_load_b128 v[102:105], off, off offset:240
	;; [unrolled: 1-line block ×6, first 2 shown]
	ds_load_2addr_b64 v[122:125], v2 offset0:77 offset1:78
	ds_load_2addr_b64 v[126:129], v2 offset0:79 offset1:80
	s_mov_b32 s0, exec_lo
	s_wait_loadcnt_dscnt 0x501
	v_fma_f64 v[130:131], v[100:101], v[122:123], 0
	s_wait_loadcnt 0x4
	s_delay_alu instid0(VALU_DEP_1) | instskip(SKIP_4) | instid1(VALU_DEP_1)
	v_fmac_f64_e32 v[130:131], v[102:103], v[124:125]
	scratch_load_b128 v[100:103], off, off offset:320
	s_wait_dscnt 0x0
	v_fmac_f64_e32 v[130:131], v[104:105], v[126:127]
	s_wait_loadcnt 0x4
	v_fmac_f64_e32 v[130:131], v[106:107], v[128:129]
	scratch_load_b128 v[104:107], off, off offset:336
	ds_load_2addr_b64 v[122:125], v2 offset0:81 offset1:82
	ds_load_2addr_b64 v[126:129], v2 offset0:83 offset1:84
	s_wait_dscnt 0x1
	v_fmac_f64_e32 v[130:131], v[108:109], v[122:123]
	s_wait_loadcnt 0x4
	s_delay_alu instid0(VALU_DEP_1)
	v_fmac_f64_e32 v[130:131], v[110:111], v[124:125]
	scratch_load_b128 v[108:111], off, off offset:352
	s_wait_dscnt 0x0
	v_fmac_f64_e32 v[130:131], v[112:113], v[126:127]
	scratch_load_b64 v[126:127], off, off offset:368
	s_wait_loadcnt 0x5
	v_fmac_f64_e32 v[130:131], v[114:115], v[128:129]
	ds_load_2addr_b64 v[112:115], v2 offset0:85 offset1:86
	ds_load_2addr_b64 v[122:125], v2 offset0:87 offset1:88
	s_wait_dscnt 0x1
	v_fmac_f64_e32 v[130:131], v[116:117], v[112:113]
	s_wait_loadcnt 0x4
	s_delay_alu instid0(VALU_DEP_1)
	v_fmac_f64_e32 v[130:131], v[118:119], v[114:115]
	ds_load_2addr_b64 v[112:115], v2 offset0:89 offset1:90
	ds_load_2addr_b64 v[116:119], v2 offset0:91 offset1:92
	s_wait_dscnt 0x2
	v_fmac_f64_e32 v[130:131], v[120:121], v[122:123]
	s_wait_loadcnt 0x3
	s_delay_alu instid0(VALU_DEP_1) | instskip(SKIP_1) | instid1(VALU_DEP_1)
	v_fmac_f64_e32 v[130:131], v[100:101], v[124:125]
	s_wait_dscnt 0x1
	v_fmac_f64_e32 v[130:131], v[102:103], v[112:113]
	ds_load_2addr_b64 v[100:103], v2 offset0:93 offset1:94
	s_wait_loadcnt 0x2
	v_fmac_f64_e32 v[130:131], v[104:105], v[114:115]
	s_wait_dscnt 0x1
	s_delay_alu instid0(VALU_DEP_1) | instskip(SKIP_1) | instid1(VALU_DEP_1)
	v_fmac_f64_e32 v[130:131], v[106:107], v[116:117]
	s_wait_loadcnt 0x1
	v_fmac_f64_e32 v[130:131], v[108:109], v[118:119]
	s_wait_dscnt 0x0
	s_delay_alu instid0(VALU_DEP_1) | instskip(SKIP_1) | instid1(VALU_DEP_1)
	v_fmac_f64_e32 v[130:131], v[110:111], v[100:101]
	s_wait_loadcnt 0x0
	v_fmac_f64_e32 v[130:131], v[126:127], v[102:103]
	s_delay_alu instid0(VALU_DEP_1)
	v_add_f64_e64 v[2:3], v[98:99], -v[130:131]
	scratch_store_b64 off, v[2:3], off offset:224
	s_wait_xcnt 0x0
	v_cmpx_lt_u32_e32 27, v0
	s_cbranch_execz .LBB46_237
; %bb.236:
	scratch_load_b64 v[2:3], off, off offset:216
	v_mov_b64_e32 v[98:99], 0
	scratch_store_b64 off, v[98:99], off offset:216
	s_wait_loadcnt 0x0
	ds_store_b64 v1, v[2:3]
.LBB46_237:
	s_wait_xcnt 0x0
	s_or_b32 exec_lo, exec_lo, s0
	s_wait_storecnt_dscnt 0x0
	s_barrier_signal -1
	s_barrier_wait -1
	s_clause 0x5
	scratch_load_b128 v[98:101], off, off offset:216
	scratch_load_b128 v[102:105], off, off offset:232
	;; [unrolled: 1-line block ×6, first 2 shown]
	v_mov_b32_e32 v2, 0
	ds_load_b128 v[122:125], v2 offset:608
	ds_load_b128 v[126:129], v2 offset:624
	s_mov_b32 s0, exec_lo
	s_wait_loadcnt_dscnt 0x501
	v_fma_f64 v[130:131], v[100:101], v[122:123], 0
	s_wait_loadcnt 0x4
	s_delay_alu instid0(VALU_DEP_1) | instskip(SKIP_4) | instid1(VALU_DEP_1)
	v_fmac_f64_e32 v[130:131], v[102:103], v[124:125]
	scratch_load_b128 v[100:103], off, off offset:312
	s_wait_dscnt 0x0
	v_fmac_f64_e32 v[130:131], v[104:105], v[126:127]
	s_wait_loadcnt 0x4
	v_fmac_f64_e32 v[130:131], v[106:107], v[128:129]
	scratch_load_b128 v[104:107], off, off offset:328
	ds_load_b128 v[122:125], v2 offset:640
	ds_load_b128 v[126:129], v2 offset:656
	s_wait_dscnt 0x1
	v_fmac_f64_e32 v[130:131], v[108:109], v[122:123]
	s_wait_loadcnt 0x4
	s_delay_alu instid0(VALU_DEP_1) | instskip(SKIP_4) | instid1(VALU_DEP_1)
	v_fmac_f64_e32 v[130:131], v[110:111], v[124:125]
	scratch_load_b128 v[108:111], off, off offset:344
	s_wait_dscnt 0x0
	v_fmac_f64_e32 v[130:131], v[112:113], v[126:127]
	s_wait_loadcnt 0x4
	v_fmac_f64_e32 v[130:131], v[114:115], v[128:129]
	scratch_load_b128 v[112:115], off, off offset:360
	ds_load_b128 v[122:125], v2 offset:672
	ds_load_b128 v[126:129], v2 offset:688
	s_wait_dscnt 0x1
	v_fmac_f64_e32 v[130:131], v[116:117], v[122:123]
	s_wait_loadcnt 0x4
	s_delay_alu instid0(VALU_DEP_1) | instskip(SKIP_1) | instid1(VALU_DEP_1)
	v_fmac_f64_e32 v[130:131], v[118:119], v[124:125]
	s_wait_dscnt 0x0
	v_fmac_f64_e32 v[130:131], v[120:121], v[126:127]
	ds_load_b128 v[116:119], v2 offset:704
	ds_load_b128 v[120:123], v2 offset:720
	s_wait_loadcnt 0x3
	v_fmac_f64_e32 v[130:131], v[100:101], v[128:129]
	s_wait_dscnt 0x1
	s_delay_alu instid0(VALU_DEP_1) | instskip(SKIP_1) | instid1(VALU_DEP_1)
	v_fmac_f64_e32 v[130:131], v[102:103], v[116:117]
	s_wait_loadcnt 0x2
	v_fmac_f64_e32 v[130:131], v[104:105], v[118:119]
	ds_load_b128 v[100:103], v2 offset:736
	ds_load_b64 v[104:105], v2 offset:752
	s_wait_dscnt 0x2
	v_fmac_f64_e32 v[130:131], v[106:107], v[120:121]
	s_wait_loadcnt 0x1
	s_delay_alu instid0(VALU_DEP_1) | instskip(SKIP_1) | instid1(VALU_DEP_1)
	v_fmac_f64_e32 v[130:131], v[108:109], v[122:123]
	s_wait_dscnt 0x1
	v_fmac_f64_e32 v[130:131], v[110:111], v[100:101]
	s_wait_loadcnt 0x0
	s_delay_alu instid0(VALU_DEP_1) | instskip(SKIP_1) | instid1(VALU_DEP_1)
	v_fmac_f64_e32 v[130:131], v[112:113], v[102:103]
	s_wait_dscnt 0x0
	v_fmac_f64_e32 v[130:131], v[114:115], v[104:105]
	s_delay_alu instid0(VALU_DEP_1)
	v_add_f64_e64 v[98:99], v[98:99], -v[130:131]
	scratch_store_b64 off, v[98:99], off offset:216
	s_wait_xcnt 0x0
	v_cmpx_lt_u32_e32 26, v0
	s_cbranch_execz .LBB46_239
; %bb.238:
	scratch_load_b64 v[98:99], off, off offset:208
	v_mov_b64_e32 v[100:101], 0
	scratch_store_b64 off, v[100:101], off offset:208
	s_wait_loadcnt 0x0
	ds_store_b64 v1, v[98:99]
.LBB46_239:
	s_wait_xcnt 0x0
	s_or_b32 exec_lo, exec_lo, s0
	s_wait_storecnt_dscnt 0x0
	s_barrier_signal -1
	s_barrier_wait -1
	s_clause 0x5
	scratch_load_b128 v[98:101], off, off offset:208
	scratch_load_b128 v[102:105], off, off offset:224
	;; [unrolled: 1-line block ×6, first 2 shown]
	ds_load_2addr_b64 v[122:125], v2 offset0:75 offset1:76
	ds_load_2addr_b64 v[126:129], v2 offset0:77 offset1:78
	s_mov_b32 s0, exec_lo
	s_wait_loadcnt_dscnt 0x501
	v_fma_f64 v[130:131], v[100:101], v[122:123], 0
	s_wait_loadcnt 0x4
	s_delay_alu instid0(VALU_DEP_1) | instskip(SKIP_4) | instid1(VALU_DEP_1)
	v_fmac_f64_e32 v[130:131], v[102:103], v[124:125]
	scratch_load_b128 v[100:103], off, off offset:304
	s_wait_dscnt 0x0
	v_fmac_f64_e32 v[130:131], v[104:105], v[126:127]
	s_wait_loadcnt 0x4
	v_fmac_f64_e32 v[130:131], v[106:107], v[128:129]
	scratch_load_b128 v[104:107], off, off offset:320
	ds_load_2addr_b64 v[122:125], v2 offset0:79 offset1:80
	ds_load_2addr_b64 v[126:129], v2 offset0:81 offset1:82
	s_wait_dscnt 0x1
	v_fmac_f64_e32 v[130:131], v[108:109], v[122:123]
	s_wait_loadcnt 0x4
	s_delay_alu instid0(VALU_DEP_1) | instskip(SKIP_4) | instid1(VALU_DEP_1)
	v_fmac_f64_e32 v[130:131], v[110:111], v[124:125]
	scratch_load_b128 v[108:111], off, off offset:336
	s_wait_dscnt 0x0
	v_fmac_f64_e32 v[130:131], v[112:113], v[126:127]
	s_wait_loadcnt 0x4
	v_fmac_f64_e32 v[130:131], v[114:115], v[128:129]
	scratch_load_b128 v[112:115], off, off offset:352
	ds_load_2addr_b64 v[122:125], v2 offset0:83 offset1:84
	ds_load_2addr_b64 v[126:129], v2 offset0:85 offset1:86
	s_wait_dscnt 0x1
	v_fmac_f64_e32 v[130:131], v[116:117], v[122:123]
	s_wait_loadcnt 0x4
	s_delay_alu instid0(VALU_DEP_1)
	v_fmac_f64_e32 v[130:131], v[118:119], v[124:125]
	scratch_load_b64 v[124:125], off, off offset:368
	s_wait_dscnt 0x0
	v_fmac_f64_e32 v[130:131], v[120:121], v[126:127]
	ds_load_2addr_b64 v[116:119], v2 offset0:87 offset1:88
	ds_load_2addr_b64 v[120:123], v2 offset0:89 offset1:90
	s_wait_loadcnt 0x4
	v_fmac_f64_e32 v[130:131], v[100:101], v[128:129]
	s_wait_dscnt 0x1
	s_delay_alu instid0(VALU_DEP_1) | instskip(SKIP_1) | instid1(VALU_DEP_1)
	v_fmac_f64_e32 v[130:131], v[102:103], v[116:117]
	s_wait_loadcnt 0x3
	v_fmac_f64_e32 v[130:131], v[104:105], v[118:119]
	s_wait_dscnt 0x0
	s_delay_alu instid0(VALU_DEP_1)
	v_fmac_f64_e32 v[130:131], v[106:107], v[120:121]
	ds_load_2addr_b64 v[100:103], v2 offset0:91 offset1:92
	ds_load_2addr_b64 v[104:107], v2 offset0:93 offset1:94
	s_wait_loadcnt 0x2
	v_fmac_f64_e32 v[130:131], v[108:109], v[122:123]
	s_wait_dscnt 0x1
	s_delay_alu instid0(VALU_DEP_1) | instskip(SKIP_1) | instid1(VALU_DEP_1)
	v_fmac_f64_e32 v[130:131], v[110:111], v[100:101]
	s_wait_loadcnt 0x1
	v_fmac_f64_e32 v[130:131], v[112:113], v[102:103]
	s_wait_dscnt 0x0
	s_delay_alu instid0(VALU_DEP_1) | instskip(SKIP_1) | instid1(VALU_DEP_1)
	v_fmac_f64_e32 v[130:131], v[114:115], v[104:105]
	s_wait_loadcnt 0x0
	v_fmac_f64_e32 v[130:131], v[124:125], v[106:107]
	s_delay_alu instid0(VALU_DEP_1)
	v_add_f64_e64 v[2:3], v[98:99], -v[130:131]
	scratch_store_b64 off, v[2:3], off offset:208
	s_wait_xcnt 0x0
	v_cmpx_lt_u32_e32 25, v0
	s_cbranch_execz .LBB46_241
; %bb.240:
	scratch_load_b64 v[2:3], off, off offset:200
	v_mov_b64_e32 v[98:99], 0
	scratch_store_b64 off, v[98:99], off offset:200
	s_wait_loadcnt 0x0
	ds_store_b64 v1, v[2:3]
.LBB46_241:
	s_wait_xcnt 0x0
	s_or_b32 exec_lo, exec_lo, s0
	s_wait_storecnt_dscnt 0x0
	s_barrier_signal -1
	s_barrier_wait -1
	s_clause 0x5
	scratch_load_b128 v[98:101], off, off offset:200
	scratch_load_b128 v[102:105], off, off offset:216
	;; [unrolled: 1-line block ×6, first 2 shown]
	v_mov_b32_e32 v2, 0
	ds_load_b128 v[122:125], v2 offset:592
	ds_load_b128 v[126:129], v2 offset:608
	s_mov_b32 s0, exec_lo
	s_wait_loadcnt_dscnt 0x501
	v_fma_f64 v[130:131], v[100:101], v[122:123], 0
	s_wait_loadcnt 0x4
	s_delay_alu instid0(VALU_DEP_1) | instskip(SKIP_4) | instid1(VALU_DEP_1)
	v_fmac_f64_e32 v[130:131], v[102:103], v[124:125]
	scratch_load_b128 v[100:103], off, off offset:296
	s_wait_dscnt 0x0
	v_fmac_f64_e32 v[130:131], v[104:105], v[126:127]
	s_wait_loadcnt 0x4
	v_fmac_f64_e32 v[130:131], v[106:107], v[128:129]
	scratch_load_b128 v[104:107], off, off offset:312
	ds_load_b128 v[122:125], v2 offset:624
	ds_load_b128 v[126:129], v2 offset:640
	s_wait_dscnt 0x1
	v_fmac_f64_e32 v[130:131], v[108:109], v[122:123]
	s_wait_loadcnt 0x4
	s_delay_alu instid0(VALU_DEP_1) | instskip(SKIP_4) | instid1(VALU_DEP_1)
	v_fmac_f64_e32 v[130:131], v[110:111], v[124:125]
	scratch_load_b128 v[108:111], off, off offset:328
	s_wait_dscnt 0x0
	v_fmac_f64_e32 v[130:131], v[112:113], v[126:127]
	s_wait_loadcnt 0x4
	v_fmac_f64_e32 v[130:131], v[114:115], v[128:129]
	scratch_load_b128 v[112:115], off, off offset:344
	ds_load_b128 v[122:125], v2 offset:656
	ds_load_b128 v[126:129], v2 offset:672
	s_wait_dscnt 0x1
	v_fmac_f64_e32 v[130:131], v[116:117], v[122:123]
	s_wait_loadcnt 0x4
	s_delay_alu instid0(VALU_DEP_1)
	v_fmac_f64_e32 v[130:131], v[118:119], v[124:125]
	scratch_load_b128 v[116:119], off, off offset:360
	s_wait_dscnt 0x0
	v_fmac_f64_e32 v[130:131], v[120:121], v[126:127]
	ds_load_b128 v[120:123], v2 offset:688
	ds_load_b128 v[124:127], v2 offset:704
	s_wait_loadcnt 0x4
	v_fmac_f64_e32 v[130:131], v[100:101], v[128:129]
	s_wait_dscnt 0x1
	s_delay_alu instid0(VALU_DEP_1) | instskip(SKIP_1) | instid1(VALU_DEP_1)
	v_fmac_f64_e32 v[130:131], v[102:103], v[120:121]
	s_wait_loadcnt 0x3
	v_fmac_f64_e32 v[130:131], v[104:105], v[122:123]
	s_wait_dscnt 0x0
	s_delay_alu instid0(VALU_DEP_1)
	v_fmac_f64_e32 v[130:131], v[106:107], v[124:125]
	ds_load_b128 v[100:103], v2 offset:720
	ds_load_b128 v[104:107], v2 offset:736
	s_wait_loadcnt 0x2
	v_fmac_f64_e32 v[130:131], v[108:109], v[126:127]
	s_wait_dscnt 0x1
	s_delay_alu instid0(VALU_DEP_1) | instskip(SKIP_4) | instid1(VALU_DEP_1)
	v_fmac_f64_e32 v[130:131], v[110:111], v[100:101]
	ds_load_b64 v[100:101], v2 offset:752
	s_wait_loadcnt 0x1
	v_fmac_f64_e32 v[130:131], v[112:113], v[102:103]
	s_wait_dscnt 0x1
	v_fmac_f64_e32 v[130:131], v[114:115], v[104:105]
	s_wait_loadcnt 0x0
	s_delay_alu instid0(VALU_DEP_1) | instskip(SKIP_1) | instid1(VALU_DEP_1)
	v_fmac_f64_e32 v[130:131], v[116:117], v[106:107]
	s_wait_dscnt 0x0
	v_fmac_f64_e32 v[130:131], v[118:119], v[100:101]
	s_delay_alu instid0(VALU_DEP_1)
	v_add_f64_e64 v[98:99], v[98:99], -v[130:131]
	scratch_store_b64 off, v[98:99], off offset:200
	s_wait_xcnt 0x0
	v_cmpx_lt_u32_e32 24, v0
	s_cbranch_execz .LBB46_243
; %bb.242:
	scratch_load_b64 v[98:99], off, off offset:192
	v_mov_b64_e32 v[100:101], 0
	scratch_store_b64 off, v[100:101], off offset:192
	s_wait_loadcnt 0x0
	ds_store_b64 v1, v[98:99]
.LBB46_243:
	s_wait_xcnt 0x0
	s_or_b32 exec_lo, exec_lo, s0
	s_wait_storecnt_dscnt 0x0
	s_barrier_signal -1
	s_barrier_wait -1
	s_clause 0x5
	scratch_load_b128 v[98:101], off, off offset:192
	scratch_load_b128 v[102:105], off, off offset:208
	;; [unrolled: 1-line block ×6, first 2 shown]
	ds_load_2addr_b64 v[122:125], v2 offset0:73 offset1:74
	ds_load_2addr_b64 v[126:129], v2 offset0:75 offset1:76
	scratch_load_b128 v[130:133], off, off offset:288
	s_mov_b32 s0, exec_lo
	s_wait_loadcnt_dscnt 0x601
	v_fma_f64 v[134:135], v[100:101], v[122:123], 0
	s_wait_loadcnt 0x5
	s_delay_alu instid0(VALU_DEP_1) | instskip(SKIP_4) | instid1(VALU_DEP_1)
	v_fmac_f64_e32 v[134:135], v[102:103], v[124:125]
	scratch_load_b128 v[100:103], off, off offset:304
	s_wait_dscnt 0x0
	v_fmac_f64_e32 v[134:135], v[104:105], v[126:127]
	s_wait_loadcnt 0x5
	v_fmac_f64_e32 v[134:135], v[106:107], v[128:129]
	ds_load_2addr_b64 v[104:107], v2 offset0:77 offset1:78
	ds_load_2addr_b64 v[122:125], v2 offset0:79 offset1:80
	s_wait_dscnt 0x1
	v_fmac_f64_e32 v[134:135], v[108:109], v[104:105]
	s_wait_loadcnt 0x4
	s_delay_alu instid0(VALU_DEP_1)
	v_fmac_f64_e32 v[134:135], v[110:111], v[106:107]
	s_clause 0x1
	scratch_load_b128 v[104:107], off, off offset:320
	scratch_load_b128 v[108:111], off, off offset:336
	s_wait_dscnt 0x0
	v_fmac_f64_e32 v[134:135], v[112:113], v[122:123]
	s_wait_loadcnt 0x5
	s_delay_alu instid0(VALU_DEP_1)
	v_fmac_f64_e32 v[134:135], v[114:115], v[124:125]
	ds_load_2addr_b64 v[112:115], v2 offset0:81 offset1:82
	ds_load_2addr_b64 v[122:125], v2 offset0:83 offset1:84
	s_wait_dscnt 0x1
	v_fmac_f64_e32 v[134:135], v[116:117], v[112:113]
	s_wait_loadcnt 0x4
	s_delay_alu instid0(VALU_DEP_1) | instskip(SKIP_4) | instid1(VALU_DEP_1)
	v_fmac_f64_e32 v[134:135], v[118:119], v[114:115]
	scratch_load_b128 v[112:115], off, off offset:352
	s_wait_dscnt 0x0
	v_fmac_f64_e32 v[134:135], v[120:121], v[122:123]
	s_wait_loadcnt 0x4
	v_fmac_f64_e32 v[134:135], v[130:131], v[124:125]
	scratch_load_b64 v[124:125], off, off offset:368
	ds_load_2addr_b64 v[116:119], v2 offset0:85 offset1:86
	ds_load_2addr_b64 v[120:123], v2 offset0:87 offset1:88
	s_wait_dscnt 0x1
	v_fmac_f64_e32 v[134:135], v[132:133], v[116:117]
	s_wait_loadcnt 0x4
	s_delay_alu instid0(VALU_DEP_1) | instskip(SKIP_1) | instid1(VALU_DEP_1)
	v_fmac_f64_e32 v[134:135], v[100:101], v[118:119]
	s_wait_dscnt 0x0
	v_fmac_f64_e32 v[134:135], v[102:103], v[120:121]
	ds_load_2addr_b64 v[100:103], v2 offset0:89 offset1:90
	ds_load_2addr_b64 v[116:119], v2 offset0:91 offset1:92
	s_wait_loadcnt 0x3
	v_fmac_f64_e32 v[134:135], v[104:105], v[122:123]
	s_wait_dscnt 0x1
	s_delay_alu instid0(VALU_DEP_1) | instskip(SKIP_1) | instid1(VALU_DEP_1)
	v_fmac_f64_e32 v[134:135], v[106:107], v[100:101]
	s_wait_loadcnt 0x2
	v_fmac_f64_e32 v[134:135], v[108:109], v[102:103]
	ds_load_2addr_b64 v[100:103], v2 offset0:93 offset1:94
	s_wait_dscnt 0x1
	v_fmac_f64_e32 v[134:135], v[110:111], v[116:117]
	s_wait_loadcnt 0x1
	s_delay_alu instid0(VALU_DEP_1) | instskip(SKIP_1) | instid1(VALU_DEP_1)
	v_fmac_f64_e32 v[134:135], v[112:113], v[118:119]
	s_wait_dscnt 0x0
	v_fmac_f64_e32 v[134:135], v[114:115], v[100:101]
	s_wait_loadcnt 0x0
	s_delay_alu instid0(VALU_DEP_1) | instskip(NEXT) | instid1(VALU_DEP_1)
	v_fmac_f64_e32 v[134:135], v[124:125], v[102:103]
	v_add_f64_e64 v[2:3], v[98:99], -v[134:135]
	scratch_store_b64 off, v[2:3], off offset:192
	s_wait_xcnt 0x0
	v_cmpx_lt_u32_e32 23, v0
	s_cbranch_execz .LBB46_245
; %bb.244:
	scratch_load_b64 v[2:3], off, off offset:184
	v_mov_b64_e32 v[98:99], 0
	scratch_store_b64 off, v[98:99], off offset:184
	s_wait_loadcnt 0x0
	ds_store_b64 v1, v[2:3]
.LBB46_245:
	s_wait_xcnt 0x0
	s_or_b32 exec_lo, exec_lo, s0
	s_wait_storecnt_dscnt 0x0
	s_barrier_signal -1
	s_barrier_wait -1
	s_clause 0x5
	scratch_load_b128 v[98:101], off, off offset:184
	scratch_load_b128 v[102:105], off, off offset:200
	;; [unrolled: 1-line block ×6, first 2 shown]
	v_mov_b32_e32 v2, 0
	ds_load_b128 v[122:125], v2 offset:576
	ds_load_b128 v[126:129], v2 offset:592
	scratch_load_b128 v[130:133], off, off offset:280
	s_mov_b32 s0, exec_lo
	s_wait_loadcnt_dscnt 0x601
	v_fma_f64 v[134:135], v[100:101], v[122:123], 0
	s_wait_loadcnt 0x5
	s_delay_alu instid0(VALU_DEP_1) | instskip(SKIP_4) | instid1(VALU_DEP_1)
	v_fmac_f64_e32 v[134:135], v[102:103], v[124:125]
	scratch_load_b128 v[100:103], off, off offset:296
	s_wait_dscnt 0x0
	v_fmac_f64_e32 v[134:135], v[104:105], v[126:127]
	s_wait_loadcnt 0x5
	v_fmac_f64_e32 v[134:135], v[106:107], v[128:129]
	ds_load_b128 v[104:107], v2 offset:608
	ds_load_b128 v[122:125], v2 offset:624
	s_wait_dscnt 0x1
	v_fmac_f64_e32 v[134:135], v[108:109], v[104:105]
	s_wait_loadcnt 0x4
	s_delay_alu instid0(VALU_DEP_1)
	v_fmac_f64_e32 v[134:135], v[110:111], v[106:107]
	s_clause 0x1
	scratch_load_b128 v[104:107], off, off offset:312
	scratch_load_b128 v[108:111], off, off offset:328
	s_wait_dscnt 0x0
	v_fmac_f64_e32 v[134:135], v[112:113], v[122:123]
	s_wait_loadcnt 0x5
	s_delay_alu instid0(VALU_DEP_1)
	v_fmac_f64_e32 v[134:135], v[114:115], v[124:125]
	ds_load_b128 v[112:115], v2 offset:640
	ds_load_b128 v[122:125], v2 offset:656
	s_wait_dscnt 0x1
	v_fmac_f64_e32 v[134:135], v[116:117], v[112:113]
	s_wait_loadcnt 0x4
	s_delay_alu instid0(VALU_DEP_1)
	v_fmac_f64_e32 v[134:135], v[118:119], v[114:115]
	s_clause 0x1
	scratch_load_b128 v[112:115], off, off offset:344
	scratch_load_b128 v[116:119], off, off offset:360
	s_wait_dscnt 0x0
	v_fmac_f64_e32 v[134:135], v[120:121], v[122:123]
	s_wait_loadcnt 0x5
	s_delay_alu instid0(VALU_DEP_1)
	v_fmac_f64_e32 v[134:135], v[130:131], v[124:125]
	ds_load_b128 v[120:123], v2 offset:672
	ds_load_b128 v[124:127], v2 offset:688
	s_wait_dscnt 0x1
	v_fmac_f64_e32 v[134:135], v[132:133], v[120:121]
	s_wait_loadcnt 0x4
	s_delay_alu instid0(VALU_DEP_1) | instskip(SKIP_1) | instid1(VALU_DEP_1)
	v_fmac_f64_e32 v[134:135], v[100:101], v[122:123]
	s_wait_dscnt 0x0
	v_fmac_f64_e32 v[134:135], v[102:103], v[124:125]
	ds_load_b128 v[100:103], v2 offset:704
	ds_load_b128 v[120:123], v2 offset:720
	s_wait_loadcnt 0x3
	v_fmac_f64_e32 v[134:135], v[104:105], v[126:127]
	s_wait_dscnt 0x1
	s_delay_alu instid0(VALU_DEP_1) | instskip(SKIP_1) | instid1(VALU_DEP_1)
	v_fmac_f64_e32 v[134:135], v[106:107], v[100:101]
	s_wait_loadcnt 0x2
	v_fmac_f64_e32 v[134:135], v[108:109], v[102:103]
	ds_load_b128 v[100:103], v2 offset:736
	ds_load_b64 v[104:105], v2 offset:752
	s_wait_dscnt 0x2
	v_fmac_f64_e32 v[134:135], v[110:111], v[120:121]
	s_wait_loadcnt 0x1
	s_delay_alu instid0(VALU_DEP_1) | instskip(SKIP_1) | instid1(VALU_DEP_1)
	v_fmac_f64_e32 v[134:135], v[112:113], v[122:123]
	s_wait_dscnt 0x1
	v_fmac_f64_e32 v[134:135], v[114:115], v[100:101]
	s_wait_loadcnt 0x0
	s_delay_alu instid0(VALU_DEP_1) | instskip(SKIP_1) | instid1(VALU_DEP_1)
	v_fmac_f64_e32 v[134:135], v[116:117], v[102:103]
	s_wait_dscnt 0x0
	v_fmac_f64_e32 v[134:135], v[118:119], v[104:105]
	s_delay_alu instid0(VALU_DEP_1)
	v_add_f64_e64 v[98:99], v[98:99], -v[134:135]
	scratch_store_b64 off, v[98:99], off offset:184
	s_wait_xcnt 0x0
	v_cmpx_lt_u32_e32 22, v0
	s_cbranch_execz .LBB46_247
; %bb.246:
	scratch_load_b64 v[98:99], off, off offset:176
	v_mov_b64_e32 v[100:101], 0
	scratch_store_b64 off, v[100:101], off offset:176
	s_wait_loadcnt 0x0
	ds_store_b64 v1, v[98:99]
.LBB46_247:
	s_wait_xcnt 0x0
	s_or_b32 exec_lo, exec_lo, s0
	s_wait_storecnt_dscnt 0x0
	s_barrier_signal -1
	s_barrier_wait -1
	s_clause 0x5
	scratch_load_b128 v[98:101], off, off offset:176
	scratch_load_b128 v[102:105], off, off offset:192
	;; [unrolled: 1-line block ×6, first 2 shown]
	ds_load_2addr_b64 v[122:125], v2 offset0:71 offset1:72
	ds_load_2addr_b64 v[126:129], v2 offset0:73 offset1:74
	scratch_load_b128 v[130:133], off, off offset:272
	s_mov_b32 s0, exec_lo
	s_wait_loadcnt_dscnt 0x601
	v_fma_f64 v[134:135], v[100:101], v[122:123], 0
	s_wait_loadcnt 0x5
	s_delay_alu instid0(VALU_DEP_1) | instskip(SKIP_4) | instid1(VALU_DEP_1)
	v_fmac_f64_e32 v[134:135], v[102:103], v[124:125]
	scratch_load_b128 v[100:103], off, off offset:288
	s_wait_dscnt 0x0
	v_fmac_f64_e32 v[134:135], v[104:105], v[126:127]
	s_wait_loadcnt 0x5
	v_fmac_f64_e32 v[134:135], v[106:107], v[128:129]
	ds_load_2addr_b64 v[104:107], v2 offset0:75 offset1:76
	ds_load_2addr_b64 v[122:125], v2 offset0:77 offset1:78
	s_wait_dscnt 0x1
	v_fmac_f64_e32 v[134:135], v[108:109], v[104:105]
	s_wait_loadcnt 0x4
	s_delay_alu instid0(VALU_DEP_1)
	v_fmac_f64_e32 v[134:135], v[110:111], v[106:107]
	s_clause 0x1
	scratch_load_b128 v[104:107], off, off offset:304
	scratch_load_b128 v[108:111], off, off offset:320
	s_wait_dscnt 0x0
	v_fmac_f64_e32 v[134:135], v[112:113], v[122:123]
	s_wait_loadcnt 0x5
	s_delay_alu instid0(VALU_DEP_1)
	v_fmac_f64_e32 v[134:135], v[114:115], v[124:125]
	ds_load_2addr_b64 v[112:115], v2 offset0:79 offset1:80
	ds_load_2addr_b64 v[122:125], v2 offset0:81 offset1:82
	s_wait_dscnt 0x1
	v_fmac_f64_e32 v[134:135], v[116:117], v[112:113]
	s_wait_loadcnt 0x4
	s_delay_alu instid0(VALU_DEP_1)
	v_fmac_f64_e32 v[134:135], v[118:119], v[114:115]
	s_clause 0x1
	scratch_load_b128 v[112:115], off, off offset:336
	scratch_load_b128 v[116:119], off, off offset:352
	s_wait_dscnt 0x0
	v_fmac_f64_e32 v[134:135], v[120:121], v[122:123]
	s_wait_loadcnt 0x5
	s_delay_alu instid0(VALU_DEP_1)
	v_fmac_f64_e32 v[134:135], v[130:131], v[124:125]
	ds_load_2addr_b64 v[120:123], v2 offset0:83 offset1:84
	ds_load_2addr_b64 v[124:127], v2 offset0:85 offset1:86
	scratch_load_b64 v[128:129], off, off offset:368
	s_wait_dscnt 0x1
	v_fmac_f64_e32 v[134:135], v[132:133], v[120:121]
	s_wait_loadcnt 0x5
	s_delay_alu instid0(VALU_DEP_1) | instskip(SKIP_1) | instid1(VALU_DEP_1)
	v_fmac_f64_e32 v[134:135], v[100:101], v[122:123]
	s_wait_dscnt 0x0
	v_fmac_f64_e32 v[134:135], v[102:103], v[124:125]
	ds_load_2addr_b64 v[100:103], v2 offset0:87 offset1:88
	ds_load_2addr_b64 v[120:123], v2 offset0:89 offset1:90
	s_wait_loadcnt 0x4
	v_fmac_f64_e32 v[134:135], v[104:105], v[126:127]
	s_wait_dscnt 0x1
	s_delay_alu instid0(VALU_DEP_1) | instskip(SKIP_1) | instid1(VALU_DEP_1)
	v_fmac_f64_e32 v[134:135], v[106:107], v[100:101]
	s_wait_loadcnt 0x3
	v_fmac_f64_e32 v[134:135], v[108:109], v[102:103]
	ds_load_2addr_b64 v[100:103], v2 offset0:91 offset1:92
	ds_load_2addr_b64 v[104:107], v2 offset0:93 offset1:94
	s_wait_dscnt 0x2
	v_fmac_f64_e32 v[134:135], v[110:111], v[120:121]
	s_wait_loadcnt 0x2
	s_delay_alu instid0(VALU_DEP_1) | instskip(SKIP_1) | instid1(VALU_DEP_1)
	v_fmac_f64_e32 v[134:135], v[112:113], v[122:123]
	s_wait_dscnt 0x1
	v_fmac_f64_e32 v[134:135], v[114:115], v[100:101]
	s_wait_loadcnt 0x1
	s_delay_alu instid0(VALU_DEP_1) | instskip(SKIP_1) | instid1(VALU_DEP_1)
	v_fmac_f64_e32 v[134:135], v[116:117], v[102:103]
	s_wait_dscnt 0x0
	v_fmac_f64_e32 v[134:135], v[118:119], v[104:105]
	s_wait_loadcnt 0x0
	s_delay_alu instid0(VALU_DEP_1) | instskip(NEXT) | instid1(VALU_DEP_1)
	v_fmac_f64_e32 v[134:135], v[128:129], v[106:107]
	v_add_f64_e64 v[2:3], v[98:99], -v[134:135]
	scratch_store_b64 off, v[2:3], off offset:176
	s_wait_xcnt 0x0
	v_cmpx_lt_u32_e32 21, v0
	s_cbranch_execz .LBB46_249
; %bb.248:
	scratch_load_b64 v[2:3], off, off offset:168
	v_mov_b64_e32 v[98:99], 0
	scratch_store_b64 off, v[98:99], off offset:168
	s_wait_loadcnt 0x0
	ds_store_b64 v1, v[2:3]
.LBB46_249:
	s_wait_xcnt 0x0
	s_or_b32 exec_lo, exec_lo, s0
	s_wait_storecnt_dscnt 0x0
	s_barrier_signal -1
	s_barrier_wait -1
	s_clause 0x5
	scratch_load_b128 v[98:101], off, off offset:168
	scratch_load_b128 v[102:105], off, off offset:184
	;; [unrolled: 1-line block ×6, first 2 shown]
	v_mov_b32_e32 v2, 0
	ds_load_b128 v[122:125], v2 offset:560
	ds_load_b128 v[126:129], v2 offset:576
	scratch_load_b128 v[130:133], off, off offset:264
	s_mov_b32 s0, exec_lo
	s_wait_loadcnt_dscnt 0x601
	v_fma_f64 v[134:135], v[100:101], v[122:123], 0
	s_wait_loadcnt 0x5
	s_delay_alu instid0(VALU_DEP_1) | instskip(SKIP_4) | instid1(VALU_DEP_1)
	v_fmac_f64_e32 v[134:135], v[102:103], v[124:125]
	scratch_load_b128 v[100:103], off, off offset:280
	s_wait_dscnt 0x0
	v_fmac_f64_e32 v[134:135], v[104:105], v[126:127]
	s_wait_loadcnt 0x5
	v_fmac_f64_e32 v[134:135], v[106:107], v[128:129]
	ds_load_b128 v[104:107], v2 offset:592
	ds_load_b128 v[122:125], v2 offset:608
	s_wait_dscnt 0x1
	v_fmac_f64_e32 v[134:135], v[108:109], v[104:105]
	s_wait_loadcnt 0x4
	s_delay_alu instid0(VALU_DEP_1)
	v_fmac_f64_e32 v[134:135], v[110:111], v[106:107]
	s_clause 0x1
	scratch_load_b128 v[104:107], off, off offset:296
	scratch_load_b128 v[108:111], off, off offset:312
	s_wait_dscnt 0x0
	v_fmac_f64_e32 v[134:135], v[112:113], v[122:123]
	s_wait_loadcnt 0x5
	s_delay_alu instid0(VALU_DEP_1)
	v_fmac_f64_e32 v[134:135], v[114:115], v[124:125]
	ds_load_b128 v[112:115], v2 offset:624
	ds_load_b128 v[122:125], v2 offset:640
	s_wait_dscnt 0x1
	v_fmac_f64_e32 v[134:135], v[116:117], v[112:113]
	s_wait_loadcnt 0x4
	s_delay_alu instid0(VALU_DEP_1)
	v_fmac_f64_e32 v[134:135], v[118:119], v[114:115]
	s_clause 0x1
	scratch_load_b128 v[112:115], off, off offset:328
	scratch_load_b128 v[116:119], off, off offset:344
	s_wait_dscnt 0x0
	v_fmac_f64_e32 v[134:135], v[120:121], v[122:123]
	s_wait_loadcnt 0x5
	s_delay_alu instid0(VALU_DEP_1)
	v_fmac_f64_e32 v[134:135], v[130:131], v[124:125]
	ds_load_b128 v[120:123], v2 offset:656
	ds_load_b128 v[124:127], v2 offset:672
	s_wait_dscnt 0x1
	v_fmac_f64_e32 v[134:135], v[132:133], v[120:121]
	s_wait_loadcnt 0x4
	s_delay_alu instid0(VALU_DEP_1) | instskip(SKIP_4) | instid1(VALU_DEP_1)
	v_fmac_f64_e32 v[134:135], v[100:101], v[122:123]
	scratch_load_b128 v[120:123], off, off offset:360
	s_wait_dscnt 0x0
	v_fmac_f64_e32 v[134:135], v[102:103], v[124:125]
	s_wait_loadcnt 0x4
	v_fmac_f64_e32 v[134:135], v[104:105], v[126:127]
	ds_load_b128 v[100:103], v2 offset:688
	ds_load_b128 v[124:127], v2 offset:704
	s_wait_dscnt 0x1
	v_fmac_f64_e32 v[134:135], v[106:107], v[100:101]
	s_wait_loadcnt 0x3
	s_delay_alu instid0(VALU_DEP_1)
	v_fmac_f64_e32 v[134:135], v[108:109], v[102:103]
	ds_load_b128 v[100:103], v2 offset:720
	ds_load_b128 v[104:107], v2 offset:736
	s_wait_dscnt 0x2
	v_fmac_f64_e32 v[134:135], v[110:111], v[124:125]
	s_wait_loadcnt 0x2
	s_delay_alu instid0(VALU_DEP_1) | instskip(SKIP_1) | instid1(VALU_DEP_1)
	v_fmac_f64_e32 v[134:135], v[112:113], v[126:127]
	s_wait_dscnt 0x1
	v_fmac_f64_e32 v[134:135], v[114:115], v[100:101]
	ds_load_b64 v[100:101], v2 offset:752
	s_wait_loadcnt 0x1
	v_fmac_f64_e32 v[134:135], v[116:117], v[102:103]
	s_wait_dscnt 0x1
	s_delay_alu instid0(VALU_DEP_1) | instskip(SKIP_1) | instid1(VALU_DEP_1)
	v_fmac_f64_e32 v[134:135], v[118:119], v[104:105]
	s_wait_loadcnt 0x0
	v_fmac_f64_e32 v[134:135], v[120:121], v[106:107]
	s_wait_dscnt 0x0
	s_delay_alu instid0(VALU_DEP_1) | instskip(NEXT) | instid1(VALU_DEP_1)
	v_fmac_f64_e32 v[134:135], v[122:123], v[100:101]
	v_add_f64_e64 v[98:99], v[98:99], -v[134:135]
	scratch_store_b64 off, v[98:99], off offset:168
	s_wait_xcnt 0x0
	v_cmpx_lt_u32_e32 20, v0
	s_cbranch_execz .LBB46_251
; %bb.250:
	scratch_load_b64 v[98:99], off, off offset:160
	v_mov_b64_e32 v[100:101], 0
	scratch_store_b64 off, v[100:101], off offset:160
	s_wait_loadcnt 0x0
	ds_store_b64 v1, v[98:99]
.LBB46_251:
	s_wait_xcnt 0x0
	s_or_b32 exec_lo, exec_lo, s0
	s_wait_storecnt_dscnt 0x0
	s_barrier_signal -1
	s_barrier_wait -1
	s_clause 0x5
	scratch_load_b128 v[98:101], off, off offset:160
	scratch_load_b128 v[102:105], off, off offset:176
	;; [unrolled: 1-line block ×6, first 2 shown]
	ds_load_2addr_b64 v[122:125], v2 offset0:69 offset1:70
	ds_load_2addr_b64 v[126:129], v2 offset0:71 offset1:72
	scratch_load_b128 v[130:133], off, off offset:256
	s_mov_b32 s0, exec_lo
	s_wait_loadcnt_dscnt 0x601
	v_fma_f64 v[134:135], v[100:101], v[122:123], 0
	s_wait_loadcnt 0x5
	s_delay_alu instid0(VALU_DEP_1) | instskip(SKIP_4) | instid1(VALU_DEP_1)
	v_fmac_f64_e32 v[134:135], v[102:103], v[124:125]
	scratch_load_b128 v[100:103], off, off offset:272
	s_wait_dscnt 0x0
	v_fmac_f64_e32 v[134:135], v[104:105], v[126:127]
	s_wait_loadcnt 0x5
	v_fmac_f64_e32 v[134:135], v[106:107], v[128:129]
	ds_load_2addr_b64 v[104:107], v2 offset0:73 offset1:74
	ds_load_2addr_b64 v[122:125], v2 offset0:75 offset1:76
	scratch_load_b128 v[126:129], off, off offset:288
	s_wait_dscnt 0x1
	v_fmac_f64_e32 v[134:135], v[108:109], v[104:105]
	s_wait_loadcnt 0x5
	s_delay_alu instid0(VALU_DEP_1) | instskip(SKIP_4) | instid1(VALU_DEP_1)
	v_fmac_f64_e32 v[134:135], v[110:111], v[106:107]
	scratch_load_b128 v[104:107], off, off offset:304
	s_wait_dscnt 0x0
	v_fmac_f64_e32 v[134:135], v[112:113], v[122:123]
	s_wait_loadcnt 0x5
	v_fmac_f64_e32 v[134:135], v[114:115], v[124:125]
	ds_load_2addr_b64 v[108:111], v2 offset0:77 offset1:78
	ds_load_2addr_b64 v[112:115], v2 offset0:79 offset1:80
	s_wait_dscnt 0x1
	v_fmac_f64_e32 v[134:135], v[116:117], v[108:109]
	s_wait_loadcnt 0x4
	s_delay_alu instid0(VALU_DEP_1) | instskip(SKIP_4) | instid1(VALU_DEP_1)
	v_fmac_f64_e32 v[134:135], v[118:119], v[110:111]
	scratch_load_b128 v[108:111], off, off offset:320
	s_wait_dscnt 0x0
	v_fmac_f64_e32 v[134:135], v[120:121], v[112:113]
	s_wait_loadcnt 0x4
	v_fmac_f64_e32 v[134:135], v[130:131], v[114:115]
	scratch_load_b128 v[112:115], off, off offset:336
	ds_load_2addr_b64 v[116:119], v2 offset0:81 offset1:82
	ds_load_2addr_b64 v[120:123], v2 offset0:83 offset1:84
	scratch_load_b64 v[124:125], off, off offset:368
	s_wait_dscnt 0x1
	v_fmac_f64_e32 v[134:135], v[132:133], v[116:117]
	s_wait_loadcnt 0x5
	s_delay_alu instid0(VALU_DEP_1) | instskip(SKIP_4) | instid1(VALU_DEP_1)
	v_fmac_f64_e32 v[134:135], v[100:101], v[118:119]
	scratch_load_b128 v[116:119], off, off offset:352
	s_wait_dscnt 0x0
	v_fmac_f64_e32 v[134:135], v[102:103], v[120:121]
	s_wait_loadcnt 0x5
	v_fmac_f64_e32 v[134:135], v[126:127], v[122:123]
	ds_load_2addr_b64 v[100:103], v2 offset0:85 offset1:86
	ds_load_2addr_b64 v[120:123], v2 offset0:87 offset1:88
	s_wait_dscnt 0x1
	v_fmac_f64_e32 v[134:135], v[128:129], v[100:101]
	s_wait_loadcnt 0x4
	s_delay_alu instid0(VALU_DEP_1) | instskip(SKIP_1) | instid1(VALU_DEP_1)
	v_fmac_f64_e32 v[134:135], v[104:105], v[102:103]
	s_wait_dscnt 0x0
	v_fmac_f64_e32 v[134:135], v[106:107], v[120:121]
	ds_load_2addr_b64 v[100:103], v2 offset0:89 offset1:90
	ds_load_2addr_b64 v[104:107], v2 offset0:91 offset1:92
	s_wait_loadcnt 0x3
	v_fmac_f64_e32 v[134:135], v[108:109], v[122:123]
	s_wait_dscnt 0x1
	s_delay_alu instid0(VALU_DEP_1) | instskip(SKIP_1) | instid1(VALU_DEP_1)
	v_fmac_f64_e32 v[134:135], v[110:111], v[100:101]
	s_wait_loadcnt 0x2
	v_fmac_f64_e32 v[134:135], v[112:113], v[102:103]
	ds_load_2addr_b64 v[100:103], v2 offset0:93 offset1:94
	s_wait_dscnt 0x1
	v_fmac_f64_e32 v[134:135], v[114:115], v[104:105]
	s_wait_loadcnt 0x0
	s_delay_alu instid0(VALU_DEP_1) | instskip(SKIP_1) | instid1(VALU_DEP_1)
	v_fmac_f64_e32 v[134:135], v[116:117], v[106:107]
	s_wait_dscnt 0x0
	v_fmac_f64_e32 v[134:135], v[118:119], v[100:101]
	s_delay_alu instid0(VALU_DEP_1) | instskip(NEXT) | instid1(VALU_DEP_1)
	v_fmac_f64_e32 v[134:135], v[124:125], v[102:103]
	v_add_f64_e64 v[2:3], v[98:99], -v[134:135]
	scratch_store_b64 off, v[2:3], off offset:160
	s_wait_xcnt 0x0
	v_cmpx_lt_u32_e32 19, v0
	s_cbranch_execz .LBB46_253
; %bb.252:
	scratch_load_b64 v[2:3], off, off offset:152
	v_mov_b64_e32 v[98:99], 0
	scratch_store_b64 off, v[98:99], off offset:152
	s_wait_loadcnt 0x0
	ds_store_b64 v1, v[2:3]
.LBB46_253:
	s_wait_xcnt 0x0
	s_or_b32 exec_lo, exec_lo, s0
	s_wait_storecnt_dscnt 0x0
	s_barrier_signal -1
	s_barrier_wait -1
	s_clause 0x5
	scratch_load_b128 v[98:101], off, off offset:152
	scratch_load_b128 v[102:105], off, off offset:168
	scratch_load_b128 v[106:109], off, off offset:184
	scratch_load_b128 v[110:113], off, off offset:200
	scratch_load_b128 v[114:117], off, off offset:216
	scratch_load_b128 v[118:121], off, off offset:232
	v_mov_b32_e32 v2, 0
	ds_load_b128 v[122:125], v2 offset:544
	ds_load_b128 v[126:129], v2 offset:560
	scratch_load_b128 v[130:133], off, off offset:248
	s_mov_b32 s0, exec_lo
	s_wait_loadcnt_dscnt 0x601
	v_fma_f64 v[134:135], v[100:101], v[122:123], 0
	s_wait_loadcnt 0x5
	s_delay_alu instid0(VALU_DEP_1) | instskip(SKIP_4) | instid1(VALU_DEP_1)
	v_fmac_f64_e32 v[134:135], v[102:103], v[124:125]
	scratch_load_b128 v[100:103], off, off offset:264
	s_wait_dscnt 0x0
	v_fmac_f64_e32 v[134:135], v[104:105], v[126:127]
	s_wait_loadcnt 0x5
	v_fmac_f64_e32 v[134:135], v[106:107], v[128:129]
	ds_load_b128 v[104:107], v2 offset:576
	ds_load_b128 v[122:125], v2 offset:592
	scratch_load_b128 v[126:129], off, off offset:280
	s_wait_dscnt 0x1
	v_fmac_f64_e32 v[134:135], v[108:109], v[104:105]
	s_wait_loadcnt 0x5
	s_delay_alu instid0(VALU_DEP_1) | instskip(SKIP_4) | instid1(VALU_DEP_1)
	v_fmac_f64_e32 v[134:135], v[110:111], v[106:107]
	scratch_load_b128 v[104:107], off, off offset:296
	s_wait_dscnt 0x0
	v_fmac_f64_e32 v[134:135], v[112:113], v[122:123]
	s_wait_loadcnt 0x5
	v_fmac_f64_e32 v[134:135], v[114:115], v[124:125]
	ds_load_b128 v[108:111], v2 offset:608
	ds_load_b128 v[112:115], v2 offset:624
	s_wait_dscnt 0x1
	v_fmac_f64_e32 v[134:135], v[116:117], v[108:109]
	s_wait_loadcnt 0x4
	s_delay_alu instid0(VALU_DEP_1) | instskip(SKIP_4) | instid1(VALU_DEP_1)
	v_fmac_f64_e32 v[134:135], v[118:119], v[110:111]
	scratch_load_b128 v[108:111], off, off offset:312
	s_wait_dscnt 0x0
	v_fmac_f64_e32 v[134:135], v[120:121], v[112:113]
	s_wait_loadcnt 0x4
	v_fmac_f64_e32 v[134:135], v[130:131], v[114:115]
	scratch_load_b128 v[112:115], off, off offset:328
	ds_load_b128 v[116:119], v2 offset:640
	ds_load_b128 v[120:123], v2 offset:656
	s_wait_dscnt 0x1
	v_fmac_f64_e32 v[134:135], v[132:133], v[116:117]
	s_wait_loadcnt 0x4
	s_delay_alu instid0(VALU_DEP_1)
	v_fmac_f64_e32 v[134:135], v[100:101], v[118:119]
	scratch_load_b128 v[116:119], off, off offset:344
	s_wait_dscnt 0x0
	v_fmac_f64_e32 v[134:135], v[102:103], v[120:121]
	scratch_load_b128 v[100:103], off, off offset:360
	s_wait_loadcnt 0x5
	v_fmac_f64_e32 v[134:135], v[126:127], v[122:123]
	ds_load_b128 v[120:123], v2 offset:672
	ds_load_b128 v[124:127], v2 offset:688
	s_wait_dscnt 0x1
	v_fmac_f64_e32 v[134:135], v[128:129], v[120:121]
	s_wait_loadcnt 0x4
	s_delay_alu instid0(VALU_DEP_1) | instskip(SKIP_1) | instid1(VALU_DEP_1)
	v_fmac_f64_e32 v[134:135], v[104:105], v[122:123]
	s_wait_dscnt 0x0
	v_fmac_f64_e32 v[134:135], v[106:107], v[124:125]
	ds_load_b128 v[104:107], v2 offset:704
	ds_load_b128 v[120:123], v2 offset:720
	s_wait_loadcnt 0x3
	v_fmac_f64_e32 v[134:135], v[108:109], v[126:127]
	s_wait_dscnt 0x1
	s_delay_alu instid0(VALU_DEP_1) | instskip(SKIP_1) | instid1(VALU_DEP_1)
	v_fmac_f64_e32 v[134:135], v[110:111], v[104:105]
	s_wait_loadcnt 0x2
	v_fmac_f64_e32 v[134:135], v[112:113], v[106:107]
	ds_load_b128 v[104:107], v2 offset:736
	ds_load_b64 v[108:109], v2 offset:752
	s_wait_dscnt 0x2
	v_fmac_f64_e32 v[134:135], v[114:115], v[120:121]
	s_wait_loadcnt 0x1
	s_delay_alu instid0(VALU_DEP_1) | instskip(SKIP_1) | instid1(VALU_DEP_1)
	v_fmac_f64_e32 v[134:135], v[116:117], v[122:123]
	s_wait_dscnt 0x1
	v_fmac_f64_e32 v[134:135], v[118:119], v[104:105]
	s_wait_loadcnt 0x0
	s_delay_alu instid0(VALU_DEP_1) | instskip(SKIP_1) | instid1(VALU_DEP_1)
	v_fmac_f64_e32 v[134:135], v[100:101], v[106:107]
	s_wait_dscnt 0x0
	v_fmac_f64_e32 v[134:135], v[102:103], v[108:109]
	s_delay_alu instid0(VALU_DEP_1)
	v_add_f64_e64 v[98:99], v[98:99], -v[134:135]
	scratch_store_b64 off, v[98:99], off offset:152
	s_wait_xcnt 0x0
	v_cmpx_lt_u32_e32 18, v0
	s_cbranch_execz .LBB46_255
; %bb.254:
	scratch_load_b64 v[98:99], off, off offset:144
	v_mov_b64_e32 v[100:101], 0
	scratch_store_b64 off, v[100:101], off offset:144
	s_wait_loadcnt 0x0
	ds_store_b64 v1, v[98:99]
.LBB46_255:
	s_wait_xcnt 0x0
	s_or_b32 exec_lo, exec_lo, s0
	s_wait_storecnt_dscnt 0x0
	s_barrier_signal -1
	s_barrier_wait -1
	s_clause 0x5
	scratch_load_b128 v[98:101], off, off offset:144
	scratch_load_b128 v[102:105], off, off offset:160
	;; [unrolled: 1-line block ×6, first 2 shown]
	ds_load_2addr_b64 v[122:125], v2 offset0:67 offset1:68
	ds_load_2addr_b64 v[126:129], v2 offset0:69 offset1:70
	scratch_load_b128 v[130:133], off, off offset:240
	s_mov_b32 s0, exec_lo
	s_wait_loadcnt_dscnt 0x601
	v_fma_f64 v[134:135], v[100:101], v[122:123], 0
	s_wait_loadcnt 0x5
	s_delay_alu instid0(VALU_DEP_1) | instskip(SKIP_4) | instid1(VALU_DEP_1)
	v_fmac_f64_e32 v[134:135], v[102:103], v[124:125]
	scratch_load_b128 v[100:103], off, off offset:256
	s_wait_dscnt 0x0
	v_fmac_f64_e32 v[134:135], v[104:105], v[126:127]
	s_wait_loadcnt 0x5
	v_fmac_f64_e32 v[134:135], v[106:107], v[128:129]
	ds_load_2addr_b64 v[104:107], v2 offset0:71 offset1:72
	ds_load_2addr_b64 v[122:125], v2 offset0:73 offset1:74
	scratch_load_b128 v[126:129], off, off offset:272
	s_wait_dscnt 0x1
	v_fmac_f64_e32 v[134:135], v[108:109], v[104:105]
	s_wait_loadcnt 0x5
	s_delay_alu instid0(VALU_DEP_1) | instskip(SKIP_4) | instid1(VALU_DEP_1)
	v_fmac_f64_e32 v[134:135], v[110:111], v[106:107]
	scratch_load_b128 v[104:107], off, off offset:288
	s_wait_dscnt 0x0
	v_fmac_f64_e32 v[134:135], v[112:113], v[122:123]
	s_wait_loadcnt 0x5
	v_fmac_f64_e32 v[134:135], v[114:115], v[124:125]
	ds_load_2addr_b64 v[108:111], v2 offset0:75 offset1:76
	ds_load_2addr_b64 v[112:115], v2 offset0:77 offset1:78
	s_wait_dscnt 0x1
	v_fmac_f64_e32 v[134:135], v[116:117], v[108:109]
	s_wait_loadcnt 0x4
	s_delay_alu instid0(VALU_DEP_1) | instskip(SKIP_4) | instid1(VALU_DEP_1)
	v_fmac_f64_e32 v[134:135], v[118:119], v[110:111]
	scratch_load_b128 v[108:111], off, off offset:304
	s_wait_dscnt 0x0
	v_fmac_f64_e32 v[134:135], v[120:121], v[112:113]
	s_wait_loadcnt 0x4
	v_fmac_f64_e32 v[134:135], v[130:131], v[114:115]
	scratch_load_b128 v[112:115], off, off offset:320
	ds_load_2addr_b64 v[116:119], v2 offset0:79 offset1:80
	ds_load_2addr_b64 v[120:123], v2 offset0:81 offset1:82
	s_wait_dscnt 0x1
	v_fmac_f64_e32 v[134:135], v[132:133], v[116:117]
	s_wait_loadcnt 0x4
	s_delay_alu instid0(VALU_DEP_1)
	v_fmac_f64_e32 v[134:135], v[100:101], v[118:119]
	scratch_load_b128 v[116:119], off, off offset:336
	s_wait_dscnt 0x0
	v_fmac_f64_e32 v[134:135], v[102:103], v[120:121]
	scratch_load_b128 v[100:103], off, off offset:352
	s_wait_loadcnt 0x5
	v_fmac_f64_e32 v[134:135], v[126:127], v[122:123]
	ds_load_2addr_b64 v[120:123], v2 offset0:83 offset1:84
	ds_load_2addr_b64 v[124:127], v2 offset0:85 offset1:86
	s_wait_dscnt 0x1
	v_fmac_f64_e32 v[134:135], v[128:129], v[120:121]
	scratch_load_b64 v[128:129], off, off offset:368
	s_wait_loadcnt 0x5
	v_fmac_f64_e32 v[134:135], v[104:105], v[122:123]
	s_wait_dscnt 0x0
	s_delay_alu instid0(VALU_DEP_1)
	v_fmac_f64_e32 v[134:135], v[106:107], v[124:125]
	ds_load_2addr_b64 v[104:107], v2 offset0:87 offset1:88
	ds_load_2addr_b64 v[120:123], v2 offset0:89 offset1:90
	s_wait_loadcnt 0x4
	v_fmac_f64_e32 v[134:135], v[108:109], v[126:127]
	s_wait_dscnt 0x1
	s_delay_alu instid0(VALU_DEP_1) | instskip(SKIP_1) | instid1(VALU_DEP_1)
	v_fmac_f64_e32 v[134:135], v[110:111], v[104:105]
	s_wait_loadcnt 0x3
	v_fmac_f64_e32 v[134:135], v[112:113], v[106:107]
	ds_load_2addr_b64 v[104:107], v2 offset0:91 offset1:92
	ds_load_2addr_b64 v[108:111], v2 offset0:93 offset1:94
	s_wait_dscnt 0x2
	v_fmac_f64_e32 v[134:135], v[114:115], v[120:121]
	s_wait_loadcnt 0x2
	s_delay_alu instid0(VALU_DEP_1) | instskip(SKIP_1) | instid1(VALU_DEP_1)
	v_fmac_f64_e32 v[134:135], v[116:117], v[122:123]
	s_wait_dscnt 0x1
	v_fmac_f64_e32 v[134:135], v[118:119], v[104:105]
	s_wait_loadcnt 0x1
	s_delay_alu instid0(VALU_DEP_1) | instskip(SKIP_1) | instid1(VALU_DEP_1)
	v_fmac_f64_e32 v[134:135], v[100:101], v[106:107]
	s_wait_dscnt 0x0
	v_fmac_f64_e32 v[134:135], v[102:103], v[108:109]
	s_wait_loadcnt 0x0
	s_delay_alu instid0(VALU_DEP_1) | instskip(NEXT) | instid1(VALU_DEP_1)
	v_fmac_f64_e32 v[134:135], v[128:129], v[110:111]
	v_add_f64_e64 v[2:3], v[98:99], -v[134:135]
	scratch_store_b64 off, v[2:3], off offset:144
	s_wait_xcnt 0x0
	v_cmpx_lt_u32_e32 17, v0
	s_cbranch_execz .LBB46_257
; %bb.256:
	scratch_load_b64 v[2:3], off, off offset:136
	v_mov_b64_e32 v[98:99], 0
	scratch_store_b64 off, v[98:99], off offset:136
	s_wait_loadcnt 0x0
	ds_store_b64 v1, v[2:3]
.LBB46_257:
	s_wait_xcnt 0x0
	s_or_b32 exec_lo, exec_lo, s0
	s_wait_storecnt_dscnt 0x0
	s_barrier_signal -1
	s_barrier_wait -1
	s_clause 0x5
	scratch_load_b128 v[98:101], off, off offset:136
	scratch_load_b128 v[102:105], off, off offset:152
	;; [unrolled: 1-line block ×6, first 2 shown]
	v_mov_b32_e32 v2, 0
	ds_load_b128 v[122:125], v2 offset:528
	ds_load_b128 v[126:129], v2 offset:544
	scratch_load_b128 v[130:133], off, off offset:232
	s_mov_b32 s0, exec_lo
	s_wait_loadcnt_dscnt 0x601
	v_fma_f64 v[134:135], v[100:101], v[122:123], 0
	s_wait_loadcnt 0x5
	s_delay_alu instid0(VALU_DEP_1) | instskip(SKIP_4) | instid1(VALU_DEP_1)
	v_fmac_f64_e32 v[134:135], v[102:103], v[124:125]
	scratch_load_b128 v[100:103], off, off offset:248
	s_wait_dscnt 0x0
	v_fmac_f64_e32 v[134:135], v[104:105], v[126:127]
	s_wait_loadcnt 0x5
	v_fmac_f64_e32 v[134:135], v[106:107], v[128:129]
	ds_load_b128 v[104:107], v2 offset:560
	ds_load_b128 v[122:125], v2 offset:576
	scratch_load_b128 v[126:129], off, off offset:264
	s_wait_dscnt 0x1
	v_fmac_f64_e32 v[134:135], v[108:109], v[104:105]
	s_wait_loadcnt 0x5
	s_delay_alu instid0(VALU_DEP_1) | instskip(SKIP_4) | instid1(VALU_DEP_1)
	v_fmac_f64_e32 v[134:135], v[110:111], v[106:107]
	scratch_load_b128 v[104:107], off, off offset:280
	s_wait_dscnt 0x0
	v_fmac_f64_e32 v[134:135], v[112:113], v[122:123]
	s_wait_loadcnt 0x5
	v_fmac_f64_e32 v[134:135], v[114:115], v[124:125]
	ds_load_b128 v[108:111], v2 offset:592
	ds_load_b128 v[112:115], v2 offset:608
	s_wait_dscnt 0x1
	v_fmac_f64_e32 v[134:135], v[116:117], v[108:109]
	s_wait_loadcnt 0x4
	s_delay_alu instid0(VALU_DEP_1) | instskip(SKIP_4) | instid1(VALU_DEP_1)
	v_fmac_f64_e32 v[134:135], v[118:119], v[110:111]
	scratch_load_b128 v[108:111], off, off offset:296
	s_wait_dscnt 0x0
	v_fmac_f64_e32 v[134:135], v[120:121], v[112:113]
	s_wait_loadcnt 0x4
	v_fmac_f64_e32 v[134:135], v[130:131], v[114:115]
	scratch_load_b128 v[112:115], off, off offset:312
	ds_load_b128 v[116:119], v2 offset:624
	ds_load_b128 v[120:123], v2 offset:640
	s_wait_dscnt 0x1
	v_fmac_f64_e32 v[134:135], v[132:133], v[116:117]
	s_wait_loadcnt 0x4
	s_delay_alu instid0(VALU_DEP_1)
	v_fmac_f64_e32 v[134:135], v[100:101], v[118:119]
	scratch_load_b128 v[116:119], off, off offset:328
	s_wait_dscnt 0x0
	v_fmac_f64_e32 v[134:135], v[102:103], v[120:121]
	scratch_load_b128 v[100:103], off, off offset:344
	s_wait_loadcnt 0x5
	v_fmac_f64_e32 v[134:135], v[126:127], v[122:123]
	ds_load_b128 v[120:123], v2 offset:656
	ds_load_b128 v[124:127], v2 offset:672
	s_wait_dscnt 0x1
	v_fmac_f64_e32 v[134:135], v[128:129], v[120:121]
	s_wait_loadcnt 0x4
	s_delay_alu instid0(VALU_DEP_1) | instskip(SKIP_4) | instid1(VALU_DEP_1)
	v_fmac_f64_e32 v[134:135], v[104:105], v[122:123]
	scratch_load_b128 v[120:123], off, off offset:360
	s_wait_dscnt 0x0
	v_fmac_f64_e32 v[134:135], v[106:107], v[124:125]
	s_wait_loadcnt 0x4
	v_fmac_f64_e32 v[134:135], v[108:109], v[126:127]
	ds_load_b128 v[104:107], v2 offset:688
	ds_load_b128 v[124:127], v2 offset:704
	s_wait_dscnt 0x1
	v_fmac_f64_e32 v[134:135], v[110:111], v[104:105]
	s_wait_loadcnt 0x3
	s_delay_alu instid0(VALU_DEP_1)
	v_fmac_f64_e32 v[134:135], v[112:113], v[106:107]
	ds_load_b128 v[104:107], v2 offset:720
	ds_load_b128 v[108:111], v2 offset:736
	s_wait_dscnt 0x2
	v_fmac_f64_e32 v[134:135], v[114:115], v[124:125]
	s_wait_loadcnt 0x2
	s_delay_alu instid0(VALU_DEP_1) | instskip(SKIP_1) | instid1(VALU_DEP_1)
	v_fmac_f64_e32 v[134:135], v[116:117], v[126:127]
	s_wait_dscnt 0x1
	v_fmac_f64_e32 v[134:135], v[118:119], v[104:105]
	s_wait_loadcnt 0x1
	s_delay_alu instid0(VALU_DEP_1) | instskip(SKIP_4) | instid1(VALU_DEP_1)
	v_fmac_f64_e32 v[134:135], v[100:101], v[106:107]
	ds_load_b64 v[100:101], v2 offset:752
	s_wait_dscnt 0x1
	v_fmac_f64_e32 v[134:135], v[102:103], v[108:109]
	s_wait_loadcnt 0x0
	v_fmac_f64_e32 v[134:135], v[120:121], v[110:111]
	s_wait_dscnt 0x0
	s_delay_alu instid0(VALU_DEP_1) | instskip(NEXT) | instid1(VALU_DEP_1)
	v_fmac_f64_e32 v[134:135], v[122:123], v[100:101]
	v_add_f64_e64 v[98:99], v[98:99], -v[134:135]
	scratch_store_b64 off, v[98:99], off offset:136
	s_wait_xcnt 0x0
	v_cmpx_lt_u32_e32 16, v0
	s_cbranch_execz .LBB46_259
; %bb.258:
	scratch_load_b64 v[98:99], off, off offset:128
	v_mov_b64_e32 v[100:101], 0
	scratch_store_b64 off, v[100:101], off offset:128
	s_wait_loadcnt 0x0
	ds_store_b64 v1, v[98:99]
.LBB46_259:
	s_wait_xcnt 0x0
	s_or_b32 exec_lo, exec_lo, s0
	s_wait_storecnt_dscnt 0x0
	s_barrier_signal -1
	s_barrier_wait -1
	s_clause 0x5
	scratch_load_b128 v[98:101], off, off offset:128
	scratch_load_b128 v[102:105], off, off offset:144
	scratch_load_b128 v[106:109], off, off offset:160
	scratch_load_b128 v[110:113], off, off offset:176
	scratch_load_b128 v[114:117], off, off offset:192
	scratch_load_b128 v[118:121], off, off offset:208
	ds_load_2addr_b64 v[122:125], v2 offset0:65 offset1:66
	ds_load_2addr_b64 v[126:129], v2 offset0:67 offset1:68
	scratch_load_b128 v[130:133], off, off offset:224
	s_mov_b32 s0, exec_lo
	s_wait_loadcnt_dscnt 0x601
	v_fma_f64 v[134:135], v[100:101], v[122:123], 0
	s_wait_loadcnt 0x5
	s_delay_alu instid0(VALU_DEP_1) | instskip(SKIP_4) | instid1(VALU_DEP_1)
	v_fmac_f64_e32 v[134:135], v[102:103], v[124:125]
	scratch_load_b128 v[100:103], off, off offset:240
	s_wait_dscnt 0x0
	v_fmac_f64_e32 v[134:135], v[104:105], v[126:127]
	s_wait_loadcnt 0x5
	v_fmac_f64_e32 v[134:135], v[106:107], v[128:129]
	ds_load_2addr_b64 v[104:107], v2 offset0:69 offset1:70
	ds_load_2addr_b64 v[122:125], v2 offset0:71 offset1:72
	scratch_load_b128 v[126:129], off, off offset:256
	s_wait_dscnt 0x1
	v_fmac_f64_e32 v[134:135], v[108:109], v[104:105]
	s_wait_loadcnt 0x5
	s_delay_alu instid0(VALU_DEP_1) | instskip(SKIP_4) | instid1(VALU_DEP_1)
	v_fmac_f64_e32 v[134:135], v[110:111], v[106:107]
	scratch_load_b128 v[104:107], off, off offset:272
	s_wait_dscnt 0x0
	v_fmac_f64_e32 v[134:135], v[112:113], v[122:123]
	s_wait_loadcnt 0x5
	v_fmac_f64_e32 v[134:135], v[114:115], v[124:125]
	ds_load_2addr_b64 v[108:111], v2 offset0:73 offset1:74
	ds_load_2addr_b64 v[112:115], v2 offset0:75 offset1:76
	scratch_load_b128 v[122:125], off, off offset:288
	s_wait_dscnt 0x1
	v_fmac_f64_e32 v[134:135], v[116:117], v[108:109]
	s_wait_loadcnt 0x5
	s_delay_alu instid0(VALU_DEP_1) | instskip(SKIP_4) | instid1(VALU_DEP_1)
	v_fmac_f64_e32 v[134:135], v[118:119], v[110:111]
	scratch_load_b128 v[108:111], off, off offset:304
	s_wait_dscnt 0x0
	v_fmac_f64_e32 v[134:135], v[120:121], v[112:113]
	s_wait_loadcnt 0x5
	v_fmac_f64_e32 v[134:135], v[130:131], v[114:115]
	ds_load_2addr_b64 v[112:115], v2 offset0:77 offset1:78
	ds_load_2addr_b64 v[116:119], v2 offset0:79 offset1:80
	s_wait_dscnt 0x1
	v_fmac_f64_e32 v[134:135], v[132:133], v[112:113]
	s_wait_loadcnt 0x4
	s_delay_alu instid0(VALU_DEP_1)
	v_fmac_f64_e32 v[134:135], v[100:101], v[114:115]
	scratch_load_b128 v[112:115], off, off offset:320
	s_wait_dscnt 0x0
	v_fmac_f64_e32 v[134:135], v[102:103], v[116:117]
	scratch_load_b128 v[100:103], off, off offset:336
	s_wait_loadcnt 0x5
	v_fmac_f64_e32 v[134:135], v[126:127], v[118:119]
	ds_load_2addr_b64 v[116:119], v2 offset0:81 offset1:82
	ds_load_2addr_b64 v[130:133], v2 offset0:83 offset1:84
	scratch_load_b64 v[126:127], off, off offset:368
	s_wait_dscnt 0x1
	v_fmac_f64_e32 v[134:135], v[128:129], v[116:117]
	s_wait_loadcnt 0x5
	s_delay_alu instid0(VALU_DEP_1) | instskip(SKIP_4) | instid1(VALU_DEP_1)
	v_fmac_f64_e32 v[134:135], v[104:105], v[118:119]
	scratch_load_b128 v[116:119], off, off offset:352
	s_wait_dscnt 0x0
	v_fmac_f64_e32 v[134:135], v[106:107], v[130:131]
	s_wait_loadcnt 0x5
	v_fmac_f64_e32 v[134:135], v[122:123], v[132:133]
	ds_load_2addr_b64 v[104:107], v2 offset0:85 offset1:86
	ds_load_2addr_b64 v[120:123], v2 offset0:87 offset1:88
	s_wait_dscnt 0x1
	v_fmac_f64_e32 v[134:135], v[124:125], v[104:105]
	s_wait_loadcnt 0x4
	s_delay_alu instid0(VALU_DEP_1) | instskip(SKIP_1) | instid1(VALU_DEP_1)
	v_fmac_f64_e32 v[134:135], v[108:109], v[106:107]
	s_wait_dscnt 0x0
	v_fmac_f64_e32 v[134:135], v[110:111], v[120:121]
	ds_load_2addr_b64 v[104:107], v2 offset0:89 offset1:90
	ds_load_2addr_b64 v[108:111], v2 offset0:91 offset1:92
	s_wait_loadcnt 0x3
	v_fmac_f64_e32 v[134:135], v[112:113], v[122:123]
	s_wait_dscnt 0x1
	s_delay_alu instid0(VALU_DEP_1) | instskip(SKIP_1) | instid1(VALU_DEP_1)
	v_fmac_f64_e32 v[134:135], v[114:115], v[104:105]
	s_wait_loadcnt 0x2
	v_fmac_f64_e32 v[134:135], v[100:101], v[106:107]
	s_wait_dscnt 0x0
	s_delay_alu instid0(VALU_DEP_1) | instskip(SKIP_4) | instid1(VALU_DEP_1)
	v_fmac_f64_e32 v[134:135], v[102:103], v[108:109]
	ds_load_2addr_b64 v[100:103], v2 offset0:93 offset1:94
	s_wait_loadcnt 0x0
	v_fmac_f64_e32 v[134:135], v[116:117], v[110:111]
	s_wait_dscnt 0x0
	v_fmac_f64_e32 v[134:135], v[118:119], v[100:101]
	s_delay_alu instid0(VALU_DEP_1) | instskip(NEXT) | instid1(VALU_DEP_1)
	v_fmac_f64_e32 v[134:135], v[126:127], v[102:103]
	v_add_f64_e64 v[2:3], v[98:99], -v[134:135]
	scratch_store_b64 off, v[2:3], off offset:128
	s_wait_xcnt 0x0
	v_cmpx_lt_u32_e32 15, v0
	s_cbranch_execz .LBB46_261
; %bb.260:
	scratch_load_b64 v[2:3], off, off offset:120
	v_mov_b64_e32 v[98:99], 0
	scratch_store_b64 off, v[98:99], off offset:120
	s_wait_loadcnt 0x0
	ds_store_b64 v1, v[2:3]
.LBB46_261:
	s_wait_xcnt 0x0
	s_or_b32 exec_lo, exec_lo, s0
	s_wait_storecnt_dscnt 0x0
	s_barrier_signal -1
	s_barrier_wait -1
	s_clause 0x5
	scratch_load_b128 v[98:101], off, off offset:120
	scratch_load_b128 v[102:105], off, off offset:136
	;; [unrolled: 1-line block ×6, first 2 shown]
	v_mov_b32_e32 v2, 0
	ds_load_b128 v[122:125], v2 offset:512
	ds_load_b128 v[126:129], v2 offset:528
	scratch_load_b128 v[130:133], off, off offset:216
	s_mov_b32 s0, exec_lo
	s_wait_loadcnt_dscnt 0x601
	v_fma_f64 v[134:135], v[100:101], v[122:123], 0
	s_wait_loadcnt 0x5
	s_delay_alu instid0(VALU_DEP_1) | instskip(SKIP_4) | instid1(VALU_DEP_1)
	v_fmac_f64_e32 v[134:135], v[102:103], v[124:125]
	scratch_load_b128 v[100:103], off, off offset:232
	s_wait_dscnt 0x0
	v_fmac_f64_e32 v[134:135], v[104:105], v[126:127]
	s_wait_loadcnt 0x5
	v_fmac_f64_e32 v[134:135], v[106:107], v[128:129]
	ds_load_b128 v[104:107], v2 offset:544
	ds_load_b128 v[122:125], v2 offset:560
	scratch_load_b128 v[126:129], off, off offset:248
	s_wait_dscnt 0x1
	v_fmac_f64_e32 v[134:135], v[108:109], v[104:105]
	s_wait_loadcnt 0x5
	s_delay_alu instid0(VALU_DEP_1) | instskip(SKIP_4) | instid1(VALU_DEP_1)
	v_fmac_f64_e32 v[134:135], v[110:111], v[106:107]
	scratch_load_b128 v[104:107], off, off offset:264
	s_wait_dscnt 0x0
	v_fmac_f64_e32 v[134:135], v[112:113], v[122:123]
	s_wait_loadcnt 0x5
	v_fmac_f64_e32 v[134:135], v[114:115], v[124:125]
	ds_load_b128 v[108:111], v2 offset:576
	ds_load_b128 v[112:115], v2 offset:592
	scratch_load_b128 v[122:125], off, off offset:280
	s_wait_dscnt 0x1
	v_fmac_f64_e32 v[134:135], v[116:117], v[108:109]
	s_wait_loadcnt 0x5
	s_delay_alu instid0(VALU_DEP_1) | instskip(SKIP_4) | instid1(VALU_DEP_1)
	v_fmac_f64_e32 v[134:135], v[118:119], v[110:111]
	scratch_load_b128 v[108:111], off, off offset:296
	s_wait_dscnt 0x0
	v_fmac_f64_e32 v[134:135], v[120:121], v[112:113]
	s_wait_loadcnt 0x5
	v_fmac_f64_e32 v[134:135], v[130:131], v[114:115]
	ds_load_b128 v[112:115], v2 offset:608
	ds_load_b128 v[116:119], v2 offset:624
	s_wait_dscnt 0x1
	v_fmac_f64_e32 v[134:135], v[132:133], v[112:113]
	s_wait_loadcnt 0x4
	s_delay_alu instid0(VALU_DEP_1)
	v_fmac_f64_e32 v[134:135], v[100:101], v[114:115]
	scratch_load_b128 v[112:115], off, off offset:312
	s_wait_dscnt 0x0
	v_fmac_f64_e32 v[134:135], v[102:103], v[116:117]
	scratch_load_b128 v[100:103], off, off offset:328
	s_wait_loadcnt 0x5
	v_fmac_f64_e32 v[134:135], v[126:127], v[118:119]
	ds_load_b128 v[116:119], v2 offset:640
	ds_load_b128 v[130:133], v2 offset:656
	s_wait_dscnt 0x1
	v_fmac_f64_e32 v[134:135], v[128:129], v[116:117]
	s_wait_loadcnt 0x4
	s_delay_alu instid0(VALU_DEP_1)
	v_fmac_f64_e32 v[134:135], v[104:105], v[118:119]
	scratch_load_b128 v[116:119], off, off offset:344
	s_wait_dscnt 0x0
	v_fmac_f64_e32 v[134:135], v[106:107], v[130:131]
	scratch_load_b128 v[104:107], off, off offset:360
	s_wait_loadcnt 0x5
	v_fmac_f64_e32 v[134:135], v[122:123], v[132:133]
	ds_load_b128 v[120:123], v2 offset:672
	ds_load_b128 v[126:129], v2 offset:688
	s_wait_dscnt 0x1
	v_fmac_f64_e32 v[134:135], v[124:125], v[120:121]
	s_wait_loadcnt 0x4
	s_delay_alu instid0(VALU_DEP_1) | instskip(SKIP_1) | instid1(VALU_DEP_1)
	v_fmac_f64_e32 v[134:135], v[108:109], v[122:123]
	s_wait_dscnt 0x0
	v_fmac_f64_e32 v[134:135], v[110:111], v[126:127]
	ds_load_b128 v[108:111], v2 offset:704
	ds_load_b128 v[120:123], v2 offset:720
	s_wait_loadcnt 0x3
	v_fmac_f64_e32 v[134:135], v[112:113], v[128:129]
	s_wait_dscnt 0x1
	s_delay_alu instid0(VALU_DEP_1) | instskip(SKIP_1) | instid1(VALU_DEP_1)
	v_fmac_f64_e32 v[134:135], v[114:115], v[108:109]
	s_wait_loadcnt 0x2
	v_fmac_f64_e32 v[134:135], v[100:101], v[110:111]
	s_wait_dscnt 0x0
	s_delay_alu instid0(VALU_DEP_1)
	v_fmac_f64_e32 v[134:135], v[102:103], v[120:121]
	ds_load_b128 v[100:103], v2 offset:736
	ds_load_b64 v[108:109], v2 offset:752
	s_wait_loadcnt 0x1
	v_fmac_f64_e32 v[134:135], v[116:117], v[122:123]
	s_wait_dscnt 0x1
	s_delay_alu instid0(VALU_DEP_1) | instskip(SKIP_1) | instid1(VALU_DEP_1)
	v_fmac_f64_e32 v[134:135], v[118:119], v[100:101]
	s_wait_loadcnt 0x0
	v_fmac_f64_e32 v[134:135], v[104:105], v[102:103]
	s_wait_dscnt 0x0
	s_delay_alu instid0(VALU_DEP_1) | instskip(NEXT) | instid1(VALU_DEP_1)
	v_fmac_f64_e32 v[134:135], v[106:107], v[108:109]
	v_add_f64_e64 v[98:99], v[98:99], -v[134:135]
	scratch_store_b64 off, v[98:99], off offset:120
	s_wait_xcnt 0x0
	v_cmpx_lt_u32_e32 14, v0
	s_cbranch_execz .LBB46_263
; %bb.262:
	scratch_load_b64 v[98:99], off, off offset:112
	v_mov_b64_e32 v[100:101], 0
	scratch_store_b64 off, v[100:101], off offset:112
	s_wait_loadcnt 0x0
	ds_store_b64 v1, v[98:99]
.LBB46_263:
	s_wait_xcnt 0x0
	s_or_b32 exec_lo, exec_lo, s0
	s_wait_storecnt_dscnt 0x0
	s_barrier_signal -1
	s_barrier_wait -1
	s_clause 0x5
	scratch_load_b128 v[98:101], off, off offset:112
	scratch_load_b128 v[102:105], off, off offset:128
	scratch_load_b128 v[106:109], off, off offset:144
	scratch_load_b128 v[110:113], off, off offset:160
	scratch_load_b128 v[114:117], off, off offset:176
	scratch_load_b128 v[118:121], off, off offset:192
	ds_load_2addr_b64 v[122:125], v2 offset0:63 offset1:64
	ds_load_2addr_b64 v[126:129], v2 offset0:65 offset1:66
	scratch_load_b128 v[130:133], off, off offset:208
	s_mov_b32 s0, exec_lo
	s_wait_loadcnt_dscnt 0x601
	v_fma_f64 v[134:135], v[100:101], v[122:123], 0
	s_wait_loadcnt 0x5
	s_delay_alu instid0(VALU_DEP_1) | instskip(SKIP_4) | instid1(VALU_DEP_1)
	v_fmac_f64_e32 v[134:135], v[102:103], v[124:125]
	scratch_load_b128 v[100:103], off, off offset:224
	s_wait_dscnt 0x0
	v_fmac_f64_e32 v[134:135], v[104:105], v[126:127]
	s_wait_loadcnt 0x5
	v_fmac_f64_e32 v[134:135], v[106:107], v[128:129]
	ds_load_2addr_b64 v[104:107], v2 offset0:67 offset1:68
	ds_load_2addr_b64 v[122:125], v2 offset0:69 offset1:70
	scratch_load_b128 v[126:129], off, off offset:240
	s_wait_dscnt 0x1
	v_fmac_f64_e32 v[134:135], v[108:109], v[104:105]
	s_wait_loadcnt 0x5
	s_delay_alu instid0(VALU_DEP_1) | instskip(SKIP_4) | instid1(VALU_DEP_1)
	v_fmac_f64_e32 v[134:135], v[110:111], v[106:107]
	scratch_load_b128 v[104:107], off, off offset:256
	s_wait_dscnt 0x0
	v_fmac_f64_e32 v[134:135], v[112:113], v[122:123]
	s_wait_loadcnt 0x5
	v_fmac_f64_e32 v[134:135], v[114:115], v[124:125]
	ds_load_2addr_b64 v[108:111], v2 offset0:71 offset1:72
	ds_load_2addr_b64 v[112:115], v2 offset0:73 offset1:74
	scratch_load_b128 v[122:125], off, off offset:272
	s_wait_dscnt 0x1
	v_fmac_f64_e32 v[134:135], v[116:117], v[108:109]
	s_wait_loadcnt 0x5
	s_delay_alu instid0(VALU_DEP_1) | instskip(SKIP_4) | instid1(VALU_DEP_1)
	v_fmac_f64_e32 v[134:135], v[118:119], v[110:111]
	scratch_load_b128 v[108:111], off, off offset:288
	s_wait_dscnt 0x0
	v_fmac_f64_e32 v[134:135], v[120:121], v[112:113]
	s_wait_loadcnt 0x5
	v_fmac_f64_e32 v[134:135], v[130:131], v[114:115]
	ds_load_2addr_b64 v[112:115], v2 offset0:75 offset1:76
	ds_load_2addr_b64 v[116:119], v2 offset0:77 offset1:78
	s_wait_dscnt 0x1
	v_fmac_f64_e32 v[134:135], v[132:133], v[112:113]
	s_wait_loadcnt 0x4
	s_delay_alu instid0(VALU_DEP_1)
	v_fmac_f64_e32 v[134:135], v[100:101], v[114:115]
	scratch_load_b128 v[112:115], off, off offset:304
	s_wait_dscnt 0x0
	v_fmac_f64_e32 v[134:135], v[102:103], v[116:117]
	scratch_load_b128 v[100:103], off, off offset:320
	s_wait_loadcnt 0x5
	v_fmac_f64_e32 v[134:135], v[126:127], v[118:119]
	ds_load_2addr_b64 v[116:119], v2 offset0:79 offset1:80
	ds_load_2addr_b64 v[130:133], v2 offset0:81 offset1:82
	s_wait_dscnt 0x1
	v_fmac_f64_e32 v[134:135], v[128:129], v[116:117]
	s_wait_loadcnt 0x4
	s_delay_alu instid0(VALU_DEP_1)
	v_fmac_f64_e32 v[134:135], v[104:105], v[118:119]
	scratch_load_b128 v[116:119], off, off offset:336
	s_wait_dscnt 0x0
	v_fmac_f64_e32 v[134:135], v[106:107], v[130:131]
	scratch_load_b128 v[104:107], off, off offset:352
	s_wait_loadcnt 0x5
	v_fmac_f64_e32 v[134:135], v[122:123], v[132:133]
	ds_load_2addr_b64 v[120:123], v2 offset0:83 offset1:84
	ds_load_2addr_b64 v[126:129], v2 offset0:85 offset1:86
	s_wait_dscnt 0x1
	v_fmac_f64_e32 v[134:135], v[124:125], v[120:121]
	scratch_load_b64 v[124:125], off, off offset:368
	s_wait_loadcnt 0x5
	v_fmac_f64_e32 v[134:135], v[108:109], v[122:123]
	s_wait_dscnt 0x0
	s_delay_alu instid0(VALU_DEP_1)
	v_fmac_f64_e32 v[134:135], v[110:111], v[126:127]
	ds_load_2addr_b64 v[108:111], v2 offset0:87 offset1:88
	ds_load_2addr_b64 v[120:123], v2 offset0:89 offset1:90
	s_wait_loadcnt 0x4
	v_fmac_f64_e32 v[134:135], v[112:113], v[128:129]
	s_wait_dscnt 0x1
	s_delay_alu instid0(VALU_DEP_1) | instskip(SKIP_1) | instid1(VALU_DEP_1)
	v_fmac_f64_e32 v[134:135], v[114:115], v[108:109]
	s_wait_loadcnt 0x3
	v_fmac_f64_e32 v[134:135], v[100:101], v[110:111]
	s_wait_dscnt 0x0
	s_delay_alu instid0(VALU_DEP_1)
	v_fmac_f64_e32 v[134:135], v[102:103], v[120:121]
	ds_load_2addr_b64 v[100:103], v2 offset0:91 offset1:92
	ds_load_2addr_b64 v[108:111], v2 offset0:93 offset1:94
	s_wait_loadcnt 0x2
	v_fmac_f64_e32 v[134:135], v[116:117], v[122:123]
	s_wait_dscnt 0x1
	s_delay_alu instid0(VALU_DEP_1) | instskip(SKIP_1) | instid1(VALU_DEP_1)
	v_fmac_f64_e32 v[134:135], v[118:119], v[100:101]
	s_wait_loadcnt 0x1
	v_fmac_f64_e32 v[134:135], v[104:105], v[102:103]
	s_wait_dscnt 0x0
	s_delay_alu instid0(VALU_DEP_1) | instskip(SKIP_1) | instid1(VALU_DEP_1)
	v_fmac_f64_e32 v[134:135], v[106:107], v[108:109]
	s_wait_loadcnt 0x0
	v_fmac_f64_e32 v[134:135], v[124:125], v[110:111]
	s_delay_alu instid0(VALU_DEP_1)
	v_add_f64_e64 v[2:3], v[98:99], -v[134:135]
	scratch_store_b64 off, v[2:3], off offset:112
	s_wait_xcnt 0x0
	v_cmpx_lt_u32_e32 13, v0
	s_cbranch_execz .LBB46_265
; %bb.264:
	scratch_load_b64 v[2:3], off, off offset:104
	v_mov_b64_e32 v[98:99], 0
	scratch_store_b64 off, v[98:99], off offset:104
	s_wait_loadcnt 0x0
	ds_store_b64 v1, v[2:3]
.LBB46_265:
	s_wait_xcnt 0x0
	s_or_b32 exec_lo, exec_lo, s0
	s_wait_storecnt_dscnt 0x0
	s_barrier_signal -1
	s_barrier_wait -1
	s_clause 0x5
	scratch_load_b128 v[98:101], off, off offset:104
	scratch_load_b128 v[102:105], off, off offset:120
	;; [unrolled: 1-line block ×6, first 2 shown]
	v_mov_b32_e32 v2, 0
	ds_load_b128 v[122:125], v2 offset:496
	ds_load_b128 v[126:129], v2 offset:512
	scratch_load_b128 v[130:133], off, off offset:200
	s_mov_b32 s0, exec_lo
	s_wait_loadcnt_dscnt 0x601
	v_fma_f64 v[134:135], v[100:101], v[122:123], 0
	s_wait_loadcnt 0x5
	s_delay_alu instid0(VALU_DEP_1) | instskip(SKIP_4) | instid1(VALU_DEP_1)
	v_fmac_f64_e32 v[134:135], v[102:103], v[124:125]
	scratch_load_b128 v[100:103], off, off offset:216
	s_wait_dscnt 0x0
	v_fmac_f64_e32 v[134:135], v[104:105], v[126:127]
	s_wait_loadcnt 0x5
	v_fmac_f64_e32 v[134:135], v[106:107], v[128:129]
	ds_load_b128 v[104:107], v2 offset:528
	ds_load_b128 v[122:125], v2 offset:544
	scratch_load_b128 v[126:129], off, off offset:232
	s_wait_dscnt 0x1
	v_fmac_f64_e32 v[134:135], v[108:109], v[104:105]
	s_wait_loadcnt 0x5
	s_delay_alu instid0(VALU_DEP_1) | instskip(SKIP_4) | instid1(VALU_DEP_1)
	v_fmac_f64_e32 v[134:135], v[110:111], v[106:107]
	scratch_load_b128 v[104:107], off, off offset:248
	s_wait_dscnt 0x0
	v_fmac_f64_e32 v[134:135], v[112:113], v[122:123]
	s_wait_loadcnt 0x5
	v_fmac_f64_e32 v[134:135], v[114:115], v[124:125]
	ds_load_b128 v[108:111], v2 offset:560
	ds_load_b128 v[112:115], v2 offset:576
	scratch_load_b128 v[122:125], off, off offset:264
	s_wait_dscnt 0x1
	v_fmac_f64_e32 v[134:135], v[116:117], v[108:109]
	s_wait_loadcnt 0x5
	s_delay_alu instid0(VALU_DEP_1) | instskip(SKIP_4) | instid1(VALU_DEP_1)
	v_fmac_f64_e32 v[134:135], v[118:119], v[110:111]
	scratch_load_b128 v[108:111], off, off offset:280
	s_wait_dscnt 0x0
	v_fmac_f64_e32 v[134:135], v[120:121], v[112:113]
	s_wait_loadcnt 0x5
	v_fmac_f64_e32 v[134:135], v[130:131], v[114:115]
	ds_load_b128 v[112:115], v2 offset:592
	ds_load_b128 v[116:119], v2 offset:608
	s_wait_dscnt 0x1
	v_fmac_f64_e32 v[134:135], v[132:133], v[112:113]
	s_wait_loadcnt 0x4
	s_delay_alu instid0(VALU_DEP_1)
	v_fmac_f64_e32 v[134:135], v[100:101], v[114:115]
	scratch_load_b128 v[112:115], off, off offset:296
	s_wait_dscnt 0x0
	v_fmac_f64_e32 v[134:135], v[102:103], v[116:117]
	scratch_load_b128 v[100:103], off, off offset:312
	s_wait_loadcnt 0x5
	v_fmac_f64_e32 v[134:135], v[126:127], v[118:119]
	ds_load_b128 v[116:119], v2 offset:624
	ds_load_b128 v[130:133], v2 offset:640
	s_wait_dscnt 0x1
	v_fmac_f64_e32 v[134:135], v[128:129], v[116:117]
	s_wait_loadcnt 0x4
	s_delay_alu instid0(VALU_DEP_1)
	v_fmac_f64_e32 v[134:135], v[104:105], v[118:119]
	scratch_load_b128 v[116:119], off, off offset:328
	s_wait_dscnt 0x0
	v_fmac_f64_e32 v[134:135], v[106:107], v[130:131]
	scratch_load_b128 v[104:107], off, off offset:344
	s_wait_loadcnt 0x5
	v_fmac_f64_e32 v[134:135], v[122:123], v[132:133]
	ds_load_b128 v[120:123], v2 offset:656
	ds_load_b128 v[126:129], v2 offset:672
	s_wait_dscnt 0x1
	v_fmac_f64_e32 v[134:135], v[124:125], v[120:121]
	s_wait_loadcnt 0x4
	s_delay_alu instid0(VALU_DEP_1)
	v_fmac_f64_e32 v[134:135], v[108:109], v[122:123]
	scratch_load_b128 v[120:123], off, off offset:360
	s_wait_dscnt 0x0
	v_fmac_f64_e32 v[134:135], v[110:111], v[126:127]
	ds_load_b128 v[108:111], v2 offset:688
	ds_load_b128 v[124:127], v2 offset:704
	s_wait_loadcnt 0x4
	v_fmac_f64_e32 v[134:135], v[112:113], v[128:129]
	s_wait_dscnt 0x1
	s_delay_alu instid0(VALU_DEP_1) | instskip(SKIP_1) | instid1(VALU_DEP_1)
	v_fmac_f64_e32 v[134:135], v[114:115], v[108:109]
	s_wait_loadcnt 0x3
	v_fmac_f64_e32 v[134:135], v[100:101], v[110:111]
	s_wait_dscnt 0x0
	s_delay_alu instid0(VALU_DEP_1)
	v_fmac_f64_e32 v[134:135], v[102:103], v[124:125]
	ds_load_b128 v[100:103], v2 offset:720
	ds_load_b128 v[108:111], v2 offset:736
	s_wait_loadcnt 0x2
	v_fmac_f64_e32 v[134:135], v[116:117], v[126:127]
	s_wait_dscnt 0x1
	s_delay_alu instid0(VALU_DEP_1) | instskip(SKIP_4) | instid1(VALU_DEP_1)
	v_fmac_f64_e32 v[134:135], v[118:119], v[100:101]
	ds_load_b64 v[100:101], v2 offset:752
	s_wait_loadcnt 0x1
	v_fmac_f64_e32 v[134:135], v[104:105], v[102:103]
	s_wait_dscnt 0x1
	v_fmac_f64_e32 v[134:135], v[106:107], v[108:109]
	s_wait_loadcnt 0x0
	s_delay_alu instid0(VALU_DEP_1) | instskip(SKIP_1) | instid1(VALU_DEP_1)
	v_fmac_f64_e32 v[134:135], v[120:121], v[110:111]
	s_wait_dscnt 0x0
	v_fmac_f64_e32 v[134:135], v[122:123], v[100:101]
	s_delay_alu instid0(VALU_DEP_1)
	v_add_f64_e64 v[98:99], v[98:99], -v[134:135]
	scratch_store_b64 off, v[98:99], off offset:104
	s_wait_xcnt 0x0
	v_cmpx_lt_u32_e32 12, v0
	s_cbranch_execz .LBB46_267
; %bb.266:
	scratch_load_b64 v[98:99], off, off offset:96
	v_mov_b64_e32 v[100:101], 0
	scratch_store_b64 off, v[100:101], off offset:96
	s_wait_loadcnt 0x0
	ds_store_b64 v1, v[98:99]
.LBB46_267:
	s_wait_xcnt 0x0
	s_or_b32 exec_lo, exec_lo, s0
	s_wait_storecnt_dscnt 0x0
	s_barrier_signal -1
	s_barrier_wait -1
	s_clause 0x5
	scratch_load_b128 v[98:101], off, off offset:96
	scratch_load_b128 v[102:105], off, off offset:112
	scratch_load_b128 v[106:109], off, off offset:128
	scratch_load_b128 v[110:113], off, off offset:144
	scratch_load_b128 v[114:117], off, off offset:160
	scratch_load_b128 v[118:121], off, off offset:176
	ds_load_2addr_b64 v[122:125], v2 offset0:61 offset1:62
	ds_load_2addr_b64 v[126:129], v2 offset0:63 offset1:64
	scratch_load_b128 v[130:133], off, off offset:192
	s_mov_b32 s0, exec_lo
	s_wait_loadcnt_dscnt 0x601
	v_fma_f64 v[134:135], v[100:101], v[122:123], 0
	s_wait_loadcnt 0x5
	s_delay_alu instid0(VALU_DEP_1) | instskip(SKIP_4) | instid1(VALU_DEP_1)
	v_fmac_f64_e32 v[134:135], v[102:103], v[124:125]
	scratch_load_b128 v[100:103], off, off offset:208
	s_wait_dscnt 0x0
	v_fmac_f64_e32 v[134:135], v[104:105], v[126:127]
	s_wait_loadcnt 0x5
	v_fmac_f64_e32 v[134:135], v[106:107], v[128:129]
	ds_load_2addr_b64 v[104:107], v2 offset0:65 offset1:66
	ds_load_2addr_b64 v[122:125], v2 offset0:67 offset1:68
	scratch_load_b128 v[126:129], off, off offset:224
	s_wait_dscnt 0x1
	v_fmac_f64_e32 v[134:135], v[108:109], v[104:105]
	s_wait_loadcnt 0x5
	s_delay_alu instid0(VALU_DEP_1) | instskip(SKIP_4) | instid1(VALU_DEP_1)
	v_fmac_f64_e32 v[134:135], v[110:111], v[106:107]
	scratch_load_b128 v[104:107], off, off offset:240
	s_wait_dscnt 0x0
	v_fmac_f64_e32 v[134:135], v[112:113], v[122:123]
	s_wait_loadcnt 0x5
	v_fmac_f64_e32 v[134:135], v[114:115], v[124:125]
	ds_load_2addr_b64 v[108:111], v2 offset0:69 offset1:70
	ds_load_2addr_b64 v[112:115], v2 offset0:71 offset1:72
	scratch_load_b128 v[122:125], off, off offset:256
	s_wait_dscnt 0x1
	v_fmac_f64_e32 v[134:135], v[116:117], v[108:109]
	s_wait_loadcnt 0x5
	s_delay_alu instid0(VALU_DEP_1) | instskip(SKIP_4) | instid1(VALU_DEP_1)
	v_fmac_f64_e32 v[134:135], v[118:119], v[110:111]
	scratch_load_b128 v[108:111], off, off offset:272
	s_wait_dscnt 0x0
	v_fmac_f64_e32 v[134:135], v[120:121], v[112:113]
	s_wait_loadcnt 0x5
	v_fmac_f64_e32 v[134:135], v[130:131], v[114:115]
	ds_load_2addr_b64 v[112:115], v2 offset0:73 offset1:74
	ds_load_2addr_b64 v[116:119], v2 offset0:75 offset1:76
	s_wait_dscnt 0x1
	v_fmac_f64_e32 v[134:135], v[132:133], v[112:113]
	scratch_load_b128 v[130:133], off, off offset:288
	s_wait_loadcnt 0x5
	v_fmac_f64_e32 v[134:135], v[100:101], v[114:115]
	s_wait_dscnt 0x0
	s_delay_alu instid0(VALU_DEP_1)
	v_fmac_f64_e32 v[134:135], v[102:103], v[116:117]
	scratch_load_b128 v[100:103], off, off offset:304
	s_wait_loadcnt 0x5
	v_fmac_f64_e32 v[134:135], v[126:127], v[118:119]
	ds_load_2addr_b64 v[112:115], v2 offset0:77 offset1:78
	ds_load_2addr_b64 v[116:119], v2 offset0:79 offset1:80
	s_wait_dscnt 0x1
	v_fmac_f64_e32 v[134:135], v[128:129], v[112:113]
	s_wait_loadcnt 0x4
	s_delay_alu instid0(VALU_DEP_1)
	v_fmac_f64_e32 v[134:135], v[104:105], v[114:115]
	scratch_load_b128 v[112:115], off, off offset:320
	s_wait_dscnt 0x0
	v_fmac_f64_e32 v[134:135], v[106:107], v[116:117]
	scratch_load_b128 v[104:107], off, off offset:336
	s_wait_loadcnt 0x5
	v_fmac_f64_e32 v[134:135], v[122:123], v[118:119]
	ds_load_2addr_b64 v[116:119], v2 offset0:81 offset1:82
	ds_load_2addr_b64 v[120:123], v2 offset0:83 offset1:84
	s_wait_dscnt 0x1
	v_fmac_f64_e32 v[134:135], v[124:125], v[116:117]
	scratch_load_b64 v[124:125], off, off offset:368
	s_wait_loadcnt 0x5
	v_fmac_f64_e32 v[134:135], v[108:109], v[118:119]
	scratch_load_b128 v[116:119], off, off offset:352
	s_wait_dscnt 0x0
	v_fmac_f64_e32 v[134:135], v[110:111], v[120:121]
	s_wait_loadcnt 0x5
	s_delay_alu instid0(VALU_DEP_1)
	v_fmac_f64_e32 v[134:135], v[130:131], v[122:123]
	ds_load_2addr_b64 v[108:111], v2 offset0:85 offset1:86
	ds_load_2addr_b64 v[120:123], v2 offset0:87 offset1:88
	s_wait_dscnt 0x1
	v_fmac_f64_e32 v[134:135], v[132:133], v[108:109]
	s_wait_loadcnt 0x4
	s_delay_alu instid0(VALU_DEP_1) | instskip(SKIP_1) | instid1(VALU_DEP_1)
	v_fmac_f64_e32 v[134:135], v[100:101], v[110:111]
	s_wait_dscnt 0x0
	v_fmac_f64_e32 v[134:135], v[102:103], v[120:121]
	ds_load_2addr_b64 v[100:103], v2 offset0:89 offset1:90
	ds_load_2addr_b64 v[108:111], v2 offset0:91 offset1:92
	s_wait_loadcnt 0x3
	v_fmac_f64_e32 v[134:135], v[112:113], v[122:123]
	s_wait_dscnt 0x1
	s_delay_alu instid0(VALU_DEP_1) | instskip(SKIP_1) | instid1(VALU_DEP_1)
	v_fmac_f64_e32 v[134:135], v[114:115], v[100:101]
	s_wait_loadcnt 0x2
	v_fmac_f64_e32 v[134:135], v[104:105], v[102:103]
	ds_load_2addr_b64 v[100:103], v2 offset0:93 offset1:94
	s_wait_dscnt 0x1
	v_fmac_f64_e32 v[134:135], v[106:107], v[108:109]
	s_wait_loadcnt 0x0
	s_delay_alu instid0(VALU_DEP_1) | instskip(SKIP_1) | instid1(VALU_DEP_1)
	v_fmac_f64_e32 v[134:135], v[116:117], v[110:111]
	s_wait_dscnt 0x0
	v_fmac_f64_e32 v[134:135], v[118:119], v[100:101]
	s_delay_alu instid0(VALU_DEP_1) | instskip(NEXT) | instid1(VALU_DEP_1)
	v_fmac_f64_e32 v[134:135], v[124:125], v[102:103]
	v_add_f64_e64 v[2:3], v[98:99], -v[134:135]
	scratch_store_b64 off, v[2:3], off offset:96
	s_wait_xcnt 0x0
	v_cmpx_lt_u32_e32 11, v0
	s_cbranch_execz .LBB46_269
; %bb.268:
	scratch_load_b64 v[2:3], off, off offset:88
	v_mov_b64_e32 v[98:99], 0
	scratch_store_b64 off, v[98:99], off offset:88
	s_wait_loadcnt 0x0
	ds_store_b64 v1, v[2:3]
.LBB46_269:
	s_wait_xcnt 0x0
	s_or_b32 exec_lo, exec_lo, s0
	s_wait_storecnt_dscnt 0x0
	s_barrier_signal -1
	s_barrier_wait -1
	s_clause 0x5
	scratch_load_b128 v[98:101], off, off offset:88
	scratch_load_b128 v[102:105], off, off offset:104
	;; [unrolled: 1-line block ×6, first 2 shown]
	v_mov_b32_e32 v2, 0
	ds_load_b128 v[122:125], v2 offset:480
	ds_load_b128 v[126:129], v2 offset:496
	scratch_load_b128 v[130:133], off, off offset:184
	s_mov_b32 s0, exec_lo
	s_wait_loadcnt_dscnt 0x601
	v_fma_f64 v[134:135], v[100:101], v[122:123], 0
	s_wait_loadcnt 0x5
	s_delay_alu instid0(VALU_DEP_1) | instskip(SKIP_4) | instid1(VALU_DEP_1)
	v_fmac_f64_e32 v[134:135], v[102:103], v[124:125]
	scratch_load_b128 v[100:103], off, off offset:200
	s_wait_dscnt 0x0
	v_fmac_f64_e32 v[134:135], v[104:105], v[126:127]
	s_wait_loadcnt 0x5
	v_fmac_f64_e32 v[134:135], v[106:107], v[128:129]
	ds_load_b128 v[104:107], v2 offset:512
	ds_load_b128 v[122:125], v2 offset:528
	scratch_load_b128 v[126:129], off, off offset:216
	s_wait_dscnt 0x1
	v_fmac_f64_e32 v[134:135], v[108:109], v[104:105]
	s_wait_loadcnt 0x5
	s_delay_alu instid0(VALU_DEP_1) | instskip(SKIP_4) | instid1(VALU_DEP_1)
	v_fmac_f64_e32 v[134:135], v[110:111], v[106:107]
	scratch_load_b128 v[104:107], off, off offset:232
	s_wait_dscnt 0x0
	v_fmac_f64_e32 v[134:135], v[112:113], v[122:123]
	s_wait_loadcnt 0x5
	v_fmac_f64_e32 v[134:135], v[114:115], v[124:125]
	ds_load_b128 v[108:111], v2 offset:544
	ds_load_b128 v[112:115], v2 offset:560
	scratch_load_b128 v[122:125], off, off offset:248
	s_wait_dscnt 0x1
	v_fmac_f64_e32 v[134:135], v[116:117], v[108:109]
	s_wait_loadcnt 0x5
	s_delay_alu instid0(VALU_DEP_1) | instskip(SKIP_4) | instid1(VALU_DEP_1)
	v_fmac_f64_e32 v[134:135], v[118:119], v[110:111]
	scratch_load_b128 v[108:111], off, off offset:264
	s_wait_dscnt 0x0
	v_fmac_f64_e32 v[134:135], v[120:121], v[112:113]
	s_wait_loadcnt 0x5
	v_fmac_f64_e32 v[134:135], v[130:131], v[114:115]
	ds_load_b128 v[112:115], v2 offset:576
	ds_load_b128 v[116:119], v2 offset:592
	s_wait_dscnt 0x1
	v_fmac_f64_e32 v[134:135], v[132:133], v[112:113]
	scratch_load_b128 v[130:133], off, off offset:280
	s_wait_loadcnt 0x5
	v_fmac_f64_e32 v[134:135], v[100:101], v[114:115]
	s_wait_dscnt 0x0
	s_delay_alu instid0(VALU_DEP_1)
	v_fmac_f64_e32 v[134:135], v[102:103], v[116:117]
	scratch_load_b128 v[100:103], off, off offset:296
	s_wait_loadcnt 0x5
	v_fmac_f64_e32 v[134:135], v[126:127], v[118:119]
	ds_load_b128 v[112:115], v2 offset:608
	ds_load_b128 v[116:119], v2 offset:624
	s_wait_dscnt 0x1
	v_fmac_f64_e32 v[134:135], v[128:129], v[112:113]
	s_wait_loadcnt 0x4
	s_delay_alu instid0(VALU_DEP_1)
	v_fmac_f64_e32 v[134:135], v[104:105], v[114:115]
	scratch_load_b128 v[112:115], off, off offset:312
	s_wait_dscnt 0x0
	v_fmac_f64_e32 v[134:135], v[106:107], v[116:117]
	scratch_load_b128 v[104:107], off, off offset:328
	s_wait_loadcnt 0x5
	v_fmac_f64_e32 v[134:135], v[122:123], v[118:119]
	ds_load_b128 v[116:119], v2 offset:640
	ds_load_b128 v[120:123], v2 offset:656
	s_wait_dscnt 0x1
	v_fmac_f64_e32 v[134:135], v[124:125], v[116:117]
	s_wait_loadcnt 0x4
	s_delay_alu instid0(VALU_DEP_1)
	v_fmac_f64_e32 v[134:135], v[108:109], v[118:119]
	scratch_load_b128 v[116:119], off, off offset:344
	s_wait_dscnt 0x0
	v_fmac_f64_e32 v[134:135], v[110:111], v[120:121]
	scratch_load_b128 v[108:111], off, off offset:360
	s_wait_loadcnt 0x5
	v_fmac_f64_e32 v[134:135], v[130:131], v[122:123]
	ds_load_b128 v[120:123], v2 offset:672
	ds_load_b128 v[124:127], v2 offset:688
	s_wait_dscnt 0x1
	v_fmac_f64_e32 v[134:135], v[132:133], v[120:121]
	s_wait_loadcnt 0x4
	s_delay_alu instid0(VALU_DEP_1) | instskip(SKIP_1) | instid1(VALU_DEP_1)
	v_fmac_f64_e32 v[134:135], v[100:101], v[122:123]
	s_wait_dscnt 0x0
	v_fmac_f64_e32 v[134:135], v[102:103], v[124:125]
	ds_load_b128 v[100:103], v2 offset:704
	ds_load_b128 v[120:123], v2 offset:720
	s_wait_loadcnt 0x3
	v_fmac_f64_e32 v[134:135], v[112:113], v[126:127]
	s_wait_dscnt 0x1
	s_delay_alu instid0(VALU_DEP_1) | instskip(SKIP_1) | instid1(VALU_DEP_1)
	v_fmac_f64_e32 v[134:135], v[114:115], v[100:101]
	s_wait_loadcnt 0x2
	v_fmac_f64_e32 v[134:135], v[104:105], v[102:103]
	ds_load_b128 v[100:103], v2 offset:736
	ds_load_b64 v[104:105], v2 offset:752
	s_wait_dscnt 0x2
	v_fmac_f64_e32 v[134:135], v[106:107], v[120:121]
	s_wait_loadcnt 0x1
	s_delay_alu instid0(VALU_DEP_1) | instskip(SKIP_1) | instid1(VALU_DEP_1)
	v_fmac_f64_e32 v[134:135], v[116:117], v[122:123]
	s_wait_dscnt 0x1
	v_fmac_f64_e32 v[134:135], v[118:119], v[100:101]
	s_wait_loadcnt 0x0
	s_delay_alu instid0(VALU_DEP_1) | instskip(SKIP_1) | instid1(VALU_DEP_1)
	v_fmac_f64_e32 v[134:135], v[108:109], v[102:103]
	s_wait_dscnt 0x0
	v_fmac_f64_e32 v[134:135], v[110:111], v[104:105]
	s_delay_alu instid0(VALU_DEP_1)
	v_add_f64_e64 v[98:99], v[98:99], -v[134:135]
	scratch_store_b64 off, v[98:99], off offset:88
	s_wait_xcnt 0x0
	v_cmpx_lt_u32_e32 10, v0
	s_cbranch_execz .LBB46_271
; %bb.270:
	scratch_load_b64 v[98:99], off, off offset:80
	v_mov_b64_e32 v[100:101], 0
	scratch_store_b64 off, v[100:101], off offset:80
	s_wait_loadcnt 0x0
	ds_store_b64 v1, v[98:99]
.LBB46_271:
	s_wait_xcnt 0x0
	s_or_b32 exec_lo, exec_lo, s0
	s_wait_storecnt_dscnt 0x0
	s_barrier_signal -1
	s_barrier_wait -1
	s_clause 0x5
	scratch_load_b128 v[98:101], off, off offset:80
	scratch_load_b128 v[102:105], off, off offset:96
	scratch_load_b128 v[106:109], off, off offset:112
	scratch_load_b128 v[110:113], off, off offset:128
	scratch_load_b128 v[114:117], off, off offset:144
	scratch_load_b128 v[118:121], off, off offset:160
	ds_load_2addr_b64 v[122:125], v2 offset0:59 offset1:60
	ds_load_2addr_b64 v[126:129], v2 offset0:61 offset1:62
	scratch_load_b128 v[130:133], off, off offset:176
	s_mov_b32 s0, exec_lo
	s_wait_loadcnt_dscnt 0x601
	v_fma_f64 v[134:135], v[100:101], v[122:123], 0
	s_wait_loadcnt 0x5
	s_delay_alu instid0(VALU_DEP_1) | instskip(SKIP_4) | instid1(VALU_DEP_1)
	v_fmac_f64_e32 v[134:135], v[102:103], v[124:125]
	scratch_load_b128 v[100:103], off, off offset:192
	s_wait_dscnt 0x0
	v_fmac_f64_e32 v[134:135], v[104:105], v[126:127]
	s_wait_loadcnt 0x5
	v_fmac_f64_e32 v[134:135], v[106:107], v[128:129]
	ds_load_2addr_b64 v[104:107], v2 offset0:63 offset1:64
	ds_load_2addr_b64 v[122:125], v2 offset0:65 offset1:66
	scratch_load_b128 v[126:129], off, off offset:208
	s_wait_dscnt 0x1
	v_fmac_f64_e32 v[134:135], v[108:109], v[104:105]
	s_wait_loadcnt 0x5
	s_delay_alu instid0(VALU_DEP_1) | instskip(SKIP_4) | instid1(VALU_DEP_1)
	v_fmac_f64_e32 v[134:135], v[110:111], v[106:107]
	scratch_load_b128 v[104:107], off, off offset:224
	s_wait_dscnt 0x0
	v_fmac_f64_e32 v[134:135], v[112:113], v[122:123]
	s_wait_loadcnt 0x5
	v_fmac_f64_e32 v[134:135], v[114:115], v[124:125]
	ds_load_2addr_b64 v[108:111], v2 offset0:67 offset1:68
	ds_load_2addr_b64 v[112:115], v2 offset0:69 offset1:70
	scratch_load_b128 v[122:125], off, off offset:240
	s_wait_dscnt 0x1
	v_fmac_f64_e32 v[134:135], v[116:117], v[108:109]
	s_wait_loadcnt 0x5
	s_delay_alu instid0(VALU_DEP_1) | instskip(SKIP_4) | instid1(VALU_DEP_1)
	v_fmac_f64_e32 v[134:135], v[118:119], v[110:111]
	scratch_load_b128 v[108:111], off, off offset:256
	s_wait_dscnt 0x0
	v_fmac_f64_e32 v[134:135], v[120:121], v[112:113]
	s_wait_loadcnt 0x5
	v_fmac_f64_e32 v[134:135], v[130:131], v[114:115]
	ds_load_2addr_b64 v[112:115], v2 offset0:71 offset1:72
	ds_load_2addr_b64 v[116:119], v2 offset0:73 offset1:74
	s_wait_dscnt 0x1
	v_fmac_f64_e32 v[134:135], v[132:133], v[112:113]
	scratch_load_b128 v[130:133], off, off offset:272
	s_wait_loadcnt 0x5
	v_fmac_f64_e32 v[134:135], v[100:101], v[114:115]
	s_wait_dscnt 0x0
	s_delay_alu instid0(VALU_DEP_1)
	v_fmac_f64_e32 v[134:135], v[102:103], v[116:117]
	scratch_load_b128 v[100:103], off, off offset:288
	s_wait_loadcnt 0x5
	v_fmac_f64_e32 v[134:135], v[126:127], v[118:119]
	ds_load_2addr_b64 v[112:115], v2 offset0:75 offset1:76
	ds_load_2addr_b64 v[116:119], v2 offset0:77 offset1:78
	s_wait_dscnt 0x1
	v_fmac_f64_e32 v[134:135], v[128:129], v[112:113]
	s_wait_loadcnt 0x4
	s_delay_alu instid0(VALU_DEP_1)
	v_fmac_f64_e32 v[134:135], v[104:105], v[114:115]
	scratch_load_b128 v[112:115], off, off offset:304
	s_wait_dscnt 0x0
	v_fmac_f64_e32 v[134:135], v[106:107], v[116:117]
	scratch_load_b128 v[104:107], off, off offset:320
	s_wait_loadcnt 0x5
	v_fmac_f64_e32 v[134:135], v[122:123], v[118:119]
	ds_load_2addr_b64 v[116:119], v2 offset0:79 offset1:80
	ds_load_2addr_b64 v[120:123], v2 offset0:81 offset1:82
	s_wait_dscnt 0x1
	v_fmac_f64_e32 v[134:135], v[124:125], v[116:117]
	s_wait_loadcnt 0x4
	s_delay_alu instid0(VALU_DEP_1)
	v_fmac_f64_e32 v[134:135], v[108:109], v[118:119]
	scratch_load_b128 v[116:119], off, off offset:336
	s_wait_dscnt 0x0
	v_fmac_f64_e32 v[134:135], v[110:111], v[120:121]
	scratch_load_b128 v[108:111], off, off offset:352
	s_wait_loadcnt 0x5
	v_fmac_f64_e32 v[134:135], v[130:131], v[122:123]
	ds_load_2addr_b64 v[120:123], v2 offset0:83 offset1:84
	ds_load_2addr_b64 v[124:127], v2 offset0:85 offset1:86
	scratch_load_b64 v[128:129], off, off offset:368
	s_wait_dscnt 0x1
	v_fmac_f64_e32 v[134:135], v[132:133], v[120:121]
	s_wait_loadcnt 0x5
	s_delay_alu instid0(VALU_DEP_1) | instskip(SKIP_1) | instid1(VALU_DEP_1)
	v_fmac_f64_e32 v[134:135], v[100:101], v[122:123]
	s_wait_dscnt 0x0
	v_fmac_f64_e32 v[134:135], v[102:103], v[124:125]
	ds_load_2addr_b64 v[100:103], v2 offset0:87 offset1:88
	ds_load_2addr_b64 v[120:123], v2 offset0:89 offset1:90
	s_wait_loadcnt 0x4
	v_fmac_f64_e32 v[134:135], v[112:113], v[126:127]
	s_wait_dscnt 0x1
	s_delay_alu instid0(VALU_DEP_1) | instskip(SKIP_1) | instid1(VALU_DEP_1)
	v_fmac_f64_e32 v[134:135], v[114:115], v[100:101]
	s_wait_loadcnt 0x3
	v_fmac_f64_e32 v[134:135], v[104:105], v[102:103]
	s_wait_dscnt 0x0
	s_delay_alu instid0(VALU_DEP_1)
	v_fmac_f64_e32 v[134:135], v[106:107], v[120:121]
	ds_load_2addr_b64 v[100:103], v2 offset0:91 offset1:92
	ds_load_2addr_b64 v[104:107], v2 offset0:93 offset1:94
	s_wait_loadcnt 0x2
	v_fmac_f64_e32 v[134:135], v[116:117], v[122:123]
	s_wait_dscnt 0x1
	s_delay_alu instid0(VALU_DEP_1) | instskip(SKIP_1) | instid1(VALU_DEP_1)
	v_fmac_f64_e32 v[134:135], v[118:119], v[100:101]
	s_wait_loadcnt 0x1
	v_fmac_f64_e32 v[134:135], v[108:109], v[102:103]
	s_wait_dscnt 0x0
	s_delay_alu instid0(VALU_DEP_1) | instskip(SKIP_1) | instid1(VALU_DEP_1)
	v_fmac_f64_e32 v[134:135], v[110:111], v[104:105]
	s_wait_loadcnt 0x0
	v_fmac_f64_e32 v[134:135], v[128:129], v[106:107]
	s_delay_alu instid0(VALU_DEP_1)
	v_add_f64_e64 v[2:3], v[98:99], -v[134:135]
	scratch_store_b64 off, v[2:3], off offset:80
	s_wait_xcnt 0x0
	v_cmpx_lt_u32_e32 9, v0
	s_cbranch_execz .LBB46_273
; %bb.272:
	scratch_load_b64 v[2:3], off, off offset:72
	v_mov_b64_e32 v[98:99], 0
	scratch_store_b64 off, v[98:99], off offset:72
	s_wait_loadcnt 0x0
	ds_store_b64 v1, v[2:3]
.LBB46_273:
	s_wait_xcnt 0x0
	s_or_b32 exec_lo, exec_lo, s0
	s_wait_storecnt_dscnt 0x0
	s_barrier_signal -1
	s_barrier_wait -1
	s_clause 0x5
	scratch_load_b128 v[98:101], off, off offset:72
	scratch_load_b128 v[102:105], off, off offset:88
	;; [unrolled: 1-line block ×6, first 2 shown]
	v_mov_b32_e32 v2, 0
	ds_load_b128 v[122:125], v2 offset:464
	ds_load_b128 v[126:129], v2 offset:480
	scratch_load_b128 v[130:133], off, off offset:168
	s_mov_b32 s0, exec_lo
	s_wait_loadcnt_dscnt 0x601
	v_fma_f64 v[134:135], v[100:101], v[122:123], 0
	s_wait_loadcnt 0x5
	s_delay_alu instid0(VALU_DEP_1) | instskip(SKIP_4) | instid1(VALU_DEP_1)
	v_fmac_f64_e32 v[134:135], v[102:103], v[124:125]
	scratch_load_b128 v[100:103], off, off offset:184
	s_wait_dscnt 0x0
	v_fmac_f64_e32 v[134:135], v[104:105], v[126:127]
	s_wait_loadcnt 0x5
	v_fmac_f64_e32 v[134:135], v[106:107], v[128:129]
	ds_load_b128 v[104:107], v2 offset:496
	ds_load_b128 v[122:125], v2 offset:512
	scratch_load_b128 v[126:129], off, off offset:200
	s_wait_dscnt 0x1
	v_fmac_f64_e32 v[134:135], v[108:109], v[104:105]
	s_wait_loadcnt 0x5
	s_delay_alu instid0(VALU_DEP_1) | instskip(SKIP_4) | instid1(VALU_DEP_1)
	v_fmac_f64_e32 v[134:135], v[110:111], v[106:107]
	scratch_load_b128 v[104:107], off, off offset:216
	s_wait_dscnt 0x0
	v_fmac_f64_e32 v[134:135], v[112:113], v[122:123]
	s_wait_loadcnt 0x5
	v_fmac_f64_e32 v[134:135], v[114:115], v[124:125]
	ds_load_b128 v[108:111], v2 offset:528
	ds_load_b128 v[112:115], v2 offset:544
	scratch_load_b128 v[122:125], off, off offset:232
	s_wait_dscnt 0x1
	v_fmac_f64_e32 v[134:135], v[116:117], v[108:109]
	s_wait_loadcnt 0x5
	s_delay_alu instid0(VALU_DEP_1) | instskip(SKIP_4) | instid1(VALU_DEP_1)
	v_fmac_f64_e32 v[134:135], v[118:119], v[110:111]
	scratch_load_b128 v[108:111], off, off offset:248
	s_wait_dscnt 0x0
	v_fmac_f64_e32 v[134:135], v[120:121], v[112:113]
	s_wait_loadcnt 0x5
	v_fmac_f64_e32 v[134:135], v[130:131], v[114:115]
	ds_load_b128 v[112:115], v2 offset:560
	ds_load_b128 v[116:119], v2 offset:576
	s_wait_dscnt 0x1
	v_fmac_f64_e32 v[134:135], v[132:133], v[112:113]
	scratch_load_b128 v[130:133], off, off offset:264
	s_wait_loadcnt 0x5
	v_fmac_f64_e32 v[134:135], v[100:101], v[114:115]
	s_wait_dscnt 0x0
	s_delay_alu instid0(VALU_DEP_1)
	v_fmac_f64_e32 v[134:135], v[102:103], v[116:117]
	scratch_load_b128 v[100:103], off, off offset:280
	s_wait_loadcnt 0x5
	v_fmac_f64_e32 v[134:135], v[126:127], v[118:119]
	ds_load_b128 v[112:115], v2 offset:592
	ds_load_b128 v[116:119], v2 offset:608
	s_wait_dscnt 0x1
	v_fmac_f64_e32 v[134:135], v[128:129], v[112:113]
	s_wait_loadcnt 0x4
	s_delay_alu instid0(VALU_DEP_1)
	v_fmac_f64_e32 v[134:135], v[104:105], v[114:115]
	scratch_load_b128 v[112:115], off, off offset:296
	s_wait_dscnt 0x0
	v_fmac_f64_e32 v[134:135], v[106:107], v[116:117]
	scratch_load_b128 v[104:107], off, off offset:312
	s_wait_loadcnt 0x5
	v_fmac_f64_e32 v[134:135], v[122:123], v[118:119]
	ds_load_b128 v[116:119], v2 offset:624
	ds_load_b128 v[120:123], v2 offset:640
	s_wait_dscnt 0x1
	v_fmac_f64_e32 v[134:135], v[124:125], v[116:117]
	s_wait_loadcnt 0x4
	s_delay_alu instid0(VALU_DEP_1)
	v_fmac_f64_e32 v[134:135], v[108:109], v[118:119]
	scratch_load_b128 v[116:119], off, off offset:328
	s_wait_dscnt 0x0
	v_fmac_f64_e32 v[134:135], v[110:111], v[120:121]
	scratch_load_b128 v[108:111], off, off offset:344
	s_wait_loadcnt 0x5
	v_fmac_f64_e32 v[134:135], v[130:131], v[122:123]
	ds_load_b128 v[120:123], v2 offset:656
	ds_load_b128 v[124:127], v2 offset:672
	s_wait_dscnt 0x1
	v_fmac_f64_e32 v[134:135], v[132:133], v[120:121]
	s_wait_loadcnt 0x4
	s_delay_alu instid0(VALU_DEP_1) | instskip(SKIP_4) | instid1(VALU_DEP_1)
	v_fmac_f64_e32 v[134:135], v[100:101], v[122:123]
	scratch_load_b128 v[120:123], off, off offset:360
	s_wait_dscnt 0x0
	v_fmac_f64_e32 v[134:135], v[102:103], v[124:125]
	s_wait_loadcnt 0x4
	v_fmac_f64_e32 v[134:135], v[112:113], v[126:127]
	ds_load_b128 v[100:103], v2 offset:688
	ds_load_b128 v[124:127], v2 offset:704
	s_wait_dscnt 0x1
	v_fmac_f64_e32 v[134:135], v[114:115], v[100:101]
	s_wait_loadcnt 0x3
	s_delay_alu instid0(VALU_DEP_1) | instskip(SKIP_1) | instid1(VALU_DEP_1)
	v_fmac_f64_e32 v[134:135], v[104:105], v[102:103]
	s_wait_dscnt 0x0
	v_fmac_f64_e32 v[134:135], v[106:107], v[124:125]
	ds_load_b128 v[100:103], v2 offset:720
	ds_load_b128 v[104:107], v2 offset:736
	s_wait_loadcnt 0x2
	v_fmac_f64_e32 v[134:135], v[116:117], v[126:127]
	s_wait_dscnt 0x1
	s_delay_alu instid0(VALU_DEP_1) | instskip(SKIP_4) | instid1(VALU_DEP_1)
	v_fmac_f64_e32 v[134:135], v[118:119], v[100:101]
	ds_load_b64 v[100:101], v2 offset:752
	s_wait_loadcnt 0x1
	v_fmac_f64_e32 v[134:135], v[108:109], v[102:103]
	s_wait_dscnt 0x1
	v_fmac_f64_e32 v[134:135], v[110:111], v[104:105]
	s_wait_loadcnt 0x0
	s_delay_alu instid0(VALU_DEP_1) | instskip(SKIP_1) | instid1(VALU_DEP_1)
	v_fmac_f64_e32 v[134:135], v[120:121], v[106:107]
	s_wait_dscnt 0x0
	v_fmac_f64_e32 v[134:135], v[122:123], v[100:101]
	s_delay_alu instid0(VALU_DEP_1)
	v_add_f64_e64 v[98:99], v[98:99], -v[134:135]
	scratch_store_b64 off, v[98:99], off offset:72
	s_wait_xcnt 0x0
	v_cmpx_lt_u32_e32 8, v0
	s_cbranch_execz .LBB46_275
; %bb.274:
	scratch_load_b64 v[98:99], off, off offset:64
	v_mov_b64_e32 v[100:101], 0
	scratch_store_b64 off, v[100:101], off offset:64
	s_wait_loadcnt 0x0
	ds_store_b64 v1, v[98:99]
.LBB46_275:
	s_wait_xcnt 0x0
	s_or_b32 exec_lo, exec_lo, s0
	s_wait_storecnt_dscnt 0x0
	s_barrier_signal -1
	s_barrier_wait -1
	s_clause 0x5
	scratch_load_b128 v[98:101], off, off offset:64
	scratch_load_b128 v[102:105], off, off offset:80
	;; [unrolled: 1-line block ×6, first 2 shown]
	ds_load_2addr_b64 v[122:125], v2 offset0:57 offset1:58
	ds_load_2addr_b64 v[126:129], v2 offset0:59 offset1:60
	scratch_load_b128 v[130:133], off, off offset:160
	s_mov_b32 s0, exec_lo
	s_wait_loadcnt_dscnt 0x601
	v_fma_f64 v[134:135], v[100:101], v[122:123], 0
	s_wait_loadcnt 0x5
	s_delay_alu instid0(VALU_DEP_1) | instskip(SKIP_4) | instid1(VALU_DEP_1)
	v_fmac_f64_e32 v[134:135], v[102:103], v[124:125]
	scratch_load_b128 v[100:103], off, off offset:176
	s_wait_dscnt 0x0
	v_fmac_f64_e32 v[134:135], v[104:105], v[126:127]
	s_wait_loadcnt 0x5
	v_fmac_f64_e32 v[134:135], v[106:107], v[128:129]
	ds_load_2addr_b64 v[104:107], v2 offset0:61 offset1:62
	ds_load_2addr_b64 v[122:125], v2 offset0:63 offset1:64
	scratch_load_b128 v[126:129], off, off offset:192
	s_wait_dscnt 0x1
	v_fmac_f64_e32 v[134:135], v[108:109], v[104:105]
	s_wait_loadcnt 0x5
	s_delay_alu instid0(VALU_DEP_1) | instskip(SKIP_4) | instid1(VALU_DEP_1)
	v_fmac_f64_e32 v[134:135], v[110:111], v[106:107]
	scratch_load_b128 v[104:107], off, off offset:208
	s_wait_dscnt 0x0
	v_fmac_f64_e32 v[134:135], v[112:113], v[122:123]
	s_wait_loadcnt 0x5
	v_fmac_f64_e32 v[134:135], v[114:115], v[124:125]
	ds_load_2addr_b64 v[108:111], v2 offset0:65 offset1:66
	ds_load_2addr_b64 v[112:115], v2 offset0:67 offset1:68
	scratch_load_b128 v[122:125], off, off offset:224
	s_wait_dscnt 0x1
	v_fmac_f64_e32 v[134:135], v[116:117], v[108:109]
	s_wait_loadcnt 0x5
	s_delay_alu instid0(VALU_DEP_1) | instskip(SKIP_4) | instid1(VALU_DEP_1)
	v_fmac_f64_e32 v[134:135], v[118:119], v[110:111]
	scratch_load_b128 v[108:111], off, off offset:240
	s_wait_dscnt 0x0
	v_fmac_f64_e32 v[134:135], v[120:121], v[112:113]
	s_wait_loadcnt 0x5
	v_fmac_f64_e32 v[134:135], v[130:131], v[114:115]
	ds_load_2addr_b64 v[112:115], v2 offset0:69 offset1:70
	ds_load_2addr_b64 v[116:119], v2 offset0:71 offset1:72
	s_wait_dscnt 0x1
	v_fmac_f64_e32 v[134:135], v[132:133], v[112:113]
	scratch_load_b128 v[130:133], off, off offset:256
	s_wait_loadcnt 0x5
	v_fmac_f64_e32 v[134:135], v[100:101], v[114:115]
	s_wait_dscnt 0x0
	s_delay_alu instid0(VALU_DEP_1)
	v_fmac_f64_e32 v[134:135], v[102:103], v[116:117]
	scratch_load_b128 v[100:103], off, off offset:272
	s_wait_loadcnt 0x5
	v_fmac_f64_e32 v[134:135], v[126:127], v[118:119]
	ds_load_2addr_b64 v[112:115], v2 offset0:73 offset1:74
	ds_load_2addr_b64 v[116:119], v2 offset0:75 offset1:76
	s_wait_dscnt 0x1
	v_fmac_f64_e32 v[134:135], v[128:129], v[112:113]
	scratch_load_b128 v[126:129], off, off offset:288
	s_wait_loadcnt 0x5
	v_fmac_f64_e32 v[134:135], v[104:105], v[114:115]
	s_wait_dscnt 0x0
	s_delay_alu instid0(VALU_DEP_1)
	v_fmac_f64_e32 v[134:135], v[106:107], v[116:117]
	scratch_load_b128 v[104:107], off, off offset:304
	s_wait_loadcnt 0x5
	v_fmac_f64_e32 v[134:135], v[122:123], v[118:119]
	ds_load_2addr_b64 v[112:115], v2 offset0:77 offset1:78
	ds_load_2addr_b64 v[116:119], v2 offset0:79 offset1:80
	s_wait_dscnt 0x1
	v_fmac_f64_e32 v[134:135], v[124:125], v[112:113]
	s_wait_loadcnt 0x4
	s_delay_alu instid0(VALU_DEP_1)
	v_fmac_f64_e32 v[134:135], v[108:109], v[114:115]
	scratch_load_b128 v[112:115], off, off offset:320
	s_wait_dscnt 0x0
	v_fmac_f64_e32 v[134:135], v[110:111], v[116:117]
	scratch_load_b128 v[108:111], off, off offset:336
	s_wait_loadcnt 0x5
	v_fmac_f64_e32 v[134:135], v[130:131], v[118:119]
	ds_load_2addr_b64 v[116:119], v2 offset0:81 offset1:82
	ds_load_2addr_b64 v[120:123], v2 offset0:83 offset1:84
	scratch_load_b64 v[124:125], off, off offset:368
	s_wait_dscnt 0x1
	v_fmac_f64_e32 v[134:135], v[132:133], v[116:117]
	s_wait_loadcnt 0x5
	s_delay_alu instid0(VALU_DEP_1) | instskip(SKIP_4) | instid1(VALU_DEP_1)
	v_fmac_f64_e32 v[134:135], v[100:101], v[118:119]
	scratch_load_b128 v[116:119], off, off offset:352
	s_wait_dscnt 0x0
	v_fmac_f64_e32 v[134:135], v[102:103], v[120:121]
	s_wait_loadcnt 0x5
	v_fmac_f64_e32 v[134:135], v[126:127], v[122:123]
	ds_load_2addr_b64 v[100:103], v2 offset0:85 offset1:86
	ds_load_2addr_b64 v[120:123], v2 offset0:87 offset1:88
	s_wait_dscnt 0x1
	v_fmac_f64_e32 v[134:135], v[128:129], v[100:101]
	s_wait_loadcnt 0x4
	s_delay_alu instid0(VALU_DEP_1) | instskip(SKIP_1) | instid1(VALU_DEP_1)
	v_fmac_f64_e32 v[134:135], v[104:105], v[102:103]
	s_wait_dscnt 0x0
	v_fmac_f64_e32 v[134:135], v[106:107], v[120:121]
	ds_load_2addr_b64 v[100:103], v2 offset0:89 offset1:90
	ds_load_2addr_b64 v[104:107], v2 offset0:91 offset1:92
	s_wait_loadcnt 0x3
	v_fmac_f64_e32 v[134:135], v[112:113], v[122:123]
	s_wait_dscnt 0x1
	s_delay_alu instid0(VALU_DEP_1) | instskip(SKIP_1) | instid1(VALU_DEP_1)
	v_fmac_f64_e32 v[134:135], v[114:115], v[100:101]
	s_wait_loadcnt 0x2
	v_fmac_f64_e32 v[134:135], v[108:109], v[102:103]
	ds_load_2addr_b64 v[100:103], v2 offset0:93 offset1:94
	s_wait_dscnt 0x1
	v_fmac_f64_e32 v[134:135], v[110:111], v[104:105]
	s_wait_loadcnt 0x0
	s_delay_alu instid0(VALU_DEP_1) | instskip(SKIP_1) | instid1(VALU_DEP_1)
	v_fmac_f64_e32 v[134:135], v[116:117], v[106:107]
	s_wait_dscnt 0x0
	v_fmac_f64_e32 v[134:135], v[118:119], v[100:101]
	s_delay_alu instid0(VALU_DEP_1) | instskip(NEXT) | instid1(VALU_DEP_1)
	v_fmac_f64_e32 v[134:135], v[124:125], v[102:103]
	v_add_f64_e64 v[2:3], v[98:99], -v[134:135]
	scratch_store_b64 off, v[2:3], off offset:64
	s_wait_xcnt 0x0
	v_cmpx_lt_u32_e32 7, v0
	s_cbranch_execz .LBB46_277
; %bb.276:
	scratch_load_b64 v[2:3], off, off offset:56
	v_mov_b64_e32 v[98:99], 0
	scratch_store_b64 off, v[98:99], off offset:56
	s_wait_loadcnt 0x0
	ds_store_b64 v1, v[2:3]
.LBB46_277:
	s_wait_xcnt 0x0
	s_or_b32 exec_lo, exec_lo, s0
	s_wait_storecnt_dscnt 0x0
	s_barrier_signal -1
	s_barrier_wait -1
	s_clause 0x5
	scratch_load_b128 v[98:101], off, off offset:56
	scratch_load_b128 v[102:105], off, off offset:72
	;; [unrolled: 1-line block ×6, first 2 shown]
	v_mov_b32_e32 v2, 0
	ds_load_b128 v[122:125], v2 offset:448
	ds_load_b128 v[126:129], v2 offset:464
	scratch_load_b128 v[130:133], off, off offset:152
	s_mov_b32 s0, exec_lo
	s_wait_loadcnt_dscnt 0x601
	v_fma_f64 v[134:135], v[100:101], v[122:123], 0
	s_wait_loadcnt 0x5
	s_delay_alu instid0(VALU_DEP_1) | instskip(SKIP_4) | instid1(VALU_DEP_1)
	v_fmac_f64_e32 v[134:135], v[102:103], v[124:125]
	scratch_load_b128 v[100:103], off, off offset:168
	s_wait_dscnt 0x0
	v_fmac_f64_e32 v[134:135], v[104:105], v[126:127]
	s_wait_loadcnt 0x5
	v_fmac_f64_e32 v[134:135], v[106:107], v[128:129]
	ds_load_b128 v[104:107], v2 offset:480
	ds_load_b128 v[122:125], v2 offset:496
	scratch_load_b128 v[126:129], off, off offset:184
	s_wait_dscnt 0x1
	v_fmac_f64_e32 v[134:135], v[108:109], v[104:105]
	s_wait_loadcnt 0x5
	s_delay_alu instid0(VALU_DEP_1) | instskip(SKIP_4) | instid1(VALU_DEP_1)
	v_fmac_f64_e32 v[134:135], v[110:111], v[106:107]
	scratch_load_b128 v[104:107], off, off offset:200
	s_wait_dscnt 0x0
	v_fmac_f64_e32 v[134:135], v[112:113], v[122:123]
	s_wait_loadcnt 0x5
	v_fmac_f64_e32 v[134:135], v[114:115], v[124:125]
	ds_load_b128 v[108:111], v2 offset:512
	ds_load_b128 v[112:115], v2 offset:528
	scratch_load_b128 v[122:125], off, off offset:216
	s_wait_dscnt 0x1
	v_fmac_f64_e32 v[134:135], v[116:117], v[108:109]
	s_wait_loadcnt 0x5
	s_delay_alu instid0(VALU_DEP_1) | instskip(SKIP_4) | instid1(VALU_DEP_1)
	v_fmac_f64_e32 v[134:135], v[118:119], v[110:111]
	scratch_load_b128 v[108:111], off, off offset:232
	s_wait_dscnt 0x0
	v_fmac_f64_e32 v[134:135], v[120:121], v[112:113]
	s_wait_loadcnt 0x5
	v_fmac_f64_e32 v[134:135], v[130:131], v[114:115]
	ds_load_b128 v[112:115], v2 offset:544
	ds_load_b128 v[116:119], v2 offset:560
	s_wait_dscnt 0x1
	v_fmac_f64_e32 v[134:135], v[132:133], v[112:113]
	scratch_load_b128 v[130:133], off, off offset:248
	s_wait_loadcnt 0x5
	v_fmac_f64_e32 v[134:135], v[100:101], v[114:115]
	s_wait_dscnt 0x0
	s_delay_alu instid0(VALU_DEP_1)
	v_fmac_f64_e32 v[134:135], v[102:103], v[116:117]
	scratch_load_b128 v[100:103], off, off offset:264
	s_wait_loadcnt 0x5
	v_fmac_f64_e32 v[134:135], v[126:127], v[118:119]
	ds_load_b128 v[112:115], v2 offset:576
	ds_load_b128 v[116:119], v2 offset:592
	s_wait_dscnt 0x1
	v_fmac_f64_e32 v[134:135], v[128:129], v[112:113]
	scratch_load_b128 v[126:129], off, off offset:280
	s_wait_loadcnt 0x5
	v_fmac_f64_e32 v[134:135], v[104:105], v[114:115]
	s_wait_dscnt 0x0
	s_delay_alu instid0(VALU_DEP_1)
	v_fmac_f64_e32 v[134:135], v[106:107], v[116:117]
	scratch_load_b128 v[104:107], off, off offset:296
	s_wait_loadcnt 0x5
	v_fmac_f64_e32 v[134:135], v[122:123], v[118:119]
	ds_load_b128 v[112:115], v2 offset:608
	ds_load_b128 v[116:119], v2 offset:624
	s_wait_dscnt 0x1
	v_fmac_f64_e32 v[134:135], v[124:125], v[112:113]
	s_wait_loadcnt 0x4
	s_delay_alu instid0(VALU_DEP_1)
	v_fmac_f64_e32 v[134:135], v[108:109], v[114:115]
	scratch_load_b128 v[112:115], off, off offset:312
	s_wait_dscnt 0x0
	v_fmac_f64_e32 v[134:135], v[110:111], v[116:117]
	scratch_load_b128 v[108:111], off, off offset:328
	s_wait_loadcnt 0x5
	v_fmac_f64_e32 v[134:135], v[130:131], v[118:119]
	ds_load_b128 v[116:119], v2 offset:640
	ds_load_b128 v[120:123], v2 offset:656
	s_wait_dscnt 0x1
	v_fmac_f64_e32 v[134:135], v[132:133], v[116:117]
	s_wait_loadcnt 0x4
	s_delay_alu instid0(VALU_DEP_1)
	v_fmac_f64_e32 v[134:135], v[100:101], v[118:119]
	scratch_load_b128 v[116:119], off, off offset:344
	s_wait_dscnt 0x0
	v_fmac_f64_e32 v[134:135], v[102:103], v[120:121]
	scratch_load_b128 v[100:103], off, off offset:360
	s_wait_loadcnt 0x5
	v_fmac_f64_e32 v[134:135], v[126:127], v[122:123]
	ds_load_b128 v[120:123], v2 offset:672
	ds_load_b128 v[124:127], v2 offset:688
	s_wait_dscnt 0x1
	v_fmac_f64_e32 v[134:135], v[128:129], v[120:121]
	s_wait_loadcnt 0x4
	s_delay_alu instid0(VALU_DEP_1) | instskip(SKIP_1) | instid1(VALU_DEP_1)
	v_fmac_f64_e32 v[134:135], v[104:105], v[122:123]
	s_wait_dscnt 0x0
	v_fmac_f64_e32 v[134:135], v[106:107], v[124:125]
	ds_load_b128 v[104:107], v2 offset:704
	ds_load_b128 v[120:123], v2 offset:720
	s_wait_loadcnt 0x3
	v_fmac_f64_e32 v[134:135], v[112:113], v[126:127]
	s_wait_dscnt 0x1
	s_delay_alu instid0(VALU_DEP_1) | instskip(SKIP_1) | instid1(VALU_DEP_1)
	v_fmac_f64_e32 v[134:135], v[114:115], v[104:105]
	s_wait_loadcnt 0x2
	v_fmac_f64_e32 v[134:135], v[108:109], v[106:107]
	ds_load_b128 v[104:107], v2 offset:736
	ds_load_b64 v[108:109], v2 offset:752
	s_wait_dscnt 0x2
	v_fmac_f64_e32 v[134:135], v[110:111], v[120:121]
	s_wait_loadcnt 0x1
	s_delay_alu instid0(VALU_DEP_1) | instskip(SKIP_1) | instid1(VALU_DEP_1)
	v_fmac_f64_e32 v[134:135], v[116:117], v[122:123]
	s_wait_dscnt 0x1
	v_fmac_f64_e32 v[134:135], v[118:119], v[104:105]
	s_wait_loadcnt 0x0
	s_delay_alu instid0(VALU_DEP_1) | instskip(SKIP_1) | instid1(VALU_DEP_1)
	v_fmac_f64_e32 v[134:135], v[100:101], v[106:107]
	s_wait_dscnt 0x0
	v_fmac_f64_e32 v[134:135], v[102:103], v[108:109]
	s_delay_alu instid0(VALU_DEP_1)
	v_add_f64_e64 v[98:99], v[98:99], -v[134:135]
	scratch_store_b64 off, v[98:99], off offset:56
	s_wait_xcnt 0x0
	v_cmpx_lt_u32_e32 6, v0
	s_cbranch_execz .LBB46_279
; %bb.278:
	scratch_load_b64 v[98:99], off, off offset:48
	v_mov_b64_e32 v[100:101], 0
	scratch_store_b64 off, v[100:101], off offset:48
	s_wait_loadcnt 0x0
	ds_store_b64 v1, v[98:99]
.LBB46_279:
	s_wait_xcnt 0x0
	s_or_b32 exec_lo, exec_lo, s0
	s_wait_storecnt_dscnt 0x0
	s_barrier_signal -1
	s_barrier_wait -1
	s_clause 0x5
	scratch_load_b128 v[98:101], off, off offset:48
	scratch_load_b128 v[102:105], off, off offset:64
	;; [unrolled: 1-line block ×6, first 2 shown]
	ds_load_2addr_b64 v[122:125], v2 offset0:55 offset1:56
	ds_load_2addr_b64 v[126:129], v2 offset0:57 offset1:58
	scratch_load_b128 v[130:133], off, off offset:144
	s_mov_b32 s0, exec_lo
	s_wait_loadcnt_dscnt 0x601
	v_fma_f64 v[134:135], v[100:101], v[122:123], 0
	s_wait_loadcnt 0x5
	s_delay_alu instid0(VALU_DEP_1) | instskip(SKIP_4) | instid1(VALU_DEP_1)
	v_fmac_f64_e32 v[134:135], v[102:103], v[124:125]
	scratch_load_b128 v[100:103], off, off offset:160
	s_wait_dscnt 0x0
	v_fmac_f64_e32 v[134:135], v[104:105], v[126:127]
	s_wait_loadcnt 0x5
	v_fmac_f64_e32 v[134:135], v[106:107], v[128:129]
	ds_load_2addr_b64 v[104:107], v2 offset0:59 offset1:60
	ds_load_2addr_b64 v[122:125], v2 offset0:61 offset1:62
	scratch_load_b128 v[126:129], off, off offset:176
	s_wait_dscnt 0x1
	v_fmac_f64_e32 v[134:135], v[108:109], v[104:105]
	s_wait_loadcnt 0x5
	s_delay_alu instid0(VALU_DEP_1) | instskip(SKIP_4) | instid1(VALU_DEP_1)
	v_fmac_f64_e32 v[134:135], v[110:111], v[106:107]
	scratch_load_b128 v[104:107], off, off offset:192
	s_wait_dscnt 0x0
	v_fmac_f64_e32 v[134:135], v[112:113], v[122:123]
	s_wait_loadcnt 0x5
	v_fmac_f64_e32 v[134:135], v[114:115], v[124:125]
	ds_load_2addr_b64 v[108:111], v2 offset0:63 offset1:64
	ds_load_2addr_b64 v[112:115], v2 offset0:65 offset1:66
	scratch_load_b128 v[122:125], off, off offset:208
	s_wait_dscnt 0x1
	v_fmac_f64_e32 v[134:135], v[116:117], v[108:109]
	s_wait_loadcnt 0x5
	s_delay_alu instid0(VALU_DEP_1) | instskip(SKIP_4) | instid1(VALU_DEP_1)
	v_fmac_f64_e32 v[134:135], v[118:119], v[110:111]
	scratch_load_b128 v[108:111], off, off offset:224
	s_wait_dscnt 0x0
	v_fmac_f64_e32 v[134:135], v[120:121], v[112:113]
	s_wait_loadcnt 0x5
	v_fmac_f64_e32 v[134:135], v[130:131], v[114:115]
	ds_load_2addr_b64 v[112:115], v2 offset0:67 offset1:68
	ds_load_2addr_b64 v[116:119], v2 offset0:69 offset1:70
	s_wait_dscnt 0x1
	v_fmac_f64_e32 v[134:135], v[132:133], v[112:113]
	scratch_load_b128 v[130:133], off, off offset:240
	s_wait_loadcnt 0x5
	v_fmac_f64_e32 v[134:135], v[100:101], v[114:115]
	s_wait_dscnt 0x0
	s_delay_alu instid0(VALU_DEP_1)
	v_fmac_f64_e32 v[134:135], v[102:103], v[116:117]
	scratch_load_b128 v[100:103], off, off offset:256
	s_wait_loadcnt 0x5
	v_fmac_f64_e32 v[134:135], v[126:127], v[118:119]
	ds_load_2addr_b64 v[112:115], v2 offset0:71 offset1:72
	ds_load_2addr_b64 v[116:119], v2 offset0:73 offset1:74
	s_wait_dscnt 0x1
	v_fmac_f64_e32 v[134:135], v[128:129], v[112:113]
	scratch_load_b128 v[126:129], off, off offset:272
	s_wait_loadcnt 0x5
	v_fmac_f64_e32 v[134:135], v[104:105], v[114:115]
	s_wait_dscnt 0x0
	s_delay_alu instid0(VALU_DEP_1)
	v_fmac_f64_e32 v[134:135], v[106:107], v[116:117]
	scratch_load_b128 v[104:107], off, off offset:288
	s_wait_loadcnt 0x5
	v_fmac_f64_e32 v[134:135], v[122:123], v[118:119]
	ds_load_2addr_b64 v[112:115], v2 offset0:75 offset1:76
	ds_load_2addr_b64 v[116:119], v2 offset0:77 offset1:78
	s_wait_dscnt 0x1
	v_fmac_f64_e32 v[134:135], v[124:125], v[112:113]
	s_wait_loadcnt 0x4
	s_delay_alu instid0(VALU_DEP_1)
	v_fmac_f64_e32 v[134:135], v[108:109], v[114:115]
	scratch_load_b128 v[112:115], off, off offset:304
	s_wait_dscnt 0x0
	v_fmac_f64_e32 v[134:135], v[110:111], v[116:117]
	scratch_load_b128 v[108:111], off, off offset:320
	s_wait_loadcnt 0x5
	v_fmac_f64_e32 v[134:135], v[130:131], v[118:119]
	ds_load_2addr_b64 v[116:119], v2 offset0:79 offset1:80
	ds_load_2addr_b64 v[120:123], v2 offset0:81 offset1:82
	s_wait_dscnt 0x1
	v_fmac_f64_e32 v[134:135], v[132:133], v[116:117]
	s_wait_loadcnt 0x4
	s_delay_alu instid0(VALU_DEP_1)
	v_fmac_f64_e32 v[134:135], v[100:101], v[118:119]
	scratch_load_b128 v[116:119], off, off offset:336
	s_wait_dscnt 0x0
	v_fmac_f64_e32 v[134:135], v[102:103], v[120:121]
	scratch_load_b128 v[100:103], off, off offset:352
	s_wait_loadcnt 0x5
	v_fmac_f64_e32 v[134:135], v[126:127], v[122:123]
	ds_load_2addr_b64 v[120:123], v2 offset0:83 offset1:84
	ds_load_2addr_b64 v[124:127], v2 offset0:85 offset1:86
	s_wait_dscnt 0x1
	v_fmac_f64_e32 v[134:135], v[128:129], v[120:121]
	scratch_load_b64 v[128:129], off, off offset:368
	s_wait_loadcnt 0x5
	v_fmac_f64_e32 v[134:135], v[104:105], v[122:123]
	s_wait_dscnt 0x0
	s_delay_alu instid0(VALU_DEP_1)
	v_fmac_f64_e32 v[134:135], v[106:107], v[124:125]
	ds_load_2addr_b64 v[104:107], v2 offset0:87 offset1:88
	ds_load_2addr_b64 v[120:123], v2 offset0:89 offset1:90
	s_wait_loadcnt 0x4
	v_fmac_f64_e32 v[134:135], v[112:113], v[126:127]
	s_wait_dscnt 0x1
	s_delay_alu instid0(VALU_DEP_1) | instskip(SKIP_1) | instid1(VALU_DEP_1)
	v_fmac_f64_e32 v[134:135], v[114:115], v[104:105]
	s_wait_loadcnt 0x3
	v_fmac_f64_e32 v[134:135], v[108:109], v[106:107]
	s_wait_dscnt 0x0
	s_delay_alu instid0(VALU_DEP_1)
	v_fmac_f64_e32 v[134:135], v[110:111], v[120:121]
	ds_load_2addr_b64 v[104:107], v2 offset0:91 offset1:92
	ds_load_2addr_b64 v[108:111], v2 offset0:93 offset1:94
	s_wait_loadcnt 0x2
	v_fmac_f64_e32 v[134:135], v[116:117], v[122:123]
	s_wait_dscnt 0x1
	s_delay_alu instid0(VALU_DEP_1) | instskip(SKIP_1) | instid1(VALU_DEP_1)
	v_fmac_f64_e32 v[134:135], v[118:119], v[104:105]
	s_wait_loadcnt 0x1
	v_fmac_f64_e32 v[134:135], v[100:101], v[106:107]
	s_wait_dscnt 0x0
	s_delay_alu instid0(VALU_DEP_1) | instskip(SKIP_1) | instid1(VALU_DEP_1)
	v_fmac_f64_e32 v[134:135], v[102:103], v[108:109]
	s_wait_loadcnt 0x0
	v_fmac_f64_e32 v[134:135], v[128:129], v[110:111]
	s_delay_alu instid0(VALU_DEP_1)
	v_add_f64_e64 v[2:3], v[98:99], -v[134:135]
	scratch_store_b64 off, v[2:3], off offset:48
	s_wait_xcnt 0x0
	v_cmpx_lt_u32_e32 5, v0
	s_cbranch_execz .LBB46_281
; %bb.280:
	scratch_load_b64 v[2:3], off, off offset:40
	v_mov_b64_e32 v[98:99], 0
	scratch_store_b64 off, v[98:99], off offset:40
	s_wait_loadcnt 0x0
	ds_store_b64 v1, v[2:3]
.LBB46_281:
	s_wait_xcnt 0x0
	s_or_b32 exec_lo, exec_lo, s0
	s_wait_storecnt_dscnt 0x0
	s_barrier_signal -1
	s_barrier_wait -1
	s_clause 0x5
	scratch_load_b128 v[98:101], off, off offset:40
	scratch_load_b128 v[102:105], off, off offset:56
	;; [unrolled: 1-line block ×6, first 2 shown]
	v_mov_b32_e32 v2, 0
	ds_load_b128 v[122:125], v2 offset:432
	ds_load_b128 v[126:129], v2 offset:448
	scratch_load_b128 v[130:133], off, off offset:136
	s_mov_b32 s0, exec_lo
	s_wait_loadcnt_dscnt 0x601
	v_fma_f64 v[134:135], v[100:101], v[122:123], 0
	s_wait_loadcnt 0x5
	s_delay_alu instid0(VALU_DEP_1) | instskip(SKIP_4) | instid1(VALU_DEP_1)
	v_fmac_f64_e32 v[134:135], v[102:103], v[124:125]
	scratch_load_b128 v[100:103], off, off offset:152
	s_wait_dscnt 0x0
	v_fmac_f64_e32 v[134:135], v[104:105], v[126:127]
	s_wait_loadcnt 0x5
	v_fmac_f64_e32 v[134:135], v[106:107], v[128:129]
	ds_load_b128 v[104:107], v2 offset:464
	ds_load_b128 v[122:125], v2 offset:480
	scratch_load_b128 v[126:129], off, off offset:168
	s_wait_dscnt 0x1
	v_fmac_f64_e32 v[134:135], v[108:109], v[104:105]
	s_wait_loadcnt 0x5
	s_delay_alu instid0(VALU_DEP_1) | instskip(SKIP_4) | instid1(VALU_DEP_1)
	v_fmac_f64_e32 v[134:135], v[110:111], v[106:107]
	scratch_load_b128 v[104:107], off, off offset:184
	s_wait_dscnt 0x0
	v_fmac_f64_e32 v[134:135], v[112:113], v[122:123]
	s_wait_loadcnt 0x5
	v_fmac_f64_e32 v[134:135], v[114:115], v[124:125]
	ds_load_b128 v[108:111], v2 offset:496
	ds_load_b128 v[112:115], v2 offset:512
	scratch_load_b128 v[122:125], off, off offset:200
	s_wait_dscnt 0x1
	v_fmac_f64_e32 v[134:135], v[116:117], v[108:109]
	s_wait_loadcnt 0x5
	s_delay_alu instid0(VALU_DEP_1) | instskip(SKIP_4) | instid1(VALU_DEP_1)
	v_fmac_f64_e32 v[134:135], v[118:119], v[110:111]
	scratch_load_b128 v[108:111], off, off offset:216
	s_wait_dscnt 0x0
	v_fmac_f64_e32 v[134:135], v[120:121], v[112:113]
	s_wait_loadcnt 0x5
	v_fmac_f64_e32 v[134:135], v[130:131], v[114:115]
	ds_load_b128 v[112:115], v2 offset:528
	ds_load_b128 v[116:119], v2 offset:544
	s_wait_dscnt 0x1
	v_fmac_f64_e32 v[134:135], v[132:133], v[112:113]
	scratch_load_b128 v[130:133], off, off offset:232
	s_wait_loadcnt 0x5
	v_fmac_f64_e32 v[134:135], v[100:101], v[114:115]
	s_wait_dscnt 0x0
	s_delay_alu instid0(VALU_DEP_1)
	v_fmac_f64_e32 v[134:135], v[102:103], v[116:117]
	scratch_load_b128 v[100:103], off, off offset:248
	s_wait_loadcnt 0x5
	v_fmac_f64_e32 v[134:135], v[126:127], v[118:119]
	ds_load_b128 v[112:115], v2 offset:560
	ds_load_b128 v[116:119], v2 offset:576
	s_wait_dscnt 0x1
	v_fmac_f64_e32 v[134:135], v[128:129], v[112:113]
	scratch_load_b128 v[126:129], off, off offset:264
	s_wait_loadcnt 0x5
	v_fmac_f64_e32 v[134:135], v[104:105], v[114:115]
	s_wait_dscnt 0x0
	s_delay_alu instid0(VALU_DEP_1)
	v_fmac_f64_e32 v[134:135], v[106:107], v[116:117]
	scratch_load_b128 v[104:107], off, off offset:280
	s_wait_loadcnt 0x5
	v_fmac_f64_e32 v[134:135], v[122:123], v[118:119]
	ds_load_b128 v[112:115], v2 offset:592
	ds_load_b128 v[116:119], v2 offset:608
	s_wait_dscnt 0x1
	v_fmac_f64_e32 v[134:135], v[124:125], v[112:113]
	s_wait_loadcnt 0x4
	s_delay_alu instid0(VALU_DEP_1)
	v_fmac_f64_e32 v[134:135], v[108:109], v[114:115]
	scratch_load_b128 v[112:115], off, off offset:296
	s_wait_dscnt 0x0
	v_fmac_f64_e32 v[134:135], v[110:111], v[116:117]
	scratch_load_b128 v[108:111], off, off offset:312
	s_wait_loadcnt 0x5
	v_fmac_f64_e32 v[134:135], v[130:131], v[118:119]
	ds_load_b128 v[116:119], v2 offset:624
	ds_load_b128 v[120:123], v2 offset:640
	s_wait_dscnt 0x1
	v_fmac_f64_e32 v[134:135], v[132:133], v[116:117]
	s_wait_loadcnt 0x4
	s_delay_alu instid0(VALU_DEP_1)
	v_fmac_f64_e32 v[134:135], v[100:101], v[118:119]
	scratch_load_b128 v[116:119], off, off offset:328
	s_wait_dscnt 0x0
	v_fmac_f64_e32 v[134:135], v[102:103], v[120:121]
	scratch_load_b128 v[100:103], off, off offset:344
	s_wait_loadcnt 0x5
	v_fmac_f64_e32 v[134:135], v[126:127], v[122:123]
	ds_load_b128 v[120:123], v2 offset:656
	ds_load_b128 v[124:127], v2 offset:672
	s_wait_dscnt 0x1
	v_fmac_f64_e32 v[134:135], v[128:129], v[120:121]
	s_wait_loadcnt 0x4
	s_delay_alu instid0(VALU_DEP_1) | instskip(SKIP_4) | instid1(VALU_DEP_1)
	v_fmac_f64_e32 v[134:135], v[104:105], v[122:123]
	scratch_load_b128 v[120:123], off, off offset:360
	s_wait_dscnt 0x0
	v_fmac_f64_e32 v[134:135], v[106:107], v[124:125]
	s_wait_loadcnt 0x4
	v_fmac_f64_e32 v[134:135], v[112:113], v[126:127]
	ds_load_b128 v[104:107], v2 offset:688
	ds_load_b128 v[124:127], v2 offset:704
	s_wait_dscnt 0x1
	v_fmac_f64_e32 v[134:135], v[114:115], v[104:105]
	s_wait_loadcnt 0x3
	s_delay_alu instid0(VALU_DEP_1) | instskip(SKIP_1) | instid1(VALU_DEP_1)
	v_fmac_f64_e32 v[134:135], v[108:109], v[106:107]
	s_wait_dscnt 0x0
	v_fmac_f64_e32 v[134:135], v[110:111], v[124:125]
	ds_load_b128 v[104:107], v2 offset:720
	ds_load_b128 v[108:111], v2 offset:736
	s_wait_loadcnt 0x2
	v_fmac_f64_e32 v[134:135], v[116:117], v[126:127]
	s_wait_dscnt 0x1
	s_delay_alu instid0(VALU_DEP_1) | instskip(SKIP_1) | instid1(VALU_DEP_1)
	v_fmac_f64_e32 v[134:135], v[118:119], v[104:105]
	s_wait_loadcnt 0x1
	v_fmac_f64_e32 v[134:135], v[100:101], v[106:107]
	ds_load_b64 v[100:101], v2 offset:752
	s_wait_dscnt 0x1
	v_fmac_f64_e32 v[134:135], v[102:103], v[108:109]
	s_wait_loadcnt 0x0
	s_delay_alu instid0(VALU_DEP_1) | instskip(SKIP_1) | instid1(VALU_DEP_1)
	v_fmac_f64_e32 v[134:135], v[120:121], v[110:111]
	s_wait_dscnt 0x0
	v_fmac_f64_e32 v[134:135], v[122:123], v[100:101]
	s_delay_alu instid0(VALU_DEP_1)
	v_add_f64_e64 v[98:99], v[98:99], -v[134:135]
	scratch_store_b64 off, v[98:99], off offset:40
	s_wait_xcnt 0x0
	v_cmpx_lt_u32_e32 4, v0
	s_cbranch_execz .LBB46_283
; %bb.282:
	scratch_load_b64 v[98:99], off, off offset:32
	v_mov_b64_e32 v[100:101], 0
	scratch_store_b64 off, v[100:101], off offset:32
	s_wait_loadcnt 0x0
	ds_store_b64 v1, v[98:99]
.LBB46_283:
	s_wait_xcnt 0x0
	s_or_b32 exec_lo, exec_lo, s0
	s_wait_storecnt_dscnt 0x0
	s_barrier_signal -1
	s_barrier_wait -1
	s_clause 0x5
	scratch_load_b128 v[98:101], off, off offset:32
	scratch_load_b128 v[102:105], off, off offset:48
	;; [unrolled: 1-line block ×6, first 2 shown]
	ds_load_2addr_b64 v[122:125], v2 offset0:53 offset1:54
	ds_load_2addr_b64 v[126:129], v2 offset0:55 offset1:56
	scratch_load_b128 v[130:133], off, off offset:128
	s_mov_b32 s0, exec_lo
	s_wait_loadcnt_dscnt 0x601
	v_fma_f64 v[134:135], v[100:101], v[122:123], 0
	s_wait_loadcnt 0x5
	s_delay_alu instid0(VALU_DEP_1) | instskip(SKIP_4) | instid1(VALU_DEP_1)
	v_fmac_f64_e32 v[134:135], v[102:103], v[124:125]
	scratch_load_b128 v[100:103], off, off offset:144
	s_wait_dscnt 0x0
	v_fmac_f64_e32 v[134:135], v[104:105], v[126:127]
	s_wait_loadcnt 0x5
	v_fmac_f64_e32 v[134:135], v[106:107], v[128:129]
	ds_load_2addr_b64 v[104:107], v2 offset0:57 offset1:58
	ds_load_2addr_b64 v[122:125], v2 offset0:59 offset1:60
	scratch_load_b128 v[126:129], off, off offset:160
	s_wait_dscnt 0x1
	v_fmac_f64_e32 v[134:135], v[108:109], v[104:105]
	s_wait_loadcnt 0x5
	s_delay_alu instid0(VALU_DEP_1) | instskip(SKIP_4) | instid1(VALU_DEP_1)
	v_fmac_f64_e32 v[134:135], v[110:111], v[106:107]
	scratch_load_b128 v[104:107], off, off offset:176
	s_wait_dscnt 0x0
	v_fmac_f64_e32 v[134:135], v[112:113], v[122:123]
	s_wait_loadcnt 0x5
	v_fmac_f64_e32 v[134:135], v[114:115], v[124:125]
	ds_load_2addr_b64 v[108:111], v2 offset0:61 offset1:62
	ds_load_2addr_b64 v[112:115], v2 offset0:63 offset1:64
	scratch_load_b128 v[122:125], off, off offset:192
	s_wait_dscnt 0x1
	v_fmac_f64_e32 v[134:135], v[116:117], v[108:109]
	s_wait_loadcnt 0x5
	s_delay_alu instid0(VALU_DEP_1) | instskip(SKIP_4) | instid1(VALU_DEP_1)
	v_fmac_f64_e32 v[134:135], v[118:119], v[110:111]
	scratch_load_b128 v[108:111], off, off offset:208
	s_wait_dscnt 0x0
	v_fmac_f64_e32 v[134:135], v[120:121], v[112:113]
	s_wait_loadcnt 0x5
	v_fmac_f64_e32 v[134:135], v[130:131], v[114:115]
	ds_load_2addr_b64 v[112:115], v2 offset0:65 offset1:66
	ds_load_2addr_b64 v[116:119], v2 offset0:67 offset1:68
	s_wait_dscnt 0x1
	v_fmac_f64_e32 v[134:135], v[132:133], v[112:113]
	scratch_load_b128 v[130:133], off, off offset:224
	s_wait_loadcnt 0x5
	v_fmac_f64_e32 v[134:135], v[100:101], v[114:115]
	s_wait_dscnt 0x0
	s_delay_alu instid0(VALU_DEP_1)
	v_fmac_f64_e32 v[134:135], v[102:103], v[116:117]
	scratch_load_b128 v[100:103], off, off offset:240
	s_wait_loadcnt 0x5
	v_fmac_f64_e32 v[134:135], v[126:127], v[118:119]
	ds_load_2addr_b64 v[112:115], v2 offset0:69 offset1:70
	ds_load_2addr_b64 v[116:119], v2 offset0:71 offset1:72
	s_wait_dscnt 0x1
	v_fmac_f64_e32 v[134:135], v[128:129], v[112:113]
	scratch_load_b128 v[126:129], off, off offset:256
	s_wait_loadcnt 0x5
	v_fmac_f64_e32 v[134:135], v[104:105], v[114:115]
	s_wait_dscnt 0x0
	s_delay_alu instid0(VALU_DEP_1)
	v_fmac_f64_e32 v[134:135], v[106:107], v[116:117]
	scratch_load_b128 v[104:107], off, off offset:272
	s_wait_loadcnt 0x5
	v_fmac_f64_e32 v[134:135], v[122:123], v[118:119]
	ds_load_2addr_b64 v[112:115], v2 offset0:73 offset1:74
	ds_load_2addr_b64 v[116:119], v2 offset0:75 offset1:76
	scratch_load_b128 v[120:123], off, off offset:288
	s_wait_dscnt 0x1
	v_fmac_f64_e32 v[134:135], v[124:125], v[112:113]
	s_wait_loadcnt 0x5
	s_delay_alu instid0(VALU_DEP_1) | instskip(SKIP_1) | instid1(VALU_DEP_1)
	v_fmac_f64_e32 v[134:135], v[108:109], v[114:115]
	s_wait_dscnt 0x0
	v_fmac_f64_e32 v[134:135], v[110:111], v[116:117]
	scratch_load_b128 v[108:111], off, off offset:304
	s_wait_loadcnt 0x5
	v_fmac_f64_e32 v[134:135], v[130:131], v[118:119]
	ds_load_2addr_b64 v[112:115], v2 offset0:77 offset1:78
	ds_load_2addr_b64 v[116:119], v2 offset0:79 offset1:80
	s_wait_dscnt 0x1
	v_fmac_f64_e32 v[134:135], v[132:133], v[112:113]
	s_wait_loadcnt 0x4
	s_delay_alu instid0(VALU_DEP_1)
	v_fmac_f64_e32 v[134:135], v[100:101], v[114:115]
	scratch_load_b128 v[112:115], off, off offset:320
	s_wait_dscnt 0x0
	v_fmac_f64_e32 v[134:135], v[102:103], v[116:117]
	scratch_load_b128 v[100:103], off, off offset:336
	s_wait_loadcnt 0x5
	v_fmac_f64_e32 v[134:135], v[126:127], v[118:119]
	ds_load_2addr_b64 v[116:119], v2 offset0:81 offset1:82
	ds_load_2addr_b64 v[124:127], v2 offset0:83 offset1:84
	s_wait_dscnt 0x1
	v_fmac_f64_e32 v[134:135], v[128:129], v[116:117]
	s_wait_loadcnt 0x4
	s_delay_alu instid0(VALU_DEP_1) | instskip(SKIP_4) | instid1(VALU_DEP_1)
	v_fmac_f64_e32 v[134:135], v[104:105], v[118:119]
	scratch_load_b128 v[116:119], off, off offset:352
	s_wait_dscnt 0x0
	v_fmac_f64_e32 v[134:135], v[106:107], v[124:125]
	s_wait_loadcnt 0x4
	v_fmac_f64_e32 v[134:135], v[120:121], v[126:127]
	scratch_load_b64 v[120:121], off, off offset:368
	ds_load_2addr_b64 v[104:107], v2 offset0:85 offset1:86
	ds_load_2addr_b64 v[124:127], v2 offset0:87 offset1:88
	s_wait_dscnt 0x1
	v_fmac_f64_e32 v[134:135], v[122:123], v[104:105]
	s_wait_loadcnt 0x4
	s_delay_alu instid0(VALU_DEP_1) | instskip(SKIP_1) | instid1(VALU_DEP_1)
	v_fmac_f64_e32 v[134:135], v[108:109], v[106:107]
	s_wait_dscnt 0x0
	v_fmac_f64_e32 v[134:135], v[110:111], v[124:125]
	ds_load_2addr_b64 v[104:107], v2 offset0:89 offset1:90
	ds_load_2addr_b64 v[108:111], v2 offset0:91 offset1:92
	s_wait_loadcnt 0x3
	v_fmac_f64_e32 v[134:135], v[112:113], v[126:127]
	s_wait_dscnt 0x1
	s_delay_alu instid0(VALU_DEP_1) | instskip(SKIP_1) | instid1(VALU_DEP_1)
	v_fmac_f64_e32 v[134:135], v[114:115], v[104:105]
	s_wait_loadcnt 0x2
	v_fmac_f64_e32 v[134:135], v[100:101], v[106:107]
	s_wait_dscnt 0x0
	s_delay_alu instid0(VALU_DEP_1) | instskip(SKIP_4) | instid1(VALU_DEP_1)
	v_fmac_f64_e32 v[134:135], v[102:103], v[108:109]
	ds_load_2addr_b64 v[100:103], v2 offset0:93 offset1:94
	s_wait_loadcnt 0x1
	v_fmac_f64_e32 v[134:135], v[116:117], v[110:111]
	s_wait_dscnt 0x0
	v_fmac_f64_e32 v[134:135], v[118:119], v[100:101]
	s_wait_loadcnt 0x0
	s_delay_alu instid0(VALU_DEP_1) | instskip(NEXT) | instid1(VALU_DEP_1)
	v_fmac_f64_e32 v[134:135], v[120:121], v[102:103]
	v_add_f64_e64 v[2:3], v[98:99], -v[134:135]
	scratch_store_b64 off, v[2:3], off offset:32
	s_wait_xcnt 0x0
	v_cmpx_lt_u32_e32 3, v0
	s_cbranch_execz .LBB46_285
; %bb.284:
	scratch_load_b64 v[2:3], off, off offset:24
	v_mov_b64_e32 v[98:99], 0
	scratch_store_b64 off, v[98:99], off offset:24
	s_wait_loadcnt 0x0
	ds_store_b64 v1, v[2:3]
.LBB46_285:
	s_wait_xcnt 0x0
	s_or_b32 exec_lo, exec_lo, s0
	s_wait_storecnt_dscnt 0x0
	s_barrier_signal -1
	s_barrier_wait -1
	s_clause 0x5
	scratch_load_b128 v[98:101], off, off offset:24
	scratch_load_b128 v[102:105], off, off offset:40
	;; [unrolled: 1-line block ×6, first 2 shown]
	v_mov_b32_e32 v2, 0
	ds_load_b128 v[122:125], v2 offset:416
	ds_load_b128 v[126:129], v2 offset:432
	scratch_load_b128 v[130:133], off, off offset:120
	s_mov_b32 s0, exec_lo
	s_wait_loadcnt_dscnt 0x601
	v_fma_f64 v[134:135], v[100:101], v[122:123], 0
	s_wait_loadcnt 0x5
	s_delay_alu instid0(VALU_DEP_1) | instskip(SKIP_4) | instid1(VALU_DEP_1)
	v_fmac_f64_e32 v[134:135], v[102:103], v[124:125]
	scratch_load_b128 v[100:103], off, off offset:136
	s_wait_dscnt 0x0
	v_fmac_f64_e32 v[134:135], v[104:105], v[126:127]
	s_wait_loadcnt 0x5
	v_fmac_f64_e32 v[134:135], v[106:107], v[128:129]
	ds_load_b128 v[104:107], v2 offset:448
	ds_load_b128 v[122:125], v2 offset:464
	scratch_load_b128 v[126:129], off, off offset:152
	s_wait_dscnt 0x1
	v_fmac_f64_e32 v[134:135], v[108:109], v[104:105]
	s_wait_loadcnt 0x5
	s_delay_alu instid0(VALU_DEP_1) | instskip(SKIP_4) | instid1(VALU_DEP_1)
	v_fmac_f64_e32 v[134:135], v[110:111], v[106:107]
	scratch_load_b128 v[104:107], off, off offset:168
	s_wait_dscnt 0x0
	v_fmac_f64_e32 v[134:135], v[112:113], v[122:123]
	s_wait_loadcnt 0x5
	v_fmac_f64_e32 v[134:135], v[114:115], v[124:125]
	ds_load_b128 v[108:111], v2 offset:480
	ds_load_b128 v[112:115], v2 offset:496
	scratch_load_b128 v[122:125], off, off offset:184
	s_wait_dscnt 0x1
	v_fmac_f64_e32 v[134:135], v[116:117], v[108:109]
	s_wait_loadcnt 0x5
	s_delay_alu instid0(VALU_DEP_1) | instskip(SKIP_4) | instid1(VALU_DEP_1)
	v_fmac_f64_e32 v[134:135], v[118:119], v[110:111]
	scratch_load_b128 v[108:111], off, off offset:200
	s_wait_dscnt 0x0
	v_fmac_f64_e32 v[134:135], v[120:121], v[112:113]
	s_wait_loadcnt 0x5
	v_fmac_f64_e32 v[134:135], v[130:131], v[114:115]
	ds_load_b128 v[112:115], v2 offset:512
	ds_load_b128 v[116:119], v2 offset:528
	s_wait_dscnt 0x1
	v_fmac_f64_e32 v[134:135], v[132:133], v[112:113]
	scratch_load_b128 v[130:133], off, off offset:216
	s_wait_loadcnt 0x5
	v_fmac_f64_e32 v[134:135], v[100:101], v[114:115]
	s_wait_dscnt 0x0
	s_delay_alu instid0(VALU_DEP_1)
	v_fmac_f64_e32 v[134:135], v[102:103], v[116:117]
	scratch_load_b128 v[100:103], off, off offset:232
	s_wait_loadcnt 0x5
	v_fmac_f64_e32 v[134:135], v[126:127], v[118:119]
	ds_load_b128 v[112:115], v2 offset:544
	ds_load_b128 v[116:119], v2 offset:560
	s_wait_dscnt 0x1
	v_fmac_f64_e32 v[134:135], v[128:129], v[112:113]
	scratch_load_b128 v[126:129], off, off offset:248
	s_wait_loadcnt 0x5
	v_fmac_f64_e32 v[134:135], v[104:105], v[114:115]
	s_wait_dscnt 0x0
	s_delay_alu instid0(VALU_DEP_1)
	v_fmac_f64_e32 v[134:135], v[106:107], v[116:117]
	scratch_load_b128 v[104:107], off, off offset:264
	s_wait_loadcnt 0x5
	v_fmac_f64_e32 v[134:135], v[122:123], v[118:119]
	ds_load_b128 v[112:115], v2 offset:576
	ds_load_b128 v[116:119], v2 offset:592
	scratch_load_b128 v[120:123], off, off offset:280
	s_wait_dscnt 0x1
	v_fmac_f64_e32 v[134:135], v[124:125], v[112:113]
	s_wait_loadcnt 0x5
	s_delay_alu instid0(VALU_DEP_1) | instskip(SKIP_1) | instid1(VALU_DEP_1)
	v_fmac_f64_e32 v[134:135], v[108:109], v[114:115]
	s_wait_dscnt 0x0
	v_fmac_f64_e32 v[134:135], v[110:111], v[116:117]
	scratch_load_b128 v[108:111], off, off offset:296
	s_wait_loadcnt 0x5
	v_fmac_f64_e32 v[134:135], v[130:131], v[118:119]
	ds_load_b128 v[112:115], v2 offset:608
	ds_load_b128 v[116:119], v2 offset:624
	s_wait_dscnt 0x1
	v_fmac_f64_e32 v[134:135], v[132:133], v[112:113]
	s_wait_loadcnt 0x4
	s_delay_alu instid0(VALU_DEP_1)
	v_fmac_f64_e32 v[134:135], v[100:101], v[114:115]
	scratch_load_b128 v[112:115], off, off offset:312
	s_wait_dscnt 0x0
	v_fmac_f64_e32 v[134:135], v[102:103], v[116:117]
	scratch_load_b128 v[100:103], off, off offset:328
	s_wait_loadcnt 0x5
	v_fmac_f64_e32 v[134:135], v[126:127], v[118:119]
	ds_load_b128 v[116:119], v2 offset:640
	ds_load_b128 v[124:127], v2 offset:656
	s_wait_dscnt 0x1
	v_fmac_f64_e32 v[134:135], v[128:129], v[116:117]
	s_wait_loadcnt 0x4
	s_delay_alu instid0(VALU_DEP_1)
	v_fmac_f64_e32 v[134:135], v[104:105], v[118:119]
	scratch_load_b128 v[116:119], off, off offset:344
	s_wait_dscnt 0x0
	v_fmac_f64_e32 v[134:135], v[106:107], v[124:125]
	scratch_load_b128 v[104:107], off, off offset:360
	s_wait_loadcnt 0x5
	v_fmac_f64_e32 v[134:135], v[120:121], v[126:127]
	ds_load_b128 v[124:127], v2 offset:672
	ds_load_b128 v[128:131], v2 offset:688
	s_wait_dscnt 0x1
	v_fmac_f64_e32 v[134:135], v[122:123], v[124:125]
	s_wait_loadcnt 0x4
	s_delay_alu instid0(VALU_DEP_1) | instskip(SKIP_1) | instid1(VALU_DEP_1)
	v_fmac_f64_e32 v[134:135], v[108:109], v[126:127]
	s_wait_dscnt 0x0
	v_fmac_f64_e32 v[134:135], v[110:111], v[128:129]
	ds_load_b128 v[108:111], v2 offset:704
	ds_load_b128 v[120:123], v2 offset:720
	s_wait_loadcnt 0x3
	v_fmac_f64_e32 v[134:135], v[112:113], v[130:131]
	s_wait_dscnt 0x1
	s_delay_alu instid0(VALU_DEP_1) | instskip(SKIP_1) | instid1(VALU_DEP_1)
	v_fmac_f64_e32 v[134:135], v[114:115], v[108:109]
	s_wait_loadcnt 0x2
	v_fmac_f64_e32 v[134:135], v[100:101], v[110:111]
	s_wait_dscnt 0x0
	s_delay_alu instid0(VALU_DEP_1)
	v_fmac_f64_e32 v[134:135], v[102:103], v[120:121]
	ds_load_b128 v[100:103], v2 offset:736
	ds_load_b64 v[108:109], v2 offset:752
	s_wait_loadcnt 0x1
	v_fmac_f64_e32 v[134:135], v[116:117], v[122:123]
	s_wait_dscnt 0x1
	s_delay_alu instid0(VALU_DEP_1) | instskip(SKIP_1) | instid1(VALU_DEP_1)
	v_fmac_f64_e32 v[134:135], v[118:119], v[100:101]
	s_wait_loadcnt 0x0
	v_fmac_f64_e32 v[134:135], v[104:105], v[102:103]
	s_wait_dscnt 0x0
	s_delay_alu instid0(VALU_DEP_1) | instskip(NEXT) | instid1(VALU_DEP_1)
	v_fmac_f64_e32 v[134:135], v[106:107], v[108:109]
	v_add_f64_e64 v[98:99], v[98:99], -v[134:135]
	scratch_store_b64 off, v[98:99], off offset:24
	s_wait_xcnt 0x0
	v_cmpx_lt_u32_e32 2, v0
	s_cbranch_execz .LBB46_287
; %bb.286:
	scratch_load_b64 v[98:99], off, off offset:16
	v_mov_b64_e32 v[100:101], 0
	scratch_store_b64 off, v[100:101], off offset:16
	s_wait_loadcnt 0x0
	ds_store_b64 v1, v[98:99]
.LBB46_287:
	s_wait_xcnt 0x0
	s_or_b32 exec_lo, exec_lo, s0
	s_wait_storecnt_dscnt 0x0
	s_barrier_signal -1
	s_barrier_wait -1
	s_clause 0x5
	scratch_load_b128 v[98:101], off, off offset:16
	scratch_load_b128 v[102:105], off, off offset:32
	;; [unrolled: 1-line block ×6, first 2 shown]
	ds_load_2addr_b64 v[122:125], v2 offset0:51 offset1:52
	ds_load_2addr_b64 v[126:129], v2 offset0:53 offset1:54
	scratch_load_b128 v[130:133], off, off offset:112
	s_mov_b32 s0, exec_lo
	s_wait_loadcnt_dscnt 0x601
	v_fma_f64 v[134:135], v[100:101], v[122:123], 0
	s_wait_loadcnt 0x5
	s_delay_alu instid0(VALU_DEP_1) | instskip(SKIP_4) | instid1(VALU_DEP_1)
	v_fmac_f64_e32 v[134:135], v[102:103], v[124:125]
	scratch_load_b128 v[100:103], off, off offset:128
	s_wait_dscnt 0x0
	v_fmac_f64_e32 v[134:135], v[104:105], v[126:127]
	s_wait_loadcnt 0x5
	v_fmac_f64_e32 v[134:135], v[106:107], v[128:129]
	ds_load_2addr_b64 v[104:107], v2 offset0:55 offset1:56
	ds_load_2addr_b64 v[122:125], v2 offset0:57 offset1:58
	scratch_load_b128 v[126:129], off, off offset:144
	s_wait_dscnt 0x1
	v_fmac_f64_e32 v[134:135], v[108:109], v[104:105]
	s_wait_loadcnt 0x5
	s_delay_alu instid0(VALU_DEP_1) | instskip(SKIP_4) | instid1(VALU_DEP_1)
	v_fmac_f64_e32 v[134:135], v[110:111], v[106:107]
	scratch_load_b128 v[104:107], off, off offset:160
	s_wait_dscnt 0x0
	v_fmac_f64_e32 v[134:135], v[112:113], v[122:123]
	s_wait_loadcnt 0x5
	v_fmac_f64_e32 v[134:135], v[114:115], v[124:125]
	ds_load_2addr_b64 v[108:111], v2 offset0:59 offset1:60
	ds_load_2addr_b64 v[112:115], v2 offset0:61 offset1:62
	scratch_load_b128 v[122:125], off, off offset:176
	s_wait_dscnt 0x1
	v_fmac_f64_e32 v[134:135], v[116:117], v[108:109]
	s_wait_loadcnt 0x5
	s_delay_alu instid0(VALU_DEP_1) | instskip(SKIP_4) | instid1(VALU_DEP_1)
	v_fmac_f64_e32 v[134:135], v[118:119], v[110:111]
	scratch_load_b128 v[108:111], off, off offset:192
	s_wait_dscnt 0x0
	v_fmac_f64_e32 v[134:135], v[120:121], v[112:113]
	s_wait_loadcnt 0x5
	v_fmac_f64_e32 v[134:135], v[130:131], v[114:115]
	ds_load_2addr_b64 v[112:115], v2 offset0:63 offset1:64
	ds_load_2addr_b64 v[116:119], v2 offset0:65 offset1:66
	s_wait_dscnt 0x1
	v_fmac_f64_e32 v[134:135], v[132:133], v[112:113]
	scratch_load_b128 v[130:133], off, off offset:208
	s_wait_loadcnt 0x5
	v_fmac_f64_e32 v[134:135], v[100:101], v[114:115]
	s_wait_dscnt 0x0
	s_delay_alu instid0(VALU_DEP_1)
	v_fmac_f64_e32 v[134:135], v[102:103], v[116:117]
	scratch_load_b128 v[100:103], off, off offset:224
	s_wait_loadcnt 0x5
	v_fmac_f64_e32 v[134:135], v[126:127], v[118:119]
	ds_load_2addr_b64 v[112:115], v2 offset0:67 offset1:68
	ds_load_2addr_b64 v[116:119], v2 offset0:69 offset1:70
	s_wait_dscnt 0x1
	v_fmac_f64_e32 v[134:135], v[128:129], v[112:113]
	scratch_load_b128 v[126:129], off, off offset:240
	s_wait_loadcnt 0x5
	v_fmac_f64_e32 v[134:135], v[104:105], v[114:115]
	s_wait_dscnt 0x0
	s_delay_alu instid0(VALU_DEP_1)
	v_fmac_f64_e32 v[134:135], v[106:107], v[116:117]
	scratch_load_b128 v[104:107], off, off offset:256
	s_wait_loadcnt 0x5
	v_fmac_f64_e32 v[134:135], v[122:123], v[118:119]
	ds_load_2addr_b64 v[112:115], v2 offset0:71 offset1:72
	ds_load_2addr_b64 v[116:119], v2 offset0:73 offset1:74
	scratch_load_b128 v[120:123], off, off offset:272
	s_wait_dscnt 0x1
	v_fmac_f64_e32 v[134:135], v[124:125], v[112:113]
	s_wait_loadcnt 0x5
	s_delay_alu instid0(VALU_DEP_1) | instskip(SKIP_1) | instid1(VALU_DEP_1)
	v_fmac_f64_e32 v[134:135], v[108:109], v[114:115]
	s_wait_dscnt 0x0
	v_fmac_f64_e32 v[134:135], v[110:111], v[116:117]
	scratch_load_b128 v[108:111], off, off offset:288
	s_wait_loadcnt 0x5
	v_fmac_f64_e32 v[134:135], v[130:131], v[118:119]
	ds_load_2addr_b64 v[112:115], v2 offset0:75 offset1:76
	ds_load_2addr_b64 v[116:119], v2 offset0:77 offset1:78
	s_wait_dscnt 0x1
	v_fmac_f64_e32 v[134:135], v[132:133], v[112:113]
	s_wait_loadcnt 0x4
	s_delay_alu instid0(VALU_DEP_1)
	v_fmac_f64_e32 v[134:135], v[100:101], v[114:115]
	scratch_load_b128 v[112:115], off, off offset:304
	s_wait_dscnt 0x0
	v_fmac_f64_e32 v[134:135], v[102:103], v[116:117]
	scratch_load_b128 v[100:103], off, off offset:320
	s_wait_loadcnt 0x5
	v_fmac_f64_e32 v[134:135], v[126:127], v[118:119]
	ds_load_2addr_b64 v[116:119], v2 offset0:79 offset1:80
	ds_load_2addr_b64 v[124:127], v2 offset0:81 offset1:82
	s_wait_dscnt 0x1
	v_fmac_f64_e32 v[134:135], v[128:129], v[116:117]
	s_wait_loadcnt 0x4
	s_delay_alu instid0(VALU_DEP_1)
	v_fmac_f64_e32 v[134:135], v[104:105], v[118:119]
	scratch_load_b128 v[116:119], off, off offset:336
	s_wait_dscnt 0x0
	v_fmac_f64_e32 v[134:135], v[106:107], v[124:125]
	scratch_load_b128 v[104:107], off, off offset:352
	s_wait_loadcnt 0x5
	v_fmac_f64_e32 v[134:135], v[120:121], v[126:127]
	ds_load_2addr_b64 v[124:127], v2 offset0:83 offset1:84
	ds_load_2addr_b64 v[128:131], v2 offset0:85 offset1:86
	s_wait_dscnt 0x1
	v_fmac_f64_e32 v[134:135], v[122:123], v[124:125]
	scratch_load_b64 v[124:125], off, off offset:368
	s_wait_loadcnt 0x5
	v_fmac_f64_e32 v[134:135], v[108:109], v[126:127]
	s_wait_dscnt 0x0
	s_delay_alu instid0(VALU_DEP_1)
	v_fmac_f64_e32 v[134:135], v[110:111], v[128:129]
	ds_load_2addr_b64 v[108:111], v2 offset0:87 offset1:88
	ds_load_2addr_b64 v[120:123], v2 offset0:89 offset1:90
	s_wait_loadcnt 0x4
	v_fmac_f64_e32 v[134:135], v[112:113], v[130:131]
	s_wait_dscnt 0x1
	s_delay_alu instid0(VALU_DEP_1) | instskip(SKIP_1) | instid1(VALU_DEP_1)
	v_fmac_f64_e32 v[134:135], v[114:115], v[108:109]
	s_wait_loadcnt 0x3
	v_fmac_f64_e32 v[134:135], v[100:101], v[110:111]
	s_wait_dscnt 0x0
	s_delay_alu instid0(VALU_DEP_1)
	v_fmac_f64_e32 v[134:135], v[102:103], v[120:121]
	ds_load_2addr_b64 v[100:103], v2 offset0:91 offset1:92
	ds_load_2addr_b64 v[108:111], v2 offset0:93 offset1:94
	s_wait_loadcnt 0x2
	v_fmac_f64_e32 v[134:135], v[116:117], v[122:123]
	s_wait_dscnt 0x1
	s_delay_alu instid0(VALU_DEP_1) | instskip(SKIP_1) | instid1(VALU_DEP_1)
	v_fmac_f64_e32 v[134:135], v[118:119], v[100:101]
	s_wait_loadcnt 0x1
	v_fmac_f64_e32 v[134:135], v[104:105], v[102:103]
	s_wait_dscnt 0x0
	s_delay_alu instid0(VALU_DEP_1) | instskip(SKIP_1) | instid1(VALU_DEP_1)
	v_fmac_f64_e32 v[134:135], v[106:107], v[108:109]
	s_wait_loadcnt 0x0
	v_fmac_f64_e32 v[134:135], v[124:125], v[110:111]
	s_delay_alu instid0(VALU_DEP_1)
	v_add_f64_e64 v[2:3], v[98:99], -v[134:135]
	scratch_store_b64 off, v[2:3], off offset:16
	s_wait_xcnt 0x0
	v_cmpx_lt_u32_e32 1, v0
	s_cbranch_execz .LBB46_289
; %bb.288:
	scratch_load_b64 v[2:3], off, off offset:8
	v_mov_b64_e32 v[98:99], 0
	scratch_store_b64 off, v[98:99], off offset:8
	s_wait_loadcnt 0x0
	ds_store_b64 v1, v[2:3]
.LBB46_289:
	s_wait_xcnt 0x0
	s_or_b32 exec_lo, exec_lo, s0
	s_wait_storecnt_dscnt 0x0
	s_barrier_signal -1
	s_barrier_wait -1
	s_clause 0x3
	scratch_load_b128 v[100:103], off, off offset:8
	scratch_load_b128 v[104:107], off, off offset:24
	;; [unrolled: 1-line block ×4, first 2 shown]
	v_dual_mov_b32 v98, 0 :: v_dual_ashrrev_i32 v9, 31, v8
	ds_load_b128 v[116:119], v98 offset:400
	ds_load_b128 v[120:123], v98 offset:416
	scratch_load_b128 v[124:127], off, off offset:72
	v_dual_ashrrev_i32 v11, 31, v10 :: v_dual_ashrrev_i32 v13, 31, v12
	v_dual_ashrrev_i32 v15, 31, v14 :: v_dual_ashrrev_i32 v17, 31, v16
	;; [unrolled: 1-line block ×21, first 2 shown]
	v_ashrrev_i32_e32 v95, 31, v94
	s_mov_b32 s0, exec_lo
	v_ashrrev_i32_e32 v49, 31, v48
	s_wait_loadcnt_dscnt 0x401
	v_fma_f64 v[2:3], v[102:103], v[116:117], 0
	s_wait_loadcnt 0x3
	s_delay_alu instid0(VALU_DEP_1) | instskip(SKIP_4) | instid1(VALU_DEP_1)
	v_fmac_f64_e32 v[2:3], v[104:105], v[118:119]
	scratch_load_b128 v[102:105], off, off offset:88
	s_wait_dscnt 0x0
	v_fmac_f64_e32 v[2:3], v[106:107], v[120:121]
	s_wait_loadcnt 0x3
	v_fmac_f64_e32 v[2:3], v[108:109], v[122:123]
	ds_load_b128 v[106:109], v98 offset:432
	ds_load_b128 v[116:119], v98 offset:448
	scratch_load_b128 v[120:123], off, off offset:104
	s_wait_dscnt 0x1
	v_fmac_f64_e32 v[2:3], v[110:111], v[106:107]
	s_wait_loadcnt 0x3
	s_delay_alu instid0(VALU_DEP_1)
	v_fmac_f64_e32 v[2:3], v[112:113], v[108:109]
	scratch_load_b128 v[106:109], off, off offset:120
	s_wait_dscnt 0x0
	v_fmac_f64_e32 v[2:3], v[114:115], v[116:117]
	ds_load_b128 v[110:113], v98 offset:464
	ds_load_b128 v[114:117], v98 offset:480
	s_wait_loadcnt 0x3
	v_fmac_f64_e32 v[2:3], v[124:125], v[118:119]
	s_wait_dscnt 0x1
	s_delay_alu instid0(VALU_DEP_1) | instskip(SKIP_4) | instid1(VALU_DEP_1)
	v_fmac_f64_e32 v[2:3], v[126:127], v[110:111]
	scratch_load_b128 v[124:127], off, off offset:136
	s_wait_loadcnt 0x3
	v_fmac_f64_e32 v[2:3], v[102:103], v[112:113]
	s_wait_dscnt 0x0
	v_fmac_f64_e32 v[2:3], v[104:105], v[114:115]
	scratch_load_b128 v[102:105], off, off offset:152
	s_wait_loadcnt 0x3
	v_fmac_f64_e32 v[2:3], v[120:121], v[116:117]
	ds_load_b128 v[110:113], v98 offset:496
	ds_load_b128 v[114:117], v98 offset:512
	scratch_load_b128 v[118:121], off, off offset:168
	s_wait_dscnt 0x1
	v_fmac_f64_e32 v[2:3], v[122:123], v[110:111]
	s_wait_loadcnt 0x3
	s_delay_alu instid0(VALU_DEP_1) | instskip(SKIP_1) | instid1(VALU_DEP_1)
	v_fmac_f64_e32 v[2:3], v[106:107], v[112:113]
	s_wait_dscnt 0x0
	v_fmac_f64_e32 v[2:3], v[108:109], v[114:115]
	scratch_load_b128 v[106:109], off, off offset:184
	s_wait_loadcnt 0x3
	v_fmac_f64_e32 v[2:3], v[124:125], v[116:117]
	ds_load_b128 v[110:113], v98 offset:528
	ds_load_b128 v[114:117], v98 offset:544
	scratch_load_b128 v[122:125], off, off offset:200
	s_wait_dscnt 0x1
	v_fmac_f64_e32 v[2:3], v[126:127], v[110:111]
	s_wait_loadcnt 0x3
	s_delay_alu instid0(VALU_DEP_1) | instskip(SKIP_1) | instid1(VALU_DEP_1)
	v_fmac_f64_e32 v[2:3], v[102:103], v[112:113]
	s_wait_dscnt 0x0
	v_fmac_f64_e32 v[2:3], v[104:105], v[114:115]
	scratch_load_b128 v[102:105], off, off offset:216
	s_wait_loadcnt 0x3
	v_fmac_f64_e32 v[2:3], v[118:119], v[116:117]
	ds_load_b128 v[110:113], v98 offset:560
	ds_load_b128 v[114:117], v98 offset:576
	s_wait_dscnt 0x1
	v_fmac_f64_e32 v[2:3], v[120:121], v[110:111]
	scratch_load_b128 v[118:121], off, off offset:232
	s_wait_loadcnt 0x3
	v_fmac_f64_e32 v[2:3], v[106:107], v[112:113]
	s_wait_dscnt 0x0
	s_delay_alu instid0(VALU_DEP_1)
	v_fmac_f64_e32 v[2:3], v[108:109], v[114:115]
	scratch_load_b128 v[106:109], off, off offset:248
	s_wait_loadcnt 0x3
	v_fmac_f64_e32 v[2:3], v[122:123], v[116:117]
	ds_load_b128 v[110:113], v98 offset:592
	ds_load_b128 v[114:117], v98 offset:608
	s_wait_dscnt 0x1
	v_fmac_f64_e32 v[2:3], v[124:125], v[110:111]
	scratch_load_b128 v[122:125], off, off offset:264
	s_wait_loadcnt 0x3
	v_fmac_f64_e32 v[2:3], v[102:103], v[112:113]
	s_wait_dscnt 0x0
	s_delay_alu instid0(VALU_DEP_1)
	v_fmac_f64_e32 v[2:3], v[104:105], v[114:115]
	scratch_load_b128 v[102:105], off, off offset:280
	s_wait_loadcnt 0x3
	v_fmac_f64_e32 v[2:3], v[118:119], v[116:117]
	ds_load_b128 v[110:113], v98 offset:624
	ds_load_b128 v[114:117], v98 offset:640
	s_wait_dscnt 0x1
	v_fmac_f64_e32 v[2:3], v[120:121], v[110:111]
	scratch_load_b128 v[118:121], off, off offset:296
	s_wait_loadcnt 0x3
	v_fmac_f64_e32 v[2:3], v[106:107], v[112:113]
	s_wait_dscnt 0x0
	s_delay_alu instid0(VALU_DEP_1)
	v_fmac_f64_e32 v[2:3], v[108:109], v[114:115]
	scratch_load_b128 v[106:109], off, off offset:312
	s_wait_loadcnt 0x3
	v_fmac_f64_e32 v[2:3], v[122:123], v[116:117]
	ds_load_b128 v[110:113], v98 offset:656
	ds_load_b128 v[114:117], v98 offset:672
	s_wait_dscnt 0x1
	v_fmac_f64_e32 v[2:3], v[124:125], v[110:111]
	scratch_load_b128 v[122:125], off, off offset:328
	s_wait_loadcnt 0x3
	v_fmac_f64_e32 v[2:3], v[102:103], v[112:113]
	s_wait_dscnt 0x0
	s_delay_alu instid0(VALU_DEP_1)
	v_fmac_f64_e32 v[2:3], v[104:105], v[114:115]
	scratch_load_b128 v[102:105], off, off offset:344
	s_wait_loadcnt 0x3
	v_fmac_f64_e32 v[2:3], v[118:119], v[116:117]
	ds_load_b128 v[110:113], v98 offset:688
	ds_load_b128 v[114:117], v98 offset:704
	s_wait_dscnt 0x1
	v_fmac_f64_e32 v[2:3], v[120:121], v[110:111]
	scratch_load_b128 v[118:121], off, off offset:360
	s_wait_loadcnt 0x3
	v_fmac_f64_e32 v[2:3], v[106:107], v[112:113]
	s_wait_dscnt 0x0
	s_delay_alu instid0(VALU_DEP_1)
	v_fmac_f64_e32 v[2:3], v[108:109], v[114:115]
	ds_load_b128 v[106:109], v98 offset:720
	ds_load_b128 v[110:113], v98 offset:736
	s_wait_loadcnt 0x2
	v_fmac_f64_e32 v[2:3], v[122:123], v[116:117]
	s_wait_dscnt 0x1
	s_delay_alu instid0(VALU_DEP_1) | instskip(SKIP_1) | instid1(VALU_DEP_1)
	v_fmac_f64_e32 v[2:3], v[124:125], v[106:107]
	s_wait_loadcnt 0x1
	v_fmac_f64_e32 v[2:3], v[102:103], v[108:109]
	ds_load_b64 v[102:103], v98 offset:752
	s_wait_dscnt 0x1
	v_fmac_f64_e32 v[2:3], v[104:105], v[110:111]
	s_wait_loadcnt 0x0
	s_delay_alu instid0(VALU_DEP_1) | instskip(SKIP_1) | instid1(VALU_DEP_1)
	v_fmac_f64_e32 v[2:3], v[118:119], v[112:113]
	s_wait_dscnt 0x0
	v_fmac_f64_e32 v[2:3], v[120:121], v[102:103]
	s_delay_alu instid0(VALU_DEP_1)
	v_add_f64_e64 v[2:3], v[100:101], -v[2:3]
	scratch_store_b64 off, v[2:3], off offset:8
	s_wait_xcnt 0x0
	v_cmpx_ne_u32_e32 0, v0
	s_cbranch_execz .LBB46_291
; %bb.290:
	scratch_load_b64 v[2:3], off, off
	v_mov_b64_e32 v[100:101], 0
	scratch_store_b64 off, v[100:101], off
	s_wait_loadcnt 0x0
	ds_store_b64 v1, v[2:3]
.LBB46_291:
	s_wait_xcnt 0x0
	s_or_b32 exec_lo, exec_lo, s0
	s_wait_storecnt_dscnt 0x0
	s_barrier_signal -1
	s_barrier_wait -1
	s_clause 0x5
	scratch_load_b128 v[100:103], off, off
	scratch_load_b128 v[0:3], off, off offset:16
	scratch_load_b128 v[104:107], off, off offset:32
	;; [unrolled: 1-line block ×5, first 2 shown]
	ds_load_2addr_b64 v[120:123], v98 offset0:49 offset1:50
	scratch_load_b128 v[124:127], off, off offset:96
	s_and_b32 vcc_lo, exec_lo, s20
	s_wait_loadcnt_dscnt 0x600
	v_fma_f64 v[130:131], v[102:103], v[120:121], 0
	s_wait_loadcnt 0x5
	s_delay_alu instid0(VALU_DEP_1)
	v_fmac_f64_e32 v[130:131], v[0:1], v[122:123]
	ds_load_2addr_b64 v[120:123], v98 offset0:51 offset1:52
	s_wait_dscnt 0x0
	v_fmac_f64_e32 v[130:131], v[2:3], v[120:121]
	scratch_load_b128 v[0:3], off, off offset:112
	s_wait_loadcnt 0x5
	v_fmac_f64_e32 v[130:131], v[104:105], v[122:123]
	ds_load_2addr_b64 v[102:105], v98 offset0:53 offset1:54
	scratch_load_b128 v[120:123], off, off offset:128
	s_wait_dscnt 0x0
	v_fmac_f64_e32 v[130:131], v[106:107], v[102:103]
	s_wait_loadcnt 0x5
	s_delay_alu instid0(VALU_DEP_1)
	v_fmac_f64_e32 v[130:131], v[108:109], v[104:105]
	ds_load_2addr_b64 v[102:105], v98 offset0:55 offset1:56
	scratch_load_b128 v[106:109], off, off offset:144
	s_wait_dscnt 0x0
	v_fmac_f64_e32 v[130:131], v[110:111], v[102:103]
	s_wait_loadcnt 0x5
	s_delay_alu instid0(VALU_DEP_1)
	;; [unrolled: 7-line block ×4, first 2 shown]
	v_fmac_f64_e32 v[130:131], v[124:125], v[104:105]
	ds_load_2addr_b64 v[102:105], v98 offset0:61 offset1:62
	s_wait_dscnt 0x0
	v_fmac_f64_e32 v[130:131], v[126:127], v[102:103]
	scratch_load_b128 v[124:127], off, off offset:192
	s_wait_loadcnt 0x5
	v_fmac_f64_e32 v[130:131], v[0:1], v[104:105]
	ds_load_2addr_b64 v[102:105], v98 offset0:63 offset1:64
	s_wait_dscnt 0x0
	v_fmac_f64_e32 v[130:131], v[2:3], v[102:103]
	scratch_load_b128 v[0:3], off, off offset:208
	s_wait_loadcnt 0x5
	v_fmac_f64_e32 v[130:131], v[120:121], v[104:105]
	ds_load_2addr_b64 v[102:105], v98 offset0:65 offset1:66
	scratch_load_b128 v[118:121], off, off offset:224
	s_wait_dscnt 0x0
	v_fmac_f64_e32 v[130:131], v[122:123], v[102:103]
	s_wait_loadcnt 0x5
	s_delay_alu instid0(VALU_DEP_1)
	v_fmac_f64_e32 v[130:131], v[106:107], v[104:105]
	ds_load_2addr_b64 v[102:105], v98 offset0:67 offset1:68
	s_wait_dscnt 0x0
	v_fmac_f64_e32 v[130:131], v[108:109], v[102:103]
	scratch_load_b128 v[106:109], off, off offset:240
	s_wait_loadcnt 0x5
	v_fmac_f64_e32 v[130:131], v[110:111], v[104:105]
	ds_load_2addr_b64 v[102:105], v98 offset0:69 offset1:70
	s_wait_dscnt 0x0
	v_fmac_f64_e32 v[130:131], v[112:113], v[102:103]
	scratch_load_b128 v[110:113], off, off offset:256
	s_wait_loadcnt 0x5
	;; [unrolled: 6-line block ×3, first 2 shown]
	v_fmac_f64_e32 v[130:131], v[124:125], v[104:105]
	ds_load_2addr_b64 v[102:105], v98 offset0:73 offset1:74
	scratch_load_b128 v[122:125], off, off offset:288
	s_wait_dscnt 0x0
	v_fmac_f64_e32 v[130:131], v[126:127], v[102:103]
	scratch_load_b128 v[126:129], off, off offset:304
	s_wait_loadcnt 0x6
	v_fmac_f64_e32 v[130:131], v[0:1], v[104:105]
	ds_load_2addr_b64 v[102:105], v98 offset0:75 offset1:76
	s_wait_dscnt 0x0
	v_fmac_f64_e32 v[130:131], v[2:3], v[102:103]
	ds_load_2addr_b64 v[0:3], v98 offset0:77 offset1:78
	s_wait_loadcnt 0x5
	v_fmac_f64_e32 v[130:131], v[118:119], v[104:105]
	scratch_load_b128 v[102:105], off, off offset:320
	s_wait_dscnt 0x0
	v_fmac_f64_e32 v[130:131], v[120:121], v[0:1]
	ds_load_2addr_b64 v[118:121], v98 offset0:81 offset1:82
	s_wait_loadcnt 0x5
	v_fmac_f64_e32 v[130:131], v[106:107], v[2:3]
	ds_load_2addr_b64 v[0:3], v98 offset0:79 offset1:80
	s_wait_dscnt 0x0
	v_fmac_f64_e32 v[130:131], v[108:109], v[0:1]
	scratch_load_b128 v[106:109], off, off offset:336
	s_wait_loadcnt 0x5
	v_fmac_f64_e32 v[130:131], v[110:111], v[2:3]
	scratch_load_b128 v[0:3], off, off offset:352
	v_fmac_f64_e32 v[130:131], v[112:113], v[118:119]
	ds_load_2addr_b64 v[110:113], v98 offset0:83 offset1:84
	s_wait_loadcnt 0x5
	v_fmac_f64_e32 v[130:131], v[114:115], v[120:121]
	scratch_load_b64 v[114:115], off, off offset:368
	s_wait_dscnt 0x0
	v_fmac_f64_e32 v[130:131], v[116:117], v[110:111]
	s_wait_loadcnt 0x5
	s_delay_alu instid0(VALU_DEP_1) | instskip(SKIP_4) | instid1(VALU_DEP_1)
	v_fmac_f64_e32 v[130:131], v[122:123], v[112:113]
	ds_load_2addr_b64 v[110:113], v98 offset0:85 offset1:86
	s_wait_dscnt 0x0
	v_fmac_f64_e32 v[130:131], v[124:125], v[110:111]
	s_wait_loadcnt 0x4
	v_fmac_f64_e32 v[130:131], v[126:127], v[112:113]
	ds_load_2addr_b64 v[110:113], v98 offset0:87 offset1:88
	s_wait_dscnt 0x0
	v_fmac_f64_e32 v[130:131], v[128:129], v[110:111]
	s_wait_loadcnt 0x3
	s_delay_alu instid0(VALU_DEP_1)
	v_fmac_f64_e32 v[130:131], v[102:103], v[112:113]
	ds_load_2addr_b64 v[110:113], v98 offset0:89 offset1:90
	s_wait_dscnt 0x0
	v_fmac_f64_e32 v[130:131], v[104:105], v[110:111]
	ds_load_2addr_b64 v[102:105], v98 offset0:91 offset1:92
	s_wait_loadcnt 0x2
	v_fmac_f64_e32 v[130:131], v[106:107], v[112:113]
	s_wait_dscnt 0x0
	s_delay_alu instid0(VALU_DEP_1) | instskip(SKIP_1) | instid1(VALU_DEP_1)
	v_fmac_f64_e32 v[130:131], v[108:109], v[102:103]
	s_wait_loadcnt 0x1
	v_fmac_f64_e32 v[130:131], v[0:1], v[104:105]
	ds_load_2addr_b64 v[102:105], v98 offset0:93 offset1:94
	s_wait_dscnt 0x0
	v_fmac_f64_e32 v[130:131], v[2:3], v[102:103]
	s_wait_loadcnt 0x0
	s_delay_alu instid0(VALU_DEP_1) | instskip(NEXT) | instid1(VALU_DEP_1)
	v_fmac_f64_e32 v[130:131], v[114:115], v[104:105]
	v_add_f64_e64 v[122:123], v[100:101], -v[130:131]
	scratch_store_b64 off, v[122:123], off
	s_cbranch_vccz .LBB46_384
; %bb.292:
	v_mov_b32_e32 v0, 0
	global_load_b32 v1, v0, s[16:17] offset:180
	s_wait_loadcnt 0x0
	v_cmp_ne_u32_e32 vcc_lo, 46, v1
	s_cbranch_vccz .LBB46_294
; %bb.293:
	v_lshlrev_b32_e32 v1, 3, v1
	scratch_load_b64 v[98:99], v1, off offset:-8
	s_wait_loadcnt 0x0
	scratch_store_b64 off, v[98:99], off offset:360
	scratch_store_b64 v1, v[2:3], off offset:-8
.LBB46_294:
	global_load_b32 v0, v0, s[16:17] offset:176
	s_wait_loadcnt 0x0
	v_cmp_eq_u32_e32 vcc_lo, 45, v0
	s_cbranch_vccnz .LBB46_296
; %bb.295:
	s_wait_xcnt 0x0
	v_lshlrev_b32_e32 v0, 3, v0
	s_delay_alu instid0(VALU_DEP_1)
	v_mov_b32_e32 v98, v0
	scratch_load_b64 v[0:1], v98, off offset:-8
	scratch_load_b64 v[2:3], off, off offset:352
	s_wait_loadcnt 0x1
	scratch_store_b64 off, v[0:1], off offset:352
	s_wait_loadcnt 0x0
	scratch_store_b64 v98, v[2:3], off offset:-8
.LBB46_296:
	s_wait_xcnt 0x0
	v_mov_b32_e32 v0, 0
	global_load_b32 v1, v0, s[16:17] offset:172
	s_wait_loadcnt 0x0
	v_cmp_eq_u32_e32 vcc_lo, 44, v1
	s_cbranch_vccnz .LBB46_298
; %bb.297:
	v_lshlrev_b32_e32 v1, 3, v1
	scratch_load_b64 v[2:3], v1, off offset:-8
	scratch_load_b64 v[98:99], off, off offset:344
	s_wait_loadcnt 0x1
	scratch_store_b64 off, v[2:3], off offset:344
	s_wait_loadcnt 0x0
	scratch_store_b64 v1, v[98:99], off offset:-8
.LBB46_298:
	global_load_b32 v0, v0, s[16:17] offset:168
	s_wait_loadcnt 0x0
	v_cmp_eq_u32_e32 vcc_lo, 43, v0
	s_cbranch_vccnz .LBB46_300
; %bb.299:
	s_wait_xcnt 0x0
	v_lshlrev_b32_e32 v0, 3, v0
	s_delay_alu instid0(VALU_DEP_1)
	v_mov_b32_e32 v98, v0
	scratch_load_b64 v[0:1], v98, off offset:-8
	scratch_load_b64 v[2:3], off, off offset:336
	s_wait_loadcnt 0x1
	scratch_store_b64 off, v[0:1], off offset:336
	s_wait_loadcnt 0x0
	scratch_store_b64 v98, v[2:3], off offset:-8
.LBB46_300:
	s_wait_xcnt 0x0
	v_mov_b32_e32 v0, 0
	global_load_b32 v1, v0, s[16:17] offset:164
	s_wait_loadcnt 0x0
	v_cmp_eq_u32_e32 vcc_lo, 42, v1
	s_cbranch_vccnz .LBB46_302
; %bb.301:
	v_lshlrev_b32_e32 v1, 3, v1
	scratch_load_b64 v[2:3], v1, off offset:-8
	scratch_load_b64 v[98:99], off, off offset:328
	s_wait_loadcnt 0x1
	scratch_store_b64 off, v[2:3], off offset:328
	s_wait_loadcnt 0x0
	scratch_store_b64 v1, v[98:99], off offset:-8
.LBB46_302:
	;; [unrolled: 31-line block ×22, first 2 shown]
	global_load_b32 v0, v0, s[16:17]
	scratch_load_b64 v[122:123], off, off
	s_wait_loadcnt 0x1
	v_cmp_eq_u32_e32 vcc_lo, 1, v0
	s_cbranch_vccnz .LBB46_384
; %bb.383:
	s_wait_xcnt 0x1
	v_lshlrev_b32_e32 v0, 3, v0
	s_delay_alu instid0(VALU_DEP_1)
	v_mov_b32_e32 v2, v0
	scratch_load_b64 v[0:1], v2, off offset:-8
	s_wait_loadcnt 0x0
	scratch_store_b64 off, v[0:1], off
	scratch_store_b64 v2, v[122:123], off offset:-8
	scratch_load_b64 v[122:123], off, off
.LBB46_384:
	v_lshl_add_u64 v[128:129], v[8:9], 3, s[2:3]
	v_lshl_add_u64 v[124:125], v[10:11], 3, s[2:3]
	;; [unrolled: 1-line block ×40, first 2 shown]
	s_clause 0x6
	scratch_load_b128 v[64:67], off, off offset:8
	scratch_load_b128 v[68:71], off, off offset:24
	;; [unrolled: 1-line block ×7, first 2 shown]
	v_lshl_add_u64 v[104:105], v[32:33], 3, s[2:3]
	v_lshl_add_u64 v[32:33], v[62:63], 3, s[2:3]
	;; [unrolled: 1-line block ×3, first 2 shown]
	s_wait_xcnt 0x8
	v_lshl_add_u64 v[0:1], v[94:95], 3, s[2:3]
	scratch_load_b128 v[92:95], off, off offset:120
	s_wait_loadcnt 0x8
	global_store_b64 v[4:5], v[122:123], off
	v_lshl_add_u64 v[2:3], v[96:97], 3, s[2:3]
	s_wait_loadcnt 0x7
	s_clause 0x1
	global_store_b64 v[6:7], v[64:65], off
	global_store_b64 v[128:129], v[66:67], off
	s_clause 0x1
	scratch_load_b128 v[4:7], off, off offset:136
	scratch_load_b128 v[64:67], off, off offset:152
	s_wait_loadcnt 0x8
	s_clause 0x1
	global_store_b64 v[124:125], v[68:69], off
	global_store_b64 v[126:127], v[70:71], off
	s_clause 0x1
	scratch_load_b128 v[68:71], off, off offset:168
	scratch_load_b128 v[122:125], off, off offset:184
	s_wait_loadcnt 0x9
	s_clause 0x1
	global_store_b64 v[118:119], v[72:73], off
	global_store_b64 v[120:121], v[74:75], off
	s_clause 0x1
	scratch_load_b128 v[72:75], off, off offset:200
	scratch_load_b128 v[118:121], off, off offset:216
	s_wait_loadcnt 0xa
	s_clause 0x1
	global_store_b64 v[114:115], v[76:77], off
	global_store_b64 v[116:117], v[78:79], off
	s_clause 0x1
	scratch_load_b128 v[76:79], off, off offset:232
	scratch_load_b128 v[114:117], off, off offset:248
	s_wait_loadcnt 0xb
	s_clause 0x1
	global_store_b64 v[110:111], v[80:81], off
	global_store_b64 v[112:113], v[82:83], off
	s_clause 0x1
	scratch_load_b128 v[80:83], off, off offset:264
	scratch_load_b128 v[110:113], off, off offset:280
	s_wait_loadcnt 0xc
	s_clause 0x1
	global_store_b64 v[106:107], v[84:85], off
	global_store_b64 v[108:109], v[86:87], off
	s_clause 0x1
	scratch_load_b128 v[84:87], off, off offset:296
	scratch_load_b128 v[106:109], off, off offset:312
	s_wait_loadcnt 0xd
	s_clause 0x1
	global_store_b64 v[102:103], v[88:89], off
	global_store_b64 v[104:105], v[90:91], off
	s_clause 0x1
	scratch_load_b128 v[88:91], off, off offset:328
	scratch_load_b128 v[102:105], off, off offset:344
	s_wait_loadcnt 0xe
	s_clause 0x1
	global_store_b64 v[98:99], v[92:93], off
	global_store_b64 v[100:101], v[94:95], off
	scratch_load_b128 v[92:95], off, off offset:360
	s_wait_loadcnt 0xe
	s_clause 0x1
	global_store_b64 v[8:9], v[4:5], off
	global_store_b64 v[10:11], v[6:7], off
	s_wait_loadcnt 0xd
	s_clause 0x1
	global_store_b64 v[12:13], v[64:65], off
	global_store_b64 v[14:15], v[66:67], off
	;; [unrolled: 4-line block ×15, first 2 shown]
	s_sendmsg sendmsg(MSG_DEALLOC_VGPRS)
	s_endpgm
	.section	.rodata,"a",@progbits
	.p2align	6, 0x0
	.amdhsa_kernel _ZN9rocsolver6v33100L18getri_kernel_smallILi47EdPdEEvT1_iilPiilS4_bb
		.amdhsa_group_segment_fixed_size 760
		.amdhsa_private_segment_fixed_size 384
		.amdhsa_kernarg_size 60
		.amdhsa_user_sgpr_count 2
		.amdhsa_user_sgpr_dispatch_ptr 0
		.amdhsa_user_sgpr_queue_ptr 0
		.amdhsa_user_sgpr_kernarg_segment_ptr 1
		.amdhsa_user_sgpr_dispatch_id 0
		.amdhsa_user_sgpr_kernarg_preload_length 0
		.amdhsa_user_sgpr_kernarg_preload_offset 0
		.amdhsa_user_sgpr_private_segment_size 0
		.amdhsa_wavefront_size32 1
		.amdhsa_uses_dynamic_stack 0
		.amdhsa_enable_private_segment 1
		.amdhsa_system_sgpr_workgroup_id_x 1
		.amdhsa_system_sgpr_workgroup_id_y 0
		.amdhsa_system_sgpr_workgroup_id_z 0
		.amdhsa_system_sgpr_workgroup_info 0
		.amdhsa_system_vgpr_workitem_id 0
		.amdhsa_next_free_vgpr 138
		.amdhsa_next_free_sgpr 21
		.amdhsa_named_barrier_count 0
		.amdhsa_reserve_vcc 1
		.amdhsa_float_round_mode_32 0
		.amdhsa_float_round_mode_16_64 0
		.amdhsa_float_denorm_mode_32 3
		.amdhsa_float_denorm_mode_16_64 3
		.amdhsa_fp16_overflow 0
		.amdhsa_memory_ordered 1
		.amdhsa_forward_progress 1
		.amdhsa_inst_pref_size 255
		.amdhsa_round_robin_scheduling 0
		.amdhsa_exception_fp_ieee_invalid_op 0
		.amdhsa_exception_fp_denorm_src 0
		.amdhsa_exception_fp_ieee_div_zero 0
		.amdhsa_exception_fp_ieee_overflow 0
		.amdhsa_exception_fp_ieee_underflow 0
		.amdhsa_exception_fp_ieee_inexact 0
		.amdhsa_exception_int_div_zero 0
	.end_amdhsa_kernel
	.section	.text._ZN9rocsolver6v33100L18getri_kernel_smallILi47EdPdEEvT1_iilPiilS4_bb,"axG",@progbits,_ZN9rocsolver6v33100L18getri_kernel_smallILi47EdPdEEvT1_iilPiilS4_bb,comdat
.Lfunc_end46:
	.size	_ZN9rocsolver6v33100L18getri_kernel_smallILi47EdPdEEvT1_iilPiilS4_bb, .Lfunc_end46-_ZN9rocsolver6v33100L18getri_kernel_smallILi47EdPdEEvT1_iilPiilS4_bb
                                        ; -- End function
	.set _ZN9rocsolver6v33100L18getri_kernel_smallILi47EdPdEEvT1_iilPiilS4_bb.num_vgpr, 138
	.set _ZN9rocsolver6v33100L18getri_kernel_smallILi47EdPdEEvT1_iilPiilS4_bb.num_agpr, 0
	.set _ZN9rocsolver6v33100L18getri_kernel_smallILi47EdPdEEvT1_iilPiilS4_bb.numbered_sgpr, 21
	.set _ZN9rocsolver6v33100L18getri_kernel_smallILi47EdPdEEvT1_iilPiilS4_bb.num_named_barrier, 0
	.set _ZN9rocsolver6v33100L18getri_kernel_smallILi47EdPdEEvT1_iilPiilS4_bb.private_seg_size, 384
	.set _ZN9rocsolver6v33100L18getri_kernel_smallILi47EdPdEEvT1_iilPiilS4_bb.uses_vcc, 1
	.set _ZN9rocsolver6v33100L18getri_kernel_smallILi47EdPdEEvT1_iilPiilS4_bb.uses_flat_scratch, 1
	.set _ZN9rocsolver6v33100L18getri_kernel_smallILi47EdPdEEvT1_iilPiilS4_bb.has_dyn_sized_stack, 0
	.set _ZN9rocsolver6v33100L18getri_kernel_smallILi47EdPdEEvT1_iilPiilS4_bb.has_recursion, 0
	.set _ZN9rocsolver6v33100L18getri_kernel_smallILi47EdPdEEvT1_iilPiilS4_bb.has_indirect_call, 0
	.section	.AMDGPU.csdata,"",@progbits
; Kernel info:
; codeLenInByte = 43460
; TotalNumSgprs: 23
; NumVgprs: 138
; ScratchSize: 384
; MemoryBound: 0
; FloatMode: 240
; IeeeMode: 1
; LDSByteSize: 760 bytes/workgroup (compile time only)
; SGPRBlocks: 0
; VGPRBlocks: 8
; NumSGPRsForWavesPerEU: 23
; NumVGPRsForWavesPerEU: 138
; NamedBarCnt: 0
; Occupancy: 7
; WaveLimiterHint : 1
; COMPUTE_PGM_RSRC2:SCRATCH_EN: 1
; COMPUTE_PGM_RSRC2:USER_SGPR: 2
; COMPUTE_PGM_RSRC2:TRAP_HANDLER: 0
; COMPUTE_PGM_RSRC2:TGID_X_EN: 1
; COMPUTE_PGM_RSRC2:TGID_Y_EN: 0
; COMPUTE_PGM_RSRC2:TGID_Z_EN: 0
; COMPUTE_PGM_RSRC2:TIDIG_COMP_CNT: 0
	.section	.text._ZN9rocsolver6v33100L18getri_kernel_smallILi48EdPdEEvT1_iilPiilS4_bb,"axG",@progbits,_ZN9rocsolver6v33100L18getri_kernel_smallILi48EdPdEEvT1_iilPiilS4_bb,comdat
	.globl	_ZN9rocsolver6v33100L18getri_kernel_smallILi48EdPdEEvT1_iilPiilS4_bb ; -- Begin function _ZN9rocsolver6v33100L18getri_kernel_smallILi48EdPdEEvT1_iilPiilS4_bb
	.p2align	8
	.type	_ZN9rocsolver6v33100L18getri_kernel_smallILi48EdPdEEvT1_iilPiilS4_bb,@function
_ZN9rocsolver6v33100L18getri_kernel_smallILi48EdPdEEvT1_iilPiilS4_bb: ; @_ZN9rocsolver6v33100L18getri_kernel_smallILi48EdPdEEvT1_iilPiilS4_bb
; %bb.0:
	s_mov_b32 s2, exec_lo
	v_cmpx_gt_u32_e32 48, v0
	s_cbranch_execz .LBB47_202
; %bb.1:
	s_clause 0x2
	s_load_b32 s2, s[0:1], 0x38
	s_load_b128 s[12:15], s[0:1], 0x10
	s_load_b128 s[4:7], s[0:1], 0x28
	s_getreg_b32 s9, hwreg(HW_REG_IB_STS2, 6, 4)
	s_wait_kmcnt 0x0
	s_bitcmp1_b32 s2, 8
	s_cselect_b32 s18, -1, 0
	s_bfe_u32 s3, ttmp6, 0x4000c
	s_and_b32 s8, ttmp6, 15
	s_add_co_i32 s3, s3, 1
	s_delay_alu instid0(SALU_CYCLE_1) | instskip(NEXT) | instid1(SALU_CYCLE_1)
	s_mul_i32 s3, ttmp9, s3
	s_add_co_i32 s8, s8, s3
	s_cmp_eq_u32 s9, 0
	s_cselect_b32 s16, ttmp9, s8
	s_bfe_u32 s2, s2, 0x10008
	s_ashr_i32 s17, s16, 31
	s_cmp_eq_u32 s2, 0
                                        ; implicit-def: $sgpr2_sgpr3
	s_cbranch_scc1 .LBB47_3
; %bb.2:
	s_load_b32 s2, s[0:1], 0x20
	s_mul_u64 s[4:5], s[4:5], s[16:17]
	s_delay_alu instid0(SALU_CYCLE_1) | instskip(NEXT) | instid1(SALU_CYCLE_1)
	s_lshl_b64 s[4:5], s[4:5], 2
	s_add_nc_u64 s[4:5], s[14:15], s[4:5]
	s_wait_kmcnt 0x0
	s_ashr_i32 s3, s2, 31
	s_delay_alu instid0(SALU_CYCLE_1) | instskip(NEXT) | instid1(SALU_CYCLE_1)
	s_lshl_b64 s[2:3], s[2:3], 2
	s_add_nc_u64 s[2:3], s[4:5], s[2:3]
.LBB47_3:
	s_clause 0x1
	s_load_b128 s[8:11], s[0:1], 0x0
	s_load_b32 s14, s[0:1], 0x38
	s_wait_xcnt 0x0
	s_mul_u64 s[0:1], s[12:13], s[16:17]
	v_mov_b32_e32 v3, 0
	s_lshl_b64 s[0:1], s[0:1], 3
	s_wait_kmcnt 0x0
	v_add3_u32 v8, s11, s11, v0
	s_ashr_i32 s5, s10, 31
	s_mov_b32 s4, s10
	s_add_nc_u64 s[0:1], s[8:9], s[0:1]
	s_lshl_b64 s[4:5], s[4:5], 3
	v_add_nc_u32_e32 v10, s11, v8
	v_lshlrev_b32_e32 v2, 3, v0
	s_add_nc_u64 s[4:5], s[0:1], s[4:5]
	s_ashr_i32 s1, s11, 31
	s_mov_b32 s0, s11
	v_add_nc_u32_e32 v12, s11, v10
	v_add_nc_u64_e32 v[6:7], s[4:5], v[2:3]
	s_bitcmp0_b32 s14, 0
	s_delay_alu instid0(VALU_DEP_2) | instskip(NEXT) | instid1(VALU_DEP_2)
	v_add_nc_u32_e32 v14, s11, v12
	v_lshl_add_u64 v[4:5], s[0:1], 3, v[6:7]
	s_mov_b32 s1, -1
	s_delay_alu instid0(VALU_DEP_2) | instskip(SKIP_4) | instid1(VALU_DEP_1)
	v_add_nc_u32_e32 v16, s11, v14
	s_clause 0x1
	global_load_b64 v[72:73], v0, s[4:5] scale_offset
	global_load_b64 v[74:75], v[4:5], off
	v_add_nc_u32_e32 v18, s11, v16
	v_add_nc_u32_e32 v20, s11, v18
	s_clause 0x3
	global_load_b64 v[76:77], v8, s[4:5] scale_offset
	global_load_b64 v[78:79], v10, s[4:5] scale_offset
	;; [unrolled: 1-line block ×4, first 2 shown]
	v_add_nc_u32_e32 v22, s11, v20
	s_delay_alu instid0(VALU_DEP_1)
	v_add_nc_u32_e32 v24, s11, v22
	s_clause 0x3
	global_load_b64 v[84:85], v16, s[4:5] scale_offset
	global_load_b64 v[86:87], v18, s[4:5] scale_offset
	;; [unrolled: 1-line block ×4, first 2 shown]
	v_add_nc_u32_e32 v26, s11, v24
	s_delay_alu instid0(VALU_DEP_1) | instskip(NEXT) | instid1(VALU_DEP_1)
	v_add_nc_u32_e32 v28, s11, v26
	v_add_nc_u32_e32 v30, s11, v28
	s_delay_alu instid0(VALU_DEP_1) | instskip(SKIP_4) | instid1(VALU_DEP_1)
	v_add_nc_u32_e32 v32, s11, v30
	s_clause 0x1
	global_load_b64 v[92:93], v24, s[4:5] scale_offset
	global_load_b64 v[94:95], v26, s[4:5] scale_offset
	v_add_nc_u32_e32 v34, s11, v32
	v_add_nc_u32_e32 v36, s11, v34
	s_clause 0x3
	global_load_b64 v[96:97], v28, s[4:5] scale_offset
	global_load_b64 v[98:99], v30, s[4:5] scale_offset
	;; [unrolled: 1-line block ×4, first 2 shown]
	v_add_nc_u32_e32 v38, s11, v36
	s_delay_alu instid0(VALU_DEP_1) | instskip(NEXT) | instid1(VALU_DEP_1)
	v_add_nc_u32_e32 v40, s11, v38
	v_add_nc_u32_e32 v42, s11, v40
	s_delay_alu instid0(VALU_DEP_1) | instskip(SKIP_4) | instid1(VALU_DEP_1)
	v_add_nc_u32_e32 v44, s11, v42
	s_clause 0x1
	global_load_b64 v[104:105], v36, s[4:5] scale_offset
	global_load_b64 v[106:107], v38, s[4:5] scale_offset
	v_add_nc_u32_e32 v46, s11, v44
	v_add_nc_u32_e32 v48, s11, v46
	s_clause 0x3
	global_load_b64 v[108:109], v40, s[4:5] scale_offset
	global_load_b64 v[110:111], v42, s[4:5] scale_offset
	;; [unrolled: 1-line block ×4, first 2 shown]
	v_add_nc_u32_e32 v50, s11, v48
	s_delay_alu instid0(VALU_DEP_1) | instskip(NEXT) | instid1(VALU_DEP_1)
	v_add_nc_u32_e32 v52, s11, v50
	v_add_nc_u32_e32 v54, s11, v52
	s_delay_alu instid0(VALU_DEP_1) | instskip(NEXT) | instid1(VALU_DEP_1)
	v_add_nc_u32_e32 v56, s11, v54
	v_add_nc_u32_e32 v58, s11, v56
	s_delay_alu instid0(VALU_DEP_1)
	v_add_nc_u32_e32 v60, s11, v58
	s_clause 0x3
	global_load_b64 v[116:117], v48, s[4:5] scale_offset
	global_load_b64 v[118:119], v50, s[4:5] scale_offset
	;; [unrolled: 1-line block ×4, first 2 shown]
	s_wait_loadcnt 0x18
	scratch_store_b128 off, v[72:75], off
	s_wait_loadcnt 0x16
	scratch_store_b128 off, v[76:79], off offset:16
	v_add_nc_u32_e32 v62, s11, v60
	s_delay_alu instid0(VALU_DEP_1) | instskip(NEXT) | instid1(VALU_DEP_1)
	v_add_nc_u32_e32 v64, s11, v62
	v_add_nc_u32_e32 v66, s11, v64
	s_delay_alu instid0(VALU_DEP_1)
	v_add_nc_u32_e32 v68, s11, v66
	s_clause 0x3
	global_load_b64 v[124:125], v56, s[4:5] scale_offset
	global_load_b64 v[126:127], v58, s[4:5] scale_offset
	;; [unrolled: 1-line block ×4, first 2 shown]
	s_wait_loadcnt 0x18
	scratch_store_b128 off, v[80:83], off offset:32
	s_wait_loadcnt 0x16
	scratch_store_b128 off, v[84:87], off offset:48
	;; [unrolled: 2-line block ×3, first 2 shown]
	v_add_nc_u32_e32 v70, s11, v68
	s_wait_xcnt 0x8
	s_delay_alu instid0(VALU_DEP_1)
	v_add_nc_u32_e32 v72, s11, v70
	s_clause 0x3
	global_load_b64 v[132:133], v64, s[4:5] scale_offset
	global_load_b64 v[134:135], v66, s[4:5] scale_offset
	;; [unrolled: 1-line block ×4, first 2 shown]
	v_add_nc_u32_e32 v74, s11, v72
	s_wait_loadcnt 0x16
	scratch_store_b128 off, v[92:95], off offset:80
	s_wait_xcnt 0xc
	v_add_nc_u32_e32 v76, s11, v74
	s_delay_alu instid0(VALU_DEP_1) | instskip(SKIP_1) | instid1(VALU_DEP_1)
	v_add_nc_u32_e32 v78, s11, v76
	s_wait_xcnt 0x7
	v_add_nc_u32_e32 v80, s11, v78
	s_clause 0x1
	global_load_b64 v[140:141], v72, s[4:5] scale_offset
	global_load_b64 v[142:143], v74, s[4:5] scale_offset
	s_wait_loadcnt 0x16
	scratch_store_b128 off, v[96:99], off offset:96
	s_wait_loadcnt 0x14
	scratch_store_b128 off, v[100:103], off offset:112
	v_add_nc_u32_e32 v82, s11, v80
	s_wait_xcnt 0xa
	s_delay_alu instid0(VALU_DEP_1) | instskip(NEXT) | instid1(VALU_DEP_1)
	v_add_nc_u32_e32 v84, s11, v82
	v_add_nc_u32_e32 v86, s11, v84
	s_wait_loadcnt 0x12
	scratch_store_b128 off, v[104:107], off offset:128
	s_wait_xcnt 0xa
	v_add_nc_u32_e32 v88, s11, v86
	s_delay_alu instid0(VALU_DEP_1)
	v_add_nc_u32_e32 v90, s11, v88
	s_wait_loadcnt 0x10
	scratch_store_b128 off, v[108:111], off offset:144
	s_wait_loadcnt 0xe
	scratch_store_b128 off, v[112:115], off offset:160
	s_wait_xcnt 0x7
	v_add_nc_u32_e32 v92, s11, v90
	s_delay_alu instid0(VALU_DEP_1) | instskip(SKIP_1) | instid1(VALU_DEP_1)
	v_add_nc_u32_e32 v94, s11, v92
	s_wait_xcnt 0x4
	v_add_nc_u32_e32 v96, s11, v94
	s_delay_alu instid0(VALU_DEP_1)
	v_add_nc_u32_e32 v98, s11, v96
	s_wait_loadcnt 0xc
	scratch_store_b128 off, v[116:119], off offset:176
	s_clause 0x1
	global_load_b64 v[100:101], v76, s[4:5] scale_offset
	global_load_b64 v[102:103], v78, s[4:5] scale_offset
	s_wait_loadcnt 0xc
	scratch_store_b128 off, v[120:123], off offset:192
	s_wait_loadcnt 0xa
	scratch_store_b128 off, v[124:127], off offset:208
	;; [unrolled: 2-line block ×3, first 2 shown]
	s_clause 0x3
	global_load_b64 v[104:105], v80, s[4:5] scale_offset
	global_load_b64 v[106:107], v82, s[4:5] scale_offset
	;; [unrolled: 1-line block ×4, first 2 shown]
	s_wait_loadcnt 0xa
	scratch_store_b128 off, v[132:135], off offset:240
	s_wait_loadcnt 0x8
	scratch_store_b128 off, v[136:139], off offset:256
	s_clause 0x3
	global_load_b64 v[112:113], v88, s[4:5] scale_offset
	global_load_b64 v[114:115], v90, s[4:5] scale_offset
	;; [unrolled: 1-line block ×4, first 2 shown]
	s_wait_loadcnt 0xa
	scratch_store_b128 off, v[140:143], off offset:272
	s_clause 0x1
	global_load_b64 v[120:121], v96, s[4:5] scale_offset
	global_load_b64 v[122:123], v98, s[4:5] scale_offset
	s_wait_loadcnt 0xa
	scratch_store_b128 off, v[100:103], off offset:288
	s_wait_loadcnt 0x8
	scratch_store_b128 off, v[104:107], off offset:304
	;; [unrolled: 2-line block ×6, first 2 shown]
	s_cbranch_scc1 .LBB47_200
; %bb.4:
	v_cmp_eq_u32_e64 s0, 0, v0
	s_wait_xcnt 0x0
	s_and_saveexec_b32 s1, s0
; %bb.5:
	v_mov_b32_e32 v1, 0
	ds_store_b32 v1, v1 offset:768
; %bb.6:
	s_or_b32 exec_lo, exec_lo, s1
	s_wait_storecnt_dscnt 0x0
	s_barrier_signal -1
	s_barrier_wait -1
	scratch_load_b64 v[100:101], v0, off scale_offset
	s_mov_b32 s8, exec_lo
	s_wait_loadcnt 0x0
	v_cmpx_eq_f64_e32 0, v[100:101]
	s_cbranch_execz .LBB47_10
; %bb.7:
	v_mov_b32_e32 v1, 0
	s_mov_b32 s9, 0
	ds_load_b32 v3, v1 offset:768
	s_wait_dscnt 0x0
	v_readfirstlane_b32 s1, v3
	v_add_nc_u32_e32 v3, 1, v0
	s_cmp_eq_u32 s1, 0
	s_delay_alu instid0(VALU_DEP_1) | instskip(SKIP_1) | instid1(SALU_CYCLE_1)
	v_cmp_gt_i32_e32 vcc_lo, s1, v3
	s_cselect_b32 s10, -1, 0
	s_or_b32 s10, s10, vcc_lo
	s_delay_alu instid0(SALU_CYCLE_1)
	s_and_b32 exec_lo, exec_lo, s10
	s_cbranch_execz .LBB47_10
; %bb.8:
	v_mov_b32_e32 v9, s1
.LBB47_9:                               ; =>This Inner Loop Header: Depth=1
	ds_cmpstore_rtn_b32 v9, v1, v3, v9 offset:768
	s_wait_dscnt 0x0
	v_cmp_ne_u32_e32 vcc_lo, 0, v9
	v_cmp_le_i32_e64 s1, v9, v3
	s_and_b32 s1, vcc_lo, s1
	s_delay_alu instid0(SALU_CYCLE_1) | instskip(NEXT) | instid1(SALU_CYCLE_1)
	s_and_b32 s1, exec_lo, s1
	s_or_b32 s9, s1, s9
	s_delay_alu instid0(SALU_CYCLE_1)
	s_and_not1_b32 exec_lo, exec_lo, s9
	s_cbranch_execnz .LBB47_9
.LBB47_10:
	s_or_b32 exec_lo, exec_lo, s8
	v_mov_b32_e32 v1, 0
	s_barrier_signal -1
	s_barrier_wait -1
	ds_load_b32 v3, v1 offset:768
	s_and_saveexec_b32 s1, s0
	s_cbranch_execz .LBB47_12
; %bb.11:
	s_lshl_b64 s[8:9], s[16:17], 2
	s_delay_alu instid0(SALU_CYCLE_1)
	s_add_nc_u64 s[8:9], s[6:7], s[8:9]
	s_wait_dscnt 0x0
	global_store_b32 v1, v3, s[8:9]
.LBB47_12:
	s_wait_xcnt 0x0
	s_or_b32 exec_lo, exec_lo, s1
	s_wait_dscnt 0x0
	v_cmp_ne_u32_e32 vcc_lo, 0, v3
	s_mov_b32 s1, 0
	s_cbranch_vccnz .LBB47_200
; %bb.13:
	v_lshl_add_u32 v3, v0, 3, 0
	v_add_nc_u32_e32 v1, 0x180, v2
	scratch_load_b64 v[100:101], v3, off
	s_wait_loadcnt 0x0
	v_div_scale_f64 v[102:103], null, v[100:101], v[100:101], 1.0
	v_div_scale_f64 v[108:109], vcc_lo, 1.0, v[100:101], 1.0
	s_delay_alu instid0(VALU_DEP_2) | instskip(SKIP_1) | instid1(TRANS32_DEP_1)
	v_rcp_f64_e32 v[104:105], v[102:103]
	v_nop
	v_fma_f64 v[106:107], -v[102:103], v[104:105], 1.0
	s_delay_alu instid0(VALU_DEP_1) | instskip(NEXT) | instid1(VALU_DEP_1)
	v_fmac_f64_e32 v[104:105], v[104:105], v[106:107]
	v_fma_f64 v[106:107], -v[102:103], v[104:105], 1.0
	s_delay_alu instid0(VALU_DEP_1) | instskip(NEXT) | instid1(VALU_DEP_1)
	v_fmac_f64_e32 v[104:105], v[104:105], v[106:107]
	v_mul_f64_e32 v[106:107], v[108:109], v[104:105]
	s_delay_alu instid0(VALU_DEP_1) | instskip(NEXT) | instid1(VALU_DEP_1)
	v_fma_f64 v[102:103], -v[102:103], v[106:107], v[108:109]
	v_div_fmas_f64 v[102:103], v[102:103], v[104:105], v[106:107]
	s_delay_alu instid0(VALU_DEP_1)
	v_div_fixup_f64 v[100:101], v[102:103], v[100:101], 1.0
	scratch_store_b64 v3, v[100:101], off
	scratch_load_b64 v[102:103], off, off offset:8
	s_wait_xcnt 0x1
	v_xor_b32_e32 v101, 0x80000000, v101
	s_wait_loadcnt 0x0
	ds_store_2addr_b64 v2, v[100:101], v[102:103] offset1:48
	s_wait_storecnt_dscnt 0x0
	s_barrier_signal -1
	s_barrier_wait -1
	s_wait_xcnt 0x0
	s_and_saveexec_b32 s1, s0
	s_cbranch_execz .LBB47_15
; %bb.14:
	scratch_load_b64 v[100:101], v3, off
	ds_load_b64 v[102:103], v1
	s_wait_loadcnt_dscnt 0x0
	v_fma_f64 v[100:101], v[100:101], v[102:103], 0
	v_mov_b32_e32 v9, 0
	ds_load_b64 v[104:105], v9 offset:8
	s_wait_dscnt 0x0
	v_mul_f64_e32 v[100:101], v[100:101], v[104:105]
	scratch_store_b64 off, v[100:101], off offset:8
.LBB47_15:
	s_wait_xcnt 0x0
	s_or_b32 exec_lo, exec_lo, s1
	s_wait_storecnt 0x0
	s_barrier_signal -1
	s_barrier_wait -1
	scratch_load_b64 v[100:101], off, off offset:16
	s_mov_b32 s1, exec_lo
	s_wait_loadcnt 0x0
	ds_store_b64 v1, v[100:101]
	s_wait_dscnt 0x0
	s_barrier_signal -1
	s_barrier_wait -1
	v_cmpx_gt_u32_e32 2, v0
	s_cbranch_execz .LBB47_19
; %bb.16:
	scratch_load_b64 v[100:101], v3, off
	ds_load_b64 v[102:103], v1
	s_wait_loadcnt_dscnt 0x0
	v_fma_f64 v[100:101], v[100:101], v[102:103], 0
	s_and_saveexec_b32 s8, s0
	s_cbranch_execz .LBB47_18
; %bb.17:
	scratch_load_b64 v[102:103], off, off offset:8
	v_mov_b32_e32 v3, 0
	ds_load_b64 v[104:105], v3 offset:392
	s_wait_loadcnt_dscnt 0x0
	v_fmac_f64_e32 v[100:101], v[102:103], v[104:105]
.LBB47_18:
	s_or_b32 exec_lo, exec_lo, s8
	v_mov_b32_e32 v3, 0
	ds_load_b64 v[102:103], v3 offset:16
	s_wait_dscnt 0x0
	v_mul_f64_e32 v[100:101], v[100:101], v[102:103]
	scratch_store_b64 off, v[100:101], off offset:16
.LBB47_19:
	s_wait_xcnt 0x0
	s_or_b32 exec_lo, exec_lo, s1
	s_wait_storecnt 0x0
	s_barrier_signal -1
	s_barrier_wait -1
	scratch_load_b64 v[100:101], off, off offset:24
	v_add_nc_u32_e32 v3, -1, v0
	s_mov_b32 s0, exec_lo
	s_wait_loadcnt 0x0
	ds_store_b64 v1, v[100:101]
	s_wait_dscnt 0x0
	s_barrier_signal -1
	s_barrier_wait -1
	v_cmpx_gt_u32_e32 3, v0
	s_cbranch_execz .LBB47_23
; %bb.20:
	v_mov_b64_e32 v[100:101], 0
	v_dual_add_nc_u32 v9, -1, v0 :: v_dual_mov_b32 v13, v2
	v_add_nc_u32_e32 v11, 0x180, v2
	s_mov_b32 s1, 0
.LBB47_21:                              ; =>This Inner Loop Header: Depth=1
	scratch_load_b64 v[102:103], v13, off
	ds_load_b64 v[104:105], v11
	v_dual_add_nc_u32 v9, 1, v9 :: v_dual_add_nc_u32 v11, 8, v11
	s_wait_xcnt 0x0
	v_add_nc_u32_e32 v13, 8, v13
	s_delay_alu instid0(VALU_DEP_2)
	v_cmp_lt_u32_e32 vcc_lo, 1, v9
	s_or_b32 s1, vcc_lo, s1
	s_wait_loadcnt_dscnt 0x0
	v_fmac_f64_e32 v[100:101], v[102:103], v[104:105]
	s_and_not1_b32 exec_lo, exec_lo, s1
	s_cbranch_execnz .LBB47_21
; %bb.22:
	s_or_b32 exec_lo, exec_lo, s1
	v_mov_b32_e32 v9, 0
	ds_load_b64 v[102:103], v9 offset:24
	s_wait_dscnt 0x0
	v_mul_f64_e32 v[100:101], v[100:101], v[102:103]
	scratch_store_b64 off, v[100:101], off offset:24
.LBB47_23:
	s_wait_xcnt 0x0
	s_or_b32 exec_lo, exec_lo, s0
	s_wait_storecnt 0x0
	s_barrier_signal -1
	s_barrier_wait -1
	scratch_load_b64 v[100:101], off, off offset:32
	s_mov_b32 s0, exec_lo
	s_wait_loadcnt 0x0
	ds_store_b64 v1, v[100:101]
	s_wait_dscnt 0x0
	s_barrier_signal -1
	s_barrier_wait -1
	v_cmpx_gt_u32_e32 4, v0
	s_cbranch_execz .LBB47_27
; %bb.24:
	v_mov_b64_e32 v[100:101], 0
	v_dual_add_nc_u32 v9, -1, v0 :: v_dual_mov_b32 v13, v2
	v_add_nc_u32_e32 v11, 0x180, v2
	s_mov_b32 s1, 0
.LBB47_25:                              ; =>This Inner Loop Header: Depth=1
	scratch_load_b64 v[102:103], v13, off
	ds_load_b64 v[104:105], v11
	v_dual_add_nc_u32 v9, 1, v9 :: v_dual_add_nc_u32 v11, 8, v11
	s_wait_xcnt 0x0
	v_add_nc_u32_e32 v13, 8, v13
	s_delay_alu instid0(VALU_DEP_2)
	v_cmp_lt_u32_e32 vcc_lo, 2, v9
	s_or_b32 s1, vcc_lo, s1
	s_wait_loadcnt_dscnt 0x0
	v_fmac_f64_e32 v[100:101], v[102:103], v[104:105]
	s_and_not1_b32 exec_lo, exec_lo, s1
	s_cbranch_execnz .LBB47_25
; %bb.26:
	s_or_b32 exec_lo, exec_lo, s1
	v_mov_b32_e32 v9, 0
	ds_load_b64 v[102:103], v9 offset:32
	s_wait_dscnt 0x0
	v_mul_f64_e32 v[100:101], v[100:101], v[102:103]
	scratch_store_b64 off, v[100:101], off offset:32
.LBB47_27:
	s_wait_xcnt 0x0
	s_or_b32 exec_lo, exec_lo, s0
	s_wait_storecnt 0x0
	s_barrier_signal -1
	s_barrier_wait -1
	scratch_load_b64 v[100:101], off, off offset:40
	;; [unrolled: 40-line block ×20, first 2 shown]
	s_mov_b32 s0, exec_lo
	s_wait_loadcnt 0x0
	ds_store_b64 v1, v[100:101]
	s_wait_dscnt 0x0
	s_barrier_signal -1
	s_barrier_wait -1
	v_cmpx_gt_u32_e32 23, v0
	s_cbranch_execz .LBB47_103
; %bb.100:
	v_mov_b64_e32 v[100:101], 0
	v_dual_add_nc_u32 v9, -1, v0 :: v_dual_mov_b32 v13, v2
	v_add_nc_u32_e32 v11, 0x180, v2
	s_mov_b32 s1, 0
.LBB47_101:                             ; =>This Inner Loop Header: Depth=1
	scratch_load_b64 v[102:103], v13, off
	ds_load_b64 v[104:105], v11
	v_dual_add_nc_u32 v9, 1, v9 :: v_dual_add_nc_u32 v11, 8, v11
	s_wait_xcnt 0x0
	v_add_nc_u32_e32 v13, 8, v13
	s_delay_alu instid0(VALU_DEP_2)
	v_cmp_lt_u32_e32 vcc_lo, 21, v9
	s_or_b32 s1, vcc_lo, s1
	s_wait_loadcnt_dscnt 0x0
	v_fmac_f64_e32 v[100:101], v[102:103], v[104:105]
	s_and_not1_b32 exec_lo, exec_lo, s1
	s_cbranch_execnz .LBB47_101
; %bb.102:
	s_or_b32 exec_lo, exec_lo, s1
	v_mov_b32_e32 v9, 0
	ds_load_b64 v[102:103], v9 offset:184
	s_wait_dscnt 0x0
	v_mul_f64_e32 v[100:101], v[100:101], v[102:103]
	scratch_store_b64 off, v[100:101], off offset:184
.LBB47_103:
	s_wait_xcnt 0x0
	s_or_b32 exec_lo, exec_lo, s0
	s_wait_storecnt 0x0
	s_barrier_signal -1
	s_barrier_wait -1
	scratch_load_b64 v[100:101], off, off offset:192
	s_mov_b32 s0, exec_lo
	s_wait_loadcnt 0x0
	ds_store_b64 v1, v[100:101]
	s_wait_dscnt 0x0
	s_barrier_signal -1
	s_barrier_wait -1
	v_cmpx_gt_u32_e32 24, v0
	s_cbranch_execz .LBB47_107
; %bb.104:
	v_mov_b64_e32 v[100:101], 0
	v_dual_add_nc_u32 v9, -1, v0 :: v_dual_mov_b32 v13, v2
	v_add_nc_u32_e32 v11, 0x180, v2
	s_mov_b32 s1, 0
.LBB47_105:                             ; =>This Inner Loop Header: Depth=1
	scratch_load_b64 v[102:103], v13, off
	ds_load_b64 v[104:105], v11
	v_dual_add_nc_u32 v9, 1, v9 :: v_dual_add_nc_u32 v11, 8, v11
	s_wait_xcnt 0x0
	v_add_nc_u32_e32 v13, 8, v13
	s_delay_alu instid0(VALU_DEP_2)
	v_cmp_lt_u32_e32 vcc_lo, 22, v9
	s_or_b32 s1, vcc_lo, s1
	s_wait_loadcnt_dscnt 0x0
	v_fmac_f64_e32 v[100:101], v[102:103], v[104:105]
	s_and_not1_b32 exec_lo, exec_lo, s1
	s_cbranch_execnz .LBB47_105
; %bb.106:
	s_or_b32 exec_lo, exec_lo, s1
	v_mov_b32_e32 v9, 0
	ds_load_b64 v[102:103], v9 offset:192
	s_wait_dscnt 0x0
	v_mul_f64_e32 v[100:101], v[100:101], v[102:103]
	scratch_store_b64 off, v[100:101], off offset:192
.LBB47_107:
	s_wait_xcnt 0x0
	s_or_b32 exec_lo, exec_lo, s0
	s_wait_storecnt 0x0
	s_barrier_signal -1
	s_barrier_wait -1
	scratch_load_b64 v[100:101], off, off offset:200
	;; [unrolled: 40-line block ×24, first 2 shown]
	s_mov_b32 s0, exec_lo
	s_wait_loadcnt 0x0
	ds_store_b64 v1, v[100:101]
	s_wait_dscnt 0x0
	s_barrier_signal -1
	s_barrier_wait -1
	v_cmpx_ne_u32_e32 47, v0
	s_cbranch_execz .LBB47_199
; %bb.196:
	v_mov_b64_e32 v[100:101], 0
	s_mov_b32 s1, 0
.LBB47_197:                             ; =>This Inner Loop Header: Depth=1
	scratch_load_b64 v[102:103], v2, off
	ds_load_b64 v[104:105], v1
	v_dual_add_nc_u32 v3, 1, v3 :: v_dual_add_nc_u32 v1, 8, v1
	s_wait_xcnt 0x0
	v_add_nc_u32_e32 v2, 8, v2
	s_delay_alu instid0(VALU_DEP_2)
	v_cmp_lt_u32_e32 vcc_lo, 45, v3
	s_or_b32 s1, vcc_lo, s1
	s_wait_loadcnt_dscnt 0x0
	v_fmac_f64_e32 v[100:101], v[102:103], v[104:105]
	s_and_not1_b32 exec_lo, exec_lo, s1
	s_cbranch_execnz .LBB47_197
; %bb.198:
	s_or_b32 exec_lo, exec_lo, s1
	v_mov_b32_e32 v1, 0
	ds_load_b64 v[2:3], v1 offset:376
	s_wait_dscnt 0x0
	v_mul_f64_e32 v[2:3], v[100:101], v[2:3]
	scratch_store_b64 off, v[2:3], off offset:376
.LBB47_199:
	s_wait_xcnt 0x0
	s_or_b32 exec_lo, exec_lo, s0
	s_mov_b32 s1, -1
	s_wait_storecnt 0x0
	s_barrier_signal -1
	s_barrier_wait -1
.LBB47_200:
	s_and_b32 vcc_lo, exec_lo, s1
	s_cbranch_vccz .LBB47_202
; %bb.201:
	v_mov_b32_e32 v1, 0
	s_lshl_b64 s[0:1], s[16:17], 2
	s_delay_alu instid0(SALU_CYCLE_1)
	s_add_nc_u64 s[0:1], s[6:7], s[0:1]
	global_load_b32 v1, v1, s[0:1]
	s_wait_loadcnt 0x0
	v_cmp_ne_u32_e32 vcc_lo, 0, v1
	s_cbranch_vccz .LBB47_203
.LBB47_202:
	s_sendmsg sendmsg(MSG_DEALLOC_VGPRS)
	s_endpgm
.LBB47_203:
	s_wait_xcnt 0x0
	v_lshl_add_u32 v1, v0, 3, 0x180
	s_mov_b32 s0, exec_lo
	v_cmpx_eq_u32_e32 47, v0
	s_cbranch_execz .LBB47_205
; %bb.204:
	scratch_load_b64 v[2:3], off, off offset:368
	v_mov_b64_e32 v[100:101], 0
	scratch_store_b64 off, v[100:101], off offset:368
	s_wait_loadcnt 0x0
	ds_store_b64 v1, v[2:3]
.LBB47_205:
	s_wait_xcnt 0x0
	s_or_b32 exec_lo, exec_lo, s0
	s_wait_storecnt_dscnt 0x0
	s_barrier_signal -1
	s_barrier_wait -1
	scratch_load_b128 v[100:103], off, off offset:368
	v_mov_b32_e32 v2, 0
	s_mov_b32 s0, exec_lo
	ds_load_b64 v[104:105], v2 offset:760
	s_wait_loadcnt_dscnt 0x0
	v_fma_f64 v[102:103], v[102:103], v[104:105], 0
	s_delay_alu instid0(VALU_DEP_1)
	v_add_f64_e64 v[100:101], v[100:101], -v[102:103]
	scratch_store_b64 off, v[100:101], off offset:368
	s_wait_xcnt 0x0
	v_cmpx_lt_u32_e32 45, v0
	s_cbranch_execz .LBB47_207
; %bb.206:
	scratch_load_b64 v[100:101], off, off offset:360
	v_mov_b64_e32 v[102:103], 0
	scratch_store_b64 off, v[102:103], off offset:360
	s_wait_loadcnt 0x0
	ds_store_b64 v1, v[100:101]
.LBB47_207:
	s_wait_xcnt 0x0
	s_or_b32 exec_lo, exec_lo, s0
	s_wait_storecnt_dscnt 0x0
	s_barrier_signal -1
	s_barrier_wait -1
	s_clause 0x1
	scratch_load_b128 v[100:103], off, off offset:360
	scratch_load_b64 v[108:109], off, off offset:376
	ds_load_b128 v[104:107], v2 offset:752
	s_mov_b32 s0, exec_lo
	s_wait_loadcnt_dscnt 0x100
	v_fma_f64 v[2:3], v[102:103], v[104:105], 0
	s_wait_loadcnt 0x0
	s_delay_alu instid0(VALU_DEP_1) | instskip(NEXT) | instid1(VALU_DEP_1)
	v_fmac_f64_e32 v[2:3], v[108:109], v[106:107]
	v_add_f64_e64 v[2:3], v[100:101], -v[2:3]
	scratch_store_b64 off, v[2:3], off offset:360
	s_wait_xcnt 0x0
	v_cmpx_lt_u32_e32 44, v0
	s_cbranch_execz .LBB47_209
; %bb.208:
	scratch_load_b64 v[2:3], off, off offset:352
	v_mov_b64_e32 v[100:101], 0
	scratch_store_b64 off, v[100:101], off offset:352
	s_wait_loadcnt 0x0
	ds_store_b64 v1, v[2:3]
.LBB47_209:
	s_wait_xcnt 0x0
	s_or_b32 exec_lo, exec_lo, s0
	s_wait_storecnt_dscnt 0x0
	s_barrier_signal -1
	s_barrier_wait -1
	s_clause 0x1
	scratch_load_b128 v[100:103], off, off offset:352
	scratch_load_b128 v[104:107], off, off offset:368
	v_mov_b32_e32 v2, 0
	ds_load_2addr_b64 v[108:111], v2 offset0:93 offset1:94
	ds_load_b64 v[112:113], v2 offset:760
	s_mov_b32 s0, exec_lo
	s_wait_loadcnt_dscnt 0x101
	v_fma_f64 v[102:103], v[102:103], v[108:109], 0
	s_wait_loadcnt 0x0
	s_delay_alu instid0(VALU_DEP_1) | instskip(SKIP_1) | instid1(VALU_DEP_1)
	v_fmac_f64_e32 v[102:103], v[104:105], v[110:111]
	s_wait_dscnt 0x0
	v_fmac_f64_e32 v[102:103], v[106:107], v[112:113]
	s_delay_alu instid0(VALU_DEP_1)
	v_add_f64_e64 v[100:101], v[100:101], -v[102:103]
	scratch_store_b64 off, v[100:101], off offset:352
	s_wait_xcnt 0x0
	v_cmpx_lt_u32_e32 43, v0
	s_cbranch_execz .LBB47_211
; %bb.210:
	scratch_load_b64 v[100:101], off, off offset:344
	v_mov_b64_e32 v[102:103], 0
	scratch_store_b64 off, v[102:103], off offset:344
	s_wait_loadcnt 0x0
	ds_store_b64 v1, v[100:101]
.LBB47_211:
	s_wait_xcnt 0x0
	s_or_b32 exec_lo, exec_lo, s0
	s_wait_storecnt_dscnt 0x0
	s_barrier_signal -1
	s_barrier_wait -1
	s_clause 0x2
	scratch_load_b128 v[100:103], off, off offset:344
	scratch_load_b128 v[104:107], off, off offset:360
	scratch_load_b64 v[116:117], off, off offset:376
	ds_load_b128 v[108:111], v2 offset:736
	ds_load_b128 v[112:115], v2 offset:752
	s_mov_b32 s0, exec_lo
	s_wait_loadcnt_dscnt 0x201
	v_fma_f64 v[2:3], v[102:103], v[108:109], 0
	s_wait_loadcnt 0x1
	s_delay_alu instid0(VALU_DEP_1) | instskip(SKIP_1) | instid1(VALU_DEP_1)
	v_fmac_f64_e32 v[2:3], v[104:105], v[110:111]
	s_wait_dscnt 0x0
	v_fmac_f64_e32 v[2:3], v[106:107], v[112:113]
	s_wait_loadcnt 0x0
	s_delay_alu instid0(VALU_DEP_1) | instskip(NEXT) | instid1(VALU_DEP_1)
	v_fmac_f64_e32 v[2:3], v[116:117], v[114:115]
	v_add_f64_e64 v[2:3], v[100:101], -v[2:3]
	scratch_store_b64 off, v[2:3], off offset:344
	s_wait_xcnt 0x0
	v_cmpx_lt_u32_e32 42, v0
	s_cbranch_execz .LBB47_213
; %bb.212:
	scratch_load_b64 v[2:3], off, off offset:336
	v_mov_b64_e32 v[100:101], 0
	scratch_store_b64 off, v[100:101], off offset:336
	s_wait_loadcnt 0x0
	ds_store_b64 v1, v[2:3]
.LBB47_213:
	s_wait_xcnt 0x0
	s_or_b32 exec_lo, exec_lo, s0
	s_wait_storecnt_dscnt 0x0
	s_barrier_signal -1
	s_barrier_wait -1
	s_clause 0x2
	scratch_load_b128 v[100:103], off, off offset:336
	scratch_load_b128 v[104:107], off, off offset:352
	;; [unrolled: 1-line block ×3, first 2 shown]
	v_mov_b32_e32 v2, 0
	ds_load_2addr_b64 v[112:115], v2 offset0:91 offset1:92
	ds_load_2addr_b64 v[116:119], v2 offset0:93 offset1:94
	s_mov_b32 s0, exec_lo
	s_wait_loadcnt_dscnt 0x201
	v_fma_f64 v[102:103], v[102:103], v[112:113], 0
	s_wait_loadcnt 0x1
	s_delay_alu instid0(VALU_DEP_1) | instskip(SKIP_4) | instid1(VALU_DEP_1)
	v_fmac_f64_e32 v[102:103], v[104:105], v[114:115]
	ds_load_b64 v[104:105], v2 offset:760
	s_wait_dscnt 0x1
	v_fmac_f64_e32 v[102:103], v[106:107], v[116:117]
	s_wait_loadcnt 0x0
	v_fmac_f64_e32 v[102:103], v[108:109], v[118:119]
	s_wait_dscnt 0x0
	s_delay_alu instid0(VALU_DEP_1) | instskip(NEXT) | instid1(VALU_DEP_1)
	v_fmac_f64_e32 v[102:103], v[110:111], v[104:105]
	v_add_f64_e64 v[100:101], v[100:101], -v[102:103]
	scratch_store_b64 off, v[100:101], off offset:336
	s_wait_xcnt 0x0
	v_cmpx_lt_u32_e32 41, v0
	s_cbranch_execz .LBB47_215
; %bb.214:
	scratch_load_b64 v[100:101], off, off offset:328
	v_mov_b64_e32 v[102:103], 0
	scratch_store_b64 off, v[102:103], off offset:328
	s_wait_loadcnt 0x0
	ds_store_b64 v1, v[100:101]
.LBB47_215:
	s_wait_xcnt 0x0
	s_or_b32 exec_lo, exec_lo, s0
	s_wait_storecnt_dscnt 0x0
	s_barrier_signal -1
	s_barrier_wait -1
	s_clause 0x3
	scratch_load_b128 v[100:103], off, off offset:328
	scratch_load_b128 v[104:107], off, off offset:344
	;; [unrolled: 1-line block ×3, first 2 shown]
	scratch_load_b64 v[120:121], off, off offset:376
	ds_load_b128 v[112:115], v2 offset:720
	ds_load_b128 v[116:119], v2 offset:736
	s_mov_b32 s0, exec_lo
	s_wait_loadcnt_dscnt 0x301
	v_fma_f64 v[112:113], v[102:103], v[112:113], 0
	s_wait_loadcnt 0x2
	s_delay_alu instid0(VALU_DEP_1) | instskip(SKIP_4) | instid1(VALU_DEP_1)
	v_fmac_f64_e32 v[112:113], v[104:105], v[114:115]
	ds_load_b128 v[102:105], v2 offset:752
	s_wait_dscnt 0x1
	v_fmac_f64_e32 v[112:113], v[106:107], v[116:117]
	s_wait_loadcnt 0x1
	v_fmac_f64_e32 v[112:113], v[108:109], v[118:119]
	s_wait_dscnt 0x0
	s_delay_alu instid0(VALU_DEP_1) | instskip(SKIP_1) | instid1(VALU_DEP_1)
	v_fmac_f64_e32 v[112:113], v[110:111], v[102:103]
	s_wait_loadcnt 0x0
	v_fmac_f64_e32 v[112:113], v[120:121], v[104:105]
	s_delay_alu instid0(VALU_DEP_1)
	v_add_f64_e64 v[2:3], v[100:101], -v[112:113]
	scratch_store_b64 off, v[2:3], off offset:328
	s_wait_xcnt 0x0
	v_cmpx_lt_u32_e32 40, v0
	s_cbranch_execz .LBB47_217
; %bb.216:
	scratch_load_b64 v[2:3], off, off offset:320
	v_mov_b64_e32 v[100:101], 0
	scratch_store_b64 off, v[100:101], off offset:320
	s_wait_loadcnt 0x0
	ds_store_b64 v1, v[2:3]
.LBB47_217:
	s_wait_xcnt 0x0
	s_or_b32 exec_lo, exec_lo, s0
	s_wait_storecnt_dscnt 0x0
	s_barrier_signal -1
	s_barrier_wait -1
	s_clause 0x3
	scratch_load_b128 v[100:103], off, off offset:320
	scratch_load_b128 v[104:107], off, off offset:336
	;; [unrolled: 1-line block ×4, first 2 shown]
	v_mov_b32_e32 v2, 0
	ds_load_2addr_b64 v[116:119], v2 offset0:89 offset1:90
	ds_load_2addr_b64 v[120:123], v2 offset0:91 offset1:92
	s_mov_b32 s0, exec_lo
	s_wait_loadcnt_dscnt 0x301
	v_fma_f64 v[116:117], v[102:103], v[116:117], 0
	s_wait_loadcnt 0x2
	s_delay_alu instid0(VALU_DEP_1) | instskip(SKIP_1) | instid1(VALU_DEP_1)
	v_fmac_f64_e32 v[116:117], v[104:105], v[118:119]
	s_wait_dscnt 0x0
	v_fmac_f64_e32 v[116:117], v[106:107], v[120:121]
	ds_load_2addr_b64 v[102:105], v2 offset0:93 offset1:94
	ds_load_b64 v[106:107], v2 offset:760
	s_wait_loadcnt 0x1
	v_fmac_f64_e32 v[116:117], v[108:109], v[122:123]
	s_wait_dscnt 0x1
	s_delay_alu instid0(VALU_DEP_1) | instskip(SKIP_1) | instid1(VALU_DEP_1)
	v_fmac_f64_e32 v[116:117], v[110:111], v[102:103]
	s_wait_loadcnt 0x0
	v_fmac_f64_e32 v[116:117], v[112:113], v[104:105]
	s_wait_dscnt 0x0
	s_delay_alu instid0(VALU_DEP_1) | instskip(NEXT) | instid1(VALU_DEP_1)
	v_fmac_f64_e32 v[116:117], v[114:115], v[106:107]
	v_add_f64_e64 v[100:101], v[100:101], -v[116:117]
	scratch_store_b64 off, v[100:101], off offset:320
	s_wait_xcnt 0x0
	v_cmpx_lt_u32_e32 39, v0
	s_cbranch_execz .LBB47_219
; %bb.218:
	scratch_load_b64 v[100:101], off, off offset:312
	v_mov_b64_e32 v[102:103], 0
	scratch_store_b64 off, v[102:103], off offset:312
	s_wait_loadcnt 0x0
	ds_store_b64 v1, v[100:101]
.LBB47_219:
	s_wait_xcnt 0x0
	s_or_b32 exec_lo, exec_lo, s0
	s_wait_storecnt_dscnt 0x0
	s_barrier_signal -1
	s_barrier_wait -1
	s_clause 0x4
	scratch_load_b128 v[100:103], off, off offset:312
	scratch_load_b128 v[104:107], off, off offset:328
	;; [unrolled: 1-line block ×4, first 2 shown]
	scratch_load_b64 v[124:125], off, off offset:376
	ds_load_b128 v[116:119], v2 offset:704
	ds_load_b128 v[120:123], v2 offset:720
	s_mov_b32 s0, exec_lo
	s_wait_loadcnt_dscnt 0x401
	v_fma_f64 v[116:117], v[102:103], v[116:117], 0
	s_wait_loadcnt 0x3
	s_delay_alu instid0(VALU_DEP_1) | instskip(SKIP_1) | instid1(VALU_DEP_1)
	v_fmac_f64_e32 v[116:117], v[104:105], v[118:119]
	s_wait_dscnt 0x0
	v_fmac_f64_e32 v[116:117], v[106:107], v[120:121]
	s_wait_loadcnt 0x2
	s_delay_alu instid0(VALU_DEP_1)
	v_fmac_f64_e32 v[116:117], v[108:109], v[122:123]
	ds_load_b128 v[102:105], v2 offset:736
	ds_load_b128 v[106:109], v2 offset:752
	s_wait_dscnt 0x1
	v_fmac_f64_e32 v[116:117], v[110:111], v[102:103]
	s_wait_loadcnt 0x1
	s_delay_alu instid0(VALU_DEP_1) | instskip(SKIP_1) | instid1(VALU_DEP_1)
	v_fmac_f64_e32 v[116:117], v[112:113], v[104:105]
	s_wait_dscnt 0x0
	v_fmac_f64_e32 v[116:117], v[114:115], v[106:107]
	s_wait_loadcnt 0x0
	s_delay_alu instid0(VALU_DEP_1) | instskip(NEXT) | instid1(VALU_DEP_1)
	v_fmac_f64_e32 v[116:117], v[124:125], v[108:109]
	v_add_f64_e64 v[2:3], v[100:101], -v[116:117]
	scratch_store_b64 off, v[2:3], off offset:312
	s_wait_xcnt 0x0
	v_cmpx_lt_u32_e32 38, v0
	s_cbranch_execz .LBB47_221
; %bb.220:
	scratch_load_b64 v[2:3], off, off offset:304
	v_mov_b64_e32 v[100:101], 0
	scratch_store_b64 off, v[100:101], off offset:304
	s_wait_loadcnt 0x0
	ds_store_b64 v1, v[2:3]
.LBB47_221:
	s_wait_xcnt 0x0
	s_or_b32 exec_lo, exec_lo, s0
	s_wait_storecnt_dscnt 0x0
	s_barrier_signal -1
	s_barrier_wait -1
	s_clause 0x4
	scratch_load_b128 v[100:103], off, off offset:304
	scratch_load_b128 v[104:107], off, off offset:320
	scratch_load_b128 v[108:111], off, off offset:336
	scratch_load_b128 v[112:115], off, off offset:352
	scratch_load_b128 v[116:119], off, off offset:368
	v_mov_b32_e32 v2, 0
	ds_load_2addr_b64 v[120:123], v2 offset0:87 offset1:88
	ds_load_2addr_b64 v[124:127], v2 offset0:89 offset1:90
	s_mov_b32 s0, exec_lo
	s_wait_loadcnt_dscnt 0x401
	v_fma_f64 v[120:121], v[102:103], v[120:121], 0
	s_wait_loadcnt 0x3
	s_delay_alu instid0(VALU_DEP_1) | instskip(SKIP_1) | instid1(VALU_DEP_1)
	v_fmac_f64_e32 v[120:121], v[104:105], v[122:123]
	s_wait_dscnt 0x0
	v_fmac_f64_e32 v[120:121], v[106:107], v[124:125]
	s_wait_loadcnt 0x2
	s_delay_alu instid0(VALU_DEP_1)
	v_fmac_f64_e32 v[120:121], v[108:109], v[126:127]
	ds_load_2addr_b64 v[102:105], v2 offset0:91 offset1:92
	ds_load_2addr_b64 v[106:109], v2 offset0:93 offset1:94
	s_wait_dscnt 0x1
	v_fmac_f64_e32 v[120:121], v[110:111], v[102:103]
	ds_load_b64 v[102:103], v2 offset:760
	s_wait_loadcnt 0x1
	v_fmac_f64_e32 v[120:121], v[112:113], v[104:105]
	s_wait_dscnt 0x1
	s_delay_alu instid0(VALU_DEP_1) | instskip(SKIP_1) | instid1(VALU_DEP_1)
	v_fmac_f64_e32 v[120:121], v[114:115], v[106:107]
	s_wait_loadcnt 0x0
	v_fmac_f64_e32 v[120:121], v[116:117], v[108:109]
	s_wait_dscnt 0x0
	s_delay_alu instid0(VALU_DEP_1) | instskip(NEXT) | instid1(VALU_DEP_1)
	v_fmac_f64_e32 v[120:121], v[118:119], v[102:103]
	v_add_f64_e64 v[100:101], v[100:101], -v[120:121]
	scratch_store_b64 off, v[100:101], off offset:304
	s_wait_xcnt 0x0
	v_cmpx_lt_u32_e32 37, v0
	s_cbranch_execz .LBB47_223
; %bb.222:
	scratch_load_b64 v[100:101], off, off offset:296
	v_mov_b64_e32 v[102:103], 0
	scratch_store_b64 off, v[102:103], off offset:296
	s_wait_loadcnt 0x0
	ds_store_b64 v1, v[100:101]
.LBB47_223:
	s_wait_xcnt 0x0
	s_or_b32 exec_lo, exec_lo, s0
	s_wait_storecnt_dscnt 0x0
	s_barrier_signal -1
	s_barrier_wait -1
	s_clause 0x5
	scratch_load_b128 v[100:103], off, off offset:296
	scratch_load_b128 v[104:107], off, off offset:312
	;; [unrolled: 1-line block ×5, first 2 shown]
	scratch_load_b64 v[128:129], off, off offset:376
	ds_load_b128 v[120:123], v2 offset:688
	ds_load_b128 v[124:127], v2 offset:704
	s_mov_b32 s0, exec_lo
	s_wait_loadcnt_dscnt 0x501
	v_fma_f64 v[120:121], v[102:103], v[120:121], 0
	s_wait_loadcnt 0x4
	s_delay_alu instid0(VALU_DEP_1) | instskip(SKIP_1) | instid1(VALU_DEP_1)
	v_fmac_f64_e32 v[120:121], v[104:105], v[122:123]
	s_wait_dscnt 0x0
	v_fmac_f64_e32 v[120:121], v[106:107], v[124:125]
	s_wait_loadcnt 0x3
	s_delay_alu instid0(VALU_DEP_1)
	v_fmac_f64_e32 v[120:121], v[108:109], v[126:127]
	ds_load_b128 v[102:105], v2 offset:720
	ds_load_b128 v[106:109], v2 offset:736
	s_wait_dscnt 0x1
	v_fmac_f64_e32 v[120:121], v[110:111], v[102:103]
	s_wait_loadcnt 0x2
	s_delay_alu instid0(VALU_DEP_1) | instskip(SKIP_4) | instid1(VALU_DEP_1)
	v_fmac_f64_e32 v[120:121], v[112:113], v[104:105]
	ds_load_b128 v[102:105], v2 offset:752
	s_wait_dscnt 0x1
	v_fmac_f64_e32 v[120:121], v[114:115], v[106:107]
	s_wait_loadcnt 0x1
	v_fmac_f64_e32 v[120:121], v[116:117], v[108:109]
	s_wait_dscnt 0x0
	s_delay_alu instid0(VALU_DEP_1) | instskip(SKIP_1) | instid1(VALU_DEP_1)
	v_fmac_f64_e32 v[120:121], v[118:119], v[102:103]
	s_wait_loadcnt 0x0
	v_fmac_f64_e32 v[120:121], v[128:129], v[104:105]
	s_delay_alu instid0(VALU_DEP_1)
	v_add_f64_e64 v[2:3], v[100:101], -v[120:121]
	scratch_store_b64 off, v[2:3], off offset:296
	s_wait_xcnt 0x0
	v_cmpx_lt_u32_e32 36, v0
	s_cbranch_execz .LBB47_225
; %bb.224:
	scratch_load_b64 v[2:3], off, off offset:288
	v_mov_b64_e32 v[100:101], 0
	scratch_store_b64 off, v[100:101], off offset:288
	s_wait_loadcnt 0x0
	ds_store_b64 v1, v[2:3]
.LBB47_225:
	s_wait_xcnt 0x0
	s_or_b32 exec_lo, exec_lo, s0
	s_wait_storecnt_dscnt 0x0
	s_barrier_signal -1
	s_barrier_wait -1
	s_clause 0x5
	scratch_load_b128 v[100:103], off, off offset:288
	scratch_load_b128 v[104:107], off, off offset:304
	;; [unrolled: 1-line block ×6, first 2 shown]
	v_mov_b32_e32 v2, 0
	ds_load_2addr_b64 v[124:127], v2 offset0:85 offset1:86
	ds_load_2addr_b64 v[128:131], v2 offset0:87 offset1:88
	s_mov_b32 s0, exec_lo
	s_wait_loadcnt_dscnt 0x501
	v_fma_f64 v[124:125], v[102:103], v[124:125], 0
	s_wait_loadcnt 0x4
	s_delay_alu instid0(VALU_DEP_1) | instskip(SKIP_1) | instid1(VALU_DEP_1)
	v_fmac_f64_e32 v[124:125], v[104:105], v[126:127]
	s_wait_dscnt 0x0
	v_fmac_f64_e32 v[124:125], v[106:107], v[128:129]
	s_wait_loadcnt 0x3
	s_delay_alu instid0(VALU_DEP_1)
	v_fmac_f64_e32 v[124:125], v[108:109], v[130:131]
	ds_load_2addr_b64 v[102:105], v2 offset0:89 offset1:90
	ds_load_2addr_b64 v[106:109], v2 offset0:91 offset1:92
	s_wait_dscnt 0x1
	v_fmac_f64_e32 v[124:125], v[110:111], v[102:103]
	s_wait_loadcnt 0x2
	s_delay_alu instid0(VALU_DEP_1) | instskip(SKIP_1) | instid1(VALU_DEP_1)
	v_fmac_f64_e32 v[124:125], v[112:113], v[104:105]
	s_wait_dscnt 0x0
	v_fmac_f64_e32 v[124:125], v[114:115], v[106:107]
	ds_load_2addr_b64 v[102:105], v2 offset0:93 offset1:94
	ds_load_b64 v[106:107], v2 offset:760
	s_wait_loadcnt 0x1
	v_fmac_f64_e32 v[124:125], v[116:117], v[108:109]
	s_wait_dscnt 0x1
	s_delay_alu instid0(VALU_DEP_1) | instskip(SKIP_1) | instid1(VALU_DEP_1)
	v_fmac_f64_e32 v[124:125], v[118:119], v[102:103]
	s_wait_loadcnt 0x0
	v_fmac_f64_e32 v[124:125], v[120:121], v[104:105]
	s_wait_dscnt 0x0
	s_delay_alu instid0(VALU_DEP_1) | instskip(NEXT) | instid1(VALU_DEP_1)
	v_fmac_f64_e32 v[124:125], v[122:123], v[106:107]
	v_add_f64_e64 v[100:101], v[100:101], -v[124:125]
	scratch_store_b64 off, v[100:101], off offset:288
	s_wait_xcnt 0x0
	v_cmpx_lt_u32_e32 35, v0
	s_cbranch_execz .LBB47_227
; %bb.226:
	scratch_load_b64 v[100:101], off, off offset:280
	v_mov_b64_e32 v[102:103], 0
	scratch_store_b64 off, v[102:103], off offset:280
	s_wait_loadcnt 0x0
	ds_store_b64 v1, v[100:101]
.LBB47_227:
	s_wait_xcnt 0x0
	s_or_b32 exec_lo, exec_lo, s0
	s_wait_storecnt_dscnt 0x0
	s_barrier_signal -1
	s_barrier_wait -1
	s_clause 0x5
	scratch_load_b128 v[100:103], off, off offset:280
	scratch_load_b128 v[104:107], off, off offset:296
	;; [unrolled: 1-line block ×6, first 2 shown]
	ds_load_b128 v[124:127], v2 offset:672
	ds_load_b128 v[128:131], v2 offset:688
	s_mov_b32 s0, exec_lo
	s_wait_loadcnt_dscnt 0x501
	v_fma_f64 v[124:125], v[102:103], v[124:125], 0
	s_wait_loadcnt 0x4
	s_delay_alu instid0(VALU_DEP_1) | instskip(SKIP_4) | instid1(VALU_DEP_1)
	v_fmac_f64_e32 v[124:125], v[104:105], v[126:127]
	scratch_load_b64 v[126:127], off, off offset:376
	s_wait_dscnt 0x0
	v_fmac_f64_e32 v[124:125], v[106:107], v[128:129]
	s_wait_loadcnt 0x4
	v_fmac_f64_e32 v[124:125], v[108:109], v[130:131]
	ds_load_b128 v[102:105], v2 offset:704
	ds_load_b128 v[106:109], v2 offset:720
	s_wait_dscnt 0x1
	v_fmac_f64_e32 v[124:125], v[110:111], v[102:103]
	s_wait_loadcnt 0x3
	s_delay_alu instid0(VALU_DEP_1) | instskip(SKIP_1) | instid1(VALU_DEP_1)
	v_fmac_f64_e32 v[124:125], v[112:113], v[104:105]
	s_wait_dscnt 0x0
	v_fmac_f64_e32 v[124:125], v[114:115], v[106:107]
	s_wait_loadcnt 0x2
	s_delay_alu instid0(VALU_DEP_1)
	v_fmac_f64_e32 v[124:125], v[116:117], v[108:109]
	ds_load_b128 v[102:105], v2 offset:736
	ds_load_b128 v[106:109], v2 offset:752
	s_wait_dscnt 0x1
	v_fmac_f64_e32 v[124:125], v[118:119], v[102:103]
	s_wait_loadcnt 0x1
	s_delay_alu instid0(VALU_DEP_1) | instskip(SKIP_1) | instid1(VALU_DEP_1)
	v_fmac_f64_e32 v[124:125], v[120:121], v[104:105]
	s_wait_dscnt 0x0
	v_fmac_f64_e32 v[124:125], v[122:123], v[106:107]
	s_wait_loadcnt 0x0
	s_delay_alu instid0(VALU_DEP_1) | instskip(NEXT) | instid1(VALU_DEP_1)
	v_fmac_f64_e32 v[124:125], v[126:127], v[108:109]
	v_add_f64_e64 v[2:3], v[100:101], -v[124:125]
	scratch_store_b64 off, v[2:3], off offset:280
	s_wait_xcnt 0x0
	v_cmpx_lt_u32_e32 34, v0
	s_cbranch_execz .LBB47_229
; %bb.228:
	scratch_load_b64 v[2:3], off, off offset:272
	v_mov_b64_e32 v[100:101], 0
	scratch_store_b64 off, v[100:101], off offset:272
	s_wait_loadcnt 0x0
	ds_store_b64 v1, v[2:3]
.LBB47_229:
	s_wait_xcnt 0x0
	s_or_b32 exec_lo, exec_lo, s0
	s_wait_storecnt_dscnt 0x0
	s_barrier_signal -1
	s_barrier_wait -1
	s_clause 0x5
	scratch_load_b128 v[100:103], off, off offset:272
	scratch_load_b128 v[104:107], off, off offset:288
	;; [unrolled: 1-line block ×6, first 2 shown]
	v_mov_b32_e32 v2, 0
	ds_load_2addr_b64 v[124:127], v2 offset0:83 offset1:84
	ds_load_2addr_b64 v[128:131], v2 offset0:85 offset1:86
	s_mov_b32 s0, exec_lo
	s_wait_loadcnt_dscnt 0x501
	v_fma_f64 v[132:133], v[102:103], v[124:125], 0
	s_wait_loadcnt 0x4
	s_delay_alu instid0(VALU_DEP_1) | instskip(SKIP_4) | instid1(VALU_DEP_1)
	v_fmac_f64_e32 v[132:133], v[104:105], v[126:127]
	scratch_load_b128 v[102:105], off, off offset:368
	s_wait_dscnt 0x0
	v_fmac_f64_e32 v[132:133], v[106:107], v[128:129]
	s_wait_loadcnt 0x4
	v_fmac_f64_e32 v[132:133], v[108:109], v[130:131]
	ds_load_2addr_b64 v[106:109], v2 offset0:87 offset1:88
	ds_load_2addr_b64 v[124:127], v2 offset0:89 offset1:90
	s_wait_dscnt 0x1
	v_fmac_f64_e32 v[132:133], v[110:111], v[106:107]
	s_wait_loadcnt 0x3
	s_delay_alu instid0(VALU_DEP_1)
	v_fmac_f64_e32 v[132:133], v[112:113], v[108:109]
	ds_load_2addr_b64 v[106:109], v2 offset0:91 offset1:92
	ds_load_2addr_b64 v[110:113], v2 offset0:93 offset1:94
	s_wait_dscnt 0x2
	v_fmac_f64_e32 v[132:133], v[114:115], v[124:125]
	s_wait_loadcnt 0x2
	s_delay_alu instid0(VALU_DEP_1) | instskip(SKIP_1) | instid1(VALU_DEP_1)
	v_fmac_f64_e32 v[132:133], v[116:117], v[126:127]
	s_wait_dscnt 0x1
	v_fmac_f64_e32 v[132:133], v[118:119], v[106:107]
	s_wait_loadcnt 0x1
	s_delay_alu instid0(VALU_DEP_1) | instskip(SKIP_1) | instid1(VALU_DEP_1)
	v_fmac_f64_e32 v[132:133], v[120:121], v[108:109]
	s_wait_dscnt 0x0
	v_fmac_f64_e32 v[132:133], v[122:123], v[110:111]
	s_wait_loadcnt 0x0
	s_delay_alu instid0(VALU_DEP_1) | instskip(SKIP_3) | instid1(VALU_DEP_1)
	v_fmac_f64_e32 v[132:133], v[102:103], v[112:113]
	ds_load_b64 v[102:103], v2 offset:760
	s_wait_dscnt 0x0
	v_fmac_f64_e32 v[132:133], v[104:105], v[102:103]
	v_add_f64_e64 v[100:101], v[100:101], -v[132:133]
	scratch_store_b64 off, v[100:101], off offset:272
	s_wait_xcnt 0x0
	v_cmpx_lt_u32_e32 33, v0
	s_cbranch_execz .LBB47_231
; %bb.230:
	scratch_load_b64 v[100:101], off, off offset:264
	v_mov_b64_e32 v[102:103], 0
	scratch_store_b64 off, v[102:103], off offset:264
	s_wait_loadcnt 0x0
	ds_store_b64 v1, v[100:101]
.LBB47_231:
	s_wait_xcnt 0x0
	s_or_b32 exec_lo, exec_lo, s0
	s_wait_storecnt_dscnt 0x0
	s_barrier_signal -1
	s_barrier_wait -1
	s_clause 0x5
	scratch_load_b128 v[100:103], off, off offset:264
	scratch_load_b128 v[104:107], off, off offset:280
	;; [unrolled: 1-line block ×6, first 2 shown]
	ds_load_b128 v[124:127], v2 offset:656
	ds_load_b128 v[128:131], v2 offset:672
	s_mov_b32 s0, exec_lo
	s_wait_loadcnt_dscnt 0x501
	v_fma_f64 v[132:133], v[102:103], v[124:125], 0
	s_wait_loadcnt 0x4
	s_delay_alu instid0(VALU_DEP_1)
	v_fmac_f64_e32 v[132:133], v[104:105], v[126:127]
	scratch_load_b128 v[102:105], off, off offset:360
	s_wait_dscnt 0x0
	v_fmac_f64_e32 v[132:133], v[106:107], v[128:129]
	scratch_load_b64 v[128:129], off, off offset:376
	s_wait_loadcnt 0x5
	v_fmac_f64_e32 v[132:133], v[108:109], v[130:131]
	ds_load_b128 v[106:109], v2 offset:688
	ds_load_b128 v[124:127], v2 offset:704
	s_wait_dscnt 0x1
	v_fmac_f64_e32 v[132:133], v[110:111], v[106:107]
	s_wait_loadcnt 0x4
	s_delay_alu instid0(VALU_DEP_1)
	v_fmac_f64_e32 v[132:133], v[112:113], v[108:109]
	ds_load_b128 v[106:109], v2 offset:720
	ds_load_b128 v[110:113], v2 offset:736
	s_wait_dscnt 0x2
	v_fmac_f64_e32 v[132:133], v[114:115], v[124:125]
	s_wait_loadcnt 0x3
	s_delay_alu instid0(VALU_DEP_1) | instskip(SKIP_1) | instid1(VALU_DEP_1)
	v_fmac_f64_e32 v[132:133], v[116:117], v[126:127]
	s_wait_dscnt 0x1
	v_fmac_f64_e32 v[132:133], v[118:119], v[106:107]
	s_wait_loadcnt 0x2
	s_delay_alu instid0(VALU_DEP_1) | instskip(SKIP_4) | instid1(VALU_DEP_1)
	v_fmac_f64_e32 v[132:133], v[120:121], v[108:109]
	ds_load_b128 v[106:109], v2 offset:752
	s_wait_dscnt 0x1
	v_fmac_f64_e32 v[132:133], v[122:123], v[110:111]
	s_wait_loadcnt 0x1
	v_fmac_f64_e32 v[132:133], v[102:103], v[112:113]
	s_wait_dscnt 0x0
	s_delay_alu instid0(VALU_DEP_1) | instskip(SKIP_1) | instid1(VALU_DEP_1)
	v_fmac_f64_e32 v[132:133], v[104:105], v[106:107]
	s_wait_loadcnt 0x0
	v_fmac_f64_e32 v[132:133], v[128:129], v[108:109]
	s_delay_alu instid0(VALU_DEP_1)
	v_add_f64_e64 v[2:3], v[100:101], -v[132:133]
	scratch_store_b64 off, v[2:3], off offset:264
	s_wait_xcnt 0x0
	v_cmpx_lt_u32_e32 32, v0
	s_cbranch_execz .LBB47_233
; %bb.232:
	scratch_load_b64 v[2:3], off, off offset:256
	v_mov_b64_e32 v[100:101], 0
	scratch_store_b64 off, v[100:101], off offset:256
	s_wait_loadcnt 0x0
	ds_store_b64 v1, v[2:3]
.LBB47_233:
	s_wait_xcnt 0x0
	s_or_b32 exec_lo, exec_lo, s0
	s_wait_storecnt_dscnt 0x0
	s_barrier_signal -1
	s_barrier_wait -1
	s_clause 0x5
	scratch_load_b128 v[100:103], off, off offset:256
	scratch_load_b128 v[104:107], off, off offset:272
	;; [unrolled: 1-line block ×6, first 2 shown]
	v_mov_b32_e32 v2, 0
	ds_load_2addr_b64 v[124:127], v2 offset0:81 offset1:82
	ds_load_2addr_b64 v[128:131], v2 offset0:83 offset1:84
	s_mov_b32 s0, exec_lo
	s_wait_loadcnt_dscnt 0x501
	v_fma_f64 v[132:133], v[102:103], v[124:125], 0
	s_wait_loadcnt 0x4
	s_delay_alu instid0(VALU_DEP_1) | instskip(SKIP_4) | instid1(VALU_DEP_1)
	v_fmac_f64_e32 v[132:133], v[104:105], v[126:127]
	scratch_load_b128 v[102:105], off, off offset:352
	s_wait_dscnt 0x0
	v_fmac_f64_e32 v[132:133], v[106:107], v[128:129]
	s_wait_loadcnt 0x4
	v_fmac_f64_e32 v[132:133], v[108:109], v[130:131]
	scratch_load_b128 v[106:109], off, off offset:368
	ds_load_2addr_b64 v[124:127], v2 offset0:85 offset1:86
	ds_load_2addr_b64 v[128:131], v2 offset0:87 offset1:88
	s_wait_dscnt 0x1
	v_fmac_f64_e32 v[132:133], v[110:111], v[124:125]
	s_wait_loadcnt 0x4
	s_delay_alu instid0(VALU_DEP_1) | instskip(SKIP_1) | instid1(VALU_DEP_1)
	v_fmac_f64_e32 v[132:133], v[112:113], v[126:127]
	s_wait_dscnt 0x0
	v_fmac_f64_e32 v[132:133], v[114:115], v[128:129]
	s_wait_loadcnt 0x3
	s_delay_alu instid0(VALU_DEP_1)
	v_fmac_f64_e32 v[132:133], v[116:117], v[130:131]
	ds_load_2addr_b64 v[110:113], v2 offset0:89 offset1:90
	ds_load_2addr_b64 v[114:117], v2 offset0:91 offset1:92
	s_wait_dscnt 0x1
	v_fmac_f64_e32 v[132:133], v[118:119], v[110:111]
	s_wait_loadcnt 0x2
	s_delay_alu instid0(VALU_DEP_1) | instskip(SKIP_1) | instid1(VALU_DEP_1)
	v_fmac_f64_e32 v[132:133], v[120:121], v[112:113]
	s_wait_dscnt 0x0
	v_fmac_f64_e32 v[132:133], v[122:123], v[114:115]
	s_wait_loadcnt 0x1
	s_delay_alu instid0(VALU_DEP_1)
	v_fmac_f64_e32 v[132:133], v[102:103], v[116:117]
	ds_load_2addr_b64 v[110:113], v2 offset0:93 offset1:94
	ds_load_b64 v[102:103], v2 offset:760
	s_wait_dscnt 0x1
	v_fmac_f64_e32 v[132:133], v[104:105], v[110:111]
	s_wait_loadcnt 0x0
	s_delay_alu instid0(VALU_DEP_1) | instskip(SKIP_1) | instid1(VALU_DEP_1)
	v_fmac_f64_e32 v[132:133], v[106:107], v[112:113]
	s_wait_dscnt 0x0
	v_fmac_f64_e32 v[132:133], v[108:109], v[102:103]
	s_delay_alu instid0(VALU_DEP_1)
	v_add_f64_e64 v[100:101], v[100:101], -v[132:133]
	scratch_store_b64 off, v[100:101], off offset:256
	s_wait_xcnt 0x0
	v_cmpx_lt_u32_e32 31, v0
	s_cbranch_execz .LBB47_235
; %bb.234:
	scratch_load_b64 v[100:101], off, off offset:248
	v_mov_b64_e32 v[102:103], 0
	scratch_store_b64 off, v[102:103], off offset:248
	s_wait_loadcnt 0x0
	ds_store_b64 v1, v[100:101]
.LBB47_235:
	s_wait_xcnt 0x0
	s_or_b32 exec_lo, exec_lo, s0
	s_wait_storecnt_dscnt 0x0
	s_barrier_signal -1
	s_barrier_wait -1
	s_clause 0x5
	scratch_load_b128 v[100:103], off, off offset:248
	scratch_load_b128 v[104:107], off, off offset:264
	;; [unrolled: 1-line block ×6, first 2 shown]
	ds_load_b128 v[124:127], v2 offset:640
	ds_load_b128 v[128:131], v2 offset:656
	s_mov_b32 s0, exec_lo
	s_wait_loadcnt_dscnt 0x501
	v_fma_f64 v[132:133], v[102:103], v[124:125], 0
	s_wait_loadcnt 0x4
	s_delay_alu instid0(VALU_DEP_1) | instskip(SKIP_4) | instid1(VALU_DEP_1)
	v_fmac_f64_e32 v[132:133], v[104:105], v[126:127]
	scratch_load_b128 v[102:105], off, off offset:344
	s_wait_dscnt 0x0
	v_fmac_f64_e32 v[132:133], v[106:107], v[128:129]
	s_wait_loadcnt 0x4
	v_fmac_f64_e32 v[132:133], v[108:109], v[130:131]
	scratch_load_b128 v[106:109], off, off offset:360
	ds_load_b128 v[124:127], v2 offset:672
	ds_load_b128 v[128:131], v2 offset:688
	s_wait_dscnt 0x1
	v_fmac_f64_e32 v[132:133], v[110:111], v[124:125]
	scratch_load_b64 v[124:125], off, off offset:376
	s_wait_loadcnt 0x5
	v_fmac_f64_e32 v[132:133], v[112:113], v[126:127]
	s_wait_dscnt 0x0
	s_delay_alu instid0(VALU_DEP_1) | instskip(SKIP_1) | instid1(VALU_DEP_1)
	v_fmac_f64_e32 v[132:133], v[114:115], v[128:129]
	s_wait_loadcnt 0x4
	v_fmac_f64_e32 v[132:133], v[116:117], v[130:131]
	ds_load_b128 v[110:113], v2 offset:704
	ds_load_b128 v[114:117], v2 offset:720
	s_wait_dscnt 0x1
	v_fmac_f64_e32 v[132:133], v[118:119], v[110:111]
	s_wait_loadcnt 0x3
	s_delay_alu instid0(VALU_DEP_1) | instskip(SKIP_1) | instid1(VALU_DEP_1)
	v_fmac_f64_e32 v[132:133], v[120:121], v[112:113]
	s_wait_dscnt 0x0
	v_fmac_f64_e32 v[132:133], v[122:123], v[114:115]
	s_wait_loadcnt 0x2
	s_delay_alu instid0(VALU_DEP_1)
	v_fmac_f64_e32 v[132:133], v[102:103], v[116:117]
	ds_load_b128 v[110:113], v2 offset:736
	ds_load_b128 v[114:117], v2 offset:752
	s_wait_dscnt 0x1
	v_fmac_f64_e32 v[132:133], v[104:105], v[110:111]
	s_wait_loadcnt 0x1
	s_delay_alu instid0(VALU_DEP_1) | instskip(SKIP_1) | instid1(VALU_DEP_1)
	v_fmac_f64_e32 v[132:133], v[106:107], v[112:113]
	s_wait_dscnt 0x0
	v_fmac_f64_e32 v[132:133], v[108:109], v[114:115]
	s_wait_loadcnt 0x0
	s_delay_alu instid0(VALU_DEP_1) | instskip(NEXT) | instid1(VALU_DEP_1)
	v_fmac_f64_e32 v[132:133], v[124:125], v[116:117]
	v_add_f64_e64 v[2:3], v[100:101], -v[132:133]
	scratch_store_b64 off, v[2:3], off offset:248
	s_wait_xcnt 0x0
	v_cmpx_lt_u32_e32 30, v0
	s_cbranch_execz .LBB47_237
; %bb.236:
	scratch_load_b64 v[2:3], off, off offset:240
	v_mov_b64_e32 v[100:101], 0
	scratch_store_b64 off, v[100:101], off offset:240
	s_wait_loadcnt 0x0
	ds_store_b64 v1, v[2:3]
.LBB47_237:
	s_wait_xcnt 0x0
	s_or_b32 exec_lo, exec_lo, s0
	s_wait_storecnt_dscnt 0x0
	s_barrier_signal -1
	s_barrier_wait -1
	s_clause 0x5
	scratch_load_b128 v[100:103], off, off offset:240
	scratch_load_b128 v[104:107], off, off offset:256
	;; [unrolled: 1-line block ×6, first 2 shown]
	v_mov_b32_e32 v2, 0
	ds_load_2addr_b64 v[124:127], v2 offset0:79 offset1:80
	ds_load_2addr_b64 v[128:131], v2 offset0:81 offset1:82
	s_mov_b32 s0, exec_lo
	s_wait_loadcnt_dscnt 0x501
	v_fma_f64 v[132:133], v[102:103], v[124:125], 0
	s_wait_loadcnt 0x4
	s_delay_alu instid0(VALU_DEP_1) | instskip(SKIP_4) | instid1(VALU_DEP_1)
	v_fmac_f64_e32 v[132:133], v[104:105], v[126:127]
	scratch_load_b128 v[102:105], off, off offset:336
	s_wait_dscnt 0x0
	v_fmac_f64_e32 v[132:133], v[106:107], v[128:129]
	s_wait_loadcnt 0x4
	v_fmac_f64_e32 v[132:133], v[108:109], v[130:131]
	scratch_load_b128 v[106:109], off, off offset:352
	ds_load_2addr_b64 v[124:127], v2 offset0:83 offset1:84
	ds_load_2addr_b64 v[128:131], v2 offset0:85 offset1:86
	s_wait_dscnt 0x1
	v_fmac_f64_e32 v[132:133], v[110:111], v[124:125]
	s_wait_loadcnt 0x4
	s_delay_alu instid0(VALU_DEP_1) | instskip(SKIP_4) | instid1(VALU_DEP_1)
	v_fmac_f64_e32 v[132:133], v[112:113], v[126:127]
	scratch_load_b128 v[110:113], off, off offset:368
	s_wait_dscnt 0x0
	v_fmac_f64_e32 v[132:133], v[114:115], v[128:129]
	s_wait_loadcnt 0x4
	v_fmac_f64_e32 v[132:133], v[116:117], v[130:131]
	ds_load_2addr_b64 v[114:117], v2 offset0:87 offset1:88
	ds_load_2addr_b64 v[124:127], v2 offset0:89 offset1:90
	s_wait_dscnt 0x1
	v_fmac_f64_e32 v[132:133], v[118:119], v[114:115]
	s_wait_loadcnt 0x3
	s_delay_alu instid0(VALU_DEP_1)
	v_fmac_f64_e32 v[132:133], v[120:121], v[116:117]
	ds_load_2addr_b64 v[114:117], v2 offset0:91 offset1:92
	ds_load_2addr_b64 v[118:121], v2 offset0:93 offset1:94
	s_wait_dscnt 0x2
	v_fmac_f64_e32 v[132:133], v[122:123], v[124:125]
	s_wait_loadcnt 0x2
	s_delay_alu instid0(VALU_DEP_1) | instskip(SKIP_4) | instid1(VALU_DEP_1)
	v_fmac_f64_e32 v[132:133], v[102:103], v[126:127]
	ds_load_b64 v[102:103], v2 offset:760
	s_wait_dscnt 0x2
	v_fmac_f64_e32 v[132:133], v[104:105], v[114:115]
	s_wait_loadcnt 0x1
	v_fmac_f64_e32 v[132:133], v[106:107], v[116:117]
	s_wait_dscnt 0x1
	s_delay_alu instid0(VALU_DEP_1) | instskip(SKIP_1) | instid1(VALU_DEP_1)
	v_fmac_f64_e32 v[132:133], v[108:109], v[118:119]
	s_wait_loadcnt 0x0
	v_fmac_f64_e32 v[132:133], v[110:111], v[120:121]
	s_wait_dscnt 0x0
	s_delay_alu instid0(VALU_DEP_1) | instskip(NEXT) | instid1(VALU_DEP_1)
	v_fmac_f64_e32 v[132:133], v[112:113], v[102:103]
	v_add_f64_e64 v[100:101], v[100:101], -v[132:133]
	scratch_store_b64 off, v[100:101], off offset:240
	s_wait_xcnt 0x0
	v_cmpx_lt_u32_e32 29, v0
	s_cbranch_execz .LBB47_239
; %bb.238:
	scratch_load_b64 v[100:101], off, off offset:232
	v_mov_b64_e32 v[102:103], 0
	scratch_store_b64 off, v[102:103], off offset:232
	s_wait_loadcnt 0x0
	ds_store_b64 v1, v[100:101]
.LBB47_239:
	s_wait_xcnt 0x0
	s_or_b32 exec_lo, exec_lo, s0
	s_wait_storecnt_dscnt 0x0
	s_barrier_signal -1
	s_barrier_wait -1
	s_clause 0x5
	scratch_load_b128 v[100:103], off, off offset:232
	scratch_load_b128 v[104:107], off, off offset:248
	;; [unrolled: 1-line block ×6, first 2 shown]
	ds_load_b128 v[124:127], v2 offset:624
	ds_load_b128 v[128:131], v2 offset:640
	s_mov_b32 s0, exec_lo
	s_wait_loadcnt_dscnt 0x501
	v_fma_f64 v[132:133], v[102:103], v[124:125], 0
	s_wait_loadcnt 0x4
	s_delay_alu instid0(VALU_DEP_1) | instskip(SKIP_4) | instid1(VALU_DEP_1)
	v_fmac_f64_e32 v[132:133], v[104:105], v[126:127]
	scratch_load_b128 v[102:105], off, off offset:328
	s_wait_dscnt 0x0
	v_fmac_f64_e32 v[132:133], v[106:107], v[128:129]
	s_wait_loadcnt 0x4
	v_fmac_f64_e32 v[132:133], v[108:109], v[130:131]
	scratch_load_b128 v[106:109], off, off offset:344
	ds_load_b128 v[124:127], v2 offset:656
	ds_load_b128 v[128:131], v2 offset:672
	s_wait_dscnt 0x1
	v_fmac_f64_e32 v[132:133], v[110:111], v[124:125]
	s_wait_loadcnt 0x4
	s_delay_alu instid0(VALU_DEP_1)
	v_fmac_f64_e32 v[132:133], v[112:113], v[126:127]
	scratch_load_b128 v[110:113], off, off offset:360
	s_wait_dscnt 0x0
	v_fmac_f64_e32 v[132:133], v[114:115], v[128:129]
	scratch_load_b64 v[128:129], off, off offset:376
	s_wait_loadcnt 0x5
	v_fmac_f64_e32 v[132:133], v[116:117], v[130:131]
	ds_load_b128 v[114:117], v2 offset:688
	ds_load_b128 v[124:127], v2 offset:704
	s_wait_dscnt 0x1
	v_fmac_f64_e32 v[132:133], v[118:119], v[114:115]
	s_wait_loadcnt 0x4
	s_delay_alu instid0(VALU_DEP_1)
	v_fmac_f64_e32 v[132:133], v[120:121], v[116:117]
	ds_load_b128 v[114:117], v2 offset:720
	ds_load_b128 v[118:121], v2 offset:736
	s_wait_dscnt 0x2
	v_fmac_f64_e32 v[132:133], v[122:123], v[124:125]
	s_wait_loadcnt 0x3
	s_delay_alu instid0(VALU_DEP_1) | instskip(SKIP_1) | instid1(VALU_DEP_1)
	v_fmac_f64_e32 v[132:133], v[102:103], v[126:127]
	s_wait_dscnt 0x1
	v_fmac_f64_e32 v[132:133], v[104:105], v[114:115]
	ds_load_b128 v[102:105], v2 offset:752
	s_wait_loadcnt 0x2
	v_fmac_f64_e32 v[132:133], v[106:107], v[116:117]
	s_wait_dscnt 0x1
	s_delay_alu instid0(VALU_DEP_1) | instskip(SKIP_1) | instid1(VALU_DEP_1)
	v_fmac_f64_e32 v[132:133], v[108:109], v[118:119]
	s_wait_loadcnt 0x1
	v_fmac_f64_e32 v[132:133], v[110:111], v[120:121]
	s_wait_dscnt 0x0
	s_delay_alu instid0(VALU_DEP_1) | instskip(SKIP_1) | instid1(VALU_DEP_1)
	v_fmac_f64_e32 v[132:133], v[112:113], v[102:103]
	s_wait_loadcnt 0x0
	v_fmac_f64_e32 v[132:133], v[128:129], v[104:105]
	s_delay_alu instid0(VALU_DEP_1)
	v_add_f64_e64 v[2:3], v[100:101], -v[132:133]
	scratch_store_b64 off, v[2:3], off offset:232
	s_wait_xcnt 0x0
	v_cmpx_lt_u32_e32 28, v0
	s_cbranch_execz .LBB47_241
; %bb.240:
	scratch_load_b64 v[2:3], off, off offset:224
	v_mov_b64_e32 v[100:101], 0
	scratch_store_b64 off, v[100:101], off offset:224
	s_wait_loadcnt 0x0
	ds_store_b64 v1, v[2:3]
.LBB47_241:
	s_wait_xcnt 0x0
	s_or_b32 exec_lo, exec_lo, s0
	s_wait_storecnt_dscnt 0x0
	s_barrier_signal -1
	s_barrier_wait -1
	s_clause 0x5
	scratch_load_b128 v[100:103], off, off offset:224
	scratch_load_b128 v[104:107], off, off offset:240
	;; [unrolled: 1-line block ×6, first 2 shown]
	v_mov_b32_e32 v2, 0
	ds_load_2addr_b64 v[124:127], v2 offset0:77 offset1:78
	ds_load_2addr_b64 v[128:131], v2 offset0:79 offset1:80
	s_mov_b32 s0, exec_lo
	s_wait_loadcnt_dscnt 0x501
	v_fma_f64 v[132:133], v[102:103], v[124:125], 0
	s_wait_loadcnt 0x4
	s_delay_alu instid0(VALU_DEP_1) | instskip(SKIP_4) | instid1(VALU_DEP_1)
	v_fmac_f64_e32 v[132:133], v[104:105], v[126:127]
	scratch_load_b128 v[102:105], off, off offset:320
	s_wait_dscnt 0x0
	v_fmac_f64_e32 v[132:133], v[106:107], v[128:129]
	s_wait_loadcnt 0x4
	v_fmac_f64_e32 v[132:133], v[108:109], v[130:131]
	scratch_load_b128 v[106:109], off, off offset:336
	ds_load_2addr_b64 v[124:127], v2 offset0:81 offset1:82
	ds_load_2addr_b64 v[128:131], v2 offset0:83 offset1:84
	s_wait_dscnt 0x1
	v_fmac_f64_e32 v[132:133], v[110:111], v[124:125]
	s_wait_loadcnt 0x4
	s_delay_alu instid0(VALU_DEP_1) | instskip(SKIP_4) | instid1(VALU_DEP_1)
	v_fmac_f64_e32 v[132:133], v[112:113], v[126:127]
	scratch_load_b128 v[110:113], off, off offset:352
	s_wait_dscnt 0x0
	v_fmac_f64_e32 v[132:133], v[114:115], v[128:129]
	s_wait_loadcnt 0x4
	v_fmac_f64_e32 v[132:133], v[116:117], v[130:131]
	scratch_load_b128 v[114:117], off, off offset:368
	ds_load_2addr_b64 v[124:127], v2 offset0:85 offset1:86
	ds_load_2addr_b64 v[128:131], v2 offset0:87 offset1:88
	s_wait_dscnt 0x1
	v_fmac_f64_e32 v[132:133], v[118:119], v[124:125]
	s_wait_loadcnt 0x4
	s_delay_alu instid0(VALU_DEP_1) | instskip(SKIP_1) | instid1(VALU_DEP_1)
	v_fmac_f64_e32 v[132:133], v[120:121], v[126:127]
	s_wait_dscnt 0x0
	v_fmac_f64_e32 v[132:133], v[122:123], v[128:129]
	ds_load_2addr_b64 v[118:121], v2 offset0:89 offset1:90
	ds_load_2addr_b64 v[122:125], v2 offset0:91 offset1:92
	s_wait_loadcnt 0x3
	v_fmac_f64_e32 v[132:133], v[102:103], v[130:131]
	s_wait_dscnt 0x1
	s_delay_alu instid0(VALU_DEP_1) | instskip(SKIP_1) | instid1(VALU_DEP_1)
	v_fmac_f64_e32 v[132:133], v[104:105], v[118:119]
	s_wait_loadcnt 0x2
	v_fmac_f64_e32 v[132:133], v[106:107], v[120:121]
	ds_load_2addr_b64 v[102:105], v2 offset0:93 offset1:94
	ds_load_b64 v[106:107], v2 offset:760
	s_wait_dscnt 0x2
	v_fmac_f64_e32 v[132:133], v[108:109], v[122:123]
	s_wait_loadcnt 0x1
	s_delay_alu instid0(VALU_DEP_1) | instskip(SKIP_1) | instid1(VALU_DEP_1)
	v_fmac_f64_e32 v[132:133], v[110:111], v[124:125]
	s_wait_dscnt 0x1
	v_fmac_f64_e32 v[132:133], v[112:113], v[102:103]
	s_wait_loadcnt 0x0
	s_delay_alu instid0(VALU_DEP_1) | instskip(SKIP_1) | instid1(VALU_DEP_1)
	v_fmac_f64_e32 v[132:133], v[114:115], v[104:105]
	s_wait_dscnt 0x0
	v_fmac_f64_e32 v[132:133], v[116:117], v[106:107]
	s_delay_alu instid0(VALU_DEP_1)
	v_add_f64_e64 v[100:101], v[100:101], -v[132:133]
	scratch_store_b64 off, v[100:101], off offset:224
	s_wait_xcnt 0x0
	v_cmpx_lt_u32_e32 27, v0
	s_cbranch_execz .LBB47_243
; %bb.242:
	scratch_load_b64 v[100:101], off, off offset:216
	v_mov_b64_e32 v[102:103], 0
	scratch_store_b64 off, v[102:103], off offset:216
	s_wait_loadcnt 0x0
	ds_store_b64 v1, v[100:101]
.LBB47_243:
	s_wait_xcnt 0x0
	s_or_b32 exec_lo, exec_lo, s0
	s_wait_storecnt_dscnt 0x0
	s_barrier_signal -1
	s_barrier_wait -1
	s_clause 0x5
	scratch_load_b128 v[100:103], off, off offset:216
	scratch_load_b128 v[104:107], off, off offset:232
	;; [unrolled: 1-line block ×6, first 2 shown]
	ds_load_b128 v[124:127], v2 offset:608
	ds_load_b128 v[128:131], v2 offset:624
	s_mov_b32 s0, exec_lo
	s_wait_loadcnt_dscnt 0x501
	v_fma_f64 v[132:133], v[102:103], v[124:125], 0
	s_wait_loadcnt 0x4
	s_delay_alu instid0(VALU_DEP_1) | instskip(SKIP_4) | instid1(VALU_DEP_1)
	v_fmac_f64_e32 v[132:133], v[104:105], v[126:127]
	scratch_load_b128 v[102:105], off, off offset:312
	s_wait_dscnt 0x0
	v_fmac_f64_e32 v[132:133], v[106:107], v[128:129]
	s_wait_loadcnt 0x4
	v_fmac_f64_e32 v[132:133], v[108:109], v[130:131]
	scratch_load_b128 v[106:109], off, off offset:328
	ds_load_b128 v[124:127], v2 offset:640
	ds_load_b128 v[128:131], v2 offset:656
	s_wait_dscnt 0x1
	v_fmac_f64_e32 v[132:133], v[110:111], v[124:125]
	s_wait_loadcnt 0x4
	s_delay_alu instid0(VALU_DEP_1) | instskip(SKIP_4) | instid1(VALU_DEP_1)
	v_fmac_f64_e32 v[132:133], v[112:113], v[126:127]
	scratch_load_b128 v[110:113], off, off offset:344
	s_wait_dscnt 0x0
	v_fmac_f64_e32 v[132:133], v[114:115], v[128:129]
	s_wait_loadcnt 0x4
	v_fmac_f64_e32 v[132:133], v[116:117], v[130:131]
	scratch_load_b128 v[114:117], off, off offset:360
	ds_load_b128 v[124:127], v2 offset:672
	ds_load_b128 v[128:131], v2 offset:688
	s_wait_dscnt 0x1
	v_fmac_f64_e32 v[132:133], v[118:119], v[124:125]
	s_wait_loadcnt 0x4
	s_delay_alu instid0(VALU_DEP_1)
	v_fmac_f64_e32 v[132:133], v[120:121], v[126:127]
	scratch_load_b64 v[126:127], off, off offset:376
	s_wait_dscnt 0x0
	v_fmac_f64_e32 v[132:133], v[122:123], v[128:129]
	ds_load_b128 v[118:121], v2 offset:704
	ds_load_b128 v[122:125], v2 offset:720
	s_wait_loadcnt 0x4
	v_fmac_f64_e32 v[132:133], v[102:103], v[130:131]
	s_wait_dscnt 0x1
	s_delay_alu instid0(VALU_DEP_1) | instskip(SKIP_1) | instid1(VALU_DEP_1)
	v_fmac_f64_e32 v[132:133], v[104:105], v[118:119]
	s_wait_loadcnt 0x3
	v_fmac_f64_e32 v[132:133], v[106:107], v[120:121]
	s_wait_dscnt 0x0
	s_delay_alu instid0(VALU_DEP_1)
	v_fmac_f64_e32 v[132:133], v[108:109], v[122:123]
	ds_load_b128 v[102:105], v2 offset:736
	ds_load_b128 v[106:109], v2 offset:752
	s_wait_loadcnt 0x2
	v_fmac_f64_e32 v[132:133], v[110:111], v[124:125]
	s_wait_dscnt 0x1
	s_delay_alu instid0(VALU_DEP_1) | instskip(SKIP_1) | instid1(VALU_DEP_1)
	v_fmac_f64_e32 v[132:133], v[112:113], v[102:103]
	s_wait_loadcnt 0x1
	v_fmac_f64_e32 v[132:133], v[114:115], v[104:105]
	s_wait_dscnt 0x0
	s_delay_alu instid0(VALU_DEP_1) | instskip(SKIP_1) | instid1(VALU_DEP_1)
	v_fmac_f64_e32 v[132:133], v[116:117], v[106:107]
	s_wait_loadcnt 0x0
	v_fmac_f64_e32 v[132:133], v[126:127], v[108:109]
	s_delay_alu instid0(VALU_DEP_1)
	v_add_f64_e64 v[2:3], v[100:101], -v[132:133]
	scratch_store_b64 off, v[2:3], off offset:216
	s_wait_xcnt 0x0
	v_cmpx_lt_u32_e32 26, v0
	s_cbranch_execz .LBB47_245
; %bb.244:
	scratch_load_b64 v[2:3], off, off offset:208
	v_mov_b64_e32 v[100:101], 0
	scratch_store_b64 off, v[100:101], off offset:208
	s_wait_loadcnt 0x0
	ds_store_b64 v1, v[2:3]
.LBB47_245:
	s_wait_xcnt 0x0
	s_or_b32 exec_lo, exec_lo, s0
	s_wait_storecnt_dscnt 0x0
	s_barrier_signal -1
	s_barrier_wait -1
	s_clause 0x5
	scratch_load_b128 v[100:103], off, off offset:208
	scratch_load_b128 v[104:107], off, off offset:224
	;; [unrolled: 1-line block ×6, first 2 shown]
	v_mov_b32_e32 v2, 0
	ds_load_2addr_b64 v[124:127], v2 offset0:75 offset1:76
	ds_load_2addr_b64 v[128:131], v2 offset0:77 offset1:78
	s_mov_b32 s0, exec_lo
	s_wait_loadcnt_dscnt 0x501
	v_fma_f64 v[132:133], v[102:103], v[124:125], 0
	s_wait_loadcnt 0x4
	s_delay_alu instid0(VALU_DEP_1) | instskip(SKIP_4) | instid1(VALU_DEP_1)
	v_fmac_f64_e32 v[132:133], v[104:105], v[126:127]
	scratch_load_b128 v[102:105], off, off offset:304
	s_wait_dscnt 0x0
	v_fmac_f64_e32 v[132:133], v[106:107], v[128:129]
	s_wait_loadcnt 0x4
	v_fmac_f64_e32 v[132:133], v[108:109], v[130:131]
	scratch_load_b128 v[106:109], off, off offset:320
	ds_load_2addr_b64 v[124:127], v2 offset0:79 offset1:80
	ds_load_2addr_b64 v[128:131], v2 offset0:81 offset1:82
	s_wait_dscnt 0x1
	v_fmac_f64_e32 v[132:133], v[110:111], v[124:125]
	s_wait_loadcnt 0x4
	s_delay_alu instid0(VALU_DEP_1) | instskip(SKIP_4) | instid1(VALU_DEP_1)
	v_fmac_f64_e32 v[132:133], v[112:113], v[126:127]
	scratch_load_b128 v[110:113], off, off offset:336
	s_wait_dscnt 0x0
	v_fmac_f64_e32 v[132:133], v[114:115], v[128:129]
	s_wait_loadcnt 0x4
	v_fmac_f64_e32 v[132:133], v[116:117], v[130:131]
	scratch_load_b128 v[114:117], off, off offset:352
	ds_load_2addr_b64 v[124:127], v2 offset0:83 offset1:84
	ds_load_2addr_b64 v[128:131], v2 offset0:85 offset1:86
	s_wait_dscnt 0x1
	v_fmac_f64_e32 v[132:133], v[118:119], v[124:125]
	s_wait_loadcnt 0x4
	s_delay_alu instid0(VALU_DEP_1)
	v_fmac_f64_e32 v[132:133], v[120:121], v[126:127]
	scratch_load_b128 v[118:121], off, off offset:368
	s_wait_dscnt 0x0
	v_fmac_f64_e32 v[132:133], v[122:123], v[128:129]
	ds_load_2addr_b64 v[122:125], v2 offset0:87 offset1:88
	ds_load_2addr_b64 v[126:129], v2 offset0:89 offset1:90
	s_wait_loadcnt 0x4
	v_fmac_f64_e32 v[132:133], v[102:103], v[130:131]
	s_wait_dscnt 0x1
	s_delay_alu instid0(VALU_DEP_1) | instskip(SKIP_1) | instid1(VALU_DEP_1)
	v_fmac_f64_e32 v[132:133], v[104:105], v[122:123]
	s_wait_loadcnt 0x3
	v_fmac_f64_e32 v[132:133], v[106:107], v[124:125]
	s_wait_dscnt 0x0
	s_delay_alu instid0(VALU_DEP_1)
	v_fmac_f64_e32 v[132:133], v[108:109], v[126:127]
	ds_load_2addr_b64 v[102:105], v2 offset0:91 offset1:92
	ds_load_2addr_b64 v[106:109], v2 offset0:93 offset1:94
	s_wait_loadcnt 0x2
	v_fmac_f64_e32 v[132:133], v[110:111], v[128:129]
	s_wait_dscnt 0x1
	s_delay_alu instid0(VALU_DEP_1) | instskip(SKIP_4) | instid1(VALU_DEP_1)
	v_fmac_f64_e32 v[132:133], v[112:113], v[102:103]
	ds_load_b64 v[102:103], v2 offset:760
	s_wait_loadcnt 0x1
	v_fmac_f64_e32 v[132:133], v[114:115], v[104:105]
	s_wait_dscnt 0x1
	v_fmac_f64_e32 v[132:133], v[116:117], v[106:107]
	s_wait_loadcnt 0x0
	s_delay_alu instid0(VALU_DEP_1) | instskip(SKIP_1) | instid1(VALU_DEP_1)
	v_fmac_f64_e32 v[132:133], v[118:119], v[108:109]
	s_wait_dscnt 0x0
	v_fmac_f64_e32 v[132:133], v[120:121], v[102:103]
	s_delay_alu instid0(VALU_DEP_1)
	v_add_f64_e64 v[100:101], v[100:101], -v[132:133]
	scratch_store_b64 off, v[100:101], off offset:208
	s_wait_xcnt 0x0
	v_cmpx_lt_u32_e32 25, v0
	s_cbranch_execz .LBB47_247
; %bb.246:
	scratch_load_b64 v[100:101], off, off offset:200
	v_mov_b64_e32 v[102:103], 0
	scratch_store_b64 off, v[102:103], off offset:200
	s_wait_loadcnt 0x0
	ds_store_b64 v1, v[100:101]
.LBB47_247:
	s_wait_xcnt 0x0
	s_or_b32 exec_lo, exec_lo, s0
	s_wait_storecnt_dscnt 0x0
	s_barrier_signal -1
	s_barrier_wait -1
	s_clause 0x5
	scratch_load_b128 v[100:103], off, off offset:200
	scratch_load_b128 v[104:107], off, off offset:216
	;; [unrolled: 1-line block ×6, first 2 shown]
	ds_load_b128 v[124:127], v2 offset:592
	ds_load_b128 v[128:131], v2 offset:608
	scratch_load_b128 v[132:135], off, off offset:296
	s_mov_b32 s0, exec_lo
	s_wait_loadcnt_dscnt 0x601
	v_fma_f64 v[136:137], v[102:103], v[124:125], 0
	s_wait_loadcnt 0x5
	s_delay_alu instid0(VALU_DEP_1) | instskip(SKIP_4) | instid1(VALU_DEP_1)
	v_fmac_f64_e32 v[136:137], v[104:105], v[126:127]
	scratch_load_b128 v[102:105], off, off offset:312
	s_wait_dscnt 0x0
	v_fmac_f64_e32 v[136:137], v[106:107], v[128:129]
	s_wait_loadcnt 0x5
	v_fmac_f64_e32 v[136:137], v[108:109], v[130:131]
	ds_load_b128 v[106:109], v2 offset:624
	ds_load_b128 v[124:127], v2 offset:640
	s_wait_dscnt 0x1
	v_fmac_f64_e32 v[136:137], v[110:111], v[106:107]
	s_wait_loadcnt 0x4
	s_delay_alu instid0(VALU_DEP_1)
	v_fmac_f64_e32 v[136:137], v[112:113], v[108:109]
	s_clause 0x1
	scratch_load_b128 v[106:109], off, off offset:328
	scratch_load_b128 v[110:113], off, off offset:344
	s_wait_dscnt 0x0
	v_fmac_f64_e32 v[136:137], v[114:115], v[124:125]
	s_wait_loadcnt 0x5
	s_delay_alu instid0(VALU_DEP_1)
	v_fmac_f64_e32 v[136:137], v[116:117], v[126:127]
	ds_load_b128 v[114:117], v2 offset:656
	ds_load_b128 v[124:127], v2 offset:672
	s_wait_dscnt 0x1
	v_fmac_f64_e32 v[136:137], v[118:119], v[114:115]
	s_wait_loadcnt 0x4
	s_delay_alu instid0(VALU_DEP_1) | instskip(SKIP_4) | instid1(VALU_DEP_1)
	v_fmac_f64_e32 v[136:137], v[120:121], v[116:117]
	scratch_load_b128 v[114:117], off, off offset:360
	s_wait_dscnt 0x0
	v_fmac_f64_e32 v[136:137], v[122:123], v[124:125]
	s_wait_loadcnt 0x4
	v_fmac_f64_e32 v[136:137], v[132:133], v[126:127]
	scratch_load_b64 v[126:127], off, off offset:376
	ds_load_b128 v[118:121], v2 offset:688
	ds_load_b128 v[122:125], v2 offset:704
	s_wait_dscnt 0x1
	v_fmac_f64_e32 v[136:137], v[134:135], v[118:119]
	s_wait_loadcnt 0x4
	s_delay_alu instid0(VALU_DEP_1) | instskip(SKIP_1) | instid1(VALU_DEP_1)
	v_fmac_f64_e32 v[136:137], v[102:103], v[120:121]
	s_wait_dscnt 0x0
	v_fmac_f64_e32 v[136:137], v[104:105], v[122:123]
	ds_load_b128 v[102:105], v2 offset:720
	ds_load_b128 v[118:121], v2 offset:736
	s_wait_loadcnt 0x3
	v_fmac_f64_e32 v[136:137], v[106:107], v[124:125]
	s_wait_dscnt 0x1
	s_delay_alu instid0(VALU_DEP_1) | instskip(SKIP_1) | instid1(VALU_DEP_1)
	v_fmac_f64_e32 v[136:137], v[108:109], v[102:103]
	s_wait_loadcnt 0x2
	v_fmac_f64_e32 v[136:137], v[110:111], v[104:105]
	ds_load_b128 v[102:105], v2 offset:752
	s_wait_dscnt 0x1
	v_fmac_f64_e32 v[136:137], v[112:113], v[118:119]
	s_wait_loadcnt 0x1
	s_delay_alu instid0(VALU_DEP_1) | instskip(SKIP_1) | instid1(VALU_DEP_1)
	v_fmac_f64_e32 v[136:137], v[114:115], v[120:121]
	s_wait_dscnt 0x0
	v_fmac_f64_e32 v[136:137], v[116:117], v[102:103]
	s_wait_loadcnt 0x0
	s_delay_alu instid0(VALU_DEP_1) | instskip(NEXT) | instid1(VALU_DEP_1)
	v_fmac_f64_e32 v[136:137], v[126:127], v[104:105]
	v_add_f64_e64 v[2:3], v[100:101], -v[136:137]
	scratch_store_b64 off, v[2:3], off offset:200
	s_wait_xcnt 0x0
	v_cmpx_lt_u32_e32 24, v0
	s_cbranch_execz .LBB47_249
; %bb.248:
	scratch_load_b64 v[2:3], off, off offset:192
	v_mov_b64_e32 v[100:101], 0
	scratch_store_b64 off, v[100:101], off offset:192
	s_wait_loadcnt 0x0
	ds_store_b64 v1, v[2:3]
.LBB47_249:
	s_wait_xcnt 0x0
	s_or_b32 exec_lo, exec_lo, s0
	s_wait_storecnt_dscnt 0x0
	s_barrier_signal -1
	s_barrier_wait -1
	s_clause 0x5
	scratch_load_b128 v[100:103], off, off offset:192
	scratch_load_b128 v[104:107], off, off offset:208
	;; [unrolled: 1-line block ×6, first 2 shown]
	v_mov_b32_e32 v2, 0
	ds_load_2addr_b64 v[124:127], v2 offset0:73 offset1:74
	ds_load_2addr_b64 v[128:131], v2 offset0:75 offset1:76
	scratch_load_b128 v[132:135], off, off offset:288
	s_mov_b32 s0, exec_lo
	s_wait_loadcnt_dscnt 0x601
	v_fma_f64 v[136:137], v[102:103], v[124:125], 0
	s_wait_loadcnt 0x5
	s_delay_alu instid0(VALU_DEP_1) | instskip(SKIP_4) | instid1(VALU_DEP_1)
	v_fmac_f64_e32 v[136:137], v[104:105], v[126:127]
	scratch_load_b128 v[102:105], off, off offset:304
	s_wait_dscnt 0x0
	v_fmac_f64_e32 v[136:137], v[106:107], v[128:129]
	s_wait_loadcnt 0x5
	v_fmac_f64_e32 v[136:137], v[108:109], v[130:131]
	ds_load_2addr_b64 v[106:109], v2 offset0:77 offset1:78
	ds_load_2addr_b64 v[124:127], v2 offset0:79 offset1:80
	s_wait_dscnt 0x1
	v_fmac_f64_e32 v[136:137], v[110:111], v[106:107]
	s_wait_loadcnt 0x4
	s_delay_alu instid0(VALU_DEP_1)
	v_fmac_f64_e32 v[136:137], v[112:113], v[108:109]
	s_clause 0x1
	scratch_load_b128 v[106:109], off, off offset:320
	scratch_load_b128 v[110:113], off, off offset:336
	s_wait_dscnt 0x0
	v_fmac_f64_e32 v[136:137], v[114:115], v[124:125]
	s_wait_loadcnt 0x5
	s_delay_alu instid0(VALU_DEP_1)
	v_fmac_f64_e32 v[136:137], v[116:117], v[126:127]
	ds_load_2addr_b64 v[114:117], v2 offset0:81 offset1:82
	ds_load_2addr_b64 v[124:127], v2 offset0:83 offset1:84
	s_wait_dscnt 0x1
	v_fmac_f64_e32 v[136:137], v[118:119], v[114:115]
	s_wait_loadcnt 0x4
	s_delay_alu instid0(VALU_DEP_1)
	v_fmac_f64_e32 v[136:137], v[120:121], v[116:117]
	s_clause 0x1
	scratch_load_b128 v[114:117], off, off offset:352
	scratch_load_b128 v[118:121], off, off offset:368
	s_wait_dscnt 0x0
	v_fmac_f64_e32 v[136:137], v[122:123], v[124:125]
	s_wait_loadcnt 0x5
	s_delay_alu instid0(VALU_DEP_1)
	v_fmac_f64_e32 v[136:137], v[132:133], v[126:127]
	ds_load_2addr_b64 v[122:125], v2 offset0:85 offset1:86
	ds_load_2addr_b64 v[126:129], v2 offset0:87 offset1:88
	s_wait_dscnt 0x1
	v_fmac_f64_e32 v[136:137], v[134:135], v[122:123]
	s_wait_loadcnt 0x4
	s_delay_alu instid0(VALU_DEP_1) | instskip(SKIP_1) | instid1(VALU_DEP_1)
	v_fmac_f64_e32 v[136:137], v[102:103], v[124:125]
	s_wait_dscnt 0x0
	v_fmac_f64_e32 v[136:137], v[104:105], v[126:127]
	ds_load_2addr_b64 v[102:105], v2 offset0:89 offset1:90
	ds_load_2addr_b64 v[122:125], v2 offset0:91 offset1:92
	s_wait_loadcnt 0x3
	v_fmac_f64_e32 v[136:137], v[106:107], v[128:129]
	s_wait_dscnt 0x1
	s_delay_alu instid0(VALU_DEP_1) | instskip(SKIP_1) | instid1(VALU_DEP_1)
	v_fmac_f64_e32 v[136:137], v[108:109], v[102:103]
	s_wait_loadcnt 0x2
	v_fmac_f64_e32 v[136:137], v[110:111], v[104:105]
	ds_load_2addr_b64 v[102:105], v2 offset0:93 offset1:94
	ds_load_b64 v[106:107], v2 offset:760
	s_wait_dscnt 0x2
	v_fmac_f64_e32 v[136:137], v[112:113], v[122:123]
	s_wait_loadcnt 0x1
	s_delay_alu instid0(VALU_DEP_1) | instskip(SKIP_1) | instid1(VALU_DEP_1)
	v_fmac_f64_e32 v[136:137], v[114:115], v[124:125]
	s_wait_dscnt 0x1
	v_fmac_f64_e32 v[136:137], v[116:117], v[102:103]
	s_wait_loadcnt 0x0
	s_delay_alu instid0(VALU_DEP_1) | instskip(SKIP_1) | instid1(VALU_DEP_1)
	v_fmac_f64_e32 v[136:137], v[118:119], v[104:105]
	s_wait_dscnt 0x0
	v_fmac_f64_e32 v[136:137], v[120:121], v[106:107]
	s_delay_alu instid0(VALU_DEP_1)
	v_add_f64_e64 v[100:101], v[100:101], -v[136:137]
	scratch_store_b64 off, v[100:101], off offset:192
	s_wait_xcnt 0x0
	v_cmpx_lt_u32_e32 23, v0
	s_cbranch_execz .LBB47_251
; %bb.250:
	scratch_load_b64 v[100:101], off, off offset:184
	v_mov_b64_e32 v[102:103], 0
	scratch_store_b64 off, v[102:103], off offset:184
	s_wait_loadcnt 0x0
	ds_store_b64 v1, v[100:101]
.LBB47_251:
	s_wait_xcnt 0x0
	s_or_b32 exec_lo, exec_lo, s0
	s_wait_storecnt_dscnt 0x0
	s_barrier_signal -1
	s_barrier_wait -1
	s_clause 0x5
	scratch_load_b128 v[100:103], off, off offset:184
	scratch_load_b128 v[104:107], off, off offset:200
	;; [unrolled: 1-line block ×6, first 2 shown]
	ds_load_b128 v[124:127], v2 offset:576
	ds_load_b128 v[128:131], v2 offset:592
	scratch_load_b128 v[132:135], off, off offset:280
	s_mov_b32 s0, exec_lo
	s_wait_loadcnt_dscnt 0x601
	v_fma_f64 v[136:137], v[102:103], v[124:125], 0
	s_wait_loadcnt 0x5
	s_delay_alu instid0(VALU_DEP_1) | instskip(SKIP_4) | instid1(VALU_DEP_1)
	v_fmac_f64_e32 v[136:137], v[104:105], v[126:127]
	scratch_load_b128 v[102:105], off, off offset:296
	s_wait_dscnt 0x0
	v_fmac_f64_e32 v[136:137], v[106:107], v[128:129]
	s_wait_loadcnt 0x5
	v_fmac_f64_e32 v[136:137], v[108:109], v[130:131]
	ds_load_b128 v[106:109], v2 offset:608
	ds_load_b128 v[124:127], v2 offset:624
	s_wait_dscnt 0x1
	v_fmac_f64_e32 v[136:137], v[110:111], v[106:107]
	s_wait_loadcnt 0x4
	s_delay_alu instid0(VALU_DEP_1)
	v_fmac_f64_e32 v[136:137], v[112:113], v[108:109]
	s_clause 0x1
	scratch_load_b128 v[106:109], off, off offset:312
	scratch_load_b128 v[110:113], off, off offset:328
	s_wait_dscnt 0x0
	v_fmac_f64_e32 v[136:137], v[114:115], v[124:125]
	s_wait_loadcnt 0x5
	s_delay_alu instid0(VALU_DEP_1)
	v_fmac_f64_e32 v[136:137], v[116:117], v[126:127]
	ds_load_b128 v[114:117], v2 offset:640
	ds_load_b128 v[124:127], v2 offset:656
	s_wait_dscnt 0x1
	v_fmac_f64_e32 v[136:137], v[118:119], v[114:115]
	s_wait_loadcnt 0x4
	s_delay_alu instid0(VALU_DEP_1)
	v_fmac_f64_e32 v[136:137], v[120:121], v[116:117]
	s_clause 0x1
	scratch_load_b128 v[114:117], off, off offset:344
	scratch_load_b128 v[118:121], off, off offset:360
	s_wait_dscnt 0x0
	v_fmac_f64_e32 v[136:137], v[122:123], v[124:125]
	s_wait_loadcnt 0x5
	s_delay_alu instid0(VALU_DEP_1)
	v_fmac_f64_e32 v[136:137], v[132:133], v[126:127]
	ds_load_b128 v[122:125], v2 offset:672
	ds_load_b128 v[126:129], v2 offset:688
	scratch_load_b64 v[130:131], off, off offset:376
	s_wait_dscnt 0x1
	v_fmac_f64_e32 v[136:137], v[134:135], v[122:123]
	s_wait_loadcnt 0x5
	s_delay_alu instid0(VALU_DEP_1) | instskip(SKIP_1) | instid1(VALU_DEP_1)
	v_fmac_f64_e32 v[136:137], v[102:103], v[124:125]
	s_wait_dscnt 0x0
	v_fmac_f64_e32 v[136:137], v[104:105], v[126:127]
	ds_load_b128 v[102:105], v2 offset:704
	ds_load_b128 v[122:125], v2 offset:720
	s_wait_loadcnt 0x4
	v_fmac_f64_e32 v[136:137], v[106:107], v[128:129]
	s_wait_dscnt 0x1
	s_delay_alu instid0(VALU_DEP_1) | instskip(SKIP_1) | instid1(VALU_DEP_1)
	v_fmac_f64_e32 v[136:137], v[108:109], v[102:103]
	s_wait_loadcnt 0x3
	v_fmac_f64_e32 v[136:137], v[110:111], v[104:105]
	ds_load_b128 v[102:105], v2 offset:736
	ds_load_b128 v[106:109], v2 offset:752
	s_wait_dscnt 0x2
	v_fmac_f64_e32 v[136:137], v[112:113], v[122:123]
	s_wait_loadcnt 0x2
	s_delay_alu instid0(VALU_DEP_1) | instskip(SKIP_1) | instid1(VALU_DEP_1)
	v_fmac_f64_e32 v[136:137], v[114:115], v[124:125]
	s_wait_dscnt 0x1
	v_fmac_f64_e32 v[136:137], v[116:117], v[102:103]
	s_wait_loadcnt 0x1
	s_delay_alu instid0(VALU_DEP_1) | instskip(SKIP_1) | instid1(VALU_DEP_1)
	v_fmac_f64_e32 v[136:137], v[118:119], v[104:105]
	s_wait_dscnt 0x0
	v_fmac_f64_e32 v[136:137], v[120:121], v[106:107]
	s_wait_loadcnt 0x0
	s_delay_alu instid0(VALU_DEP_1) | instskip(NEXT) | instid1(VALU_DEP_1)
	v_fmac_f64_e32 v[136:137], v[130:131], v[108:109]
	v_add_f64_e64 v[2:3], v[100:101], -v[136:137]
	scratch_store_b64 off, v[2:3], off offset:184
	s_wait_xcnt 0x0
	v_cmpx_lt_u32_e32 22, v0
	s_cbranch_execz .LBB47_253
; %bb.252:
	scratch_load_b64 v[2:3], off, off offset:176
	v_mov_b64_e32 v[100:101], 0
	scratch_store_b64 off, v[100:101], off offset:176
	s_wait_loadcnt 0x0
	ds_store_b64 v1, v[2:3]
.LBB47_253:
	s_wait_xcnt 0x0
	s_or_b32 exec_lo, exec_lo, s0
	s_wait_storecnt_dscnt 0x0
	s_barrier_signal -1
	s_barrier_wait -1
	s_clause 0x5
	scratch_load_b128 v[100:103], off, off offset:176
	scratch_load_b128 v[104:107], off, off offset:192
	;; [unrolled: 1-line block ×6, first 2 shown]
	v_mov_b32_e32 v2, 0
	ds_load_2addr_b64 v[124:127], v2 offset0:71 offset1:72
	ds_load_2addr_b64 v[128:131], v2 offset0:73 offset1:74
	scratch_load_b128 v[132:135], off, off offset:272
	s_mov_b32 s0, exec_lo
	s_wait_loadcnt_dscnt 0x601
	v_fma_f64 v[136:137], v[102:103], v[124:125], 0
	s_wait_loadcnt 0x5
	s_delay_alu instid0(VALU_DEP_1) | instskip(SKIP_4) | instid1(VALU_DEP_1)
	v_fmac_f64_e32 v[136:137], v[104:105], v[126:127]
	scratch_load_b128 v[102:105], off, off offset:288
	s_wait_dscnt 0x0
	v_fmac_f64_e32 v[136:137], v[106:107], v[128:129]
	s_wait_loadcnt 0x5
	v_fmac_f64_e32 v[136:137], v[108:109], v[130:131]
	ds_load_2addr_b64 v[106:109], v2 offset0:75 offset1:76
	ds_load_2addr_b64 v[124:127], v2 offset0:77 offset1:78
	s_wait_dscnt 0x1
	v_fmac_f64_e32 v[136:137], v[110:111], v[106:107]
	s_wait_loadcnt 0x4
	s_delay_alu instid0(VALU_DEP_1)
	v_fmac_f64_e32 v[136:137], v[112:113], v[108:109]
	s_clause 0x1
	scratch_load_b128 v[106:109], off, off offset:304
	scratch_load_b128 v[110:113], off, off offset:320
	s_wait_dscnt 0x0
	v_fmac_f64_e32 v[136:137], v[114:115], v[124:125]
	s_wait_loadcnt 0x5
	s_delay_alu instid0(VALU_DEP_1)
	v_fmac_f64_e32 v[136:137], v[116:117], v[126:127]
	ds_load_2addr_b64 v[114:117], v2 offset0:79 offset1:80
	ds_load_2addr_b64 v[124:127], v2 offset0:81 offset1:82
	s_wait_dscnt 0x1
	v_fmac_f64_e32 v[136:137], v[118:119], v[114:115]
	s_wait_loadcnt 0x4
	s_delay_alu instid0(VALU_DEP_1)
	v_fmac_f64_e32 v[136:137], v[120:121], v[116:117]
	s_clause 0x1
	scratch_load_b128 v[114:117], off, off offset:336
	scratch_load_b128 v[118:121], off, off offset:352
	s_wait_dscnt 0x0
	v_fmac_f64_e32 v[136:137], v[122:123], v[124:125]
	s_wait_loadcnt 0x5
	s_delay_alu instid0(VALU_DEP_1)
	v_fmac_f64_e32 v[136:137], v[132:133], v[126:127]
	ds_load_2addr_b64 v[122:125], v2 offset0:83 offset1:84
	ds_load_2addr_b64 v[126:129], v2 offset0:85 offset1:86
	s_wait_dscnt 0x1
	v_fmac_f64_e32 v[136:137], v[134:135], v[122:123]
	s_wait_loadcnt 0x4
	s_delay_alu instid0(VALU_DEP_1) | instskip(SKIP_4) | instid1(VALU_DEP_1)
	v_fmac_f64_e32 v[136:137], v[102:103], v[124:125]
	scratch_load_b128 v[122:125], off, off offset:368
	s_wait_dscnt 0x0
	v_fmac_f64_e32 v[136:137], v[104:105], v[126:127]
	s_wait_loadcnt 0x4
	v_fmac_f64_e32 v[136:137], v[106:107], v[128:129]
	ds_load_2addr_b64 v[102:105], v2 offset0:87 offset1:88
	ds_load_2addr_b64 v[126:129], v2 offset0:89 offset1:90
	s_wait_dscnt 0x1
	v_fmac_f64_e32 v[136:137], v[108:109], v[102:103]
	s_wait_loadcnt 0x3
	s_delay_alu instid0(VALU_DEP_1)
	v_fmac_f64_e32 v[136:137], v[110:111], v[104:105]
	ds_load_2addr_b64 v[102:105], v2 offset0:91 offset1:92
	ds_load_2addr_b64 v[106:109], v2 offset0:93 offset1:94
	s_wait_dscnt 0x2
	v_fmac_f64_e32 v[136:137], v[112:113], v[126:127]
	s_wait_loadcnt 0x2
	s_delay_alu instid0(VALU_DEP_1) | instskip(SKIP_1) | instid1(VALU_DEP_1)
	v_fmac_f64_e32 v[136:137], v[114:115], v[128:129]
	s_wait_dscnt 0x1
	v_fmac_f64_e32 v[136:137], v[116:117], v[102:103]
	ds_load_b64 v[102:103], v2 offset:760
	s_wait_loadcnt 0x1
	v_fmac_f64_e32 v[136:137], v[118:119], v[104:105]
	s_wait_dscnt 0x1
	s_delay_alu instid0(VALU_DEP_1) | instskip(SKIP_1) | instid1(VALU_DEP_1)
	v_fmac_f64_e32 v[136:137], v[120:121], v[106:107]
	s_wait_loadcnt 0x0
	v_fmac_f64_e32 v[136:137], v[122:123], v[108:109]
	s_wait_dscnt 0x0
	s_delay_alu instid0(VALU_DEP_1) | instskip(NEXT) | instid1(VALU_DEP_1)
	v_fmac_f64_e32 v[136:137], v[124:125], v[102:103]
	v_add_f64_e64 v[100:101], v[100:101], -v[136:137]
	scratch_store_b64 off, v[100:101], off offset:176
	s_wait_xcnt 0x0
	v_cmpx_lt_u32_e32 21, v0
	s_cbranch_execz .LBB47_255
; %bb.254:
	scratch_load_b64 v[100:101], off, off offset:168
	v_mov_b64_e32 v[102:103], 0
	scratch_store_b64 off, v[102:103], off offset:168
	s_wait_loadcnt 0x0
	ds_store_b64 v1, v[100:101]
.LBB47_255:
	s_wait_xcnt 0x0
	s_or_b32 exec_lo, exec_lo, s0
	s_wait_storecnt_dscnt 0x0
	s_barrier_signal -1
	s_barrier_wait -1
	s_clause 0x5
	scratch_load_b128 v[100:103], off, off offset:168
	scratch_load_b128 v[104:107], off, off offset:184
	;; [unrolled: 1-line block ×6, first 2 shown]
	ds_load_b128 v[124:127], v2 offset:560
	ds_load_b128 v[128:131], v2 offset:576
	scratch_load_b128 v[132:135], off, off offset:264
	s_mov_b32 s0, exec_lo
	s_wait_loadcnt_dscnt 0x601
	v_fma_f64 v[136:137], v[102:103], v[124:125], 0
	s_wait_loadcnt 0x5
	s_delay_alu instid0(VALU_DEP_1) | instskip(SKIP_4) | instid1(VALU_DEP_1)
	v_fmac_f64_e32 v[136:137], v[104:105], v[126:127]
	scratch_load_b128 v[102:105], off, off offset:280
	s_wait_dscnt 0x0
	v_fmac_f64_e32 v[136:137], v[106:107], v[128:129]
	s_wait_loadcnt 0x5
	v_fmac_f64_e32 v[136:137], v[108:109], v[130:131]
	ds_load_b128 v[106:109], v2 offset:592
	ds_load_b128 v[124:127], v2 offset:608
	scratch_load_b128 v[128:131], off, off offset:296
	s_wait_dscnt 0x1
	v_fmac_f64_e32 v[136:137], v[110:111], v[106:107]
	s_wait_loadcnt 0x5
	s_delay_alu instid0(VALU_DEP_1) | instskip(SKIP_4) | instid1(VALU_DEP_1)
	v_fmac_f64_e32 v[136:137], v[112:113], v[108:109]
	scratch_load_b128 v[106:109], off, off offset:312
	s_wait_dscnt 0x0
	v_fmac_f64_e32 v[136:137], v[114:115], v[124:125]
	s_wait_loadcnt 0x5
	v_fmac_f64_e32 v[136:137], v[116:117], v[126:127]
	ds_load_b128 v[110:113], v2 offset:624
	ds_load_b128 v[114:117], v2 offset:640
	s_wait_dscnt 0x1
	v_fmac_f64_e32 v[136:137], v[118:119], v[110:111]
	s_wait_loadcnt 0x4
	s_delay_alu instid0(VALU_DEP_1) | instskip(SKIP_4) | instid1(VALU_DEP_1)
	v_fmac_f64_e32 v[136:137], v[120:121], v[112:113]
	scratch_load_b128 v[110:113], off, off offset:328
	s_wait_dscnt 0x0
	v_fmac_f64_e32 v[136:137], v[122:123], v[114:115]
	s_wait_loadcnt 0x4
	v_fmac_f64_e32 v[136:137], v[132:133], v[116:117]
	scratch_load_b128 v[114:117], off, off offset:344
	ds_load_b128 v[118:121], v2 offset:656
	ds_load_b128 v[122:125], v2 offset:672
	scratch_load_b64 v[126:127], off, off offset:376
	s_wait_dscnt 0x1
	v_fmac_f64_e32 v[136:137], v[134:135], v[118:119]
	s_wait_loadcnt 0x5
	s_delay_alu instid0(VALU_DEP_1) | instskip(SKIP_4) | instid1(VALU_DEP_1)
	v_fmac_f64_e32 v[136:137], v[102:103], v[120:121]
	scratch_load_b128 v[118:121], off, off offset:360
	s_wait_dscnt 0x0
	v_fmac_f64_e32 v[136:137], v[104:105], v[122:123]
	s_wait_loadcnt 0x5
	v_fmac_f64_e32 v[136:137], v[128:129], v[124:125]
	ds_load_b128 v[102:105], v2 offset:688
	ds_load_b128 v[122:125], v2 offset:704
	s_wait_dscnt 0x1
	v_fmac_f64_e32 v[136:137], v[130:131], v[102:103]
	s_wait_loadcnt 0x4
	s_delay_alu instid0(VALU_DEP_1) | instskip(SKIP_1) | instid1(VALU_DEP_1)
	v_fmac_f64_e32 v[136:137], v[106:107], v[104:105]
	s_wait_dscnt 0x0
	v_fmac_f64_e32 v[136:137], v[108:109], v[122:123]
	ds_load_b128 v[102:105], v2 offset:720
	ds_load_b128 v[106:109], v2 offset:736
	s_wait_loadcnt 0x3
	v_fmac_f64_e32 v[136:137], v[110:111], v[124:125]
	s_wait_dscnt 0x1
	s_delay_alu instid0(VALU_DEP_1) | instskip(SKIP_1) | instid1(VALU_DEP_1)
	v_fmac_f64_e32 v[136:137], v[112:113], v[102:103]
	s_wait_loadcnt 0x2
	v_fmac_f64_e32 v[136:137], v[114:115], v[104:105]
	ds_load_b128 v[102:105], v2 offset:752
	s_wait_dscnt 0x1
	v_fmac_f64_e32 v[136:137], v[116:117], v[106:107]
	s_wait_loadcnt 0x0
	s_delay_alu instid0(VALU_DEP_1) | instskip(SKIP_1) | instid1(VALU_DEP_1)
	v_fmac_f64_e32 v[136:137], v[118:119], v[108:109]
	s_wait_dscnt 0x0
	v_fmac_f64_e32 v[136:137], v[120:121], v[102:103]
	s_delay_alu instid0(VALU_DEP_1) | instskip(NEXT) | instid1(VALU_DEP_1)
	v_fmac_f64_e32 v[136:137], v[126:127], v[104:105]
	v_add_f64_e64 v[2:3], v[100:101], -v[136:137]
	scratch_store_b64 off, v[2:3], off offset:168
	s_wait_xcnt 0x0
	v_cmpx_lt_u32_e32 20, v0
	s_cbranch_execz .LBB47_257
; %bb.256:
	scratch_load_b64 v[2:3], off, off offset:160
	v_mov_b64_e32 v[100:101], 0
	scratch_store_b64 off, v[100:101], off offset:160
	s_wait_loadcnt 0x0
	ds_store_b64 v1, v[2:3]
.LBB47_257:
	s_wait_xcnt 0x0
	s_or_b32 exec_lo, exec_lo, s0
	s_wait_storecnt_dscnt 0x0
	s_barrier_signal -1
	s_barrier_wait -1
	s_clause 0x5
	scratch_load_b128 v[100:103], off, off offset:160
	scratch_load_b128 v[104:107], off, off offset:176
	;; [unrolled: 1-line block ×6, first 2 shown]
	v_mov_b32_e32 v2, 0
	ds_load_2addr_b64 v[124:127], v2 offset0:69 offset1:70
	ds_load_2addr_b64 v[128:131], v2 offset0:71 offset1:72
	scratch_load_b128 v[132:135], off, off offset:256
	s_mov_b32 s0, exec_lo
	s_wait_loadcnt_dscnt 0x601
	v_fma_f64 v[136:137], v[102:103], v[124:125], 0
	s_wait_loadcnt 0x5
	s_delay_alu instid0(VALU_DEP_1) | instskip(SKIP_4) | instid1(VALU_DEP_1)
	v_fmac_f64_e32 v[136:137], v[104:105], v[126:127]
	scratch_load_b128 v[102:105], off, off offset:272
	s_wait_dscnt 0x0
	v_fmac_f64_e32 v[136:137], v[106:107], v[128:129]
	s_wait_loadcnt 0x5
	v_fmac_f64_e32 v[136:137], v[108:109], v[130:131]
	ds_load_2addr_b64 v[106:109], v2 offset0:73 offset1:74
	ds_load_2addr_b64 v[124:127], v2 offset0:75 offset1:76
	scratch_load_b128 v[128:131], off, off offset:288
	s_wait_dscnt 0x1
	v_fmac_f64_e32 v[136:137], v[110:111], v[106:107]
	s_wait_loadcnt 0x5
	s_delay_alu instid0(VALU_DEP_1) | instskip(SKIP_4) | instid1(VALU_DEP_1)
	v_fmac_f64_e32 v[136:137], v[112:113], v[108:109]
	scratch_load_b128 v[106:109], off, off offset:304
	s_wait_dscnt 0x0
	v_fmac_f64_e32 v[136:137], v[114:115], v[124:125]
	s_wait_loadcnt 0x5
	v_fmac_f64_e32 v[136:137], v[116:117], v[126:127]
	ds_load_2addr_b64 v[110:113], v2 offset0:77 offset1:78
	ds_load_2addr_b64 v[114:117], v2 offset0:79 offset1:80
	s_wait_dscnt 0x1
	v_fmac_f64_e32 v[136:137], v[118:119], v[110:111]
	s_wait_loadcnt 0x4
	s_delay_alu instid0(VALU_DEP_1) | instskip(SKIP_4) | instid1(VALU_DEP_1)
	v_fmac_f64_e32 v[136:137], v[120:121], v[112:113]
	scratch_load_b128 v[110:113], off, off offset:320
	s_wait_dscnt 0x0
	v_fmac_f64_e32 v[136:137], v[122:123], v[114:115]
	s_wait_loadcnt 0x4
	v_fmac_f64_e32 v[136:137], v[132:133], v[116:117]
	scratch_load_b128 v[114:117], off, off offset:336
	ds_load_2addr_b64 v[118:121], v2 offset0:81 offset1:82
	ds_load_2addr_b64 v[122:125], v2 offset0:83 offset1:84
	s_wait_dscnt 0x1
	v_fmac_f64_e32 v[136:137], v[134:135], v[118:119]
	s_wait_loadcnt 0x4
	s_delay_alu instid0(VALU_DEP_1)
	v_fmac_f64_e32 v[136:137], v[102:103], v[120:121]
	scratch_load_b128 v[118:121], off, off offset:352
	s_wait_dscnt 0x0
	v_fmac_f64_e32 v[136:137], v[104:105], v[122:123]
	scratch_load_b128 v[102:105], off, off offset:368
	s_wait_loadcnt 0x5
	v_fmac_f64_e32 v[136:137], v[128:129], v[124:125]
	ds_load_2addr_b64 v[122:125], v2 offset0:85 offset1:86
	ds_load_2addr_b64 v[126:129], v2 offset0:87 offset1:88
	s_wait_dscnt 0x1
	v_fmac_f64_e32 v[136:137], v[130:131], v[122:123]
	s_wait_loadcnt 0x4
	s_delay_alu instid0(VALU_DEP_1) | instskip(SKIP_1) | instid1(VALU_DEP_1)
	v_fmac_f64_e32 v[136:137], v[106:107], v[124:125]
	s_wait_dscnt 0x0
	v_fmac_f64_e32 v[136:137], v[108:109], v[126:127]
	ds_load_2addr_b64 v[106:109], v2 offset0:89 offset1:90
	ds_load_2addr_b64 v[122:125], v2 offset0:91 offset1:92
	s_wait_loadcnt 0x3
	v_fmac_f64_e32 v[136:137], v[110:111], v[128:129]
	s_wait_dscnt 0x1
	s_delay_alu instid0(VALU_DEP_1) | instskip(SKIP_1) | instid1(VALU_DEP_1)
	v_fmac_f64_e32 v[136:137], v[112:113], v[106:107]
	s_wait_loadcnt 0x2
	v_fmac_f64_e32 v[136:137], v[114:115], v[108:109]
	ds_load_2addr_b64 v[106:109], v2 offset0:93 offset1:94
	ds_load_b64 v[110:111], v2 offset:760
	s_wait_dscnt 0x2
	v_fmac_f64_e32 v[136:137], v[116:117], v[122:123]
	s_wait_loadcnt 0x1
	s_delay_alu instid0(VALU_DEP_1) | instskip(SKIP_1) | instid1(VALU_DEP_1)
	v_fmac_f64_e32 v[136:137], v[118:119], v[124:125]
	s_wait_dscnt 0x1
	v_fmac_f64_e32 v[136:137], v[120:121], v[106:107]
	s_wait_loadcnt 0x0
	s_delay_alu instid0(VALU_DEP_1) | instskip(SKIP_1) | instid1(VALU_DEP_1)
	v_fmac_f64_e32 v[136:137], v[102:103], v[108:109]
	s_wait_dscnt 0x0
	v_fmac_f64_e32 v[136:137], v[104:105], v[110:111]
	s_delay_alu instid0(VALU_DEP_1)
	v_add_f64_e64 v[100:101], v[100:101], -v[136:137]
	scratch_store_b64 off, v[100:101], off offset:160
	s_wait_xcnt 0x0
	v_cmpx_lt_u32_e32 19, v0
	s_cbranch_execz .LBB47_259
; %bb.258:
	scratch_load_b64 v[100:101], off, off offset:152
	v_mov_b64_e32 v[102:103], 0
	scratch_store_b64 off, v[102:103], off offset:152
	s_wait_loadcnt 0x0
	ds_store_b64 v1, v[100:101]
.LBB47_259:
	s_wait_xcnt 0x0
	s_or_b32 exec_lo, exec_lo, s0
	s_wait_storecnt_dscnt 0x0
	s_barrier_signal -1
	s_barrier_wait -1
	s_clause 0x5
	scratch_load_b128 v[100:103], off, off offset:152
	scratch_load_b128 v[104:107], off, off offset:168
	;; [unrolled: 1-line block ×6, first 2 shown]
	ds_load_b128 v[124:127], v2 offset:544
	ds_load_b128 v[128:131], v2 offset:560
	scratch_load_b128 v[132:135], off, off offset:248
	s_mov_b32 s0, exec_lo
	s_wait_loadcnt_dscnt 0x601
	v_fma_f64 v[136:137], v[102:103], v[124:125], 0
	s_wait_loadcnt 0x5
	s_delay_alu instid0(VALU_DEP_1) | instskip(SKIP_4) | instid1(VALU_DEP_1)
	v_fmac_f64_e32 v[136:137], v[104:105], v[126:127]
	scratch_load_b128 v[102:105], off, off offset:264
	s_wait_dscnt 0x0
	v_fmac_f64_e32 v[136:137], v[106:107], v[128:129]
	s_wait_loadcnt 0x5
	v_fmac_f64_e32 v[136:137], v[108:109], v[130:131]
	ds_load_b128 v[106:109], v2 offset:576
	ds_load_b128 v[124:127], v2 offset:592
	scratch_load_b128 v[128:131], off, off offset:280
	s_wait_dscnt 0x1
	v_fmac_f64_e32 v[136:137], v[110:111], v[106:107]
	s_wait_loadcnt 0x5
	s_delay_alu instid0(VALU_DEP_1) | instskip(SKIP_4) | instid1(VALU_DEP_1)
	v_fmac_f64_e32 v[136:137], v[112:113], v[108:109]
	scratch_load_b128 v[106:109], off, off offset:296
	s_wait_dscnt 0x0
	v_fmac_f64_e32 v[136:137], v[114:115], v[124:125]
	s_wait_loadcnt 0x5
	v_fmac_f64_e32 v[136:137], v[116:117], v[126:127]
	ds_load_b128 v[110:113], v2 offset:608
	ds_load_b128 v[114:117], v2 offset:624
	s_wait_dscnt 0x1
	v_fmac_f64_e32 v[136:137], v[118:119], v[110:111]
	s_wait_loadcnt 0x4
	s_delay_alu instid0(VALU_DEP_1) | instskip(SKIP_4) | instid1(VALU_DEP_1)
	v_fmac_f64_e32 v[136:137], v[120:121], v[112:113]
	scratch_load_b128 v[110:113], off, off offset:312
	s_wait_dscnt 0x0
	v_fmac_f64_e32 v[136:137], v[122:123], v[114:115]
	s_wait_loadcnt 0x4
	v_fmac_f64_e32 v[136:137], v[132:133], v[116:117]
	scratch_load_b128 v[114:117], off, off offset:328
	ds_load_b128 v[118:121], v2 offset:640
	ds_load_b128 v[122:125], v2 offset:656
	s_wait_dscnt 0x1
	v_fmac_f64_e32 v[136:137], v[134:135], v[118:119]
	s_wait_loadcnt 0x4
	s_delay_alu instid0(VALU_DEP_1)
	v_fmac_f64_e32 v[136:137], v[102:103], v[120:121]
	scratch_load_b128 v[118:121], off, off offset:344
	s_wait_dscnt 0x0
	v_fmac_f64_e32 v[136:137], v[104:105], v[122:123]
	scratch_load_b128 v[102:105], off, off offset:360
	s_wait_loadcnt 0x5
	v_fmac_f64_e32 v[136:137], v[128:129], v[124:125]
	ds_load_b128 v[122:125], v2 offset:672
	ds_load_b128 v[126:129], v2 offset:688
	s_wait_dscnt 0x1
	v_fmac_f64_e32 v[136:137], v[130:131], v[122:123]
	scratch_load_b64 v[130:131], off, off offset:376
	s_wait_loadcnt 0x5
	v_fmac_f64_e32 v[136:137], v[106:107], v[124:125]
	s_wait_dscnt 0x0
	s_delay_alu instid0(VALU_DEP_1)
	v_fmac_f64_e32 v[136:137], v[108:109], v[126:127]
	ds_load_b128 v[106:109], v2 offset:704
	ds_load_b128 v[122:125], v2 offset:720
	s_wait_loadcnt 0x4
	v_fmac_f64_e32 v[136:137], v[110:111], v[128:129]
	s_wait_dscnt 0x1
	s_delay_alu instid0(VALU_DEP_1) | instskip(SKIP_1) | instid1(VALU_DEP_1)
	v_fmac_f64_e32 v[136:137], v[112:113], v[106:107]
	s_wait_loadcnt 0x3
	v_fmac_f64_e32 v[136:137], v[114:115], v[108:109]
	ds_load_b128 v[106:109], v2 offset:736
	ds_load_b128 v[110:113], v2 offset:752
	s_wait_dscnt 0x2
	v_fmac_f64_e32 v[136:137], v[116:117], v[122:123]
	s_wait_loadcnt 0x2
	s_delay_alu instid0(VALU_DEP_1) | instskip(SKIP_1) | instid1(VALU_DEP_1)
	v_fmac_f64_e32 v[136:137], v[118:119], v[124:125]
	s_wait_dscnt 0x1
	v_fmac_f64_e32 v[136:137], v[120:121], v[106:107]
	s_wait_loadcnt 0x1
	s_delay_alu instid0(VALU_DEP_1) | instskip(SKIP_1) | instid1(VALU_DEP_1)
	v_fmac_f64_e32 v[136:137], v[102:103], v[108:109]
	s_wait_dscnt 0x0
	v_fmac_f64_e32 v[136:137], v[104:105], v[110:111]
	s_wait_loadcnt 0x0
	s_delay_alu instid0(VALU_DEP_1) | instskip(NEXT) | instid1(VALU_DEP_1)
	v_fmac_f64_e32 v[136:137], v[130:131], v[112:113]
	v_add_f64_e64 v[2:3], v[100:101], -v[136:137]
	scratch_store_b64 off, v[2:3], off offset:152
	s_wait_xcnt 0x0
	v_cmpx_lt_u32_e32 18, v0
	s_cbranch_execz .LBB47_261
; %bb.260:
	scratch_load_b64 v[2:3], off, off offset:144
	v_mov_b64_e32 v[100:101], 0
	scratch_store_b64 off, v[100:101], off offset:144
	s_wait_loadcnt 0x0
	ds_store_b64 v1, v[2:3]
.LBB47_261:
	s_wait_xcnt 0x0
	s_or_b32 exec_lo, exec_lo, s0
	s_wait_storecnt_dscnt 0x0
	s_barrier_signal -1
	s_barrier_wait -1
	s_clause 0x5
	scratch_load_b128 v[100:103], off, off offset:144
	scratch_load_b128 v[104:107], off, off offset:160
	;; [unrolled: 1-line block ×6, first 2 shown]
	v_mov_b32_e32 v2, 0
	ds_load_2addr_b64 v[124:127], v2 offset0:67 offset1:68
	ds_load_2addr_b64 v[128:131], v2 offset0:69 offset1:70
	scratch_load_b128 v[132:135], off, off offset:240
	s_mov_b32 s0, exec_lo
	s_wait_loadcnt_dscnt 0x601
	v_fma_f64 v[136:137], v[102:103], v[124:125], 0
	s_wait_loadcnt 0x5
	s_delay_alu instid0(VALU_DEP_1) | instskip(SKIP_4) | instid1(VALU_DEP_1)
	v_fmac_f64_e32 v[136:137], v[104:105], v[126:127]
	scratch_load_b128 v[102:105], off, off offset:256
	s_wait_dscnt 0x0
	v_fmac_f64_e32 v[136:137], v[106:107], v[128:129]
	s_wait_loadcnt 0x5
	v_fmac_f64_e32 v[136:137], v[108:109], v[130:131]
	ds_load_2addr_b64 v[106:109], v2 offset0:71 offset1:72
	ds_load_2addr_b64 v[124:127], v2 offset0:73 offset1:74
	scratch_load_b128 v[128:131], off, off offset:272
	s_wait_dscnt 0x1
	v_fmac_f64_e32 v[136:137], v[110:111], v[106:107]
	s_wait_loadcnt 0x5
	s_delay_alu instid0(VALU_DEP_1) | instskip(SKIP_4) | instid1(VALU_DEP_1)
	v_fmac_f64_e32 v[136:137], v[112:113], v[108:109]
	scratch_load_b128 v[106:109], off, off offset:288
	s_wait_dscnt 0x0
	v_fmac_f64_e32 v[136:137], v[114:115], v[124:125]
	s_wait_loadcnt 0x5
	v_fmac_f64_e32 v[136:137], v[116:117], v[126:127]
	ds_load_2addr_b64 v[110:113], v2 offset0:75 offset1:76
	ds_load_2addr_b64 v[114:117], v2 offset0:77 offset1:78
	s_wait_dscnt 0x1
	v_fmac_f64_e32 v[136:137], v[118:119], v[110:111]
	s_wait_loadcnt 0x4
	s_delay_alu instid0(VALU_DEP_1) | instskip(SKIP_4) | instid1(VALU_DEP_1)
	v_fmac_f64_e32 v[136:137], v[120:121], v[112:113]
	scratch_load_b128 v[110:113], off, off offset:304
	s_wait_dscnt 0x0
	v_fmac_f64_e32 v[136:137], v[122:123], v[114:115]
	s_wait_loadcnt 0x4
	v_fmac_f64_e32 v[136:137], v[132:133], v[116:117]
	scratch_load_b128 v[114:117], off, off offset:320
	ds_load_2addr_b64 v[118:121], v2 offset0:79 offset1:80
	ds_load_2addr_b64 v[122:125], v2 offset0:81 offset1:82
	s_wait_dscnt 0x1
	v_fmac_f64_e32 v[136:137], v[134:135], v[118:119]
	s_wait_loadcnt 0x4
	s_delay_alu instid0(VALU_DEP_1)
	v_fmac_f64_e32 v[136:137], v[102:103], v[120:121]
	scratch_load_b128 v[118:121], off, off offset:336
	s_wait_dscnt 0x0
	v_fmac_f64_e32 v[136:137], v[104:105], v[122:123]
	scratch_load_b128 v[102:105], off, off offset:352
	s_wait_loadcnt 0x5
	v_fmac_f64_e32 v[136:137], v[128:129], v[124:125]
	ds_load_2addr_b64 v[122:125], v2 offset0:83 offset1:84
	ds_load_2addr_b64 v[126:129], v2 offset0:85 offset1:86
	s_wait_dscnt 0x1
	v_fmac_f64_e32 v[136:137], v[130:131], v[122:123]
	s_wait_loadcnt 0x4
	s_delay_alu instid0(VALU_DEP_1) | instskip(SKIP_4) | instid1(VALU_DEP_1)
	v_fmac_f64_e32 v[136:137], v[106:107], v[124:125]
	scratch_load_b128 v[122:125], off, off offset:368
	s_wait_dscnt 0x0
	v_fmac_f64_e32 v[136:137], v[108:109], v[126:127]
	s_wait_loadcnt 0x4
	v_fmac_f64_e32 v[136:137], v[110:111], v[128:129]
	ds_load_2addr_b64 v[106:109], v2 offset0:87 offset1:88
	ds_load_2addr_b64 v[126:129], v2 offset0:89 offset1:90
	s_wait_dscnt 0x1
	v_fmac_f64_e32 v[136:137], v[112:113], v[106:107]
	s_wait_loadcnt 0x3
	s_delay_alu instid0(VALU_DEP_1)
	v_fmac_f64_e32 v[136:137], v[114:115], v[108:109]
	ds_load_2addr_b64 v[106:109], v2 offset0:91 offset1:92
	ds_load_2addr_b64 v[110:113], v2 offset0:93 offset1:94
	s_wait_dscnt 0x2
	v_fmac_f64_e32 v[136:137], v[116:117], v[126:127]
	s_wait_loadcnt 0x2
	s_delay_alu instid0(VALU_DEP_1) | instskip(SKIP_1) | instid1(VALU_DEP_1)
	v_fmac_f64_e32 v[136:137], v[118:119], v[128:129]
	s_wait_dscnt 0x1
	v_fmac_f64_e32 v[136:137], v[120:121], v[106:107]
	s_wait_loadcnt 0x1
	s_delay_alu instid0(VALU_DEP_1) | instskip(SKIP_4) | instid1(VALU_DEP_1)
	v_fmac_f64_e32 v[136:137], v[102:103], v[108:109]
	ds_load_b64 v[102:103], v2 offset:760
	s_wait_dscnt 0x1
	v_fmac_f64_e32 v[136:137], v[104:105], v[110:111]
	s_wait_loadcnt 0x0
	v_fmac_f64_e32 v[136:137], v[122:123], v[112:113]
	s_wait_dscnt 0x0
	s_delay_alu instid0(VALU_DEP_1) | instskip(NEXT) | instid1(VALU_DEP_1)
	v_fmac_f64_e32 v[136:137], v[124:125], v[102:103]
	v_add_f64_e64 v[100:101], v[100:101], -v[136:137]
	scratch_store_b64 off, v[100:101], off offset:144
	s_wait_xcnt 0x0
	v_cmpx_lt_u32_e32 17, v0
	s_cbranch_execz .LBB47_263
; %bb.262:
	scratch_load_b64 v[100:101], off, off offset:136
	v_mov_b64_e32 v[102:103], 0
	scratch_store_b64 off, v[102:103], off offset:136
	s_wait_loadcnt 0x0
	ds_store_b64 v1, v[100:101]
.LBB47_263:
	s_wait_xcnt 0x0
	s_or_b32 exec_lo, exec_lo, s0
	s_wait_storecnt_dscnt 0x0
	s_barrier_signal -1
	s_barrier_wait -1
	s_clause 0x5
	scratch_load_b128 v[100:103], off, off offset:136
	scratch_load_b128 v[104:107], off, off offset:152
	;; [unrolled: 1-line block ×6, first 2 shown]
	ds_load_b128 v[124:127], v2 offset:528
	ds_load_b128 v[128:131], v2 offset:544
	scratch_load_b128 v[132:135], off, off offset:232
	s_mov_b32 s0, exec_lo
	s_wait_loadcnt_dscnt 0x601
	v_fma_f64 v[136:137], v[102:103], v[124:125], 0
	s_wait_loadcnt 0x5
	s_delay_alu instid0(VALU_DEP_1) | instskip(SKIP_4) | instid1(VALU_DEP_1)
	v_fmac_f64_e32 v[136:137], v[104:105], v[126:127]
	scratch_load_b128 v[102:105], off, off offset:248
	s_wait_dscnt 0x0
	v_fmac_f64_e32 v[136:137], v[106:107], v[128:129]
	s_wait_loadcnt 0x5
	v_fmac_f64_e32 v[136:137], v[108:109], v[130:131]
	ds_load_b128 v[106:109], v2 offset:560
	ds_load_b128 v[124:127], v2 offset:576
	scratch_load_b128 v[128:131], off, off offset:264
	s_wait_dscnt 0x1
	v_fmac_f64_e32 v[136:137], v[110:111], v[106:107]
	s_wait_loadcnt 0x5
	s_delay_alu instid0(VALU_DEP_1) | instskip(SKIP_4) | instid1(VALU_DEP_1)
	v_fmac_f64_e32 v[136:137], v[112:113], v[108:109]
	scratch_load_b128 v[106:109], off, off offset:280
	s_wait_dscnt 0x0
	v_fmac_f64_e32 v[136:137], v[114:115], v[124:125]
	s_wait_loadcnt 0x5
	v_fmac_f64_e32 v[136:137], v[116:117], v[126:127]
	ds_load_b128 v[110:113], v2 offset:592
	ds_load_b128 v[114:117], v2 offset:608
	scratch_load_b128 v[124:127], off, off offset:296
	s_wait_dscnt 0x1
	v_fmac_f64_e32 v[136:137], v[118:119], v[110:111]
	s_wait_loadcnt 0x5
	s_delay_alu instid0(VALU_DEP_1) | instskip(SKIP_4) | instid1(VALU_DEP_1)
	v_fmac_f64_e32 v[136:137], v[120:121], v[112:113]
	scratch_load_b128 v[110:113], off, off offset:312
	s_wait_dscnt 0x0
	v_fmac_f64_e32 v[136:137], v[122:123], v[114:115]
	s_wait_loadcnt 0x5
	v_fmac_f64_e32 v[136:137], v[132:133], v[116:117]
	ds_load_b128 v[114:117], v2 offset:624
	ds_load_b128 v[118:121], v2 offset:640
	s_wait_dscnt 0x1
	v_fmac_f64_e32 v[136:137], v[134:135], v[114:115]
	s_wait_loadcnt 0x4
	s_delay_alu instid0(VALU_DEP_1)
	v_fmac_f64_e32 v[136:137], v[102:103], v[116:117]
	scratch_load_b128 v[114:117], off, off offset:328
	s_wait_dscnt 0x0
	v_fmac_f64_e32 v[136:137], v[104:105], v[118:119]
	scratch_load_b128 v[102:105], off, off offset:344
	s_wait_loadcnt 0x5
	v_fmac_f64_e32 v[136:137], v[128:129], v[120:121]
	ds_load_b128 v[118:121], v2 offset:656
	ds_load_b128 v[132:135], v2 offset:672
	scratch_load_b64 v[128:129], off, off offset:376
	s_wait_dscnt 0x1
	v_fmac_f64_e32 v[136:137], v[130:131], v[118:119]
	s_wait_loadcnt 0x5
	s_delay_alu instid0(VALU_DEP_1) | instskip(SKIP_4) | instid1(VALU_DEP_1)
	v_fmac_f64_e32 v[136:137], v[106:107], v[120:121]
	scratch_load_b128 v[118:121], off, off offset:360
	s_wait_dscnt 0x0
	v_fmac_f64_e32 v[136:137], v[108:109], v[132:133]
	s_wait_loadcnt 0x5
	v_fmac_f64_e32 v[136:137], v[124:125], v[134:135]
	ds_load_b128 v[106:109], v2 offset:688
	ds_load_b128 v[122:125], v2 offset:704
	s_wait_dscnt 0x1
	v_fmac_f64_e32 v[136:137], v[126:127], v[106:107]
	s_wait_loadcnt 0x4
	s_delay_alu instid0(VALU_DEP_1) | instskip(SKIP_1) | instid1(VALU_DEP_1)
	v_fmac_f64_e32 v[136:137], v[110:111], v[108:109]
	s_wait_dscnt 0x0
	v_fmac_f64_e32 v[136:137], v[112:113], v[122:123]
	ds_load_b128 v[106:109], v2 offset:720
	ds_load_b128 v[110:113], v2 offset:736
	s_wait_loadcnt 0x3
	v_fmac_f64_e32 v[136:137], v[114:115], v[124:125]
	s_wait_dscnt 0x1
	s_delay_alu instid0(VALU_DEP_1) | instskip(SKIP_1) | instid1(VALU_DEP_1)
	v_fmac_f64_e32 v[136:137], v[116:117], v[106:107]
	s_wait_loadcnt 0x2
	v_fmac_f64_e32 v[136:137], v[102:103], v[108:109]
	s_wait_dscnt 0x0
	s_delay_alu instid0(VALU_DEP_1) | instskip(SKIP_4) | instid1(VALU_DEP_1)
	v_fmac_f64_e32 v[136:137], v[104:105], v[110:111]
	ds_load_b128 v[102:105], v2 offset:752
	s_wait_loadcnt 0x0
	v_fmac_f64_e32 v[136:137], v[118:119], v[112:113]
	s_wait_dscnt 0x0
	v_fmac_f64_e32 v[136:137], v[120:121], v[102:103]
	s_delay_alu instid0(VALU_DEP_1) | instskip(NEXT) | instid1(VALU_DEP_1)
	v_fmac_f64_e32 v[136:137], v[128:129], v[104:105]
	v_add_f64_e64 v[2:3], v[100:101], -v[136:137]
	scratch_store_b64 off, v[2:3], off offset:136
	s_wait_xcnt 0x0
	v_cmpx_lt_u32_e32 16, v0
	s_cbranch_execz .LBB47_265
; %bb.264:
	scratch_load_b64 v[2:3], off, off offset:128
	v_mov_b64_e32 v[100:101], 0
	scratch_store_b64 off, v[100:101], off offset:128
	s_wait_loadcnt 0x0
	ds_store_b64 v1, v[2:3]
.LBB47_265:
	s_wait_xcnt 0x0
	s_or_b32 exec_lo, exec_lo, s0
	s_wait_storecnt_dscnt 0x0
	s_barrier_signal -1
	s_barrier_wait -1
	s_clause 0x5
	scratch_load_b128 v[100:103], off, off offset:128
	scratch_load_b128 v[104:107], off, off offset:144
	;; [unrolled: 1-line block ×6, first 2 shown]
	v_mov_b32_e32 v2, 0
	ds_load_2addr_b64 v[124:127], v2 offset0:65 offset1:66
	ds_load_2addr_b64 v[128:131], v2 offset0:67 offset1:68
	scratch_load_b128 v[132:135], off, off offset:224
	s_mov_b32 s0, exec_lo
	s_wait_loadcnt_dscnt 0x601
	v_fma_f64 v[136:137], v[102:103], v[124:125], 0
	s_wait_loadcnt 0x5
	s_delay_alu instid0(VALU_DEP_1) | instskip(SKIP_4) | instid1(VALU_DEP_1)
	v_fmac_f64_e32 v[136:137], v[104:105], v[126:127]
	scratch_load_b128 v[102:105], off, off offset:240
	s_wait_dscnt 0x0
	v_fmac_f64_e32 v[136:137], v[106:107], v[128:129]
	s_wait_loadcnt 0x5
	v_fmac_f64_e32 v[136:137], v[108:109], v[130:131]
	ds_load_2addr_b64 v[106:109], v2 offset0:69 offset1:70
	ds_load_2addr_b64 v[124:127], v2 offset0:71 offset1:72
	scratch_load_b128 v[128:131], off, off offset:256
	s_wait_dscnt 0x1
	v_fmac_f64_e32 v[136:137], v[110:111], v[106:107]
	s_wait_loadcnt 0x5
	s_delay_alu instid0(VALU_DEP_1) | instskip(SKIP_4) | instid1(VALU_DEP_1)
	v_fmac_f64_e32 v[136:137], v[112:113], v[108:109]
	scratch_load_b128 v[106:109], off, off offset:272
	s_wait_dscnt 0x0
	v_fmac_f64_e32 v[136:137], v[114:115], v[124:125]
	s_wait_loadcnt 0x5
	v_fmac_f64_e32 v[136:137], v[116:117], v[126:127]
	ds_load_2addr_b64 v[110:113], v2 offset0:73 offset1:74
	ds_load_2addr_b64 v[114:117], v2 offset0:75 offset1:76
	scratch_load_b128 v[124:127], off, off offset:288
	s_wait_dscnt 0x1
	v_fmac_f64_e32 v[136:137], v[118:119], v[110:111]
	s_wait_loadcnt 0x5
	s_delay_alu instid0(VALU_DEP_1) | instskip(SKIP_4) | instid1(VALU_DEP_1)
	v_fmac_f64_e32 v[136:137], v[120:121], v[112:113]
	scratch_load_b128 v[110:113], off, off offset:304
	s_wait_dscnt 0x0
	v_fmac_f64_e32 v[136:137], v[122:123], v[114:115]
	s_wait_loadcnt 0x5
	v_fmac_f64_e32 v[136:137], v[132:133], v[116:117]
	ds_load_2addr_b64 v[114:117], v2 offset0:77 offset1:78
	ds_load_2addr_b64 v[118:121], v2 offset0:79 offset1:80
	s_wait_dscnt 0x1
	v_fmac_f64_e32 v[136:137], v[134:135], v[114:115]
	s_wait_loadcnt 0x4
	s_delay_alu instid0(VALU_DEP_1)
	v_fmac_f64_e32 v[136:137], v[102:103], v[116:117]
	scratch_load_b128 v[114:117], off, off offset:320
	s_wait_dscnt 0x0
	v_fmac_f64_e32 v[136:137], v[104:105], v[118:119]
	scratch_load_b128 v[102:105], off, off offset:336
	s_wait_loadcnt 0x5
	v_fmac_f64_e32 v[136:137], v[128:129], v[120:121]
	ds_load_2addr_b64 v[118:121], v2 offset0:81 offset1:82
	ds_load_2addr_b64 v[132:135], v2 offset0:83 offset1:84
	s_wait_dscnt 0x1
	v_fmac_f64_e32 v[136:137], v[130:131], v[118:119]
	s_wait_loadcnt 0x4
	s_delay_alu instid0(VALU_DEP_1)
	v_fmac_f64_e32 v[136:137], v[106:107], v[120:121]
	scratch_load_b128 v[118:121], off, off offset:352
	s_wait_dscnt 0x0
	v_fmac_f64_e32 v[136:137], v[108:109], v[132:133]
	scratch_load_b128 v[106:109], off, off offset:368
	s_wait_loadcnt 0x5
	v_fmac_f64_e32 v[136:137], v[124:125], v[134:135]
	ds_load_2addr_b64 v[122:125], v2 offset0:85 offset1:86
	ds_load_2addr_b64 v[128:131], v2 offset0:87 offset1:88
	s_wait_dscnt 0x1
	v_fmac_f64_e32 v[136:137], v[126:127], v[122:123]
	s_wait_loadcnt 0x4
	s_delay_alu instid0(VALU_DEP_1) | instskip(SKIP_1) | instid1(VALU_DEP_1)
	v_fmac_f64_e32 v[136:137], v[110:111], v[124:125]
	s_wait_dscnt 0x0
	v_fmac_f64_e32 v[136:137], v[112:113], v[128:129]
	ds_load_2addr_b64 v[110:113], v2 offset0:89 offset1:90
	ds_load_2addr_b64 v[122:125], v2 offset0:91 offset1:92
	s_wait_loadcnt 0x3
	v_fmac_f64_e32 v[136:137], v[114:115], v[130:131]
	s_wait_dscnt 0x1
	s_delay_alu instid0(VALU_DEP_1) | instskip(SKIP_1) | instid1(VALU_DEP_1)
	v_fmac_f64_e32 v[136:137], v[116:117], v[110:111]
	s_wait_loadcnt 0x2
	v_fmac_f64_e32 v[136:137], v[102:103], v[112:113]
	s_wait_dscnt 0x0
	s_delay_alu instid0(VALU_DEP_1)
	v_fmac_f64_e32 v[136:137], v[104:105], v[122:123]
	ds_load_2addr_b64 v[102:105], v2 offset0:93 offset1:94
	ds_load_b64 v[110:111], v2 offset:760
	s_wait_loadcnt 0x1
	v_fmac_f64_e32 v[136:137], v[118:119], v[124:125]
	s_wait_dscnt 0x1
	s_delay_alu instid0(VALU_DEP_1) | instskip(SKIP_1) | instid1(VALU_DEP_1)
	v_fmac_f64_e32 v[136:137], v[120:121], v[102:103]
	s_wait_loadcnt 0x0
	v_fmac_f64_e32 v[136:137], v[106:107], v[104:105]
	s_wait_dscnt 0x0
	s_delay_alu instid0(VALU_DEP_1) | instskip(NEXT) | instid1(VALU_DEP_1)
	v_fmac_f64_e32 v[136:137], v[108:109], v[110:111]
	v_add_f64_e64 v[100:101], v[100:101], -v[136:137]
	scratch_store_b64 off, v[100:101], off offset:128
	s_wait_xcnt 0x0
	v_cmpx_lt_u32_e32 15, v0
	s_cbranch_execz .LBB47_267
; %bb.266:
	scratch_load_b64 v[100:101], off, off offset:120
	v_mov_b64_e32 v[102:103], 0
	scratch_store_b64 off, v[102:103], off offset:120
	s_wait_loadcnt 0x0
	ds_store_b64 v1, v[100:101]
.LBB47_267:
	s_wait_xcnt 0x0
	s_or_b32 exec_lo, exec_lo, s0
	s_wait_storecnt_dscnt 0x0
	s_barrier_signal -1
	s_barrier_wait -1
	s_clause 0x5
	scratch_load_b128 v[100:103], off, off offset:120
	scratch_load_b128 v[104:107], off, off offset:136
	;; [unrolled: 1-line block ×6, first 2 shown]
	ds_load_b128 v[124:127], v2 offset:512
	ds_load_b128 v[128:131], v2 offset:528
	scratch_load_b128 v[132:135], off, off offset:216
	s_mov_b32 s0, exec_lo
	s_wait_loadcnt_dscnt 0x601
	v_fma_f64 v[136:137], v[102:103], v[124:125], 0
	s_wait_loadcnt 0x5
	s_delay_alu instid0(VALU_DEP_1) | instskip(SKIP_4) | instid1(VALU_DEP_1)
	v_fmac_f64_e32 v[136:137], v[104:105], v[126:127]
	scratch_load_b128 v[102:105], off, off offset:232
	s_wait_dscnt 0x0
	v_fmac_f64_e32 v[136:137], v[106:107], v[128:129]
	s_wait_loadcnt 0x5
	v_fmac_f64_e32 v[136:137], v[108:109], v[130:131]
	ds_load_b128 v[106:109], v2 offset:544
	ds_load_b128 v[124:127], v2 offset:560
	scratch_load_b128 v[128:131], off, off offset:248
	s_wait_dscnt 0x1
	v_fmac_f64_e32 v[136:137], v[110:111], v[106:107]
	s_wait_loadcnt 0x5
	s_delay_alu instid0(VALU_DEP_1) | instskip(SKIP_4) | instid1(VALU_DEP_1)
	v_fmac_f64_e32 v[136:137], v[112:113], v[108:109]
	scratch_load_b128 v[106:109], off, off offset:264
	s_wait_dscnt 0x0
	v_fmac_f64_e32 v[136:137], v[114:115], v[124:125]
	s_wait_loadcnt 0x5
	v_fmac_f64_e32 v[136:137], v[116:117], v[126:127]
	ds_load_b128 v[110:113], v2 offset:576
	ds_load_b128 v[114:117], v2 offset:592
	scratch_load_b128 v[124:127], off, off offset:280
	s_wait_dscnt 0x1
	v_fmac_f64_e32 v[136:137], v[118:119], v[110:111]
	s_wait_loadcnt 0x5
	s_delay_alu instid0(VALU_DEP_1) | instskip(SKIP_4) | instid1(VALU_DEP_1)
	v_fmac_f64_e32 v[136:137], v[120:121], v[112:113]
	scratch_load_b128 v[110:113], off, off offset:296
	s_wait_dscnt 0x0
	v_fmac_f64_e32 v[136:137], v[122:123], v[114:115]
	s_wait_loadcnt 0x5
	v_fmac_f64_e32 v[136:137], v[132:133], v[116:117]
	ds_load_b128 v[114:117], v2 offset:608
	ds_load_b128 v[118:121], v2 offset:624
	s_wait_dscnt 0x1
	v_fmac_f64_e32 v[136:137], v[134:135], v[114:115]
	s_wait_loadcnt 0x4
	s_delay_alu instid0(VALU_DEP_1)
	v_fmac_f64_e32 v[136:137], v[102:103], v[116:117]
	scratch_load_b128 v[114:117], off, off offset:312
	s_wait_dscnt 0x0
	v_fmac_f64_e32 v[136:137], v[104:105], v[118:119]
	scratch_load_b128 v[102:105], off, off offset:328
	s_wait_loadcnt 0x5
	v_fmac_f64_e32 v[136:137], v[128:129], v[120:121]
	ds_load_b128 v[118:121], v2 offset:640
	ds_load_b128 v[132:135], v2 offset:656
	s_wait_dscnt 0x1
	v_fmac_f64_e32 v[136:137], v[130:131], v[118:119]
	s_wait_loadcnt 0x4
	s_delay_alu instid0(VALU_DEP_1)
	v_fmac_f64_e32 v[136:137], v[106:107], v[120:121]
	scratch_load_b128 v[118:121], off, off offset:344
	s_wait_dscnt 0x0
	v_fmac_f64_e32 v[136:137], v[108:109], v[132:133]
	scratch_load_b128 v[106:109], off, off offset:360
	s_wait_loadcnt 0x5
	v_fmac_f64_e32 v[136:137], v[124:125], v[134:135]
	ds_load_b128 v[122:125], v2 offset:672
	ds_load_b128 v[128:131], v2 offset:688
	s_wait_dscnt 0x1
	v_fmac_f64_e32 v[136:137], v[126:127], v[122:123]
	scratch_load_b64 v[126:127], off, off offset:376
	s_wait_loadcnt 0x5
	v_fmac_f64_e32 v[136:137], v[110:111], v[124:125]
	s_wait_dscnt 0x0
	s_delay_alu instid0(VALU_DEP_1)
	v_fmac_f64_e32 v[136:137], v[112:113], v[128:129]
	ds_load_b128 v[110:113], v2 offset:704
	ds_load_b128 v[122:125], v2 offset:720
	s_wait_loadcnt 0x4
	v_fmac_f64_e32 v[136:137], v[114:115], v[130:131]
	s_wait_dscnt 0x1
	s_delay_alu instid0(VALU_DEP_1) | instskip(SKIP_1) | instid1(VALU_DEP_1)
	v_fmac_f64_e32 v[136:137], v[116:117], v[110:111]
	s_wait_loadcnt 0x3
	v_fmac_f64_e32 v[136:137], v[102:103], v[112:113]
	s_wait_dscnt 0x0
	s_delay_alu instid0(VALU_DEP_1)
	v_fmac_f64_e32 v[136:137], v[104:105], v[122:123]
	ds_load_b128 v[102:105], v2 offset:736
	ds_load_b128 v[110:113], v2 offset:752
	s_wait_loadcnt 0x2
	v_fmac_f64_e32 v[136:137], v[118:119], v[124:125]
	s_wait_dscnt 0x1
	s_delay_alu instid0(VALU_DEP_1) | instskip(SKIP_1) | instid1(VALU_DEP_1)
	v_fmac_f64_e32 v[136:137], v[120:121], v[102:103]
	s_wait_loadcnt 0x1
	v_fmac_f64_e32 v[136:137], v[106:107], v[104:105]
	s_wait_dscnt 0x0
	s_delay_alu instid0(VALU_DEP_1) | instskip(SKIP_1) | instid1(VALU_DEP_1)
	v_fmac_f64_e32 v[136:137], v[108:109], v[110:111]
	s_wait_loadcnt 0x0
	v_fmac_f64_e32 v[136:137], v[126:127], v[112:113]
	s_delay_alu instid0(VALU_DEP_1)
	v_add_f64_e64 v[2:3], v[100:101], -v[136:137]
	scratch_store_b64 off, v[2:3], off offset:120
	s_wait_xcnt 0x0
	v_cmpx_lt_u32_e32 14, v0
	s_cbranch_execz .LBB47_269
; %bb.268:
	scratch_load_b64 v[2:3], off, off offset:112
	v_mov_b64_e32 v[100:101], 0
	scratch_store_b64 off, v[100:101], off offset:112
	s_wait_loadcnt 0x0
	ds_store_b64 v1, v[2:3]
.LBB47_269:
	s_wait_xcnt 0x0
	s_or_b32 exec_lo, exec_lo, s0
	s_wait_storecnt_dscnt 0x0
	s_barrier_signal -1
	s_barrier_wait -1
	s_clause 0x5
	scratch_load_b128 v[100:103], off, off offset:112
	scratch_load_b128 v[104:107], off, off offset:128
	;; [unrolled: 1-line block ×6, first 2 shown]
	v_mov_b32_e32 v2, 0
	ds_load_2addr_b64 v[124:127], v2 offset0:63 offset1:64
	ds_load_2addr_b64 v[128:131], v2 offset0:65 offset1:66
	scratch_load_b128 v[132:135], off, off offset:208
	s_mov_b32 s0, exec_lo
	s_wait_loadcnt_dscnt 0x601
	v_fma_f64 v[136:137], v[102:103], v[124:125], 0
	s_wait_loadcnt 0x5
	s_delay_alu instid0(VALU_DEP_1) | instskip(SKIP_4) | instid1(VALU_DEP_1)
	v_fmac_f64_e32 v[136:137], v[104:105], v[126:127]
	scratch_load_b128 v[102:105], off, off offset:224
	s_wait_dscnt 0x0
	v_fmac_f64_e32 v[136:137], v[106:107], v[128:129]
	s_wait_loadcnt 0x5
	v_fmac_f64_e32 v[136:137], v[108:109], v[130:131]
	ds_load_2addr_b64 v[106:109], v2 offset0:67 offset1:68
	ds_load_2addr_b64 v[124:127], v2 offset0:69 offset1:70
	scratch_load_b128 v[128:131], off, off offset:240
	s_wait_dscnt 0x1
	v_fmac_f64_e32 v[136:137], v[110:111], v[106:107]
	s_wait_loadcnt 0x5
	s_delay_alu instid0(VALU_DEP_1) | instskip(SKIP_4) | instid1(VALU_DEP_1)
	v_fmac_f64_e32 v[136:137], v[112:113], v[108:109]
	scratch_load_b128 v[106:109], off, off offset:256
	s_wait_dscnt 0x0
	v_fmac_f64_e32 v[136:137], v[114:115], v[124:125]
	s_wait_loadcnt 0x5
	v_fmac_f64_e32 v[136:137], v[116:117], v[126:127]
	ds_load_2addr_b64 v[110:113], v2 offset0:71 offset1:72
	ds_load_2addr_b64 v[114:117], v2 offset0:73 offset1:74
	scratch_load_b128 v[124:127], off, off offset:272
	s_wait_dscnt 0x1
	v_fmac_f64_e32 v[136:137], v[118:119], v[110:111]
	s_wait_loadcnt 0x5
	s_delay_alu instid0(VALU_DEP_1) | instskip(SKIP_4) | instid1(VALU_DEP_1)
	v_fmac_f64_e32 v[136:137], v[120:121], v[112:113]
	scratch_load_b128 v[110:113], off, off offset:288
	s_wait_dscnt 0x0
	v_fmac_f64_e32 v[136:137], v[122:123], v[114:115]
	s_wait_loadcnt 0x5
	v_fmac_f64_e32 v[136:137], v[132:133], v[116:117]
	ds_load_2addr_b64 v[114:117], v2 offset0:75 offset1:76
	ds_load_2addr_b64 v[118:121], v2 offset0:77 offset1:78
	s_wait_dscnt 0x1
	v_fmac_f64_e32 v[136:137], v[134:135], v[114:115]
	s_wait_loadcnt 0x4
	s_delay_alu instid0(VALU_DEP_1)
	v_fmac_f64_e32 v[136:137], v[102:103], v[116:117]
	scratch_load_b128 v[114:117], off, off offset:304
	s_wait_dscnt 0x0
	v_fmac_f64_e32 v[136:137], v[104:105], v[118:119]
	scratch_load_b128 v[102:105], off, off offset:320
	s_wait_loadcnt 0x5
	v_fmac_f64_e32 v[136:137], v[128:129], v[120:121]
	ds_load_2addr_b64 v[118:121], v2 offset0:79 offset1:80
	ds_load_2addr_b64 v[132:135], v2 offset0:81 offset1:82
	s_wait_dscnt 0x1
	v_fmac_f64_e32 v[136:137], v[130:131], v[118:119]
	s_wait_loadcnt 0x4
	s_delay_alu instid0(VALU_DEP_1)
	v_fmac_f64_e32 v[136:137], v[106:107], v[120:121]
	scratch_load_b128 v[118:121], off, off offset:336
	s_wait_dscnt 0x0
	v_fmac_f64_e32 v[136:137], v[108:109], v[132:133]
	scratch_load_b128 v[106:109], off, off offset:352
	s_wait_loadcnt 0x5
	v_fmac_f64_e32 v[136:137], v[124:125], v[134:135]
	ds_load_2addr_b64 v[122:125], v2 offset0:83 offset1:84
	ds_load_2addr_b64 v[128:131], v2 offset0:85 offset1:86
	s_wait_dscnt 0x1
	v_fmac_f64_e32 v[136:137], v[126:127], v[122:123]
	s_wait_loadcnt 0x4
	s_delay_alu instid0(VALU_DEP_1)
	v_fmac_f64_e32 v[136:137], v[110:111], v[124:125]
	scratch_load_b128 v[122:125], off, off offset:368
	s_wait_dscnt 0x0
	v_fmac_f64_e32 v[136:137], v[112:113], v[128:129]
	ds_load_2addr_b64 v[110:113], v2 offset0:87 offset1:88
	ds_load_2addr_b64 v[126:129], v2 offset0:89 offset1:90
	s_wait_loadcnt 0x4
	v_fmac_f64_e32 v[136:137], v[114:115], v[130:131]
	s_wait_dscnt 0x1
	s_delay_alu instid0(VALU_DEP_1) | instskip(SKIP_1) | instid1(VALU_DEP_1)
	v_fmac_f64_e32 v[136:137], v[116:117], v[110:111]
	s_wait_loadcnt 0x3
	v_fmac_f64_e32 v[136:137], v[102:103], v[112:113]
	s_wait_dscnt 0x0
	s_delay_alu instid0(VALU_DEP_1)
	v_fmac_f64_e32 v[136:137], v[104:105], v[126:127]
	ds_load_2addr_b64 v[102:105], v2 offset0:91 offset1:92
	ds_load_2addr_b64 v[110:113], v2 offset0:93 offset1:94
	s_wait_loadcnt 0x2
	v_fmac_f64_e32 v[136:137], v[118:119], v[128:129]
	s_wait_dscnt 0x1
	s_delay_alu instid0(VALU_DEP_1) | instskip(SKIP_4) | instid1(VALU_DEP_1)
	v_fmac_f64_e32 v[136:137], v[120:121], v[102:103]
	ds_load_b64 v[102:103], v2 offset:760
	s_wait_loadcnt 0x1
	v_fmac_f64_e32 v[136:137], v[106:107], v[104:105]
	s_wait_dscnt 0x1
	v_fmac_f64_e32 v[136:137], v[108:109], v[110:111]
	s_wait_loadcnt 0x0
	s_delay_alu instid0(VALU_DEP_1) | instskip(SKIP_1) | instid1(VALU_DEP_1)
	v_fmac_f64_e32 v[136:137], v[122:123], v[112:113]
	s_wait_dscnt 0x0
	v_fmac_f64_e32 v[136:137], v[124:125], v[102:103]
	s_delay_alu instid0(VALU_DEP_1)
	v_add_f64_e64 v[100:101], v[100:101], -v[136:137]
	scratch_store_b64 off, v[100:101], off offset:112
	s_wait_xcnt 0x0
	v_cmpx_lt_u32_e32 13, v0
	s_cbranch_execz .LBB47_271
; %bb.270:
	scratch_load_b64 v[100:101], off, off offset:104
	v_mov_b64_e32 v[102:103], 0
	scratch_store_b64 off, v[102:103], off offset:104
	s_wait_loadcnt 0x0
	ds_store_b64 v1, v[100:101]
.LBB47_271:
	s_wait_xcnt 0x0
	s_or_b32 exec_lo, exec_lo, s0
	s_wait_storecnt_dscnt 0x0
	s_barrier_signal -1
	s_barrier_wait -1
	s_clause 0x5
	scratch_load_b128 v[100:103], off, off offset:104
	scratch_load_b128 v[104:107], off, off offset:120
	;; [unrolled: 1-line block ×6, first 2 shown]
	ds_load_b128 v[124:127], v2 offset:496
	ds_load_b128 v[128:131], v2 offset:512
	scratch_load_b128 v[132:135], off, off offset:200
	s_mov_b32 s0, exec_lo
	s_wait_loadcnt_dscnt 0x601
	v_fma_f64 v[136:137], v[102:103], v[124:125], 0
	s_wait_loadcnt 0x5
	s_delay_alu instid0(VALU_DEP_1) | instskip(SKIP_4) | instid1(VALU_DEP_1)
	v_fmac_f64_e32 v[136:137], v[104:105], v[126:127]
	scratch_load_b128 v[102:105], off, off offset:216
	s_wait_dscnt 0x0
	v_fmac_f64_e32 v[136:137], v[106:107], v[128:129]
	s_wait_loadcnt 0x5
	v_fmac_f64_e32 v[136:137], v[108:109], v[130:131]
	ds_load_b128 v[106:109], v2 offset:528
	ds_load_b128 v[124:127], v2 offset:544
	scratch_load_b128 v[128:131], off, off offset:232
	s_wait_dscnt 0x1
	v_fmac_f64_e32 v[136:137], v[110:111], v[106:107]
	s_wait_loadcnt 0x5
	s_delay_alu instid0(VALU_DEP_1) | instskip(SKIP_4) | instid1(VALU_DEP_1)
	v_fmac_f64_e32 v[136:137], v[112:113], v[108:109]
	scratch_load_b128 v[106:109], off, off offset:248
	s_wait_dscnt 0x0
	v_fmac_f64_e32 v[136:137], v[114:115], v[124:125]
	s_wait_loadcnt 0x5
	v_fmac_f64_e32 v[136:137], v[116:117], v[126:127]
	ds_load_b128 v[110:113], v2 offset:560
	ds_load_b128 v[114:117], v2 offset:576
	scratch_load_b128 v[124:127], off, off offset:264
	s_wait_dscnt 0x1
	v_fmac_f64_e32 v[136:137], v[118:119], v[110:111]
	s_wait_loadcnt 0x5
	s_delay_alu instid0(VALU_DEP_1) | instskip(SKIP_4) | instid1(VALU_DEP_1)
	v_fmac_f64_e32 v[136:137], v[120:121], v[112:113]
	scratch_load_b128 v[110:113], off, off offset:280
	s_wait_dscnt 0x0
	v_fmac_f64_e32 v[136:137], v[122:123], v[114:115]
	s_wait_loadcnt 0x5
	v_fmac_f64_e32 v[136:137], v[132:133], v[116:117]
	ds_load_b128 v[114:117], v2 offset:592
	ds_load_b128 v[118:121], v2 offset:608
	s_wait_dscnt 0x1
	v_fmac_f64_e32 v[136:137], v[134:135], v[114:115]
	scratch_load_b128 v[132:135], off, off offset:296
	s_wait_loadcnt 0x5
	v_fmac_f64_e32 v[136:137], v[102:103], v[116:117]
	s_wait_dscnt 0x0
	s_delay_alu instid0(VALU_DEP_1)
	v_fmac_f64_e32 v[136:137], v[104:105], v[118:119]
	scratch_load_b128 v[102:105], off, off offset:312
	s_wait_loadcnt 0x5
	v_fmac_f64_e32 v[136:137], v[128:129], v[120:121]
	ds_load_b128 v[114:117], v2 offset:624
	ds_load_b128 v[118:121], v2 offset:640
	s_wait_dscnt 0x1
	v_fmac_f64_e32 v[136:137], v[130:131], v[114:115]
	s_wait_loadcnt 0x4
	s_delay_alu instid0(VALU_DEP_1)
	v_fmac_f64_e32 v[136:137], v[106:107], v[116:117]
	scratch_load_b128 v[114:117], off, off offset:328
	s_wait_dscnt 0x0
	v_fmac_f64_e32 v[136:137], v[108:109], v[118:119]
	scratch_load_b128 v[106:109], off, off offset:344
	s_wait_loadcnt 0x5
	v_fmac_f64_e32 v[136:137], v[124:125], v[120:121]
	ds_load_b128 v[118:121], v2 offset:656
	ds_load_b128 v[122:125], v2 offset:672
	s_wait_dscnt 0x1
	v_fmac_f64_e32 v[136:137], v[126:127], v[118:119]
	scratch_load_b64 v[126:127], off, off offset:376
	s_wait_loadcnt 0x5
	v_fmac_f64_e32 v[136:137], v[110:111], v[120:121]
	scratch_load_b128 v[118:121], off, off offset:360
	s_wait_dscnt 0x0
	v_fmac_f64_e32 v[136:137], v[112:113], v[122:123]
	s_wait_loadcnt 0x5
	s_delay_alu instid0(VALU_DEP_1)
	v_fmac_f64_e32 v[136:137], v[132:133], v[124:125]
	ds_load_b128 v[110:113], v2 offset:688
	ds_load_b128 v[122:125], v2 offset:704
	s_wait_dscnt 0x1
	v_fmac_f64_e32 v[136:137], v[134:135], v[110:111]
	s_wait_loadcnt 0x4
	s_delay_alu instid0(VALU_DEP_1) | instskip(SKIP_1) | instid1(VALU_DEP_1)
	v_fmac_f64_e32 v[136:137], v[102:103], v[112:113]
	s_wait_dscnt 0x0
	v_fmac_f64_e32 v[136:137], v[104:105], v[122:123]
	ds_load_b128 v[102:105], v2 offset:720
	ds_load_b128 v[110:113], v2 offset:736
	s_wait_loadcnt 0x3
	v_fmac_f64_e32 v[136:137], v[114:115], v[124:125]
	s_wait_dscnt 0x1
	s_delay_alu instid0(VALU_DEP_1) | instskip(SKIP_1) | instid1(VALU_DEP_1)
	v_fmac_f64_e32 v[136:137], v[116:117], v[102:103]
	s_wait_loadcnt 0x2
	v_fmac_f64_e32 v[136:137], v[106:107], v[104:105]
	ds_load_b128 v[102:105], v2 offset:752
	s_wait_dscnt 0x1
	v_fmac_f64_e32 v[136:137], v[108:109], v[110:111]
	s_wait_loadcnt 0x0
	s_delay_alu instid0(VALU_DEP_1) | instskip(SKIP_1) | instid1(VALU_DEP_1)
	v_fmac_f64_e32 v[136:137], v[118:119], v[112:113]
	s_wait_dscnt 0x0
	v_fmac_f64_e32 v[136:137], v[120:121], v[102:103]
	s_delay_alu instid0(VALU_DEP_1) | instskip(NEXT) | instid1(VALU_DEP_1)
	v_fmac_f64_e32 v[136:137], v[126:127], v[104:105]
	v_add_f64_e64 v[2:3], v[100:101], -v[136:137]
	scratch_store_b64 off, v[2:3], off offset:104
	s_wait_xcnt 0x0
	v_cmpx_lt_u32_e32 12, v0
	s_cbranch_execz .LBB47_273
; %bb.272:
	scratch_load_b64 v[2:3], off, off offset:96
	v_mov_b64_e32 v[100:101], 0
	scratch_store_b64 off, v[100:101], off offset:96
	s_wait_loadcnt 0x0
	ds_store_b64 v1, v[2:3]
.LBB47_273:
	s_wait_xcnt 0x0
	s_or_b32 exec_lo, exec_lo, s0
	s_wait_storecnt_dscnt 0x0
	s_barrier_signal -1
	s_barrier_wait -1
	s_clause 0x5
	scratch_load_b128 v[100:103], off, off offset:96
	scratch_load_b128 v[104:107], off, off offset:112
	;; [unrolled: 1-line block ×6, first 2 shown]
	v_mov_b32_e32 v2, 0
	ds_load_2addr_b64 v[124:127], v2 offset0:61 offset1:62
	ds_load_2addr_b64 v[128:131], v2 offset0:63 offset1:64
	scratch_load_b128 v[132:135], off, off offset:192
	s_mov_b32 s0, exec_lo
	s_wait_loadcnt_dscnt 0x601
	v_fma_f64 v[136:137], v[102:103], v[124:125], 0
	s_wait_loadcnt 0x5
	s_delay_alu instid0(VALU_DEP_1) | instskip(SKIP_4) | instid1(VALU_DEP_1)
	v_fmac_f64_e32 v[136:137], v[104:105], v[126:127]
	scratch_load_b128 v[102:105], off, off offset:208
	s_wait_dscnt 0x0
	v_fmac_f64_e32 v[136:137], v[106:107], v[128:129]
	s_wait_loadcnt 0x5
	v_fmac_f64_e32 v[136:137], v[108:109], v[130:131]
	ds_load_2addr_b64 v[106:109], v2 offset0:65 offset1:66
	ds_load_2addr_b64 v[124:127], v2 offset0:67 offset1:68
	scratch_load_b128 v[128:131], off, off offset:224
	s_wait_dscnt 0x1
	v_fmac_f64_e32 v[136:137], v[110:111], v[106:107]
	s_wait_loadcnt 0x5
	s_delay_alu instid0(VALU_DEP_1) | instskip(SKIP_4) | instid1(VALU_DEP_1)
	v_fmac_f64_e32 v[136:137], v[112:113], v[108:109]
	scratch_load_b128 v[106:109], off, off offset:240
	s_wait_dscnt 0x0
	v_fmac_f64_e32 v[136:137], v[114:115], v[124:125]
	s_wait_loadcnt 0x5
	v_fmac_f64_e32 v[136:137], v[116:117], v[126:127]
	ds_load_2addr_b64 v[110:113], v2 offset0:69 offset1:70
	ds_load_2addr_b64 v[114:117], v2 offset0:71 offset1:72
	scratch_load_b128 v[124:127], off, off offset:256
	s_wait_dscnt 0x1
	v_fmac_f64_e32 v[136:137], v[118:119], v[110:111]
	s_wait_loadcnt 0x5
	s_delay_alu instid0(VALU_DEP_1) | instskip(SKIP_4) | instid1(VALU_DEP_1)
	v_fmac_f64_e32 v[136:137], v[120:121], v[112:113]
	scratch_load_b128 v[110:113], off, off offset:272
	s_wait_dscnt 0x0
	v_fmac_f64_e32 v[136:137], v[122:123], v[114:115]
	s_wait_loadcnt 0x5
	v_fmac_f64_e32 v[136:137], v[132:133], v[116:117]
	ds_load_2addr_b64 v[114:117], v2 offset0:73 offset1:74
	ds_load_2addr_b64 v[118:121], v2 offset0:75 offset1:76
	s_wait_dscnt 0x1
	v_fmac_f64_e32 v[136:137], v[134:135], v[114:115]
	scratch_load_b128 v[132:135], off, off offset:288
	s_wait_loadcnt 0x5
	v_fmac_f64_e32 v[136:137], v[102:103], v[116:117]
	s_wait_dscnt 0x0
	s_delay_alu instid0(VALU_DEP_1)
	v_fmac_f64_e32 v[136:137], v[104:105], v[118:119]
	scratch_load_b128 v[102:105], off, off offset:304
	s_wait_loadcnt 0x5
	v_fmac_f64_e32 v[136:137], v[128:129], v[120:121]
	ds_load_2addr_b64 v[114:117], v2 offset0:77 offset1:78
	ds_load_2addr_b64 v[118:121], v2 offset0:79 offset1:80
	s_wait_dscnt 0x1
	v_fmac_f64_e32 v[136:137], v[130:131], v[114:115]
	s_wait_loadcnt 0x4
	s_delay_alu instid0(VALU_DEP_1)
	v_fmac_f64_e32 v[136:137], v[106:107], v[116:117]
	scratch_load_b128 v[114:117], off, off offset:320
	s_wait_dscnt 0x0
	v_fmac_f64_e32 v[136:137], v[108:109], v[118:119]
	scratch_load_b128 v[106:109], off, off offset:336
	s_wait_loadcnt 0x5
	v_fmac_f64_e32 v[136:137], v[124:125], v[120:121]
	ds_load_2addr_b64 v[118:121], v2 offset0:81 offset1:82
	ds_load_2addr_b64 v[122:125], v2 offset0:83 offset1:84
	s_wait_dscnt 0x1
	v_fmac_f64_e32 v[136:137], v[126:127], v[118:119]
	s_wait_loadcnt 0x4
	s_delay_alu instid0(VALU_DEP_1)
	v_fmac_f64_e32 v[136:137], v[110:111], v[120:121]
	scratch_load_b128 v[118:121], off, off offset:352
	s_wait_dscnt 0x0
	v_fmac_f64_e32 v[136:137], v[112:113], v[122:123]
	scratch_load_b128 v[110:113], off, off offset:368
	s_wait_loadcnt 0x5
	v_fmac_f64_e32 v[136:137], v[132:133], v[124:125]
	ds_load_2addr_b64 v[122:125], v2 offset0:85 offset1:86
	ds_load_2addr_b64 v[126:129], v2 offset0:87 offset1:88
	s_wait_dscnt 0x1
	v_fmac_f64_e32 v[136:137], v[134:135], v[122:123]
	s_wait_loadcnt 0x4
	s_delay_alu instid0(VALU_DEP_1) | instskip(SKIP_1) | instid1(VALU_DEP_1)
	v_fmac_f64_e32 v[136:137], v[102:103], v[124:125]
	s_wait_dscnt 0x0
	v_fmac_f64_e32 v[136:137], v[104:105], v[126:127]
	ds_load_2addr_b64 v[102:105], v2 offset0:89 offset1:90
	ds_load_2addr_b64 v[122:125], v2 offset0:91 offset1:92
	s_wait_loadcnt 0x3
	v_fmac_f64_e32 v[136:137], v[114:115], v[128:129]
	s_wait_dscnt 0x1
	s_delay_alu instid0(VALU_DEP_1) | instskip(SKIP_1) | instid1(VALU_DEP_1)
	v_fmac_f64_e32 v[136:137], v[116:117], v[102:103]
	s_wait_loadcnt 0x2
	v_fmac_f64_e32 v[136:137], v[106:107], v[104:105]
	ds_load_2addr_b64 v[102:105], v2 offset0:93 offset1:94
	ds_load_b64 v[106:107], v2 offset:760
	s_wait_dscnt 0x2
	v_fmac_f64_e32 v[136:137], v[108:109], v[122:123]
	s_wait_loadcnt 0x1
	s_delay_alu instid0(VALU_DEP_1) | instskip(SKIP_1) | instid1(VALU_DEP_1)
	v_fmac_f64_e32 v[136:137], v[118:119], v[124:125]
	s_wait_dscnt 0x1
	v_fmac_f64_e32 v[136:137], v[120:121], v[102:103]
	s_wait_loadcnt 0x0
	s_delay_alu instid0(VALU_DEP_1) | instskip(SKIP_1) | instid1(VALU_DEP_1)
	v_fmac_f64_e32 v[136:137], v[110:111], v[104:105]
	s_wait_dscnt 0x0
	v_fmac_f64_e32 v[136:137], v[112:113], v[106:107]
	s_delay_alu instid0(VALU_DEP_1)
	v_add_f64_e64 v[100:101], v[100:101], -v[136:137]
	scratch_store_b64 off, v[100:101], off offset:96
	s_wait_xcnt 0x0
	v_cmpx_lt_u32_e32 11, v0
	s_cbranch_execz .LBB47_275
; %bb.274:
	scratch_load_b64 v[100:101], off, off offset:88
	v_mov_b64_e32 v[102:103], 0
	scratch_store_b64 off, v[102:103], off offset:88
	s_wait_loadcnt 0x0
	ds_store_b64 v1, v[100:101]
.LBB47_275:
	s_wait_xcnt 0x0
	s_or_b32 exec_lo, exec_lo, s0
	s_wait_storecnt_dscnt 0x0
	s_barrier_signal -1
	s_barrier_wait -1
	s_clause 0x5
	scratch_load_b128 v[100:103], off, off offset:88
	scratch_load_b128 v[104:107], off, off offset:104
	;; [unrolled: 1-line block ×6, first 2 shown]
	ds_load_b128 v[124:127], v2 offset:480
	ds_load_b128 v[128:131], v2 offset:496
	scratch_load_b128 v[132:135], off, off offset:184
	s_mov_b32 s0, exec_lo
	s_wait_loadcnt_dscnt 0x601
	v_fma_f64 v[136:137], v[102:103], v[124:125], 0
	s_wait_loadcnt 0x5
	s_delay_alu instid0(VALU_DEP_1) | instskip(SKIP_4) | instid1(VALU_DEP_1)
	v_fmac_f64_e32 v[136:137], v[104:105], v[126:127]
	scratch_load_b128 v[102:105], off, off offset:200
	s_wait_dscnt 0x0
	v_fmac_f64_e32 v[136:137], v[106:107], v[128:129]
	s_wait_loadcnt 0x5
	v_fmac_f64_e32 v[136:137], v[108:109], v[130:131]
	ds_load_b128 v[106:109], v2 offset:512
	ds_load_b128 v[124:127], v2 offset:528
	scratch_load_b128 v[128:131], off, off offset:216
	s_wait_dscnt 0x1
	v_fmac_f64_e32 v[136:137], v[110:111], v[106:107]
	s_wait_loadcnt 0x5
	s_delay_alu instid0(VALU_DEP_1) | instskip(SKIP_4) | instid1(VALU_DEP_1)
	v_fmac_f64_e32 v[136:137], v[112:113], v[108:109]
	scratch_load_b128 v[106:109], off, off offset:232
	s_wait_dscnt 0x0
	v_fmac_f64_e32 v[136:137], v[114:115], v[124:125]
	s_wait_loadcnt 0x5
	v_fmac_f64_e32 v[136:137], v[116:117], v[126:127]
	ds_load_b128 v[110:113], v2 offset:544
	ds_load_b128 v[114:117], v2 offset:560
	scratch_load_b128 v[124:127], off, off offset:248
	s_wait_dscnt 0x1
	v_fmac_f64_e32 v[136:137], v[118:119], v[110:111]
	s_wait_loadcnt 0x5
	s_delay_alu instid0(VALU_DEP_1) | instskip(SKIP_4) | instid1(VALU_DEP_1)
	v_fmac_f64_e32 v[136:137], v[120:121], v[112:113]
	scratch_load_b128 v[110:113], off, off offset:264
	s_wait_dscnt 0x0
	v_fmac_f64_e32 v[136:137], v[122:123], v[114:115]
	s_wait_loadcnt 0x5
	v_fmac_f64_e32 v[136:137], v[132:133], v[116:117]
	ds_load_b128 v[114:117], v2 offset:576
	ds_load_b128 v[118:121], v2 offset:592
	s_wait_dscnt 0x1
	v_fmac_f64_e32 v[136:137], v[134:135], v[114:115]
	scratch_load_b128 v[132:135], off, off offset:280
	s_wait_loadcnt 0x5
	v_fmac_f64_e32 v[136:137], v[102:103], v[116:117]
	s_wait_dscnt 0x0
	s_delay_alu instid0(VALU_DEP_1)
	v_fmac_f64_e32 v[136:137], v[104:105], v[118:119]
	scratch_load_b128 v[102:105], off, off offset:296
	s_wait_loadcnt 0x5
	v_fmac_f64_e32 v[136:137], v[128:129], v[120:121]
	ds_load_b128 v[114:117], v2 offset:608
	ds_load_b128 v[118:121], v2 offset:624
	s_wait_dscnt 0x1
	v_fmac_f64_e32 v[136:137], v[130:131], v[114:115]
	s_wait_loadcnt 0x4
	s_delay_alu instid0(VALU_DEP_1)
	v_fmac_f64_e32 v[136:137], v[106:107], v[116:117]
	scratch_load_b128 v[114:117], off, off offset:312
	s_wait_dscnt 0x0
	v_fmac_f64_e32 v[136:137], v[108:109], v[118:119]
	scratch_load_b128 v[106:109], off, off offset:328
	s_wait_loadcnt 0x5
	v_fmac_f64_e32 v[136:137], v[124:125], v[120:121]
	ds_load_b128 v[118:121], v2 offset:640
	ds_load_b128 v[122:125], v2 offset:656
	s_wait_dscnt 0x1
	v_fmac_f64_e32 v[136:137], v[126:127], v[118:119]
	s_wait_loadcnt 0x4
	s_delay_alu instid0(VALU_DEP_1)
	v_fmac_f64_e32 v[136:137], v[110:111], v[120:121]
	scratch_load_b128 v[118:121], off, off offset:344
	s_wait_dscnt 0x0
	v_fmac_f64_e32 v[136:137], v[112:113], v[122:123]
	scratch_load_b128 v[110:113], off, off offset:360
	s_wait_loadcnt 0x5
	v_fmac_f64_e32 v[136:137], v[132:133], v[124:125]
	ds_load_b128 v[122:125], v2 offset:672
	ds_load_b128 v[126:129], v2 offset:688
	scratch_load_b64 v[130:131], off, off offset:376
	s_wait_dscnt 0x1
	v_fmac_f64_e32 v[136:137], v[134:135], v[122:123]
	s_wait_loadcnt 0x5
	s_delay_alu instid0(VALU_DEP_1) | instskip(SKIP_1) | instid1(VALU_DEP_1)
	v_fmac_f64_e32 v[136:137], v[102:103], v[124:125]
	s_wait_dscnt 0x0
	v_fmac_f64_e32 v[136:137], v[104:105], v[126:127]
	ds_load_b128 v[102:105], v2 offset:704
	ds_load_b128 v[122:125], v2 offset:720
	s_wait_loadcnt 0x4
	v_fmac_f64_e32 v[136:137], v[114:115], v[128:129]
	s_wait_dscnt 0x1
	s_delay_alu instid0(VALU_DEP_1) | instskip(SKIP_1) | instid1(VALU_DEP_1)
	v_fmac_f64_e32 v[136:137], v[116:117], v[102:103]
	s_wait_loadcnt 0x3
	v_fmac_f64_e32 v[136:137], v[106:107], v[104:105]
	s_wait_dscnt 0x0
	s_delay_alu instid0(VALU_DEP_1)
	v_fmac_f64_e32 v[136:137], v[108:109], v[122:123]
	ds_load_b128 v[102:105], v2 offset:736
	ds_load_b128 v[106:109], v2 offset:752
	s_wait_loadcnt 0x2
	v_fmac_f64_e32 v[136:137], v[118:119], v[124:125]
	s_wait_dscnt 0x1
	s_delay_alu instid0(VALU_DEP_1) | instskip(SKIP_1) | instid1(VALU_DEP_1)
	v_fmac_f64_e32 v[136:137], v[120:121], v[102:103]
	s_wait_loadcnt 0x1
	v_fmac_f64_e32 v[136:137], v[110:111], v[104:105]
	s_wait_dscnt 0x0
	s_delay_alu instid0(VALU_DEP_1) | instskip(SKIP_1) | instid1(VALU_DEP_1)
	v_fmac_f64_e32 v[136:137], v[112:113], v[106:107]
	s_wait_loadcnt 0x0
	v_fmac_f64_e32 v[136:137], v[130:131], v[108:109]
	s_delay_alu instid0(VALU_DEP_1)
	v_add_f64_e64 v[2:3], v[100:101], -v[136:137]
	scratch_store_b64 off, v[2:3], off offset:88
	s_wait_xcnt 0x0
	v_cmpx_lt_u32_e32 10, v0
	s_cbranch_execz .LBB47_277
; %bb.276:
	scratch_load_b64 v[2:3], off, off offset:80
	v_mov_b64_e32 v[100:101], 0
	scratch_store_b64 off, v[100:101], off offset:80
	s_wait_loadcnt 0x0
	ds_store_b64 v1, v[2:3]
.LBB47_277:
	s_wait_xcnt 0x0
	s_or_b32 exec_lo, exec_lo, s0
	s_wait_storecnt_dscnt 0x0
	s_barrier_signal -1
	s_barrier_wait -1
	s_clause 0x5
	scratch_load_b128 v[100:103], off, off offset:80
	scratch_load_b128 v[104:107], off, off offset:96
	;; [unrolled: 1-line block ×6, first 2 shown]
	v_mov_b32_e32 v2, 0
	ds_load_2addr_b64 v[124:127], v2 offset0:59 offset1:60
	ds_load_2addr_b64 v[128:131], v2 offset0:61 offset1:62
	scratch_load_b128 v[132:135], off, off offset:176
	s_mov_b32 s0, exec_lo
	s_wait_loadcnt_dscnt 0x601
	v_fma_f64 v[136:137], v[102:103], v[124:125], 0
	s_wait_loadcnt 0x5
	s_delay_alu instid0(VALU_DEP_1) | instskip(SKIP_4) | instid1(VALU_DEP_1)
	v_fmac_f64_e32 v[136:137], v[104:105], v[126:127]
	scratch_load_b128 v[102:105], off, off offset:192
	s_wait_dscnt 0x0
	v_fmac_f64_e32 v[136:137], v[106:107], v[128:129]
	s_wait_loadcnt 0x5
	v_fmac_f64_e32 v[136:137], v[108:109], v[130:131]
	ds_load_2addr_b64 v[106:109], v2 offset0:63 offset1:64
	ds_load_2addr_b64 v[124:127], v2 offset0:65 offset1:66
	scratch_load_b128 v[128:131], off, off offset:208
	s_wait_dscnt 0x1
	v_fmac_f64_e32 v[136:137], v[110:111], v[106:107]
	s_wait_loadcnt 0x5
	s_delay_alu instid0(VALU_DEP_1) | instskip(SKIP_4) | instid1(VALU_DEP_1)
	v_fmac_f64_e32 v[136:137], v[112:113], v[108:109]
	scratch_load_b128 v[106:109], off, off offset:224
	s_wait_dscnt 0x0
	v_fmac_f64_e32 v[136:137], v[114:115], v[124:125]
	s_wait_loadcnt 0x5
	v_fmac_f64_e32 v[136:137], v[116:117], v[126:127]
	ds_load_2addr_b64 v[110:113], v2 offset0:67 offset1:68
	ds_load_2addr_b64 v[114:117], v2 offset0:69 offset1:70
	scratch_load_b128 v[124:127], off, off offset:240
	s_wait_dscnt 0x1
	v_fmac_f64_e32 v[136:137], v[118:119], v[110:111]
	s_wait_loadcnt 0x5
	s_delay_alu instid0(VALU_DEP_1) | instskip(SKIP_4) | instid1(VALU_DEP_1)
	v_fmac_f64_e32 v[136:137], v[120:121], v[112:113]
	scratch_load_b128 v[110:113], off, off offset:256
	s_wait_dscnt 0x0
	v_fmac_f64_e32 v[136:137], v[122:123], v[114:115]
	s_wait_loadcnt 0x5
	v_fmac_f64_e32 v[136:137], v[132:133], v[116:117]
	ds_load_2addr_b64 v[114:117], v2 offset0:71 offset1:72
	ds_load_2addr_b64 v[118:121], v2 offset0:73 offset1:74
	s_wait_dscnt 0x1
	v_fmac_f64_e32 v[136:137], v[134:135], v[114:115]
	scratch_load_b128 v[132:135], off, off offset:272
	s_wait_loadcnt 0x5
	v_fmac_f64_e32 v[136:137], v[102:103], v[116:117]
	s_wait_dscnt 0x0
	s_delay_alu instid0(VALU_DEP_1)
	v_fmac_f64_e32 v[136:137], v[104:105], v[118:119]
	scratch_load_b128 v[102:105], off, off offset:288
	s_wait_loadcnt 0x5
	v_fmac_f64_e32 v[136:137], v[128:129], v[120:121]
	ds_load_2addr_b64 v[114:117], v2 offset0:75 offset1:76
	ds_load_2addr_b64 v[118:121], v2 offset0:77 offset1:78
	s_wait_dscnt 0x1
	v_fmac_f64_e32 v[136:137], v[130:131], v[114:115]
	s_wait_loadcnt 0x4
	s_delay_alu instid0(VALU_DEP_1)
	v_fmac_f64_e32 v[136:137], v[106:107], v[116:117]
	scratch_load_b128 v[114:117], off, off offset:304
	s_wait_dscnt 0x0
	v_fmac_f64_e32 v[136:137], v[108:109], v[118:119]
	scratch_load_b128 v[106:109], off, off offset:320
	s_wait_loadcnt 0x5
	v_fmac_f64_e32 v[136:137], v[124:125], v[120:121]
	ds_load_2addr_b64 v[118:121], v2 offset0:79 offset1:80
	ds_load_2addr_b64 v[122:125], v2 offset0:81 offset1:82
	s_wait_dscnt 0x1
	v_fmac_f64_e32 v[136:137], v[126:127], v[118:119]
	s_wait_loadcnt 0x4
	s_delay_alu instid0(VALU_DEP_1)
	v_fmac_f64_e32 v[136:137], v[110:111], v[120:121]
	scratch_load_b128 v[118:121], off, off offset:336
	s_wait_dscnt 0x0
	v_fmac_f64_e32 v[136:137], v[112:113], v[122:123]
	scratch_load_b128 v[110:113], off, off offset:352
	s_wait_loadcnt 0x5
	v_fmac_f64_e32 v[136:137], v[132:133], v[124:125]
	ds_load_2addr_b64 v[122:125], v2 offset0:83 offset1:84
	ds_load_2addr_b64 v[126:129], v2 offset0:85 offset1:86
	s_wait_dscnt 0x1
	v_fmac_f64_e32 v[136:137], v[134:135], v[122:123]
	s_wait_loadcnt 0x4
	s_delay_alu instid0(VALU_DEP_1) | instskip(SKIP_4) | instid1(VALU_DEP_1)
	v_fmac_f64_e32 v[136:137], v[102:103], v[124:125]
	scratch_load_b128 v[122:125], off, off offset:368
	s_wait_dscnt 0x0
	v_fmac_f64_e32 v[136:137], v[104:105], v[126:127]
	s_wait_loadcnt 0x4
	v_fmac_f64_e32 v[136:137], v[114:115], v[128:129]
	ds_load_2addr_b64 v[102:105], v2 offset0:87 offset1:88
	ds_load_2addr_b64 v[126:129], v2 offset0:89 offset1:90
	s_wait_dscnt 0x1
	v_fmac_f64_e32 v[136:137], v[116:117], v[102:103]
	s_wait_loadcnt 0x3
	s_delay_alu instid0(VALU_DEP_1) | instskip(SKIP_1) | instid1(VALU_DEP_1)
	v_fmac_f64_e32 v[136:137], v[106:107], v[104:105]
	s_wait_dscnt 0x0
	v_fmac_f64_e32 v[136:137], v[108:109], v[126:127]
	ds_load_2addr_b64 v[102:105], v2 offset0:91 offset1:92
	ds_load_2addr_b64 v[106:109], v2 offset0:93 offset1:94
	s_wait_loadcnt 0x2
	v_fmac_f64_e32 v[136:137], v[118:119], v[128:129]
	s_wait_dscnt 0x1
	s_delay_alu instid0(VALU_DEP_1) | instskip(SKIP_4) | instid1(VALU_DEP_1)
	v_fmac_f64_e32 v[136:137], v[120:121], v[102:103]
	ds_load_b64 v[102:103], v2 offset:760
	s_wait_loadcnt 0x1
	v_fmac_f64_e32 v[136:137], v[110:111], v[104:105]
	s_wait_dscnt 0x1
	v_fmac_f64_e32 v[136:137], v[112:113], v[106:107]
	s_wait_loadcnt 0x0
	s_delay_alu instid0(VALU_DEP_1) | instskip(SKIP_1) | instid1(VALU_DEP_1)
	v_fmac_f64_e32 v[136:137], v[122:123], v[108:109]
	s_wait_dscnt 0x0
	v_fmac_f64_e32 v[136:137], v[124:125], v[102:103]
	s_delay_alu instid0(VALU_DEP_1)
	v_add_f64_e64 v[100:101], v[100:101], -v[136:137]
	scratch_store_b64 off, v[100:101], off offset:80
	s_wait_xcnt 0x0
	v_cmpx_lt_u32_e32 9, v0
	s_cbranch_execz .LBB47_279
; %bb.278:
	scratch_load_b64 v[100:101], off, off offset:72
	v_mov_b64_e32 v[102:103], 0
	scratch_store_b64 off, v[102:103], off offset:72
	s_wait_loadcnt 0x0
	ds_store_b64 v1, v[100:101]
.LBB47_279:
	s_wait_xcnt 0x0
	s_or_b32 exec_lo, exec_lo, s0
	s_wait_storecnt_dscnt 0x0
	s_barrier_signal -1
	s_barrier_wait -1
	s_clause 0x5
	scratch_load_b128 v[100:103], off, off offset:72
	scratch_load_b128 v[104:107], off, off offset:88
	;; [unrolled: 1-line block ×6, first 2 shown]
	ds_load_b128 v[124:127], v2 offset:464
	ds_load_b128 v[128:131], v2 offset:480
	scratch_load_b128 v[132:135], off, off offset:168
	s_mov_b32 s0, exec_lo
	s_wait_loadcnt_dscnt 0x601
	v_fma_f64 v[136:137], v[102:103], v[124:125], 0
	s_wait_loadcnt 0x5
	s_delay_alu instid0(VALU_DEP_1) | instskip(SKIP_4) | instid1(VALU_DEP_1)
	v_fmac_f64_e32 v[136:137], v[104:105], v[126:127]
	scratch_load_b128 v[102:105], off, off offset:184
	s_wait_dscnt 0x0
	v_fmac_f64_e32 v[136:137], v[106:107], v[128:129]
	s_wait_loadcnt 0x5
	v_fmac_f64_e32 v[136:137], v[108:109], v[130:131]
	ds_load_b128 v[106:109], v2 offset:496
	ds_load_b128 v[124:127], v2 offset:512
	scratch_load_b128 v[128:131], off, off offset:200
	s_wait_dscnt 0x1
	v_fmac_f64_e32 v[136:137], v[110:111], v[106:107]
	s_wait_loadcnt 0x5
	s_delay_alu instid0(VALU_DEP_1) | instskip(SKIP_4) | instid1(VALU_DEP_1)
	v_fmac_f64_e32 v[136:137], v[112:113], v[108:109]
	scratch_load_b128 v[106:109], off, off offset:216
	s_wait_dscnt 0x0
	v_fmac_f64_e32 v[136:137], v[114:115], v[124:125]
	s_wait_loadcnt 0x5
	v_fmac_f64_e32 v[136:137], v[116:117], v[126:127]
	ds_load_b128 v[110:113], v2 offset:528
	ds_load_b128 v[114:117], v2 offset:544
	scratch_load_b128 v[124:127], off, off offset:232
	s_wait_dscnt 0x1
	v_fmac_f64_e32 v[136:137], v[118:119], v[110:111]
	s_wait_loadcnt 0x5
	s_delay_alu instid0(VALU_DEP_1) | instskip(SKIP_4) | instid1(VALU_DEP_1)
	v_fmac_f64_e32 v[136:137], v[120:121], v[112:113]
	scratch_load_b128 v[110:113], off, off offset:248
	s_wait_dscnt 0x0
	v_fmac_f64_e32 v[136:137], v[122:123], v[114:115]
	s_wait_loadcnt 0x5
	v_fmac_f64_e32 v[136:137], v[132:133], v[116:117]
	ds_load_b128 v[114:117], v2 offset:560
	ds_load_b128 v[118:121], v2 offset:576
	s_wait_dscnt 0x1
	v_fmac_f64_e32 v[136:137], v[134:135], v[114:115]
	scratch_load_b128 v[132:135], off, off offset:264
	s_wait_loadcnt 0x5
	v_fmac_f64_e32 v[136:137], v[102:103], v[116:117]
	s_wait_dscnt 0x0
	s_delay_alu instid0(VALU_DEP_1)
	v_fmac_f64_e32 v[136:137], v[104:105], v[118:119]
	scratch_load_b128 v[102:105], off, off offset:280
	s_wait_loadcnt 0x5
	v_fmac_f64_e32 v[136:137], v[128:129], v[120:121]
	ds_load_b128 v[114:117], v2 offset:592
	ds_load_b128 v[118:121], v2 offset:608
	s_wait_dscnt 0x1
	v_fmac_f64_e32 v[136:137], v[130:131], v[114:115]
	scratch_load_b128 v[128:131], off, off offset:296
	s_wait_loadcnt 0x5
	v_fmac_f64_e32 v[136:137], v[106:107], v[116:117]
	s_wait_dscnt 0x0
	s_delay_alu instid0(VALU_DEP_1)
	v_fmac_f64_e32 v[136:137], v[108:109], v[118:119]
	scratch_load_b128 v[106:109], off, off offset:312
	s_wait_loadcnt 0x5
	v_fmac_f64_e32 v[136:137], v[124:125], v[120:121]
	ds_load_b128 v[114:117], v2 offset:624
	ds_load_b128 v[118:121], v2 offset:640
	s_wait_dscnt 0x1
	v_fmac_f64_e32 v[136:137], v[126:127], v[114:115]
	s_wait_loadcnt 0x4
	s_delay_alu instid0(VALU_DEP_1)
	v_fmac_f64_e32 v[136:137], v[110:111], v[116:117]
	scratch_load_b128 v[114:117], off, off offset:328
	s_wait_dscnt 0x0
	v_fmac_f64_e32 v[136:137], v[112:113], v[118:119]
	scratch_load_b128 v[110:113], off, off offset:344
	s_wait_loadcnt 0x5
	v_fmac_f64_e32 v[136:137], v[132:133], v[120:121]
	ds_load_b128 v[118:121], v2 offset:656
	ds_load_b128 v[122:125], v2 offset:672
	scratch_load_b64 v[126:127], off, off offset:376
	s_wait_dscnt 0x1
	v_fmac_f64_e32 v[136:137], v[134:135], v[118:119]
	s_wait_loadcnt 0x5
	s_delay_alu instid0(VALU_DEP_1) | instskip(SKIP_4) | instid1(VALU_DEP_1)
	v_fmac_f64_e32 v[136:137], v[102:103], v[120:121]
	scratch_load_b128 v[118:121], off, off offset:360
	s_wait_dscnt 0x0
	v_fmac_f64_e32 v[136:137], v[104:105], v[122:123]
	s_wait_loadcnt 0x5
	v_fmac_f64_e32 v[136:137], v[128:129], v[124:125]
	ds_load_b128 v[102:105], v2 offset:688
	ds_load_b128 v[122:125], v2 offset:704
	s_wait_dscnt 0x1
	v_fmac_f64_e32 v[136:137], v[130:131], v[102:103]
	s_wait_loadcnt 0x4
	s_delay_alu instid0(VALU_DEP_1) | instskip(SKIP_1) | instid1(VALU_DEP_1)
	v_fmac_f64_e32 v[136:137], v[106:107], v[104:105]
	s_wait_dscnt 0x0
	v_fmac_f64_e32 v[136:137], v[108:109], v[122:123]
	ds_load_b128 v[102:105], v2 offset:720
	ds_load_b128 v[106:109], v2 offset:736
	s_wait_loadcnt 0x3
	v_fmac_f64_e32 v[136:137], v[114:115], v[124:125]
	s_wait_dscnt 0x1
	s_delay_alu instid0(VALU_DEP_1) | instskip(SKIP_1) | instid1(VALU_DEP_1)
	v_fmac_f64_e32 v[136:137], v[116:117], v[102:103]
	s_wait_loadcnt 0x2
	v_fmac_f64_e32 v[136:137], v[110:111], v[104:105]
	ds_load_b128 v[102:105], v2 offset:752
	s_wait_dscnt 0x1
	v_fmac_f64_e32 v[136:137], v[112:113], v[106:107]
	s_wait_loadcnt 0x0
	s_delay_alu instid0(VALU_DEP_1) | instskip(SKIP_1) | instid1(VALU_DEP_1)
	v_fmac_f64_e32 v[136:137], v[118:119], v[108:109]
	s_wait_dscnt 0x0
	v_fmac_f64_e32 v[136:137], v[120:121], v[102:103]
	s_delay_alu instid0(VALU_DEP_1) | instskip(NEXT) | instid1(VALU_DEP_1)
	v_fmac_f64_e32 v[136:137], v[126:127], v[104:105]
	v_add_f64_e64 v[2:3], v[100:101], -v[136:137]
	scratch_store_b64 off, v[2:3], off offset:72
	s_wait_xcnt 0x0
	v_cmpx_lt_u32_e32 8, v0
	s_cbranch_execz .LBB47_281
; %bb.280:
	scratch_load_b64 v[2:3], off, off offset:64
	v_mov_b64_e32 v[100:101], 0
	scratch_store_b64 off, v[100:101], off offset:64
	s_wait_loadcnt 0x0
	ds_store_b64 v1, v[2:3]
.LBB47_281:
	s_wait_xcnt 0x0
	s_or_b32 exec_lo, exec_lo, s0
	s_wait_storecnt_dscnt 0x0
	s_barrier_signal -1
	s_barrier_wait -1
	s_clause 0x5
	scratch_load_b128 v[100:103], off, off offset:64
	scratch_load_b128 v[104:107], off, off offset:80
	;; [unrolled: 1-line block ×6, first 2 shown]
	v_mov_b32_e32 v2, 0
	ds_load_2addr_b64 v[124:127], v2 offset0:57 offset1:58
	ds_load_2addr_b64 v[128:131], v2 offset0:59 offset1:60
	scratch_load_b128 v[132:135], off, off offset:160
	s_mov_b32 s0, exec_lo
	s_wait_loadcnt_dscnt 0x601
	v_fma_f64 v[136:137], v[102:103], v[124:125], 0
	s_wait_loadcnt 0x5
	s_delay_alu instid0(VALU_DEP_1) | instskip(SKIP_4) | instid1(VALU_DEP_1)
	v_fmac_f64_e32 v[136:137], v[104:105], v[126:127]
	scratch_load_b128 v[102:105], off, off offset:176
	s_wait_dscnt 0x0
	v_fmac_f64_e32 v[136:137], v[106:107], v[128:129]
	s_wait_loadcnt 0x5
	v_fmac_f64_e32 v[136:137], v[108:109], v[130:131]
	ds_load_2addr_b64 v[106:109], v2 offset0:61 offset1:62
	ds_load_2addr_b64 v[124:127], v2 offset0:63 offset1:64
	scratch_load_b128 v[128:131], off, off offset:192
	s_wait_dscnt 0x1
	v_fmac_f64_e32 v[136:137], v[110:111], v[106:107]
	s_wait_loadcnt 0x5
	s_delay_alu instid0(VALU_DEP_1) | instskip(SKIP_4) | instid1(VALU_DEP_1)
	v_fmac_f64_e32 v[136:137], v[112:113], v[108:109]
	scratch_load_b128 v[106:109], off, off offset:208
	s_wait_dscnt 0x0
	v_fmac_f64_e32 v[136:137], v[114:115], v[124:125]
	s_wait_loadcnt 0x5
	v_fmac_f64_e32 v[136:137], v[116:117], v[126:127]
	ds_load_2addr_b64 v[110:113], v2 offset0:65 offset1:66
	ds_load_2addr_b64 v[114:117], v2 offset0:67 offset1:68
	scratch_load_b128 v[124:127], off, off offset:224
	s_wait_dscnt 0x1
	v_fmac_f64_e32 v[136:137], v[118:119], v[110:111]
	s_wait_loadcnt 0x5
	s_delay_alu instid0(VALU_DEP_1) | instskip(SKIP_4) | instid1(VALU_DEP_1)
	v_fmac_f64_e32 v[136:137], v[120:121], v[112:113]
	scratch_load_b128 v[110:113], off, off offset:240
	s_wait_dscnt 0x0
	v_fmac_f64_e32 v[136:137], v[122:123], v[114:115]
	s_wait_loadcnt 0x5
	v_fmac_f64_e32 v[136:137], v[132:133], v[116:117]
	ds_load_2addr_b64 v[114:117], v2 offset0:69 offset1:70
	ds_load_2addr_b64 v[118:121], v2 offset0:71 offset1:72
	s_wait_dscnt 0x1
	v_fmac_f64_e32 v[136:137], v[134:135], v[114:115]
	scratch_load_b128 v[132:135], off, off offset:256
	s_wait_loadcnt 0x5
	v_fmac_f64_e32 v[136:137], v[102:103], v[116:117]
	s_wait_dscnt 0x0
	s_delay_alu instid0(VALU_DEP_1)
	v_fmac_f64_e32 v[136:137], v[104:105], v[118:119]
	scratch_load_b128 v[102:105], off, off offset:272
	s_wait_loadcnt 0x5
	v_fmac_f64_e32 v[136:137], v[128:129], v[120:121]
	ds_load_2addr_b64 v[114:117], v2 offset0:73 offset1:74
	ds_load_2addr_b64 v[118:121], v2 offset0:75 offset1:76
	s_wait_dscnt 0x1
	v_fmac_f64_e32 v[136:137], v[130:131], v[114:115]
	scratch_load_b128 v[128:131], off, off offset:288
	s_wait_loadcnt 0x5
	v_fmac_f64_e32 v[136:137], v[106:107], v[116:117]
	s_wait_dscnt 0x0
	s_delay_alu instid0(VALU_DEP_1)
	v_fmac_f64_e32 v[136:137], v[108:109], v[118:119]
	scratch_load_b128 v[106:109], off, off offset:304
	s_wait_loadcnt 0x5
	v_fmac_f64_e32 v[136:137], v[124:125], v[120:121]
	ds_load_2addr_b64 v[114:117], v2 offset0:77 offset1:78
	ds_load_2addr_b64 v[118:121], v2 offset0:79 offset1:80
	s_wait_dscnt 0x1
	v_fmac_f64_e32 v[136:137], v[126:127], v[114:115]
	s_wait_loadcnt 0x4
	s_delay_alu instid0(VALU_DEP_1)
	v_fmac_f64_e32 v[136:137], v[110:111], v[116:117]
	scratch_load_b128 v[114:117], off, off offset:320
	s_wait_dscnt 0x0
	v_fmac_f64_e32 v[136:137], v[112:113], v[118:119]
	scratch_load_b128 v[110:113], off, off offset:336
	s_wait_loadcnt 0x5
	v_fmac_f64_e32 v[136:137], v[132:133], v[120:121]
	ds_load_2addr_b64 v[118:121], v2 offset0:81 offset1:82
	ds_load_2addr_b64 v[122:125], v2 offset0:83 offset1:84
	s_wait_dscnt 0x1
	v_fmac_f64_e32 v[136:137], v[134:135], v[118:119]
	s_wait_loadcnt 0x4
	s_delay_alu instid0(VALU_DEP_1)
	v_fmac_f64_e32 v[136:137], v[102:103], v[120:121]
	scratch_load_b128 v[118:121], off, off offset:352
	s_wait_dscnt 0x0
	v_fmac_f64_e32 v[136:137], v[104:105], v[122:123]
	scratch_load_b128 v[102:105], off, off offset:368
	s_wait_loadcnt 0x5
	v_fmac_f64_e32 v[136:137], v[128:129], v[124:125]
	ds_load_2addr_b64 v[122:125], v2 offset0:85 offset1:86
	ds_load_2addr_b64 v[126:129], v2 offset0:87 offset1:88
	s_wait_dscnt 0x1
	v_fmac_f64_e32 v[136:137], v[130:131], v[122:123]
	s_wait_loadcnt 0x4
	s_delay_alu instid0(VALU_DEP_1) | instskip(SKIP_1) | instid1(VALU_DEP_1)
	v_fmac_f64_e32 v[136:137], v[106:107], v[124:125]
	s_wait_dscnt 0x0
	v_fmac_f64_e32 v[136:137], v[108:109], v[126:127]
	ds_load_2addr_b64 v[106:109], v2 offset0:89 offset1:90
	ds_load_2addr_b64 v[122:125], v2 offset0:91 offset1:92
	s_wait_loadcnt 0x3
	v_fmac_f64_e32 v[136:137], v[114:115], v[128:129]
	s_wait_dscnt 0x1
	s_delay_alu instid0(VALU_DEP_1) | instskip(SKIP_1) | instid1(VALU_DEP_1)
	v_fmac_f64_e32 v[136:137], v[116:117], v[106:107]
	s_wait_loadcnt 0x2
	v_fmac_f64_e32 v[136:137], v[110:111], v[108:109]
	ds_load_2addr_b64 v[106:109], v2 offset0:93 offset1:94
	ds_load_b64 v[110:111], v2 offset:760
	s_wait_dscnt 0x2
	v_fmac_f64_e32 v[136:137], v[112:113], v[122:123]
	s_wait_loadcnt 0x1
	s_delay_alu instid0(VALU_DEP_1) | instskip(SKIP_1) | instid1(VALU_DEP_1)
	v_fmac_f64_e32 v[136:137], v[118:119], v[124:125]
	s_wait_dscnt 0x1
	v_fmac_f64_e32 v[136:137], v[120:121], v[106:107]
	s_wait_loadcnt 0x0
	s_delay_alu instid0(VALU_DEP_1) | instskip(SKIP_1) | instid1(VALU_DEP_1)
	v_fmac_f64_e32 v[136:137], v[102:103], v[108:109]
	s_wait_dscnt 0x0
	v_fmac_f64_e32 v[136:137], v[104:105], v[110:111]
	s_delay_alu instid0(VALU_DEP_1)
	v_add_f64_e64 v[100:101], v[100:101], -v[136:137]
	scratch_store_b64 off, v[100:101], off offset:64
	s_wait_xcnt 0x0
	v_cmpx_lt_u32_e32 7, v0
	s_cbranch_execz .LBB47_283
; %bb.282:
	scratch_load_b64 v[100:101], off, off offset:56
	v_mov_b64_e32 v[102:103], 0
	scratch_store_b64 off, v[102:103], off offset:56
	s_wait_loadcnt 0x0
	ds_store_b64 v1, v[100:101]
.LBB47_283:
	s_wait_xcnt 0x0
	s_or_b32 exec_lo, exec_lo, s0
	s_wait_storecnt_dscnt 0x0
	s_barrier_signal -1
	s_barrier_wait -1
	s_clause 0x5
	scratch_load_b128 v[100:103], off, off offset:56
	scratch_load_b128 v[104:107], off, off offset:72
	;; [unrolled: 1-line block ×6, first 2 shown]
	ds_load_b128 v[124:127], v2 offset:448
	ds_load_b128 v[128:131], v2 offset:464
	scratch_load_b128 v[132:135], off, off offset:152
	s_mov_b32 s0, exec_lo
	s_wait_loadcnt_dscnt 0x601
	v_fma_f64 v[136:137], v[102:103], v[124:125], 0
	s_wait_loadcnt 0x5
	s_delay_alu instid0(VALU_DEP_1) | instskip(SKIP_4) | instid1(VALU_DEP_1)
	v_fmac_f64_e32 v[136:137], v[104:105], v[126:127]
	scratch_load_b128 v[102:105], off, off offset:168
	s_wait_dscnt 0x0
	v_fmac_f64_e32 v[136:137], v[106:107], v[128:129]
	s_wait_loadcnt 0x5
	v_fmac_f64_e32 v[136:137], v[108:109], v[130:131]
	ds_load_b128 v[106:109], v2 offset:480
	ds_load_b128 v[124:127], v2 offset:496
	scratch_load_b128 v[128:131], off, off offset:184
	s_wait_dscnt 0x1
	v_fmac_f64_e32 v[136:137], v[110:111], v[106:107]
	s_wait_loadcnt 0x5
	s_delay_alu instid0(VALU_DEP_1) | instskip(SKIP_4) | instid1(VALU_DEP_1)
	v_fmac_f64_e32 v[136:137], v[112:113], v[108:109]
	scratch_load_b128 v[106:109], off, off offset:200
	s_wait_dscnt 0x0
	v_fmac_f64_e32 v[136:137], v[114:115], v[124:125]
	s_wait_loadcnt 0x5
	v_fmac_f64_e32 v[136:137], v[116:117], v[126:127]
	ds_load_b128 v[110:113], v2 offset:512
	ds_load_b128 v[114:117], v2 offset:528
	scratch_load_b128 v[124:127], off, off offset:216
	s_wait_dscnt 0x1
	v_fmac_f64_e32 v[136:137], v[118:119], v[110:111]
	s_wait_loadcnt 0x5
	s_delay_alu instid0(VALU_DEP_1) | instskip(SKIP_4) | instid1(VALU_DEP_1)
	v_fmac_f64_e32 v[136:137], v[120:121], v[112:113]
	scratch_load_b128 v[110:113], off, off offset:232
	s_wait_dscnt 0x0
	v_fmac_f64_e32 v[136:137], v[122:123], v[114:115]
	s_wait_loadcnt 0x5
	v_fmac_f64_e32 v[136:137], v[132:133], v[116:117]
	ds_load_b128 v[114:117], v2 offset:544
	ds_load_b128 v[118:121], v2 offset:560
	s_wait_dscnt 0x1
	v_fmac_f64_e32 v[136:137], v[134:135], v[114:115]
	scratch_load_b128 v[132:135], off, off offset:248
	s_wait_loadcnt 0x5
	v_fmac_f64_e32 v[136:137], v[102:103], v[116:117]
	s_wait_dscnt 0x0
	s_delay_alu instid0(VALU_DEP_1)
	v_fmac_f64_e32 v[136:137], v[104:105], v[118:119]
	scratch_load_b128 v[102:105], off, off offset:264
	s_wait_loadcnt 0x5
	v_fmac_f64_e32 v[136:137], v[128:129], v[120:121]
	ds_load_b128 v[114:117], v2 offset:576
	ds_load_b128 v[118:121], v2 offset:592
	s_wait_dscnt 0x1
	v_fmac_f64_e32 v[136:137], v[130:131], v[114:115]
	scratch_load_b128 v[128:131], off, off offset:280
	s_wait_loadcnt 0x5
	v_fmac_f64_e32 v[136:137], v[106:107], v[116:117]
	s_wait_dscnt 0x0
	s_delay_alu instid0(VALU_DEP_1)
	v_fmac_f64_e32 v[136:137], v[108:109], v[118:119]
	scratch_load_b128 v[106:109], off, off offset:296
	s_wait_loadcnt 0x5
	v_fmac_f64_e32 v[136:137], v[124:125], v[120:121]
	ds_load_b128 v[114:117], v2 offset:608
	ds_load_b128 v[118:121], v2 offset:624
	s_wait_dscnt 0x1
	v_fmac_f64_e32 v[136:137], v[126:127], v[114:115]
	s_wait_loadcnt 0x4
	s_delay_alu instid0(VALU_DEP_1)
	v_fmac_f64_e32 v[136:137], v[110:111], v[116:117]
	scratch_load_b128 v[114:117], off, off offset:312
	s_wait_dscnt 0x0
	v_fmac_f64_e32 v[136:137], v[112:113], v[118:119]
	scratch_load_b128 v[110:113], off, off offset:328
	s_wait_loadcnt 0x5
	v_fmac_f64_e32 v[136:137], v[132:133], v[120:121]
	ds_load_b128 v[118:121], v2 offset:640
	ds_load_b128 v[122:125], v2 offset:656
	s_wait_dscnt 0x1
	v_fmac_f64_e32 v[136:137], v[134:135], v[118:119]
	s_wait_loadcnt 0x4
	s_delay_alu instid0(VALU_DEP_1)
	v_fmac_f64_e32 v[136:137], v[102:103], v[120:121]
	scratch_load_b128 v[118:121], off, off offset:344
	s_wait_dscnt 0x0
	v_fmac_f64_e32 v[136:137], v[104:105], v[122:123]
	scratch_load_b128 v[102:105], off, off offset:360
	s_wait_loadcnt 0x5
	v_fmac_f64_e32 v[136:137], v[128:129], v[124:125]
	ds_load_b128 v[122:125], v2 offset:672
	ds_load_b128 v[126:129], v2 offset:688
	s_wait_dscnt 0x1
	v_fmac_f64_e32 v[136:137], v[130:131], v[122:123]
	scratch_load_b64 v[130:131], off, off offset:376
	s_wait_loadcnt 0x5
	v_fmac_f64_e32 v[136:137], v[106:107], v[124:125]
	s_wait_dscnt 0x0
	s_delay_alu instid0(VALU_DEP_1)
	v_fmac_f64_e32 v[136:137], v[108:109], v[126:127]
	ds_load_b128 v[106:109], v2 offset:704
	ds_load_b128 v[122:125], v2 offset:720
	s_wait_loadcnt 0x4
	v_fmac_f64_e32 v[136:137], v[114:115], v[128:129]
	s_wait_dscnt 0x1
	s_delay_alu instid0(VALU_DEP_1) | instskip(SKIP_1) | instid1(VALU_DEP_1)
	v_fmac_f64_e32 v[136:137], v[116:117], v[106:107]
	s_wait_loadcnt 0x3
	v_fmac_f64_e32 v[136:137], v[110:111], v[108:109]
	s_wait_dscnt 0x0
	s_delay_alu instid0(VALU_DEP_1)
	v_fmac_f64_e32 v[136:137], v[112:113], v[122:123]
	ds_load_b128 v[106:109], v2 offset:736
	ds_load_b128 v[110:113], v2 offset:752
	s_wait_loadcnt 0x2
	v_fmac_f64_e32 v[136:137], v[118:119], v[124:125]
	s_wait_dscnt 0x1
	s_delay_alu instid0(VALU_DEP_1) | instskip(SKIP_1) | instid1(VALU_DEP_1)
	v_fmac_f64_e32 v[136:137], v[120:121], v[106:107]
	s_wait_loadcnt 0x1
	v_fmac_f64_e32 v[136:137], v[102:103], v[108:109]
	s_wait_dscnt 0x0
	s_delay_alu instid0(VALU_DEP_1) | instskip(SKIP_1) | instid1(VALU_DEP_1)
	v_fmac_f64_e32 v[136:137], v[104:105], v[110:111]
	s_wait_loadcnt 0x0
	v_fmac_f64_e32 v[136:137], v[130:131], v[112:113]
	s_delay_alu instid0(VALU_DEP_1)
	v_add_f64_e64 v[2:3], v[100:101], -v[136:137]
	scratch_store_b64 off, v[2:3], off offset:56
	s_wait_xcnt 0x0
	v_cmpx_lt_u32_e32 6, v0
	s_cbranch_execz .LBB47_285
; %bb.284:
	scratch_load_b64 v[2:3], off, off offset:48
	v_mov_b64_e32 v[100:101], 0
	scratch_store_b64 off, v[100:101], off offset:48
	s_wait_loadcnt 0x0
	ds_store_b64 v1, v[2:3]
.LBB47_285:
	s_wait_xcnt 0x0
	s_or_b32 exec_lo, exec_lo, s0
	s_wait_storecnt_dscnt 0x0
	s_barrier_signal -1
	s_barrier_wait -1
	s_clause 0x5
	scratch_load_b128 v[100:103], off, off offset:48
	scratch_load_b128 v[104:107], off, off offset:64
	;; [unrolled: 1-line block ×6, first 2 shown]
	v_mov_b32_e32 v2, 0
	ds_load_2addr_b64 v[124:127], v2 offset0:55 offset1:56
	ds_load_2addr_b64 v[128:131], v2 offset0:57 offset1:58
	scratch_load_b128 v[132:135], off, off offset:144
	s_mov_b32 s0, exec_lo
	s_wait_loadcnt_dscnt 0x601
	v_fma_f64 v[136:137], v[102:103], v[124:125], 0
	s_wait_loadcnt 0x5
	s_delay_alu instid0(VALU_DEP_1) | instskip(SKIP_4) | instid1(VALU_DEP_1)
	v_fmac_f64_e32 v[136:137], v[104:105], v[126:127]
	scratch_load_b128 v[102:105], off, off offset:160
	s_wait_dscnt 0x0
	v_fmac_f64_e32 v[136:137], v[106:107], v[128:129]
	s_wait_loadcnt 0x5
	v_fmac_f64_e32 v[136:137], v[108:109], v[130:131]
	ds_load_2addr_b64 v[106:109], v2 offset0:59 offset1:60
	ds_load_2addr_b64 v[124:127], v2 offset0:61 offset1:62
	scratch_load_b128 v[128:131], off, off offset:176
	s_wait_dscnt 0x1
	v_fmac_f64_e32 v[136:137], v[110:111], v[106:107]
	s_wait_loadcnt 0x5
	s_delay_alu instid0(VALU_DEP_1) | instskip(SKIP_4) | instid1(VALU_DEP_1)
	v_fmac_f64_e32 v[136:137], v[112:113], v[108:109]
	scratch_load_b128 v[106:109], off, off offset:192
	s_wait_dscnt 0x0
	v_fmac_f64_e32 v[136:137], v[114:115], v[124:125]
	s_wait_loadcnt 0x5
	v_fmac_f64_e32 v[136:137], v[116:117], v[126:127]
	ds_load_2addr_b64 v[110:113], v2 offset0:63 offset1:64
	ds_load_2addr_b64 v[114:117], v2 offset0:65 offset1:66
	scratch_load_b128 v[124:127], off, off offset:208
	s_wait_dscnt 0x1
	v_fmac_f64_e32 v[136:137], v[118:119], v[110:111]
	s_wait_loadcnt 0x5
	s_delay_alu instid0(VALU_DEP_1) | instskip(SKIP_4) | instid1(VALU_DEP_1)
	v_fmac_f64_e32 v[136:137], v[120:121], v[112:113]
	scratch_load_b128 v[110:113], off, off offset:224
	s_wait_dscnt 0x0
	v_fmac_f64_e32 v[136:137], v[122:123], v[114:115]
	s_wait_loadcnt 0x5
	v_fmac_f64_e32 v[136:137], v[132:133], v[116:117]
	ds_load_2addr_b64 v[114:117], v2 offset0:67 offset1:68
	ds_load_2addr_b64 v[118:121], v2 offset0:69 offset1:70
	s_wait_dscnt 0x1
	v_fmac_f64_e32 v[136:137], v[134:135], v[114:115]
	scratch_load_b128 v[132:135], off, off offset:240
	s_wait_loadcnt 0x5
	v_fmac_f64_e32 v[136:137], v[102:103], v[116:117]
	s_wait_dscnt 0x0
	s_delay_alu instid0(VALU_DEP_1)
	v_fmac_f64_e32 v[136:137], v[104:105], v[118:119]
	scratch_load_b128 v[102:105], off, off offset:256
	s_wait_loadcnt 0x5
	v_fmac_f64_e32 v[136:137], v[128:129], v[120:121]
	ds_load_2addr_b64 v[114:117], v2 offset0:71 offset1:72
	ds_load_2addr_b64 v[118:121], v2 offset0:73 offset1:74
	s_wait_dscnt 0x1
	v_fmac_f64_e32 v[136:137], v[130:131], v[114:115]
	scratch_load_b128 v[128:131], off, off offset:272
	s_wait_loadcnt 0x5
	v_fmac_f64_e32 v[136:137], v[106:107], v[116:117]
	s_wait_dscnt 0x0
	s_delay_alu instid0(VALU_DEP_1)
	v_fmac_f64_e32 v[136:137], v[108:109], v[118:119]
	scratch_load_b128 v[106:109], off, off offset:288
	s_wait_loadcnt 0x5
	v_fmac_f64_e32 v[136:137], v[124:125], v[120:121]
	ds_load_2addr_b64 v[114:117], v2 offset0:75 offset1:76
	ds_load_2addr_b64 v[118:121], v2 offset0:77 offset1:78
	s_wait_dscnt 0x1
	v_fmac_f64_e32 v[136:137], v[126:127], v[114:115]
	s_wait_loadcnt 0x4
	s_delay_alu instid0(VALU_DEP_1)
	v_fmac_f64_e32 v[136:137], v[110:111], v[116:117]
	scratch_load_b128 v[114:117], off, off offset:304
	s_wait_dscnt 0x0
	v_fmac_f64_e32 v[136:137], v[112:113], v[118:119]
	scratch_load_b128 v[110:113], off, off offset:320
	s_wait_loadcnt 0x5
	v_fmac_f64_e32 v[136:137], v[132:133], v[120:121]
	ds_load_2addr_b64 v[118:121], v2 offset0:79 offset1:80
	ds_load_2addr_b64 v[122:125], v2 offset0:81 offset1:82
	s_wait_dscnt 0x1
	v_fmac_f64_e32 v[136:137], v[134:135], v[118:119]
	s_wait_loadcnt 0x4
	s_delay_alu instid0(VALU_DEP_1)
	v_fmac_f64_e32 v[136:137], v[102:103], v[120:121]
	scratch_load_b128 v[118:121], off, off offset:336
	s_wait_dscnt 0x0
	v_fmac_f64_e32 v[136:137], v[104:105], v[122:123]
	scratch_load_b128 v[102:105], off, off offset:352
	s_wait_loadcnt 0x5
	v_fmac_f64_e32 v[136:137], v[128:129], v[124:125]
	ds_load_2addr_b64 v[122:125], v2 offset0:83 offset1:84
	ds_load_2addr_b64 v[126:129], v2 offset0:85 offset1:86
	s_wait_dscnt 0x1
	v_fmac_f64_e32 v[136:137], v[130:131], v[122:123]
	s_wait_loadcnt 0x4
	s_delay_alu instid0(VALU_DEP_1) | instskip(SKIP_4) | instid1(VALU_DEP_1)
	v_fmac_f64_e32 v[136:137], v[106:107], v[124:125]
	scratch_load_b128 v[122:125], off, off offset:368
	s_wait_dscnt 0x0
	v_fmac_f64_e32 v[136:137], v[108:109], v[126:127]
	s_wait_loadcnt 0x4
	v_fmac_f64_e32 v[136:137], v[114:115], v[128:129]
	ds_load_2addr_b64 v[106:109], v2 offset0:87 offset1:88
	ds_load_2addr_b64 v[126:129], v2 offset0:89 offset1:90
	s_wait_dscnt 0x1
	v_fmac_f64_e32 v[136:137], v[116:117], v[106:107]
	s_wait_loadcnt 0x3
	s_delay_alu instid0(VALU_DEP_1) | instskip(SKIP_1) | instid1(VALU_DEP_1)
	v_fmac_f64_e32 v[136:137], v[110:111], v[108:109]
	s_wait_dscnt 0x0
	v_fmac_f64_e32 v[136:137], v[112:113], v[126:127]
	ds_load_2addr_b64 v[106:109], v2 offset0:91 offset1:92
	ds_load_2addr_b64 v[110:113], v2 offset0:93 offset1:94
	s_wait_loadcnt 0x2
	v_fmac_f64_e32 v[136:137], v[118:119], v[128:129]
	s_wait_dscnt 0x1
	s_delay_alu instid0(VALU_DEP_1) | instskip(SKIP_1) | instid1(VALU_DEP_1)
	v_fmac_f64_e32 v[136:137], v[120:121], v[106:107]
	s_wait_loadcnt 0x1
	v_fmac_f64_e32 v[136:137], v[102:103], v[108:109]
	ds_load_b64 v[102:103], v2 offset:760
	s_wait_dscnt 0x1
	v_fmac_f64_e32 v[136:137], v[104:105], v[110:111]
	s_wait_loadcnt 0x0
	s_delay_alu instid0(VALU_DEP_1) | instskip(SKIP_1) | instid1(VALU_DEP_1)
	v_fmac_f64_e32 v[136:137], v[122:123], v[112:113]
	s_wait_dscnt 0x0
	v_fmac_f64_e32 v[136:137], v[124:125], v[102:103]
	s_delay_alu instid0(VALU_DEP_1)
	v_add_f64_e64 v[100:101], v[100:101], -v[136:137]
	scratch_store_b64 off, v[100:101], off offset:48
	s_wait_xcnt 0x0
	v_cmpx_lt_u32_e32 5, v0
	s_cbranch_execz .LBB47_287
; %bb.286:
	scratch_load_b64 v[100:101], off, off offset:40
	v_mov_b64_e32 v[102:103], 0
	scratch_store_b64 off, v[102:103], off offset:40
	s_wait_loadcnt 0x0
	ds_store_b64 v1, v[100:101]
.LBB47_287:
	s_wait_xcnt 0x0
	s_or_b32 exec_lo, exec_lo, s0
	s_wait_storecnt_dscnt 0x0
	s_barrier_signal -1
	s_barrier_wait -1
	s_clause 0x5
	scratch_load_b128 v[100:103], off, off offset:40
	scratch_load_b128 v[104:107], off, off offset:56
	;; [unrolled: 1-line block ×6, first 2 shown]
	ds_load_b128 v[124:127], v2 offset:432
	ds_load_b128 v[128:131], v2 offset:448
	scratch_load_b128 v[132:135], off, off offset:136
	s_mov_b32 s0, exec_lo
	s_wait_loadcnt_dscnt 0x601
	v_fma_f64 v[136:137], v[102:103], v[124:125], 0
	s_wait_loadcnt 0x5
	s_delay_alu instid0(VALU_DEP_1) | instskip(SKIP_4) | instid1(VALU_DEP_1)
	v_fmac_f64_e32 v[136:137], v[104:105], v[126:127]
	scratch_load_b128 v[102:105], off, off offset:152
	s_wait_dscnt 0x0
	v_fmac_f64_e32 v[136:137], v[106:107], v[128:129]
	s_wait_loadcnt 0x5
	v_fmac_f64_e32 v[136:137], v[108:109], v[130:131]
	ds_load_b128 v[106:109], v2 offset:464
	ds_load_b128 v[124:127], v2 offset:480
	scratch_load_b128 v[128:131], off, off offset:168
	s_wait_dscnt 0x1
	v_fmac_f64_e32 v[136:137], v[110:111], v[106:107]
	s_wait_loadcnt 0x5
	s_delay_alu instid0(VALU_DEP_1) | instskip(SKIP_4) | instid1(VALU_DEP_1)
	v_fmac_f64_e32 v[136:137], v[112:113], v[108:109]
	scratch_load_b128 v[106:109], off, off offset:184
	s_wait_dscnt 0x0
	v_fmac_f64_e32 v[136:137], v[114:115], v[124:125]
	s_wait_loadcnt 0x5
	v_fmac_f64_e32 v[136:137], v[116:117], v[126:127]
	ds_load_b128 v[110:113], v2 offset:496
	ds_load_b128 v[114:117], v2 offset:512
	scratch_load_b128 v[124:127], off, off offset:200
	s_wait_dscnt 0x1
	v_fmac_f64_e32 v[136:137], v[118:119], v[110:111]
	s_wait_loadcnt 0x5
	s_delay_alu instid0(VALU_DEP_1) | instskip(SKIP_4) | instid1(VALU_DEP_1)
	v_fmac_f64_e32 v[136:137], v[120:121], v[112:113]
	scratch_load_b128 v[110:113], off, off offset:216
	s_wait_dscnt 0x0
	v_fmac_f64_e32 v[136:137], v[122:123], v[114:115]
	s_wait_loadcnt 0x5
	v_fmac_f64_e32 v[136:137], v[132:133], v[116:117]
	ds_load_b128 v[114:117], v2 offset:528
	ds_load_b128 v[118:121], v2 offset:544
	s_wait_dscnt 0x1
	v_fmac_f64_e32 v[136:137], v[134:135], v[114:115]
	scratch_load_b128 v[132:135], off, off offset:232
	s_wait_loadcnt 0x5
	v_fmac_f64_e32 v[136:137], v[102:103], v[116:117]
	s_wait_dscnt 0x0
	s_delay_alu instid0(VALU_DEP_1)
	v_fmac_f64_e32 v[136:137], v[104:105], v[118:119]
	scratch_load_b128 v[102:105], off, off offset:248
	s_wait_loadcnt 0x5
	v_fmac_f64_e32 v[136:137], v[128:129], v[120:121]
	ds_load_b128 v[114:117], v2 offset:560
	ds_load_b128 v[118:121], v2 offset:576
	s_wait_dscnt 0x1
	v_fmac_f64_e32 v[136:137], v[130:131], v[114:115]
	scratch_load_b128 v[128:131], off, off offset:264
	s_wait_loadcnt 0x5
	v_fmac_f64_e32 v[136:137], v[106:107], v[116:117]
	s_wait_dscnt 0x0
	s_delay_alu instid0(VALU_DEP_1)
	v_fmac_f64_e32 v[136:137], v[108:109], v[118:119]
	scratch_load_b128 v[106:109], off, off offset:280
	s_wait_loadcnt 0x5
	v_fmac_f64_e32 v[136:137], v[124:125], v[120:121]
	ds_load_b128 v[114:117], v2 offset:592
	ds_load_b128 v[118:121], v2 offset:608
	scratch_load_b128 v[122:125], off, off offset:296
	s_wait_dscnt 0x1
	v_fmac_f64_e32 v[136:137], v[126:127], v[114:115]
	s_wait_loadcnt 0x5
	s_delay_alu instid0(VALU_DEP_1) | instskip(SKIP_1) | instid1(VALU_DEP_1)
	v_fmac_f64_e32 v[136:137], v[110:111], v[116:117]
	s_wait_dscnt 0x0
	v_fmac_f64_e32 v[136:137], v[112:113], v[118:119]
	scratch_load_b128 v[110:113], off, off offset:312
	s_wait_loadcnt 0x5
	v_fmac_f64_e32 v[136:137], v[132:133], v[120:121]
	ds_load_b128 v[114:117], v2 offset:624
	ds_load_b128 v[118:121], v2 offset:640
	s_wait_dscnt 0x1
	v_fmac_f64_e32 v[136:137], v[134:135], v[114:115]
	s_wait_loadcnt 0x4
	s_delay_alu instid0(VALU_DEP_1)
	v_fmac_f64_e32 v[136:137], v[102:103], v[116:117]
	scratch_load_b128 v[114:117], off, off offset:328
	s_wait_dscnt 0x0
	v_fmac_f64_e32 v[136:137], v[104:105], v[118:119]
	scratch_load_b128 v[102:105], off, off offset:344
	s_wait_loadcnt 0x5
	v_fmac_f64_e32 v[136:137], v[128:129], v[120:121]
	ds_load_b128 v[118:121], v2 offset:656
	ds_load_b128 v[126:129], v2 offset:672
	s_wait_dscnt 0x1
	v_fmac_f64_e32 v[136:137], v[130:131], v[118:119]
	s_wait_loadcnt 0x4
	s_delay_alu instid0(VALU_DEP_1) | instskip(SKIP_4) | instid1(VALU_DEP_1)
	v_fmac_f64_e32 v[136:137], v[106:107], v[120:121]
	scratch_load_b128 v[118:121], off, off offset:360
	s_wait_dscnt 0x0
	v_fmac_f64_e32 v[136:137], v[108:109], v[126:127]
	s_wait_loadcnt 0x4
	v_fmac_f64_e32 v[136:137], v[122:123], v[128:129]
	scratch_load_b64 v[122:123], off, off offset:376
	ds_load_b128 v[106:109], v2 offset:688
	ds_load_b128 v[126:129], v2 offset:704
	s_wait_dscnt 0x1
	v_fmac_f64_e32 v[136:137], v[124:125], v[106:107]
	s_wait_loadcnt 0x4
	s_delay_alu instid0(VALU_DEP_1) | instskip(SKIP_1) | instid1(VALU_DEP_1)
	v_fmac_f64_e32 v[136:137], v[110:111], v[108:109]
	s_wait_dscnt 0x0
	v_fmac_f64_e32 v[136:137], v[112:113], v[126:127]
	ds_load_b128 v[106:109], v2 offset:720
	ds_load_b128 v[110:113], v2 offset:736
	s_wait_loadcnt 0x3
	v_fmac_f64_e32 v[136:137], v[114:115], v[128:129]
	s_wait_dscnt 0x1
	s_delay_alu instid0(VALU_DEP_1) | instskip(SKIP_1) | instid1(VALU_DEP_1)
	v_fmac_f64_e32 v[136:137], v[116:117], v[106:107]
	s_wait_loadcnt 0x2
	v_fmac_f64_e32 v[136:137], v[102:103], v[108:109]
	s_wait_dscnt 0x0
	s_delay_alu instid0(VALU_DEP_1) | instskip(SKIP_4) | instid1(VALU_DEP_1)
	v_fmac_f64_e32 v[136:137], v[104:105], v[110:111]
	ds_load_b128 v[102:105], v2 offset:752
	s_wait_loadcnt 0x1
	v_fmac_f64_e32 v[136:137], v[118:119], v[112:113]
	s_wait_dscnt 0x0
	v_fmac_f64_e32 v[136:137], v[120:121], v[102:103]
	s_wait_loadcnt 0x0
	s_delay_alu instid0(VALU_DEP_1) | instskip(NEXT) | instid1(VALU_DEP_1)
	v_fmac_f64_e32 v[136:137], v[122:123], v[104:105]
	v_add_f64_e64 v[2:3], v[100:101], -v[136:137]
	scratch_store_b64 off, v[2:3], off offset:40
	s_wait_xcnt 0x0
	v_cmpx_lt_u32_e32 4, v0
	s_cbranch_execz .LBB47_289
; %bb.288:
	scratch_load_b64 v[2:3], off, off offset:32
	v_mov_b64_e32 v[100:101], 0
	scratch_store_b64 off, v[100:101], off offset:32
	s_wait_loadcnt 0x0
	ds_store_b64 v1, v[2:3]
.LBB47_289:
	s_wait_xcnt 0x0
	s_or_b32 exec_lo, exec_lo, s0
	s_wait_storecnt_dscnt 0x0
	s_barrier_signal -1
	s_barrier_wait -1
	s_clause 0x5
	scratch_load_b128 v[100:103], off, off offset:32
	scratch_load_b128 v[104:107], off, off offset:48
	scratch_load_b128 v[108:111], off, off offset:64
	scratch_load_b128 v[112:115], off, off offset:80
	scratch_load_b128 v[116:119], off, off offset:96
	scratch_load_b128 v[120:123], off, off offset:112
	v_mov_b32_e32 v2, 0
	ds_load_2addr_b64 v[124:127], v2 offset0:53 offset1:54
	ds_load_2addr_b64 v[128:131], v2 offset0:55 offset1:56
	scratch_load_b128 v[132:135], off, off offset:128
	s_mov_b32 s0, exec_lo
	s_wait_loadcnt_dscnt 0x601
	v_fma_f64 v[136:137], v[102:103], v[124:125], 0
	s_wait_loadcnt 0x5
	s_delay_alu instid0(VALU_DEP_1) | instskip(SKIP_4) | instid1(VALU_DEP_1)
	v_fmac_f64_e32 v[136:137], v[104:105], v[126:127]
	scratch_load_b128 v[102:105], off, off offset:144
	s_wait_dscnt 0x0
	v_fmac_f64_e32 v[136:137], v[106:107], v[128:129]
	s_wait_loadcnt 0x5
	v_fmac_f64_e32 v[136:137], v[108:109], v[130:131]
	ds_load_2addr_b64 v[106:109], v2 offset0:57 offset1:58
	ds_load_2addr_b64 v[124:127], v2 offset0:59 offset1:60
	scratch_load_b128 v[128:131], off, off offset:160
	s_wait_dscnt 0x1
	v_fmac_f64_e32 v[136:137], v[110:111], v[106:107]
	s_wait_loadcnt 0x5
	s_delay_alu instid0(VALU_DEP_1) | instskip(SKIP_4) | instid1(VALU_DEP_1)
	v_fmac_f64_e32 v[136:137], v[112:113], v[108:109]
	scratch_load_b128 v[106:109], off, off offset:176
	s_wait_dscnt 0x0
	v_fmac_f64_e32 v[136:137], v[114:115], v[124:125]
	s_wait_loadcnt 0x5
	v_fmac_f64_e32 v[136:137], v[116:117], v[126:127]
	ds_load_2addr_b64 v[110:113], v2 offset0:61 offset1:62
	ds_load_2addr_b64 v[114:117], v2 offset0:63 offset1:64
	scratch_load_b128 v[124:127], off, off offset:192
	s_wait_dscnt 0x1
	v_fmac_f64_e32 v[136:137], v[118:119], v[110:111]
	s_wait_loadcnt 0x5
	s_delay_alu instid0(VALU_DEP_1) | instskip(SKIP_4) | instid1(VALU_DEP_1)
	v_fmac_f64_e32 v[136:137], v[120:121], v[112:113]
	scratch_load_b128 v[110:113], off, off offset:208
	s_wait_dscnt 0x0
	v_fmac_f64_e32 v[136:137], v[122:123], v[114:115]
	s_wait_loadcnt 0x5
	v_fmac_f64_e32 v[136:137], v[132:133], v[116:117]
	ds_load_2addr_b64 v[114:117], v2 offset0:65 offset1:66
	ds_load_2addr_b64 v[118:121], v2 offset0:67 offset1:68
	s_wait_dscnt 0x1
	v_fmac_f64_e32 v[136:137], v[134:135], v[114:115]
	scratch_load_b128 v[132:135], off, off offset:224
	s_wait_loadcnt 0x5
	v_fmac_f64_e32 v[136:137], v[102:103], v[116:117]
	s_wait_dscnt 0x0
	s_delay_alu instid0(VALU_DEP_1)
	v_fmac_f64_e32 v[136:137], v[104:105], v[118:119]
	scratch_load_b128 v[102:105], off, off offset:240
	s_wait_loadcnt 0x5
	v_fmac_f64_e32 v[136:137], v[128:129], v[120:121]
	ds_load_2addr_b64 v[114:117], v2 offset0:69 offset1:70
	ds_load_2addr_b64 v[118:121], v2 offset0:71 offset1:72
	s_wait_dscnt 0x1
	v_fmac_f64_e32 v[136:137], v[130:131], v[114:115]
	scratch_load_b128 v[128:131], off, off offset:256
	s_wait_loadcnt 0x5
	v_fmac_f64_e32 v[136:137], v[106:107], v[116:117]
	s_wait_dscnt 0x0
	s_delay_alu instid0(VALU_DEP_1)
	v_fmac_f64_e32 v[136:137], v[108:109], v[118:119]
	scratch_load_b128 v[106:109], off, off offset:272
	s_wait_loadcnt 0x5
	v_fmac_f64_e32 v[136:137], v[124:125], v[120:121]
	ds_load_2addr_b64 v[114:117], v2 offset0:73 offset1:74
	ds_load_2addr_b64 v[118:121], v2 offset0:75 offset1:76
	scratch_load_b128 v[122:125], off, off offset:288
	s_wait_dscnt 0x1
	v_fmac_f64_e32 v[136:137], v[126:127], v[114:115]
	s_wait_loadcnt 0x5
	s_delay_alu instid0(VALU_DEP_1) | instskip(SKIP_1) | instid1(VALU_DEP_1)
	v_fmac_f64_e32 v[136:137], v[110:111], v[116:117]
	s_wait_dscnt 0x0
	v_fmac_f64_e32 v[136:137], v[112:113], v[118:119]
	scratch_load_b128 v[110:113], off, off offset:304
	s_wait_loadcnt 0x5
	v_fmac_f64_e32 v[136:137], v[132:133], v[120:121]
	ds_load_2addr_b64 v[114:117], v2 offset0:77 offset1:78
	ds_load_2addr_b64 v[118:121], v2 offset0:79 offset1:80
	s_wait_dscnt 0x1
	v_fmac_f64_e32 v[136:137], v[134:135], v[114:115]
	s_wait_loadcnt 0x4
	s_delay_alu instid0(VALU_DEP_1)
	v_fmac_f64_e32 v[136:137], v[102:103], v[116:117]
	scratch_load_b128 v[114:117], off, off offset:320
	s_wait_dscnt 0x0
	v_fmac_f64_e32 v[136:137], v[104:105], v[118:119]
	scratch_load_b128 v[102:105], off, off offset:336
	s_wait_loadcnt 0x5
	v_fmac_f64_e32 v[136:137], v[128:129], v[120:121]
	ds_load_2addr_b64 v[118:121], v2 offset0:81 offset1:82
	ds_load_2addr_b64 v[126:129], v2 offset0:83 offset1:84
	s_wait_dscnt 0x1
	v_fmac_f64_e32 v[136:137], v[130:131], v[118:119]
	s_wait_loadcnt 0x4
	s_delay_alu instid0(VALU_DEP_1)
	v_fmac_f64_e32 v[136:137], v[106:107], v[120:121]
	scratch_load_b128 v[118:121], off, off offset:352
	s_wait_dscnt 0x0
	v_fmac_f64_e32 v[136:137], v[108:109], v[126:127]
	scratch_load_b128 v[106:109], off, off offset:368
	s_wait_loadcnt 0x5
	v_fmac_f64_e32 v[136:137], v[122:123], v[128:129]
	ds_load_2addr_b64 v[126:129], v2 offset0:85 offset1:86
	ds_load_2addr_b64 v[130:133], v2 offset0:87 offset1:88
	s_wait_dscnt 0x1
	v_fmac_f64_e32 v[136:137], v[124:125], v[126:127]
	s_wait_loadcnt 0x4
	s_delay_alu instid0(VALU_DEP_1) | instskip(SKIP_1) | instid1(VALU_DEP_1)
	v_fmac_f64_e32 v[136:137], v[110:111], v[128:129]
	s_wait_dscnt 0x0
	v_fmac_f64_e32 v[136:137], v[112:113], v[130:131]
	ds_load_2addr_b64 v[110:113], v2 offset0:89 offset1:90
	ds_load_2addr_b64 v[122:125], v2 offset0:91 offset1:92
	s_wait_loadcnt 0x3
	v_fmac_f64_e32 v[136:137], v[114:115], v[132:133]
	s_wait_dscnt 0x1
	s_delay_alu instid0(VALU_DEP_1) | instskip(SKIP_1) | instid1(VALU_DEP_1)
	v_fmac_f64_e32 v[136:137], v[116:117], v[110:111]
	s_wait_loadcnt 0x2
	v_fmac_f64_e32 v[136:137], v[102:103], v[112:113]
	s_wait_dscnt 0x0
	s_delay_alu instid0(VALU_DEP_1)
	v_fmac_f64_e32 v[136:137], v[104:105], v[122:123]
	ds_load_2addr_b64 v[102:105], v2 offset0:93 offset1:94
	ds_load_b64 v[110:111], v2 offset:760
	s_wait_loadcnt 0x1
	v_fmac_f64_e32 v[136:137], v[118:119], v[124:125]
	s_wait_dscnt 0x1
	s_delay_alu instid0(VALU_DEP_1) | instskip(SKIP_1) | instid1(VALU_DEP_1)
	v_fmac_f64_e32 v[136:137], v[120:121], v[102:103]
	s_wait_loadcnt 0x0
	v_fmac_f64_e32 v[136:137], v[106:107], v[104:105]
	s_wait_dscnt 0x0
	s_delay_alu instid0(VALU_DEP_1) | instskip(NEXT) | instid1(VALU_DEP_1)
	v_fmac_f64_e32 v[136:137], v[108:109], v[110:111]
	v_add_f64_e64 v[100:101], v[100:101], -v[136:137]
	scratch_store_b64 off, v[100:101], off offset:32
	s_wait_xcnt 0x0
	v_cmpx_lt_u32_e32 3, v0
	s_cbranch_execz .LBB47_291
; %bb.290:
	scratch_load_b64 v[100:101], off, off offset:24
	v_mov_b64_e32 v[102:103], 0
	scratch_store_b64 off, v[102:103], off offset:24
	s_wait_loadcnt 0x0
	ds_store_b64 v1, v[100:101]
.LBB47_291:
	s_wait_xcnt 0x0
	s_or_b32 exec_lo, exec_lo, s0
	s_wait_storecnt_dscnt 0x0
	s_barrier_signal -1
	s_barrier_wait -1
	s_clause 0x5
	scratch_load_b128 v[100:103], off, off offset:24
	scratch_load_b128 v[104:107], off, off offset:40
	;; [unrolled: 1-line block ×6, first 2 shown]
	ds_load_b128 v[124:127], v2 offset:416
	ds_load_b128 v[128:131], v2 offset:432
	scratch_load_b128 v[132:135], off, off offset:120
	s_mov_b32 s0, exec_lo
	s_wait_loadcnt_dscnt 0x601
	v_fma_f64 v[136:137], v[102:103], v[124:125], 0
	s_wait_loadcnt 0x5
	s_delay_alu instid0(VALU_DEP_1) | instskip(SKIP_4) | instid1(VALU_DEP_1)
	v_fmac_f64_e32 v[136:137], v[104:105], v[126:127]
	scratch_load_b128 v[102:105], off, off offset:136
	s_wait_dscnt 0x0
	v_fmac_f64_e32 v[136:137], v[106:107], v[128:129]
	s_wait_loadcnt 0x5
	v_fmac_f64_e32 v[136:137], v[108:109], v[130:131]
	ds_load_b128 v[106:109], v2 offset:448
	ds_load_b128 v[124:127], v2 offset:464
	scratch_load_b128 v[128:131], off, off offset:152
	s_wait_dscnt 0x1
	v_fmac_f64_e32 v[136:137], v[110:111], v[106:107]
	s_wait_loadcnt 0x5
	s_delay_alu instid0(VALU_DEP_1) | instskip(SKIP_4) | instid1(VALU_DEP_1)
	v_fmac_f64_e32 v[136:137], v[112:113], v[108:109]
	scratch_load_b128 v[106:109], off, off offset:168
	s_wait_dscnt 0x0
	v_fmac_f64_e32 v[136:137], v[114:115], v[124:125]
	s_wait_loadcnt 0x5
	v_fmac_f64_e32 v[136:137], v[116:117], v[126:127]
	ds_load_b128 v[110:113], v2 offset:480
	ds_load_b128 v[114:117], v2 offset:496
	scratch_load_b128 v[124:127], off, off offset:184
	s_wait_dscnt 0x1
	v_fmac_f64_e32 v[136:137], v[118:119], v[110:111]
	s_wait_loadcnt 0x5
	s_delay_alu instid0(VALU_DEP_1) | instskip(SKIP_4) | instid1(VALU_DEP_1)
	v_fmac_f64_e32 v[136:137], v[120:121], v[112:113]
	scratch_load_b128 v[110:113], off, off offset:200
	s_wait_dscnt 0x0
	v_fmac_f64_e32 v[136:137], v[122:123], v[114:115]
	s_wait_loadcnt 0x5
	v_fmac_f64_e32 v[136:137], v[132:133], v[116:117]
	ds_load_b128 v[114:117], v2 offset:512
	ds_load_b128 v[118:121], v2 offset:528
	s_wait_dscnt 0x1
	v_fmac_f64_e32 v[136:137], v[134:135], v[114:115]
	scratch_load_b128 v[132:135], off, off offset:216
	s_wait_loadcnt 0x5
	v_fmac_f64_e32 v[136:137], v[102:103], v[116:117]
	s_wait_dscnt 0x0
	s_delay_alu instid0(VALU_DEP_1)
	v_fmac_f64_e32 v[136:137], v[104:105], v[118:119]
	scratch_load_b128 v[102:105], off, off offset:232
	s_wait_loadcnt 0x5
	v_fmac_f64_e32 v[136:137], v[128:129], v[120:121]
	ds_load_b128 v[114:117], v2 offset:544
	ds_load_b128 v[118:121], v2 offset:560
	s_wait_dscnt 0x1
	v_fmac_f64_e32 v[136:137], v[130:131], v[114:115]
	scratch_load_b128 v[128:131], off, off offset:248
	s_wait_loadcnt 0x5
	v_fmac_f64_e32 v[136:137], v[106:107], v[116:117]
	s_wait_dscnt 0x0
	s_delay_alu instid0(VALU_DEP_1)
	v_fmac_f64_e32 v[136:137], v[108:109], v[118:119]
	scratch_load_b128 v[106:109], off, off offset:264
	s_wait_loadcnt 0x5
	v_fmac_f64_e32 v[136:137], v[124:125], v[120:121]
	ds_load_b128 v[114:117], v2 offset:576
	ds_load_b128 v[118:121], v2 offset:592
	scratch_load_b128 v[122:125], off, off offset:280
	s_wait_dscnt 0x1
	v_fmac_f64_e32 v[136:137], v[126:127], v[114:115]
	s_wait_loadcnt 0x5
	s_delay_alu instid0(VALU_DEP_1) | instskip(SKIP_1) | instid1(VALU_DEP_1)
	v_fmac_f64_e32 v[136:137], v[110:111], v[116:117]
	s_wait_dscnt 0x0
	v_fmac_f64_e32 v[136:137], v[112:113], v[118:119]
	scratch_load_b128 v[110:113], off, off offset:296
	s_wait_loadcnt 0x5
	v_fmac_f64_e32 v[136:137], v[132:133], v[120:121]
	ds_load_b128 v[114:117], v2 offset:608
	ds_load_b128 v[118:121], v2 offset:624
	s_wait_dscnt 0x1
	v_fmac_f64_e32 v[136:137], v[134:135], v[114:115]
	s_wait_loadcnt 0x4
	s_delay_alu instid0(VALU_DEP_1)
	v_fmac_f64_e32 v[136:137], v[102:103], v[116:117]
	scratch_load_b128 v[114:117], off, off offset:312
	s_wait_dscnt 0x0
	v_fmac_f64_e32 v[136:137], v[104:105], v[118:119]
	scratch_load_b128 v[102:105], off, off offset:328
	s_wait_loadcnt 0x5
	v_fmac_f64_e32 v[136:137], v[128:129], v[120:121]
	ds_load_b128 v[118:121], v2 offset:640
	ds_load_b128 v[126:129], v2 offset:656
	s_wait_dscnt 0x1
	v_fmac_f64_e32 v[136:137], v[130:131], v[118:119]
	s_wait_loadcnt 0x4
	s_delay_alu instid0(VALU_DEP_1)
	v_fmac_f64_e32 v[136:137], v[106:107], v[120:121]
	scratch_load_b128 v[118:121], off, off offset:344
	s_wait_dscnt 0x0
	v_fmac_f64_e32 v[136:137], v[108:109], v[126:127]
	scratch_load_b128 v[106:109], off, off offset:360
	s_wait_loadcnt 0x5
	v_fmac_f64_e32 v[136:137], v[122:123], v[128:129]
	ds_load_b128 v[126:129], v2 offset:672
	ds_load_b128 v[130:133], v2 offset:688
	s_wait_dscnt 0x1
	v_fmac_f64_e32 v[136:137], v[124:125], v[126:127]
	scratch_load_b64 v[126:127], off, off offset:376
	s_wait_loadcnt 0x5
	v_fmac_f64_e32 v[136:137], v[110:111], v[128:129]
	s_wait_dscnt 0x0
	s_delay_alu instid0(VALU_DEP_1)
	v_fmac_f64_e32 v[136:137], v[112:113], v[130:131]
	ds_load_b128 v[110:113], v2 offset:704
	ds_load_b128 v[122:125], v2 offset:720
	s_wait_loadcnt 0x4
	v_fmac_f64_e32 v[136:137], v[114:115], v[132:133]
	s_wait_dscnt 0x1
	s_delay_alu instid0(VALU_DEP_1) | instskip(SKIP_1) | instid1(VALU_DEP_1)
	v_fmac_f64_e32 v[136:137], v[116:117], v[110:111]
	s_wait_loadcnt 0x3
	v_fmac_f64_e32 v[136:137], v[102:103], v[112:113]
	s_wait_dscnt 0x0
	s_delay_alu instid0(VALU_DEP_1)
	v_fmac_f64_e32 v[136:137], v[104:105], v[122:123]
	ds_load_b128 v[102:105], v2 offset:736
	ds_load_b128 v[110:113], v2 offset:752
	s_wait_loadcnt 0x2
	v_fmac_f64_e32 v[136:137], v[118:119], v[124:125]
	s_wait_dscnt 0x1
	s_delay_alu instid0(VALU_DEP_1) | instskip(SKIP_1) | instid1(VALU_DEP_1)
	v_fmac_f64_e32 v[136:137], v[120:121], v[102:103]
	s_wait_loadcnt 0x1
	v_fmac_f64_e32 v[136:137], v[106:107], v[104:105]
	s_wait_dscnt 0x0
	s_delay_alu instid0(VALU_DEP_1) | instskip(SKIP_1) | instid1(VALU_DEP_1)
	v_fmac_f64_e32 v[136:137], v[108:109], v[110:111]
	s_wait_loadcnt 0x0
	v_fmac_f64_e32 v[136:137], v[126:127], v[112:113]
	s_delay_alu instid0(VALU_DEP_1)
	v_add_f64_e64 v[2:3], v[100:101], -v[136:137]
	scratch_store_b64 off, v[2:3], off offset:24
	s_wait_xcnt 0x0
	v_cmpx_lt_u32_e32 2, v0
	s_cbranch_execz .LBB47_293
; %bb.292:
	scratch_load_b64 v[2:3], off, off offset:16
	v_mov_b64_e32 v[100:101], 0
	scratch_store_b64 off, v[100:101], off offset:16
	s_wait_loadcnt 0x0
	ds_store_b64 v1, v[2:3]
.LBB47_293:
	s_wait_xcnt 0x0
	s_or_b32 exec_lo, exec_lo, s0
	s_wait_storecnt_dscnt 0x0
	s_barrier_signal -1
	s_barrier_wait -1
	s_clause 0x5
	scratch_load_b128 v[100:103], off, off offset:16
	scratch_load_b128 v[104:107], off, off offset:32
	;; [unrolled: 1-line block ×6, first 2 shown]
	v_mov_b32_e32 v2, 0
	ds_load_2addr_b64 v[124:127], v2 offset0:51 offset1:52
	ds_load_2addr_b64 v[128:131], v2 offset0:53 offset1:54
	scratch_load_b128 v[132:135], off, off offset:112
	s_mov_b32 s0, exec_lo
	s_wait_loadcnt_dscnt 0x601
	v_fma_f64 v[136:137], v[102:103], v[124:125], 0
	s_wait_loadcnt 0x5
	s_delay_alu instid0(VALU_DEP_1) | instskip(SKIP_4) | instid1(VALU_DEP_1)
	v_fmac_f64_e32 v[136:137], v[104:105], v[126:127]
	scratch_load_b128 v[102:105], off, off offset:128
	s_wait_dscnt 0x0
	v_fmac_f64_e32 v[136:137], v[106:107], v[128:129]
	s_wait_loadcnt 0x5
	v_fmac_f64_e32 v[136:137], v[108:109], v[130:131]
	ds_load_2addr_b64 v[106:109], v2 offset0:55 offset1:56
	ds_load_2addr_b64 v[124:127], v2 offset0:57 offset1:58
	scratch_load_b128 v[128:131], off, off offset:144
	s_wait_dscnt 0x1
	v_fmac_f64_e32 v[136:137], v[110:111], v[106:107]
	s_wait_loadcnt 0x5
	s_delay_alu instid0(VALU_DEP_1) | instskip(SKIP_4) | instid1(VALU_DEP_1)
	v_fmac_f64_e32 v[136:137], v[112:113], v[108:109]
	scratch_load_b128 v[106:109], off, off offset:160
	s_wait_dscnt 0x0
	v_fmac_f64_e32 v[136:137], v[114:115], v[124:125]
	s_wait_loadcnt 0x5
	v_fmac_f64_e32 v[136:137], v[116:117], v[126:127]
	ds_load_2addr_b64 v[110:113], v2 offset0:59 offset1:60
	ds_load_2addr_b64 v[114:117], v2 offset0:61 offset1:62
	scratch_load_b128 v[124:127], off, off offset:176
	s_wait_dscnt 0x1
	v_fmac_f64_e32 v[136:137], v[118:119], v[110:111]
	s_wait_loadcnt 0x5
	s_delay_alu instid0(VALU_DEP_1) | instskip(SKIP_4) | instid1(VALU_DEP_1)
	v_fmac_f64_e32 v[136:137], v[120:121], v[112:113]
	scratch_load_b128 v[110:113], off, off offset:192
	s_wait_dscnt 0x0
	v_fmac_f64_e32 v[136:137], v[122:123], v[114:115]
	s_wait_loadcnt 0x5
	v_fmac_f64_e32 v[136:137], v[132:133], v[116:117]
	ds_load_2addr_b64 v[114:117], v2 offset0:63 offset1:64
	ds_load_2addr_b64 v[118:121], v2 offset0:65 offset1:66
	s_wait_dscnt 0x1
	v_fmac_f64_e32 v[136:137], v[134:135], v[114:115]
	scratch_load_b128 v[132:135], off, off offset:208
	s_wait_loadcnt 0x5
	v_fmac_f64_e32 v[136:137], v[102:103], v[116:117]
	s_wait_dscnt 0x0
	s_delay_alu instid0(VALU_DEP_1)
	v_fmac_f64_e32 v[136:137], v[104:105], v[118:119]
	scratch_load_b128 v[102:105], off, off offset:224
	s_wait_loadcnt 0x5
	v_fmac_f64_e32 v[136:137], v[128:129], v[120:121]
	ds_load_2addr_b64 v[114:117], v2 offset0:67 offset1:68
	ds_load_2addr_b64 v[118:121], v2 offset0:69 offset1:70
	s_wait_dscnt 0x1
	v_fmac_f64_e32 v[136:137], v[130:131], v[114:115]
	scratch_load_b128 v[128:131], off, off offset:240
	s_wait_loadcnt 0x5
	v_fmac_f64_e32 v[136:137], v[106:107], v[116:117]
	s_wait_dscnt 0x0
	s_delay_alu instid0(VALU_DEP_1)
	v_fmac_f64_e32 v[136:137], v[108:109], v[118:119]
	scratch_load_b128 v[106:109], off, off offset:256
	s_wait_loadcnt 0x5
	v_fmac_f64_e32 v[136:137], v[124:125], v[120:121]
	ds_load_2addr_b64 v[114:117], v2 offset0:71 offset1:72
	ds_load_2addr_b64 v[118:121], v2 offset0:73 offset1:74
	scratch_load_b128 v[122:125], off, off offset:272
	s_wait_dscnt 0x1
	v_fmac_f64_e32 v[136:137], v[126:127], v[114:115]
	s_wait_loadcnt 0x5
	s_delay_alu instid0(VALU_DEP_1) | instskip(SKIP_1) | instid1(VALU_DEP_1)
	v_fmac_f64_e32 v[136:137], v[110:111], v[116:117]
	s_wait_dscnt 0x0
	v_fmac_f64_e32 v[136:137], v[112:113], v[118:119]
	scratch_load_b128 v[110:113], off, off offset:288
	s_wait_loadcnt 0x5
	v_fmac_f64_e32 v[136:137], v[132:133], v[120:121]
	ds_load_2addr_b64 v[114:117], v2 offset0:75 offset1:76
	ds_load_2addr_b64 v[118:121], v2 offset0:77 offset1:78
	s_wait_dscnt 0x1
	v_fmac_f64_e32 v[136:137], v[134:135], v[114:115]
	s_wait_loadcnt 0x4
	s_delay_alu instid0(VALU_DEP_1)
	v_fmac_f64_e32 v[136:137], v[102:103], v[116:117]
	scratch_load_b128 v[114:117], off, off offset:304
	s_wait_dscnt 0x0
	v_fmac_f64_e32 v[136:137], v[104:105], v[118:119]
	scratch_load_b128 v[102:105], off, off offset:320
	s_wait_loadcnt 0x5
	v_fmac_f64_e32 v[136:137], v[128:129], v[120:121]
	ds_load_2addr_b64 v[118:121], v2 offset0:79 offset1:80
	ds_load_2addr_b64 v[126:129], v2 offset0:81 offset1:82
	s_wait_dscnt 0x1
	v_fmac_f64_e32 v[136:137], v[130:131], v[118:119]
	s_wait_loadcnt 0x4
	s_delay_alu instid0(VALU_DEP_1)
	v_fmac_f64_e32 v[136:137], v[106:107], v[120:121]
	scratch_load_b128 v[118:121], off, off offset:336
	s_wait_dscnt 0x0
	v_fmac_f64_e32 v[136:137], v[108:109], v[126:127]
	scratch_load_b128 v[106:109], off, off offset:352
	s_wait_loadcnt 0x5
	v_fmac_f64_e32 v[136:137], v[122:123], v[128:129]
	ds_load_2addr_b64 v[126:129], v2 offset0:83 offset1:84
	ds_load_2addr_b64 v[130:133], v2 offset0:85 offset1:86
	s_wait_dscnt 0x1
	v_fmac_f64_e32 v[136:137], v[124:125], v[126:127]
	scratch_load_b128 v[122:125], off, off offset:368
	s_wait_loadcnt 0x5
	v_fmac_f64_e32 v[136:137], v[110:111], v[128:129]
	s_wait_dscnt 0x0
	s_delay_alu instid0(VALU_DEP_1)
	v_fmac_f64_e32 v[136:137], v[112:113], v[130:131]
	ds_load_2addr_b64 v[110:113], v2 offset0:87 offset1:88
	ds_load_2addr_b64 v[126:129], v2 offset0:89 offset1:90
	s_wait_loadcnt 0x4
	v_fmac_f64_e32 v[136:137], v[114:115], v[132:133]
	s_wait_dscnt 0x1
	s_delay_alu instid0(VALU_DEP_1) | instskip(SKIP_1) | instid1(VALU_DEP_1)
	v_fmac_f64_e32 v[136:137], v[116:117], v[110:111]
	s_wait_loadcnt 0x3
	v_fmac_f64_e32 v[136:137], v[102:103], v[112:113]
	s_wait_dscnt 0x0
	s_delay_alu instid0(VALU_DEP_1)
	v_fmac_f64_e32 v[136:137], v[104:105], v[126:127]
	ds_load_2addr_b64 v[102:105], v2 offset0:91 offset1:92
	ds_load_2addr_b64 v[110:113], v2 offset0:93 offset1:94
	s_wait_loadcnt 0x2
	v_fmac_f64_e32 v[136:137], v[118:119], v[128:129]
	s_wait_dscnt 0x1
	s_delay_alu instid0(VALU_DEP_1) | instskip(SKIP_4) | instid1(VALU_DEP_1)
	v_fmac_f64_e32 v[136:137], v[120:121], v[102:103]
	ds_load_b64 v[102:103], v2 offset:760
	s_wait_loadcnt 0x1
	v_fmac_f64_e32 v[136:137], v[106:107], v[104:105]
	s_wait_dscnt 0x1
	v_fmac_f64_e32 v[136:137], v[108:109], v[110:111]
	s_wait_loadcnt 0x0
	s_delay_alu instid0(VALU_DEP_1) | instskip(SKIP_1) | instid1(VALU_DEP_1)
	v_fmac_f64_e32 v[136:137], v[122:123], v[112:113]
	s_wait_dscnt 0x0
	v_fmac_f64_e32 v[136:137], v[124:125], v[102:103]
	s_delay_alu instid0(VALU_DEP_1)
	v_add_f64_e64 v[100:101], v[100:101], -v[136:137]
	scratch_store_b64 off, v[100:101], off offset:16
	s_wait_xcnt 0x0
	v_cmpx_lt_u32_e32 1, v0
	s_cbranch_execz .LBB47_295
; %bb.294:
	scratch_load_b64 v[100:101], off, off offset:8
	v_mov_b64_e32 v[102:103], 0
	scratch_store_b64 off, v[102:103], off offset:8
	s_wait_loadcnt 0x0
	ds_store_b64 v1, v[100:101]
.LBB47_295:
	s_wait_xcnt 0x0
	s_or_b32 exec_lo, exec_lo, s0
	s_wait_storecnt_dscnt 0x0
	s_barrier_signal -1
	s_barrier_wait -1
	s_clause 0x3
	scratch_load_b128 v[100:103], off, off offset:8
	scratch_load_b128 v[104:107], off, off offset:24
	;; [unrolled: 1-line block ×4, first 2 shown]
	ds_load_b128 v[116:119], v2 offset:400
	ds_load_b128 v[120:123], v2 offset:416
	scratch_load_b128 v[124:127], off, off offset:72
	v_dual_ashrrev_i32 v9, 31, v8 :: v_dual_ashrrev_i32 v11, 31, v10
	v_dual_ashrrev_i32 v13, 31, v12 :: v_dual_ashrrev_i32 v15, 31, v14
	;; [unrolled: 1-line block ×22, first 2 shown]
	v_ashrrev_i32_e32 v97, 31, v96
	s_mov_b32 s0, exec_lo
	v_ashrrev_i32_e32 v51, 31, v50
	s_wait_loadcnt_dscnt 0x401
	v_fma_f64 v[128:129], v[102:103], v[116:117], 0
	s_wait_loadcnt 0x3
	s_delay_alu instid0(VALU_DEP_1) | instskip(SKIP_4) | instid1(VALU_DEP_1)
	v_fmac_f64_e32 v[128:129], v[104:105], v[118:119]
	scratch_load_b128 v[102:105], off, off offset:88
	s_wait_dscnt 0x0
	v_fmac_f64_e32 v[128:129], v[106:107], v[120:121]
	s_wait_loadcnt 0x3
	v_fmac_f64_e32 v[128:129], v[108:109], v[122:123]
	ds_load_b128 v[106:109], v2 offset:432
	ds_load_b128 v[116:119], v2 offset:448
	scratch_load_b128 v[120:123], off, off offset:104
	s_wait_dscnt 0x1
	v_fmac_f64_e32 v[128:129], v[110:111], v[106:107]
	s_wait_loadcnt 0x3
	s_delay_alu instid0(VALU_DEP_1)
	v_fmac_f64_e32 v[128:129], v[112:113], v[108:109]
	scratch_load_b128 v[106:109], off, off offset:120
	s_wait_dscnt 0x0
	v_fmac_f64_e32 v[128:129], v[114:115], v[116:117]
	ds_load_b128 v[110:113], v2 offset:464
	ds_load_b128 v[114:117], v2 offset:480
	s_wait_loadcnt 0x3
	v_fmac_f64_e32 v[128:129], v[124:125], v[118:119]
	s_wait_dscnt 0x1
	s_delay_alu instid0(VALU_DEP_1) | instskip(SKIP_4) | instid1(VALU_DEP_1)
	v_fmac_f64_e32 v[128:129], v[126:127], v[110:111]
	scratch_load_b128 v[124:127], off, off offset:136
	s_wait_loadcnt 0x3
	v_fmac_f64_e32 v[128:129], v[102:103], v[112:113]
	s_wait_dscnt 0x0
	v_fmac_f64_e32 v[128:129], v[104:105], v[114:115]
	scratch_load_b128 v[102:105], off, off offset:152
	s_wait_loadcnt 0x3
	v_fmac_f64_e32 v[128:129], v[120:121], v[116:117]
	ds_load_b128 v[110:113], v2 offset:496
	ds_load_b128 v[114:117], v2 offset:512
	scratch_load_b128 v[118:121], off, off offset:168
	s_wait_dscnt 0x1
	v_fmac_f64_e32 v[128:129], v[122:123], v[110:111]
	s_wait_loadcnt 0x3
	s_delay_alu instid0(VALU_DEP_1) | instskip(SKIP_4) | instid1(VALU_DEP_1)
	v_fmac_f64_e32 v[128:129], v[106:107], v[112:113]
	scratch_load_b128 v[110:113], off, off offset:184
	s_wait_dscnt 0x0
	v_fmac_f64_e32 v[128:129], v[108:109], v[114:115]
	s_wait_loadcnt 0x3
	v_fmac_f64_e32 v[128:129], v[124:125], v[116:117]
	ds_load_b128 v[106:109], v2 offset:528
	ds_load_b128 v[114:117], v2 offset:544
	scratch_load_b128 v[122:125], off, off offset:200
	s_wait_dscnt 0x1
	v_fmac_f64_e32 v[128:129], v[126:127], v[106:107]
	s_wait_loadcnt 0x3
	s_delay_alu instid0(VALU_DEP_1) | instskip(SKIP_1) | instid1(VALU_DEP_1)
	v_fmac_f64_e32 v[128:129], v[102:103], v[108:109]
	s_wait_dscnt 0x0
	v_fmac_f64_e32 v[128:129], v[104:105], v[114:115]
	scratch_load_b128 v[102:105], off, off offset:216
	s_wait_loadcnt 0x3
	v_fmac_f64_e32 v[128:129], v[118:119], v[116:117]
	ds_load_b128 v[106:109], v2 offset:560
	ds_load_b128 v[114:117], v2 offset:576
	s_wait_dscnt 0x1
	v_fmac_f64_e32 v[128:129], v[120:121], v[106:107]
	scratch_load_b128 v[118:121], off, off offset:232
	s_wait_loadcnt 0x3
	v_fmac_f64_e32 v[128:129], v[110:111], v[108:109]
	scratch_load_b128 v[106:109], off, off offset:248
	s_wait_dscnt 0x0
	v_fmac_f64_e32 v[128:129], v[112:113], v[114:115]
	s_wait_loadcnt 0x3
	s_delay_alu instid0(VALU_DEP_1)
	v_fmac_f64_e32 v[128:129], v[122:123], v[116:117]
	ds_load_b128 v[110:113], v2 offset:592
	ds_load_b128 v[114:117], v2 offset:608
	s_wait_dscnt 0x1
	v_fmac_f64_e32 v[128:129], v[124:125], v[110:111]
	scratch_load_b128 v[122:125], off, off offset:264
	s_wait_loadcnt 0x3
	v_fmac_f64_e32 v[128:129], v[102:103], v[112:113]
	s_wait_dscnt 0x0
	s_delay_alu instid0(VALU_DEP_1)
	v_fmac_f64_e32 v[128:129], v[104:105], v[114:115]
	scratch_load_b128 v[102:105], off, off offset:280
	s_wait_loadcnt 0x3
	v_fmac_f64_e32 v[128:129], v[118:119], v[116:117]
	ds_load_b128 v[110:113], v2 offset:624
	ds_load_b128 v[114:117], v2 offset:640
	s_wait_dscnt 0x1
	v_fmac_f64_e32 v[128:129], v[120:121], v[110:111]
	scratch_load_b128 v[118:121], off, off offset:296
	s_wait_loadcnt 0x3
	v_fmac_f64_e32 v[128:129], v[106:107], v[112:113]
	scratch_load_b128 v[110:113], off, off offset:312
	s_wait_dscnt 0x0
	v_fmac_f64_e32 v[128:129], v[108:109], v[114:115]
	s_wait_loadcnt 0x3
	s_delay_alu instid0(VALU_DEP_1)
	v_fmac_f64_e32 v[128:129], v[122:123], v[116:117]
	ds_load_b128 v[106:109], v2 offset:656
	ds_load_b128 v[114:117], v2 offset:672
	s_wait_dscnt 0x1
	v_fmac_f64_e32 v[128:129], v[124:125], v[106:107]
	scratch_load_b128 v[122:125], off, off offset:328
	s_wait_loadcnt 0x3
	v_fmac_f64_e32 v[128:129], v[102:103], v[108:109]
	s_wait_dscnt 0x0
	s_delay_alu instid0(VALU_DEP_1)
	v_fmac_f64_e32 v[128:129], v[104:105], v[114:115]
	scratch_load_b128 v[102:105], off, off offset:344
	s_wait_loadcnt 0x3
	v_fmac_f64_e32 v[128:129], v[118:119], v[116:117]
	ds_load_b128 v[106:109], v2 offset:688
	ds_load_b128 v[114:117], v2 offset:704
	scratch_load_b64 v[126:127], off, off offset:376
	s_wait_dscnt 0x1
	v_fmac_f64_e32 v[128:129], v[120:121], v[106:107]
	scratch_load_b128 v[118:121], off, off offset:360
	s_wait_loadcnt 0x4
	v_fmac_f64_e32 v[128:129], v[110:111], v[108:109]
	s_wait_dscnt 0x0
	s_delay_alu instid0(VALU_DEP_1)
	v_fmac_f64_e32 v[128:129], v[112:113], v[114:115]
	ds_load_b128 v[106:109], v2 offset:720
	ds_load_b128 v[110:113], v2 offset:736
	s_wait_loadcnt 0x3
	v_fmac_f64_e32 v[128:129], v[122:123], v[116:117]
	s_wait_dscnt 0x1
	s_delay_alu instid0(VALU_DEP_1) | instskip(SKIP_1) | instid1(VALU_DEP_1)
	v_fmac_f64_e32 v[128:129], v[124:125], v[106:107]
	s_wait_loadcnt 0x2
	v_fmac_f64_e32 v[128:129], v[102:103], v[108:109]
	s_wait_dscnt 0x0
	s_delay_alu instid0(VALU_DEP_1) | instskip(SKIP_4) | instid1(VALU_DEP_1)
	v_fmac_f64_e32 v[128:129], v[104:105], v[110:111]
	ds_load_b128 v[102:105], v2 offset:752
	s_wait_loadcnt 0x0
	v_fmac_f64_e32 v[128:129], v[118:119], v[112:113]
	s_wait_dscnt 0x0
	v_fmac_f64_e32 v[128:129], v[120:121], v[102:103]
	s_delay_alu instid0(VALU_DEP_1) | instskip(NEXT) | instid1(VALU_DEP_1)
	v_fmac_f64_e32 v[128:129], v[126:127], v[104:105]
	v_add_f64_e64 v[2:3], v[100:101], -v[128:129]
	scratch_store_b64 off, v[2:3], off offset:8
	s_wait_xcnt 0x0
	v_cmpx_ne_u32_e32 0, v0
	s_cbranch_execz .LBB47_297
; %bb.296:
	scratch_load_b64 v[2:3], off, off
	v_mov_b64_e32 v[100:101], 0
	scratch_store_b64 off, v[100:101], off
	s_wait_loadcnt 0x0
	ds_store_b64 v1, v[2:3]
.LBB47_297:
	s_wait_xcnt 0x0
	s_or_b32 exec_lo, exec_lo, s0
	s_wait_storecnt_dscnt 0x0
	s_barrier_signal -1
	s_barrier_wait -1
	s_clause 0x5
	scratch_load_b128 v[102:105], off, off
	scratch_load_b128 v[0:3], off, off offset:16
	scratch_load_b128 v[106:109], off, off offset:32
	;; [unrolled: 1-line block ×5, first 2 shown]
	v_mov_b32_e32 v100, 0
	scratch_load_b128 v[126:129], off, off offset:96
	s_and_b32 vcc_lo, exec_lo, s18
	ds_load_2addr_b64 v[122:125], v100 offset0:49 offset1:50
	s_wait_loadcnt_dscnt 0x600
	v_fma_f64 v[132:133], v[104:105], v[122:123], 0
	s_wait_loadcnt 0x5
	s_delay_alu instid0(VALU_DEP_1)
	v_fmac_f64_e32 v[132:133], v[0:1], v[124:125]
	ds_load_2addr_b64 v[122:125], v100 offset0:51 offset1:52
	s_wait_dscnt 0x0
	v_fmac_f64_e32 v[132:133], v[2:3], v[122:123]
	scratch_load_b128 v[0:3], off, off offset:112
	s_wait_loadcnt 0x5
	v_fmac_f64_e32 v[132:133], v[106:107], v[124:125]
	ds_load_2addr_b64 v[104:107], v100 offset0:53 offset1:54
	scratch_load_b128 v[122:125], off, off offset:128
	s_wait_dscnt 0x0
	v_fmac_f64_e32 v[132:133], v[108:109], v[104:105]
	s_wait_loadcnt 0x5
	s_delay_alu instid0(VALU_DEP_1)
	v_fmac_f64_e32 v[132:133], v[110:111], v[106:107]
	ds_load_2addr_b64 v[104:107], v100 offset0:55 offset1:56
	scratch_load_b128 v[108:111], off, off offset:144
	s_wait_dscnt 0x0
	v_fmac_f64_e32 v[132:133], v[112:113], v[104:105]
	s_wait_loadcnt 0x5
	s_delay_alu instid0(VALU_DEP_1)
	v_fmac_f64_e32 v[132:133], v[114:115], v[106:107]
	ds_load_2addr_b64 v[104:107], v100 offset0:57 offset1:58
	scratch_load_b128 v[112:115], off, off offset:160
	s_wait_dscnt 0x0
	v_fmac_f64_e32 v[132:133], v[116:117], v[104:105]
	s_wait_loadcnt 0x5
	s_delay_alu instid0(VALU_DEP_1)
	v_fmac_f64_e32 v[132:133], v[118:119], v[106:107]
	ds_load_2addr_b64 v[104:107], v100 offset0:59 offset1:60
	scratch_load_b128 v[116:119], off, off offset:176
	s_wait_dscnt 0x0
	v_fmac_f64_e32 v[132:133], v[120:121], v[104:105]
	s_wait_loadcnt 0x5
	s_delay_alu instid0(VALU_DEP_1)
	v_fmac_f64_e32 v[132:133], v[126:127], v[106:107]
	ds_load_2addr_b64 v[104:107], v100 offset0:61 offset1:62
	s_wait_dscnt 0x0
	v_fmac_f64_e32 v[132:133], v[128:129], v[104:105]
	scratch_load_b128 v[126:129], off, off offset:192
	s_wait_loadcnt 0x5
	v_fmac_f64_e32 v[132:133], v[0:1], v[106:107]
	ds_load_2addr_b64 v[104:107], v100 offset0:63 offset1:64
	s_wait_dscnt 0x0
	v_fmac_f64_e32 v[132:133], v[2:3], v[104:105]
	scratch_load_b128 v[0:3], off, off offset:208
	s_wait_loadcnt 0x5
	v_fmac_f64_e32 v[132:133], v[122:123], v[106:107]
	ds_load_2addr_b64 v[104:107], v100 offset0:65 offset1:66
	scratch_load_b128 v[120:123], off, off offset:224
	s_wait_dscnt 0x0
	v_fmac_f64_e32 v[132:133], v[124:125], v[104:105]
	s_wait_loadcnt 0x5
	s_delay_alu instid0(VALU_DEP_1)
	v_fmac_f64_e32 v[132:133], v[108:109], v[106:107]
	ds_load_2addr_b64 v[104:107], v100 offset0:67 offset1:68
	s_wait_dscnt 0x0
	v_fmac_f64_e32 v[132:133], v[110:111], v[104:105]
	scratch_load_b128 v[108:111], off, off offset:240
	s_wait_loadcnt 0x5
	v_fmac_f64_e32 v[132:133], v[112:113], v[106:107]
	ds_load_2addr_b64 v[104:107], v100 offset0:69 offset1:70
	s_wait_dscnt 0x0
	v_fmac_f64_e32 v[132:133], v[114:115], v[104:105]
	scratch_load_b128 v[112:115], off, off offset:256
	s_wait_loadcnt 0x5
	;; [unrolled: 6-line block ×3, first 2 shown]
	v_fmac_f64_e32 v[132:133], v[126:127], v[106:107]
	ds_load_2addr_b64 v[104:107], v100 offset0:73 offset1:74
	scratch_load_b128 v[124:127], off, off offset:288
	s_wait_dscnt 0x0
	v_fmac_f64_e32 v[132:133], v[128:129], v[104:105]
	scratch_load_b128 v[128:131], off, off offset:304
	s_wait_loadcnt 0x6
	v_fmac_f64_e32 v[132:133], v[0:1], v[106:107]
	ds_load_2addr_b64 v[104:107], v100 offset0:75 offset1:76
	s_wait_dscnt 0x0
	v_fmac_f64_e32 v[132:133], v[2:3], v[104:105]
	ds_load_2addr_b64 v[0:3], v100 offset0:77 offset1:78
	s_wait_loadcnt 0x5
	v_fmac_f64_e32 v[132:133], v[120:121], v[106:107]
	scratch_load_b128 v[104:107], off, off offset:320
	s_wait_dscnt 0x0
	v_fmac_f64_e32 v[132:133], v[122:123], v[0:1]
	ds_load_2addr_b64 v[120:123], v100 offset0:83 offset1:84
	s_wait_loadcnt 0x5
	v_fmac_f64_e32 v[132:133], v[108:109], v[2:3]
	ds_load_2addr_b64 v[0:3], v100 offset0:79 offset1:80
	s_wait_dscnt 0x0
	v_fmac_f64_e32 v[132:133], v[110:111], v[0:1]
	scratch_load_b128 v[108:111], off, off offset:336
	s_wait_loadcnt 0x5
	v_fmac_f64_e32 v[132:133], v[112:113], v[2:3]
	ds_load_2addr_b64 v[0:3], v100 offset0:81 offset1:82
	s_wait_dscnt 0x0
	v_fmac_f64_e32 v[132:133], v[114:115], v[0:1]
	scratch_load_b128 v[112:115], off, off offset:352
	s_wait_loadcnt 0x5
	v_fmac_f64_e32 v[132:133], v[116:117], v[2:3]
	scratch_load_b128 v[0:3], off, off offset:368
	v_fmac_f64_e32 v[132:133], v[118:119], v[120:121]
	ds_load_2addr_b64 v[116:119], v100 offset0:85 offset1:86
	s_wait_loadcnt 0x5
	v_fmac_f64_e32 v[132:133], v[124:125], v[122:123]
	s_wait_dscnt 0x0
	s_delay_alu instid0(VALU_DEP_1) | instskip(SKIP_1) | instid1(VALU_DEP_1)
	v_fmac_f64_e32 v[132:133], v[126:127], v[116:117]
	s_wait_loadcnt 0x4
	v_fmac_f64_e32 v[132:133], v[128:129], v[118:119]
	ds_load_2addr_b64 v[116:119], v100 offset0:87 offset1:88
	s_wait_dscnt 0x0
	v_fmac_f64_e32 v[132:133], v[130:131], v[116:117]
	s_wait_loadcnt 0x3
	s_delay_alu instid0(VALU_DEP_1)
	v_fmac_f64_e32 v[132:133], v[104:105], v[118:119]
	ds_load_2addr_b64 v[116:119], v100 offset0:89 offset1:90
	s_wait_dscnt 0x0
	v_fmac_f64_e32 v[132:133], v[106:107], v[116:117]
	ds_load_2addr_b64 v[104:107], v100 offset0:91 offset1:92
	s_wait_loadcnt 0x2
	v_fmac_f64_e32 v[132:133], v[108:109], v[118:119]
	s_wait_dscnt 0x0
	s_delay_alu instid0(VALU_DEP_1) | instskip(SKIP_1) | instid1(VALU_DEP_1)
	v_fmac_f64_e32 v[132:133], v[110:111], v[104:105]
	s_wait_loadcnt 0x1
	v_fmac_f64_e32 v[132:133], v[112:113], v[106:107]
	ds_load_2addr_b64 v[104:107], v100 offset0:93 offset1:94
	s_wait_dscnt 0x0
	v_fmac_f64_e32 v[132:133], v[114:115], v[104:105]
	ds_load_b64 v[104:105], v100 offset:760
	s_wait_loadcnt 0x0
	v_fmac_f64_e32 v[132:133], v[0:1], v[106:107]
	s_wait_dscnt 0x0
	s_delay_alu instid0(VALU_DEP_1) | instskip(NEXT) | instid1(VALU_DEP_1)
	v_fmac_f64_e32 v[132:133], v[2:3], v[104:105]
	v_add_f64_e64 v[128:129], v[102:103], -v[132:133]
	scratch_store_b64 off, v[128:129], off
	s_cbranch_vccz .LBB47_392
; %bb.298:
	global_load_b32 v2, v100, s[2:3] offset:184
	s_wait_loadcnt 0x0
	v_cmp_ne_u32_e32 vcc_lo, 47, v2
	s_cbranch_vccz .LBB47_300
; %bb.299:
	v_lshlrev_b32_e32 v2, 3, v2
	s_wait_xcnt 0x0
	s_delay_alu instid0(VALU_DEP_1)
	v_mov_b32_e32 v100, v2
	scratch_load_b64 v[2:3], v100, off offset:-8
	s_wait_loadcnt 0x0
	scratch_store_b64 off, v[2:3], off offset:368
	scratch_store_b64 v100, v[0:1], off offset:-8
.LBB47_300:
	s_wait_xcnt 0x0
	v_mov_b32_e32 v0, 0
	global_load_b32 v1, v0, s[2:3] offset:180
	s_wait_loadcnt 0x0
	v_cmp_eq_u32_e32 vcc_lo, 46, v1
	s_cbranch_vccnz .LBB47_302
; %bb.301:
	v_lshlrev_b32_e32 v1, 3, v1
	scratch_load_b64 v[2:3], v1, off offset:-8
	scratch_load_b64 v[100:101], off, off offset:360
	s_wait_loadcnt 0x1
	scratch_store_b64 off, v[2:3], off offset:360
	s_wait_loadcnt 0x0
	scratch_store_b64 v1, v[100:101], off offset:-8
.LBB47_302:
	global_load_b32 v0, v0, s[2:3] offset:176
	s_wait_loadcnt 0x0
	v_cmp_eq_u32_e32 vcc_lo, 45, v0
	s_cbranch_vccnz .LBB47_304
; %bb.303:
	s_wait_xcnt 0x0
	v_lshlrev_b32_e32 v0, 3, v0
	s_delay_alu instid0(VALU_DEP_1)
	v_mov_b32_e32 v100, v0
	scratch_load_b64 v[0:1], v100, off offset:-8
	scratch_load_b64 v[2:3], off, off offset:352
	s_wait_loadcnt 0x1
	scratch_store_b64 off, v[0:1], off offset:352
	s_wait_loadcnt 0x0
	scratch_store_b64 v100, v[2:3], off offset:-8
.LBB47_304:
	s_wait_xcnt 0x0
	v_mov_b32_e32 v0, 0
	global_load_b32 v1, v0, s[2:3] offset:172
	s_wait_loadcnt 0x0
	v_cmp_eq_u32_e32 vcc_lo, 44, v1
	s_cbranch_vccnz .LBB47_306
; %bb.305:
	v_lshlrev_b32_e32 v1, 3, v1
	scratch_load_b64 v[2:3], v1, off offset:-8
	scratch_load_b64 v[100:101], off, off offset:344
	s_wait_loadcnt 0x1
	scratch_store_b64 off, v[2:3], off offset:344
	s_wait_loadcnt 0x0
	scratch_store_b64 v1, v[100:101], off offset:-8
.LBB47_306:
	global_load_b32 v0, v0, s[2:3] offset:168
	s_wait_loadcnt 0x0
	v_cmp_eq_u32_e32 vcc_lo, 43, v0
	s_cbranch_vccnz .LBB47_308
; %bb.307:
	s_wait_xcnt 0x0
	v_lshlrev_b32_e32 v0, 3, v0
	s_delay_alu instid0(VALU_DEP_1)
	v_mov_b32_e32 v100, v0
	scratch_load_b64 v[0:1], v100, off offset:-8
	scratch_load_b64 v[2:3], off, off offset:336
	s_wait_loadcnt 0x1
	scratch_store_b64 off, v[0:1], off offset:336
	s_wait_loadcnt 0x0
	scratch_store_b64 v100, v[2:3], off offset:-8
.LBB47_308:
	;; [unrolled: 31-line block ×22, first 2 shown]
	s_wait_xcnt 0x0
	v_mov_b32_e32 v0, 0
	global_load_b32 v1, v0, s[2:3] offset:4
	s_wait_loadcnt 0x0
	v_cmp_eq_u32_e32 vcc_lo, 2, v1
	s_cbranch_vccnz .LBB47_390
; %bb.389:
	v_lshlrev_b32_e32 v1, 3, v1
	scratch_load_b64 v[2:3], v1, off offset:-8
	scratch_load_b64 v[100:101], off, off offset:8
	s_wait_loadcnt 0x1
	scratch_store_b64 off, v[2:3], off offset:8
	s_wait_loadcnt 0x0
	scratch_store_b64 v1, v[100:101], off offset:-8
.LBB47_390:
	global_load_b32 v0, v0, s[2:3]
	scratch_load_b64 v[128:129], off, off
	s_wait_loadcnt 0x1
	v_cmp_eq_u32_e32 vcc_lo, 1, v0
	s_cbranch_vccnz .LBB47_392
; %bb.391:
	s_wait_xcnt 0x1
	v_lshlrev_b32_e32 v0, 3, v0
	s_delay_alu instid0(VALU_DEP_1)
	v_mov_b32_e32 v2, v0
	scratch_load_b64 v[0:1], v2, off offset:-8
	s_wait_loadcnt 0x0
	scratch_store_b64 off, v[0:1], off
	scratch_store_b64 v2, v[128:129], off offset:-8
	scratch_load_b64 v[128:129], off, off
.LBB47_392:
	v_lshl_add_u64 v[130:131], v[8:9], 3, s[4:5]
	v_lshl_add_u64 v[126:127], v[10:11], 3, s[4:5]
	;; [unrolled: 1-line block ×10, first 2 shown]
	s_wait_xcnt 0x1
	v_lshl_add_u64 v[0:1], v[38:39], 3, s[4:5]
	v_lshl_add_u64 v[2:3], v[40:41], 3, s[4:5]
	v_lshl_add_u64 v[8:9], v[42:43], 3, s[4:5]
	v_lshl_add_u64 v[10:11], v[44:45], 3, s[4:5]
	v_lshl_add_u64 v[12:13], v[46:47], 3, s[4:5]
	v_lshl_add_u64 v[14:15], v[48:49], 3, s[4:5]
	v_lshl_add_u64 v[16:17], v[50:51], 3, s[4:5]
	v_lshl_add_u64 v[18:19], v[52:53], 3, s[4:5]
	v_lshl_add_u64 v[20:21], v[54:55], 3, s[4:5]
	v_lshl_add_u64 v[32:33], v[66:67], 3, s[4:5]
	v_lshl_add_u64 v[34:35], v[68:69], 3, s[4:5]
	v_lshl_add_u64 v[36:37], v[70:71], 3, s[4:5]
	v_lshl_add_u64 v[38:39], v[72:73], 3, s[4:5]
	v_lshl_add_u64 v[40:41], v[74:75], 3, s[4:5]
	v_lshl_add_u64 v[42:43], v[76:77], 3, s[4:5]
	v_lshl_add_u64 v[44:45], v[78:79], 3, s[4:5]
	v_lshl_add_u64 v[46:47], v[80:81], 3, s[4:5]
	v_lshl_add_u64 v[48:49], v[82:83], 3, s[4:5]
	v_lshl_add_u64 v[50:51], v[84:85], 3, s[4:5]
	v_lshl_add_u64 v[52:53], v[86:87], 3, s[4:5]
	v_lshl_add_u64 v[54:55], v[88:89], 3, s[4:5]
	s_clause 0x5
	scratch_load_b128 v[66:69], off, off offset:8
	scratch_load_b128 v[70:73], off, off offset:24
	;; [unrolled: 1-line block ×6, first 2 shown]
	v_lshl_add_u64 v[114:115], v[22:23], 3, s[4:5]
	v_lshl_add_u64 v[112:113], v[24:25], 3, s[4:5]
	;; [unrolled: 1-line block ×6, first 2 shown]
	s_wait_loadcnt 0x6
	global_store_b64 v[6:7], v[128:129], off
	scratch_load_b128 v[90:93], off, off offset:104
	v_lshl_add_u64 v[110:111], v[26:27], 3, s[4:5]
	v_lshl_add_u64 v[108:109], v[28:29], 3, s[4:5]
	;; [unrolled: 1-line block ×9, first 2 shown]
	scratch_load_b128 v[94:97], off, off offset:152
	s_wait_loadcnt 0x7
	global_store_b64 v[4:5], v[66:67], off
	scratch_load_b128 v[4:7], off, off offset:120
	global_store_b64 v[130:131], v[68:69], off
	s_wait_loadcnt 0x7
	s_clause 0x1
	global_store_b64 v[126:127], v[70:71], off
	global_store_b64 v[124:125], v[72:73], off
	s_wait_loadcnt 0x6
	s_clause 0x1
	global_store_b64 v[122:123], v[74:75], off
	;; [unrolled: 4-line block ×6, first 2 shown]
	global_store_b64 v[104:105], v[92:93], off
	s_clause 0xb
	scratch_load_b128 v[66:69], off, off offset:136
	scratch_load_b128 v[70:73], off, off offset:168
	;; [unrolled: 1-line block ×12, first 2 shown]
	s_wait_loadcnt 0xc
	s_clause 0x1
	global_store_b64 v[102:103], v[4:5], off
	global_store_b64 v[100:101], v[6:7], off
	s_clause 0x2
	scratch_load_b128 v[102:105], off, off offset:344
	scratch_load_b128 v[4:7], off, off offset:360
	scratch_load_b64 v[98:99], off, off offset:376
	s_wait_loadcnt 0xe
	s_clause 0x3
	global_store_b64 v[0:1], v[66:67], off
	global_store_b64 v[2:3], v[68:69], off
	;; [unrolled: 1-line block ×4, first 2 shown]
	s_wait_loadcnt 0xd
	s_clause 0x1
	global_store_b64 v[12:13], v[70:71], off
	global_store_b64 v[14:15], v[72:73], off
	s_wait_loadcnt 0xc
	s_clause 0x1
	global_store_b64 v[16:17], v[122:123], off
	global_store_b64 v[18:19], v[124:125], off
	;; [unrolled: 4-line block ×13, first 2 shown]
	s_wait_loadcnt 0x0
	global_store_b64 v[64:65], v[98:99], off
	s_sendmsg sendmsg(MSG_DEALLOC_VGPRS)
	s_endpgm
	.section	.rodata,"a",@progbits
	.p2align	6, 0x0
	.amdhsa_kernel _ZN9rocsolver6v33100L18getri_kernel_smallILi48EdPdEEvT1_iilPiilS4_bb
		.amdhsa_group_segment_fixed_size 776
		.amdhsa_private_segment_fixed_size 400
		.amdhsa_kernarg_size 60
		.amdhsa_user_sgpr_count 2
		.amdhsa_user_sgpr_dispatch_ptr 0
		.amdhsa_user_sgpr_queue_ptr 0
		.amdhsa_user_sgpr_kernarg_segment_ptr 1
		.amdhsa_user_sgpr_dispatch_id 0
		.amdhsa_user_sgpr_kernarg_preload_length 0
		.amdhsa_user_sgpr_kernarg_preload_offset 0
		.amdhsa_user_sgpr_private_segment_size 0
		.amdhsa_wavefront_size32 1
		.amdhsa_uses_dynamic_stack 0
		.amdhsa_enable_private_segment 1
		.amdhsa_system_sgpr_workgroup_id_x 1
		.amdhsa_system_sgpr_workgroup_id_y 0
		.amdhsa_system_sgpr_workgroup_id_z 0
		.amdhsa_system_sgpr_workgroup_info 0
		.amdhsa_system_vgpr_workitem_id 0
		.amdhsa_next_free_vgpr 144
		.amdhsa_next_free_sgpr 19
		.amdhsa_named_barrier_count 0
		.amdhsa_reserve_vcc 1
		.amdhsa_float_round_mode_32 0
		.amdhsa_float_round_mode_16_64 0
		.amdhsa_float_denorm_mode_32 3
		.amdhsa_float_denorm_mode_16_64 3
		.amdhsa_fp16_overflow 0
		.amdhsa_memory_ordered 1
		.amdhsa_forward_progress 1
		.amdhsa_inst_pref_size 255
		.amdhsa_round_robin_scheduling 0
		.amdhsa_exception_fp_ieee_invalid_op 0
		.amdhsa_exception_fp_denorm_src 0
		.amdhsa_exception_fp_ieee_div_zero 0
		.amdhsa_exception_fp_ieee_overflow 0
		.amdhsa_exception_fp_ieee_underflow 0
		.amdhsa_exception_fp_ieee_inexact 0
		.amdhsa_exception_int_div_zero 0
	.end_amdhsa_kernel
	.section	.text._ZN9rocsolver6v33100L18getri_kernel_smallILi48EdPdEEvT1_iilPiilS4_bb,"axG",@progbits,_ZN9rocsolver6v33100L18getri_kernel_smallILi48EdPdEEvT1_iilPiilS4_bb,comdat
.Lfunc_end47:
	.size	_ZN9rocsolver6v33100L18getri_kernel_smallILi48EdPdEEvT1_iilPiilS4_bb, .Lfunc_end47-_ZN9rocsolver6v33100L18getri_kernel_smallILi48EdPdEEvT1_iilPiilS4_bb
                                        ; -- End function
	.set _ZN9rocsolver6v33100L18getri_kernel_smallILi48EdPdEEvT1_iilPiilS4_bb.num_vgpr, 144
	.set _ZN9rocsolver6v33100L18getri_kernel_smallILi48EdPdEEvT1_iilPiilS4_bb.num_agpr, 0
	.set _ZN9rocsolver6v33100L18getri_kernel_smallILi48EdPdEEvT1_iilPiilS4_bb.numbered_sgpr, 19
	.set _ZN9rocsolver6v33100L18getri_kernel_smallILi48EdPdEEvT1_iilPiilS4_bb.num_named_barrier, 0
	.set _ZN9rocsolver6v33100L18getri_kernel_smallILi48EdPdEEvT1_iilPiilS4_bb.private_seg_size, 400
	.set _ZN9rocsolver6v33100L18getri_kernel_smallILi48EdPdEEvT1_iilPiilS4_bb.uses_vcc, 1
	.set _ZN9rocsolver6v33100L18getri_kernel_smallILi48EdPdEEvT1_iilPiilS4_bb.uses_flat_scratch, 1
	.set _ZN9rocsolver6v33100L18getri_kernel_smallILi48EdPdEEvT1_iilPiilS4_bb.has_dyn_sized_stack, 0
	.set _ZN9rocsolver6v33100L18getri_kernel_smallILi48EdPdEEvT1_iilPiilS4_bb.has_recursion, 0
	.set _ZN9rocsolver6v33100L18getri_kernel_smallILi48EdPdEEvT1_iilPiilS4_bb.has_indirect_call, 0
	.section	.AMDGPU.csdata,"",@progbits
; Kernel info:
; codeLenInByte = 44796
; TotalNumSgprs: 21
; NumVgprs: 144
; ScratchSize: 400
; MemoryBound: 0
; FloatMode: 240
; IeeeMode: 1
; LDSByteSize: 776 bytes/workgroup (compile time only)
; SGPRBlocks: 0
; VGPRBlocks: 8
; NumSGPRsForWavesPerEU: 21
; NumVGPRsForWavesPerEU: 144
; NamedBarCnt: 0
; Occupancy: 7
; WaveLimiterHint : 1
; COMPUTE_PGM_RSRC2:SCRATCH_EN: 1
; COMPUTE_PGM_RSRC2:USER_SGPR: 2
; COMPUTE_PGM_RSRC2:TRAP_HANDLER: 0
; COMPUTE_PGM_RSRC2:TGID_X_EN: 1
; COMPUTE_PGM_RSRC2:TGID_Y_EN: 0
; COMPUTE_PGM_RSRC2:TGID_Z_EN: 0
; COMPUTE_PGM_RSRC2:TIDIG_COMP_CNT: 0
	.section	.text._ZN9rocsolver6v33100L18getri_kernel_smallILi49EdPdEEvT1_iilPiilS4_bb,"axG",@progbits,_ZN9rocsolver6v33100L18getri_kernel_smallILi49EdPdEEvT1_iilPiilS4_bb,comdat
	.globl	_ZN9rocsolver6v33100L18getri_kernel_smallILi49EdPdEEvT1_iilPiilS4_bb ; -- Begin function _ZN9rocsolver6v33100L18getri_kernel_smallILi49EdPdEEvT1_iilPiilS4_bb
	.p2align	8
	.type	_ZN9rocsolver6v33100L18getri_kernel_smallILi49EdPdEEvT1_iilPiilS4_bb,@function
_ZN9rocsolver6v33100L18getri_kernel_smallILi49EdPdEEvT1_iilPiilS4_bb: ; @_ZN9rocsolver6v33100L18getri_kernel_smallILi49EdPdEEvT1_iilPiilS4_bb
; %bb.0:
	s_mov_b32 s2, exec_lo
	v_cmpx_gt_u32_e32 49, v0
	s_cbranch_execz .LBB48_206
; %bb.1:
	s_clause 0x2
	s_load_b32 s2, s[0:1], 0x38
	s_load_b128 s[12:15], s[0:1], 0x10
	s_load_b128 s[4:7], s[0:1], 0x28
	s_getreg_b32 s9, hwreg(HW_REG_IB_STS2, 6, 4)
	s_wait_kmcnt 0x0
	s_bitcmp1_b32 s2, 8
	s_cselect_b32 s18, -1, 0
	s_bfe_u32 s3, ttmp6, 0x4000c
	s_and_b32 s8, ttmp6, 15
	s_add_co_i32 s3, s3, 1
	s_delay_alu instid0(SALU_CYCLE_1) | instskip(NEXT) | instid1(SALU_CYCLE_1)
	s_mul_i32 s3, ttmp9, s3
	s_add_co_i32 s8, s8, s3
	s_cmp_eq_u32 s9, 0
	s_cselect_b32 s16, ttmp9, s8
	s_bfe_u32 s2, s2, 0x10008
	s_ashr_i32 s17, s16, 31
	s_cmp_eq_u32 s2, 0
                                        ; implicit-def: $sgpr2_sgpr3
	s_cbranch_scc1 .LBB48_3
; %bb.2:
	s_load_b32 s2, s[0:1], 0x20
	s_mul_u64 s[4:5], s[4:5], s[16:17]
	s_delay_alu instid0(SALU_CYCLE_1) | instskip(NEXT) | instid1(SALU_CYCLE_1)
	s_lshl_b64 s[4:5], s[4:5], 2
	s_add_nc_u64 s[4:5], s[14:15], s[4:5]
	s_wait_kmcnt 0x0
	s_ashr_i32 s3, s2, 31
	s_delay_alu instid0(SALU_CYCLE_1) | instskip(NEXT) | instid1(SALU_CYCLE_1)
	s_lshl_b64 s[2:3], s[2:3], 2
	s_add_nc_u64 s[2:3], s[4:5], s[2:3]
.LBB48_3:
	s_clause 0x1
	s_load_b128 s[8:11], s[0:1], 0x0
	s_load_b32 s14, s[0:1], 0x38
	s_wait_xcnt 0x0
	s_mul_u64 s[0:1], s[12:13], s[16:17]
	v_dual_mov_b32 v3, 0 :: v_dual_lshlrev_b32 v2, 3, v0
	s_lshl_b64 s[0:1], s[0:1], 3
	s_wait_kmcnt 0x0
	v_add3_u32 v8, s11, s11, v0
	s_ashr_i32 s5, s10, 31
	s_mov_b32 s4, s10
	s_add_nc_u64 s[0:1], s[8:9], s[0:1]
	s_lshl_b64 s[4:5], s[4:5], 3
	v_add_nc_u32_e32 v10, s11, v8
	s_add_nc_u64 s[4:5], s[0:1], s[4:5]
	s_ashr_i32 s1, s11, 31
	v_add_nc_u64_e32 v[6:7], s[4:5], v[2:3]
	s_mov_b32 s0, s11
	v_add_nc_u32_e32 v12, s11, v10
	s_bitcmp0_b32 s14, 0
	s_delay_alu instid0(VALU_DEP_2) | instskip(NEXT) | instid1(VALU_DEP_2)
	v_lshl_add_u64 v[4:5], s[0:1], 3, v[6:7]
	v_add_nc_u32_e32 v14, s11, v12
	s_clause 0x1
	global_load_b64 v[80:81], v0, s[4:5] scale_offset
	global_load_b64 v[82:83], v[4:5], off
	s_mov_b32 s1, -1
	v_add_nc_u32_e32 v16, s11, v14
	s_clause 0x1
	global_load_b64 v[84:85], v8, s[4:5] scale_offset
	global_load_b64 v[86:87], v10, s[4:5] scale_offset
	v_add_nc_u32_e32 v18, s11, v16
	s_delay_alu instid0(VALU_DEP_1) | instskip(SKIP_4) | instid1(VALU_DEP_1)
	v_add_nc_u32_e32 v20, s11, v18
	s_clause 0x1
	global_load_b64 v[88:89], v12, s[4:5] scale_offset
	global_load_b64 v[90:91], v14, s[4:5] scale_offset
	v_add_nc_u32_e32 v22, s11, v20
	v_add_nc_u32_e32 v24, s11, v22
	s_delay_alu instid0(VALU_DEP_1) | instskip(NEXT) | instid1(VALU_DEP_1)
	v_add_nc_u32_e32 v26, s11, v24
	v_add_nc_u32_e32 v28, s11, v26
	s_clause 0x3
	global_load_b64 v[92:93], v16, s[4:5] scale_offset
	global_load_b64 v[94:95], v18, s[4:5] scale_offset
	;; [unrolled: 1-line block ×4, first 2 shown]
	v_add_nc_u32_e32 v30, s11, v28
	s_delay_alu instid0(VALU_DEP_1)
	v_add_nc_u32_e32 v32, s11, v30
	s_clause 0x3
	global_load_b64 v[100:101], v24, s[4:5] scale_offset
	global_load_b64 v[102:103], v26, s[4:5] scale_offset
	;; [unrolled: 1-line block ×4, first 2 shown]
	v_add_nc_u32_e32 v34, s11, v32
	s_delay_alu instid0(VALU_DEP_1) | instskip(NEXT) | instid1(VALU_DEP_1)
	v_add_nc_u32_e32 v36, s11, v34
	v_add_nc_u32_e32 v38, s11, v36
	s_delay_alu instid0(VALU_DEP_1) | instskip(NEXT) | instid1(VALU_DEP_1)
	v_add_nc_u32_e32 v40, s11, v38
	v_add_nc_u32_e32 v42, s11, v40
	s_delay_alu instid0(VALU_DEP_1)
	v_add_nc_u32_e32 v44, s11, v42
	s_clause 0x3
	global_load_b64 v[108:109], v32, s[4:5] scale_offset
	global_load_b64 v[110:111], v34, s[4:5] scale_offset
	;; [unrolled: 1-line block ×4, first 2 shown]
	v_add_nc_u32_e32 v46, s11, v44
	s_delay_alu instid0(VALU_DEP_1) | instskip(NEXT) | instid1(VALU_DEP_1)
	v_add_nc_u32_e32 v48, s11, v46
	v_add_nc_u32_e32 v50, s11, v48
	s_delay_alu instid0(VALU_DEP_1)
	v_add_nc_u32_e32 v52, s11, v50
	s_clause 0x3
	global_load_b64 v[116:117], v40, s[4:5] scale_offset
	global_load_b64 v[118:119], v42, s[4:5] scale_offset
	;; [unrolled: 1-line block ×4, first 2 shown]
	v_add_nc_u32_e32 v54, s11, v52
	s_delay_alu instid0(VALU_DEP_1)
	v_add_nc_u32_e32 v56, s11, v54
	s_clause 0x3
	global_load_b64 v[124:125], v48, s[4:5] scale_offset
	global_load_b64 v[126:127], v50, s[4:5] scale_offset
	;; [unrolled: 1-line block ×4, first 2 shown]
	v_add_nc_u32_e32 v58, s11, v56
	s_delay_alu instid0(VALU_DEP_1) | instskip(NEXT) | instid1(VALU_DEP_1)
	v_add_nc_u32_e32 v60, s11, v58
	v_add_nc_u32_e32 v62, s11, v60
	s_delay_alu instid0(VALU_DEP_1) | instskip(NEXT) | instid1(VALU_DEP_1)
	v_add_nc_u32_e32 v64, s11, v62
	v_add_nc_u32_e32 v66, s11, v64
	s_delay_alu instid0(VALU_DEP_1)
	v_add_nc_u32_e32 v68, s11, v66
	s_clause 0x3
	global_load_b64 v[132:133], v56, s[4:5] scale_offset
	global_load_b64 v[134:135], v58, s[4:5] scale_offset
	;; [unrolled: 1-line block ×4, first 2 shown]
	v_add_nc_u32_e32 v70, s11, v68
	s_delay_alu instid0(VALU_DEP_1) | instskip(NEXT) | instid1(VALU_DEP_1)
	v_add_nc_u32_e32 v72, s11, v70
	v_add_nc_u32_e32 v74, s11, v72
	s_delay_alu instid0(VALU_DEP_1) | instskip(NEXT) | instid1(VALU_DEP_1)
	v_add_nc_u32_e32 v76, s11, v74
	v_add_nc_u32_e32 v78, s11, v76
	s_wait_loadcnt 0x1c
	scratch_store_b128 off, v[80:83], off
	s_wait_xcnt 0x0
	v_add_nc_u32_e32 v80, s11, v78
	s_wait_loadcnt 0x1a
	scratch_store_b128 off, v[84:87], off offset:16
	v_add_nc_u32_e32 v82, s11, v80
	s_wait_xcnt 0x0
	s_delay_alu instid0(VALU_DEP_1) | instskip(SKIP_4) | instid1(VALU_DEP_1)
	v_add_nc_u32_e32 v84, s11, v82
	s_wait_loadcnt 0x18
	scratch_store_b128 off, v[88:91], off offset:32
	v_add_nc_u32_e32 v86, s11, v84
	s_wait_xcnt 0x0
	v_add_nc_u32_e32 v88, s11, v86
	s_delay_alu instid0(VALU_DEP_1)
	v_add_nc_u32_e32 v90, s11, v88
	s_wait_loadcnt 0x16
	scratch_store_b128 off, v[92:95], off offset:48
	s_wait_xcnt 0x0
	v_add_nc_u32_e32 v92, s11, v90
	s_wait_loadcnt 0x14
	scratch_store_b128 off, v[96:99], off offset:64
	s_wait_loadcnt 0x12
	scratch_store_b128 off, v[100:103], off offset:80
	v_add_nc_u32_e32 v94, s11, v92
	s_clause 0x3
	global_load_b64 v[140:141], v64, s[4:5] scale_offset
	global_load_b64 v[142:143], v66, s[4:5] scale_offset
	;; [unrolled: 1-line block ×4, first 2 shown]
	s_wait_loadcnt 0x14
	scratch_store_b128 off, v[104:107], off offset:96
	s_wait_loadcnt 0x12
	scratch_store_b128 off, v[108:111], off offset:112
	s_wait_xcnt 0x7
	v_add_nc_u32_e32 v96, s11, v94
	s_clause 0x3
	global_load_b64 v[102:103], v72, s[4:5] scale_offset
	global_load_b64 v[104:105], v74, s[4:5] scale_offset
	;; [unrolled: 1-line block ×4, first 2 shown]
	s_wait_loadcnt 0x14
	scratch_store_b128 off, v[112:115], off offset:128
	s_wait_loadcnt 0x12
	scratch_store_b128 off, v[116:119], off offset:144
	;; [unrolled: 2-line block ×3, first 2 shown]
	v_add_nc_u32_e32 v98, s11, v96
	s_clause 0x3
	global_load_b64 v[110:111], v80, s[4:5] scale_offset
	global_load_b64 v[112:113], v82, s[4:5] scale_offset
	;; [unrolled: 1-line block ×4, first 2 shown]
	s_wait_loadcnt 0x12
	scratch_store_b128 off, v[124:127], off offset:176
	s_wait_loadcnt 0x10
	scratch_store_b128 off, v[128:131], off offset:192
	v_add_nc_u32_e32 v100, s11, v98
	s_clause 0x3
	global_load_b64 v[118:119], v88, s[4:5] scale_offset
	global_load_b64 v[120:121], v90, s[4:5] scale_offset
	;; [unrolled: 1-line block ×4, first 2 shown]
	s_wait_loadcnt 0x12
	scratch_store_b128 off, v[132:135], off offset:208
	s_wait_loadcnt 0x10
	scratch_store_b128 off, v[136:139], off offset:224
	s_clause 0x2
	global_load_b64 v[126:127], v96, s[4:5] scale_offset
	global_load_b64 v[128:129], v98, s[4:5] scale_offset
	;; [unrolled: 1-line block ×3, first 2 shown]
	s_wait_loadcnt 0x11
	scratch_store_b128 off, v[140:143], off offset:240
	s_wait_loadcnt 0xf
	scratch_store_b128 off, v[144:147], off offset:256
	;; [unrolled: 2-line block ×9, first 2 shown]
	s_wait_loadcnt 0x0
	scratch_store_b64 off, v[130:131], off offset:384
	s_cbranch_scc1 .LBB48_204
; %bb.4:
	v_cmp_eq_u32_e64 s0, 0, v0
	s_wait_xcnt 0x0
	s_and_saveexec_b32 s1, s0
; %bb.5:
	v_mov_b32_e32 v1, 0
	ds_store_b32 v1, v1 offset:392
; %bb.6:
	s_or_b32 exec_lo, exec_lo, s1
	s_wait_storecnt_dscnt 0x0
	s_barrier_signal -1
	s_barrier_wait -1
	scratch_load_b64 v[102:103], v0, off scale_offset
	s_mov_b32 s8, exec_lo
	s_wait_loadcnt 0x0
	v_cmpx_eq_f64_e32 0, v[102:103]
	s_cbranch_execz .LBB48_10
; %bb.7:
	v_mov_b32_e32 v1, 0
	s_mov_b32 s9, 0
	ds_load_b32 v3, v1 offset:392
	s_wait_dscnt 0x0
	v_readfirstlane_b32 s1, v3
	v_add_nc_u32_e32 v3, 1, v0
	s_cmp_eq_u32 s1, 0
	s_delay_alu instid0(VALU_DEP_1) | instskip(SKIP_1) | instid1(SALU_CYCLE_1)
	v_cmp_gt_i32_e32 vcc_lo, s1, v3
	s_cselect_b32 s10, -1, 0
	s_or_b32 s10, s10, vcc_lo
	s_delay_alu instid0(SALU_CYCLE_1)
	s_and_b32 exec_lo, exec_lo, s10
	s_cbranch_execz .LBB48_10
; %bb.8:
	v_mov_b32_e32 v9, s1
.LBB48_9:                               ; =>This Inner Loop Header: Depth=1
	ds_cmpstore_rtn_b32 v9, v1, v3, v9 offset:392
	s_wait_dscnt 0x0
	v_cmp_ne_u32_e32 vcc_lo, 0, v9
	v_cmp_le_i32_e64 s1, v9, v3
	s_and_b32 s1, vcc_lo, s1
	s_delay_alu instid0(SALU_CYCLE_1) | instskip(NEXT) | instid1(SALU_CYCLE_1)
	s_and_b32 s1, exec_lo, s1
	s_or_b32 s9, s1, s9
	s_delay_alu instid0(SALU_CYCLE_1)
	s_and_not1_b32 exec_lo, exec_lo, s9
	s_cbranch_execnz .LBB48_9
.LBB48_10:
	s_or_b32 exec_lo, exec_lo, s8
	v_mov_b32_e32 v1, 0
	s_barrier_signal -1
	s_barrier_wait -1
	ds_load_b32 v3, v1 offset:392
	s_and_saveexec_b32 s1, s0
	s_cbranch_execz .LBB48_12
; %bb.11:
	s_lshl_b64 s[8:9], s[16:17], 2
	s_delay_alu instid0(SALU_CYCLE_1)
	s_add_nc_u64 s[8:9], s[6:7], s[8:9]
	s_wait_dscnt 0x0
	global_store_b32 v1, v3, s[8:9]
.LBB48_12:
	s_wait_xcnt 0x0
	s_or_b32 exec_lo, exec_lo, s1
	s_wait_dscnt 0x0
	v_cmp_ne_u32_e32 vcc_lo, 0, v3
	s_mov_b32 s1, 0
	s_cbranch_vccnz .LBB48_204
; %bb.13:
	v_lshl_add_u32 v3, v0, 3, 0
	v_add_nc_u32_e32 v1, 0x190, v2
	scratch_load_b64 v[102:103], v3, off
	s_wait_loadcnt 0x0
	v_div_scale_f64 v[104:105], null, v[102:103], v[102:103], 1.0
	v_div_scale_f64 v[110:111], vcc_lo, 1.0, v[102:103], 1.0
	s_delay_alu instid0(VALU_DEP_2) | instskip(SKIP_1) | instid1(TRANS32_DEP_1)
	v_rcp_f64_e32 v[106:107], v[104:105]
	v_nop
	v_fma_f64 v[108:109], -v[104:105], v[106:107], 1.0
	s_delay_alu instid0(VALU_DEP_1) | instskip(NEXT) | instid1(VALU_DEP_1)
	v_fmac_f64_e32 v[106:107], v[106:107], v[108:109]
	v_fma_f64 v[108:109], -v[104:105], v[106:107], 1.0
	s_delay_alu instid0(VALU_DEP_1) | instskip(NEXT) | instid1(VALU_DEP_1)
	v_fmac_f64_e32 v[106:107], v[106:107], v[108:109]
	v_mul_f64_e32 v[108:109], v[110:111], v[106:107]
	s_delay_alu instid0(VALU_DEP_1) | instskip(NEXT) | instid1(VALU_DEP_1)
	v_fma_f64 v[104:105], -v[104:105], v[108:109], v[110:111]
	v_div_fmas_f64 v[104:105], v[104:105], v[106:107], v[108:109]
	s_delay_alu instid0(VALU_DEP_1)
	v_div_fixup_f64 v[102:103], v[104:105], v[102:103], 1.0
	scratch_store_b64 v3, v[102:103], off
	scratch_load_b64 v[104:105], off, off offset:8
	s_wait_xcnt 0x1
	v_xor_b32_e32 v103, 0x80000000, v103
	s_wait_loadcnt 0x0
	ds_store_2addr_b64 v2, v[102:103], v[104:105] offset1:50
	s_wait_storecnt_dscnt 0x0
	s_barrier_signal -1
	s_barrier_wait -1
	s_wait_xcnt 0x0
	s_and_saveexec_b32 s1, s0
	s_cbranch_execz .LBB48_15
; %bb.14:
	scratch_load_b64 v[102:103], v3, off
	ds_load_b64 v[104:105], v1
	s_wait_loadcnt_dscnt 0x0
	v_fma_f64 v[102:103], v[102:103], v[104:105], 0
	v_mov_b32_e32 v9, 0
	ds_load_b64 v[106:107], v9 offset:8
	s_wait_dscnt 0x0
	v_mul_f64_e32 v[102:103], v[102:103], v[106:107]
	scratch_store_b64 off, v[102:103], off offset:8
.LBB48_15:
	s_wait_xcnt 0x0
	s_or_b32 exec_lo, exec_lo, s1
	s_wait_storecnt 0x0
	s_barrier_signal -1
	s_barrier_wait -1
	scratch_load_b64 v[102:103], off, off offset:16
	s_mov_b32 s1, exec_lo
	s_wait_loadcnt 0x0
	ds_store_b64 v1, v[102:103]
	s_wait_dscnt 0x0
	s_barrier_signal -1
	s_barrier_wait -1
	v_cmpx_gt_u32_e32 2, v0
	s_cbranch_execz .LBB48_19
; %bb.16:
	scratch_load_b64 v[102:103], v3, off
	ds_load_b64 v[104:105], v1
	s_wait_loadcnt_dscnt 0x0
	v_fma_f64 v[102:103], v[102:103], v[104:105], 0
	s_and_saveexec_b32 s8, s0
	s_cbranch_execz .LBB48_18
; %bb.17:
	scratch_load_b64 v[104:105], off, off offset:8
	v_mov_b32_e32 v3, 0
	ds_load_b64 v[106:107], v3 offset:408
	s_wait_loadcnt_dscnt 0x0
	v_fmac_f64_e32 v[102:103], v[104:105], v[106:107]
.LBB48_18:
	s_or_b32 exec_lo, exec_lo, s8
	v_mov_b32_e32 v3, 0
	ds_load_b64 v[104:105], v3 offset:16
	s_wait_dscnt 0x0
	v_mul_f64_e32 v[102:103], v[102:103], v[104:105]
	scratch_store_b64 off, v[102:103], off offset:16
.LBB48_19:
	s_wait_xcnt 0x0
	s_or_b32 exec_lo, exec_lo, s1
	s_wait_storecnt 0x0
	s_barrier_signal -1
	s_barrier_wait -1
	scratch_load_b64 v[102:103], off, off offset:24
	v_add_nc_u32_e32 v3, -1, v0
	s_mov_b32 s0, exec_lo
	s_wait_loadcnt 0x0
	ds_store_b64 v1, v[102:103]
	s_wait_dscnt 0x0
	s_barrier_signal -1
	s_barrier_wait -1
	v_cmpx_gt_u32_e32 3, v0
	s_cbranch_execz .LBB48_23
; %bb.20:
	v_mov_b64_e32 v[102:103], 0
	v_dual_add_nc_u32 v9, -1, v0 :: v_dual_mov_b32 v13, v2
	v_add_nc_u32_e32 v11, 0x190, v2
	s_mov_b32 s1, 0
.LBB48_21:                              ; =>This Inner Loop Header: Depth=1
	scratch_load_b64 v[104:105], v13, off
	ds_load_b64 v[106:107], v11
	v_dual_add_nc_u32 v9, 1, v9 :: v_dual_add_nc_u32 v11, 8, v11
	s_wait_xcnt 0x0
	v_add_nc_u32_e32 v13, 8, v13
	s_delay_alu instid0(VALU_DEP_2)
	v_cmp_lt_u32_e32 vcc_lo, 1, v9
	s_or_b32 s1, vcc_lo, s1
	s_wait_loadcnt_dscnt 0x0
	v_fmac_f64_e32 v[102:103], v[104:105], v[106:107]
	s_and_not1_b32 exec_lo, exec_lo, s1
	s_cbranch_execnz .LBB48_21
; %bb.22:
	s_or_b32 exec_lo, exec_lo, s1
	v_mov_b32_e32 v9, 0
	ds_load_b64 v[104:105], v9 offset:24
	s_wait_dscnt 0x0
	v_mul_f64_e32 v[102:103], v[102:103], v[104:105]
	scratch_store_b64 off, v[102:103], off offset:24
.LBB48_23:
	s_wait_xcnt 0x0
	s_or_b32 exec_lo, exec_lo, s0
	s_wait_storecnt 0x0
	s_barrier_signal -1
	s_barrier_wait -1
	scratch_load_b64 v[102:103], off, off offset:32
	s_mov_b32 s0, exec_lo
	s_wait_loadcnt 0x0
	ds_store_b64 v1, v[102:103]
	s_wait_dscnt 0x0
	s_barrier_signal -1
	s_barrier_wait -1
	v_cmpx_gt_u32_e32 4, v0
	s_cbranch_execz .LBB48_27
; %bb.24:
	v_mov_b64_e32 v[102:103], 0
	v_dual_add_nc_u32 v9, -1, v0 :: v_dual_mov_b32 v13, v2
	v_add_nc_u32_e32 v11, 0x190, v2
	s_mov_b32 s1, 0
.LBB48_25:                              ; =>This Inner Loop Header: Depth=1
	scratch_load_b64 v[104:105], v13, off
	ds_load_b64 v[106:107], v11
	v_dual_add_nc_u32 v9, 1, v9 :: v_dual_add_nc_u32 v11, 8, v11
	s_wait_xcnt 0x0
	v_add_nc_u32_e32 v13, 8, v13
	s_delay_alu instid0(VALU_DEP_2)
	v_cmp_lt_u32_e32 vcc_lo, 2, v9
	s_or_b32 s1, vcc_lo, s1
	s_wait_loadcnt_dscnt 0x0
	v_fmac_f64_e32 v[102:103], v[104:105], v[106:107]
	s_and_not1_b32 exec_lo, exec_lo, s1
	s_cbranch_execnz .LBB48_25
; %bb.26:
	s_or_b32 exec_lo, exec_lo, s1
	v_mov_b32_e32 v9, 0
	ds_load_b64 v[104:105], v9 offset:32
	s_wait_dscnt 0x0
	v_mul_f64_e32 v[102:103], v[102:103], v[104:105]
	scratch_store_b64 off, v[102:103], off offset:32
.LBB48_27:
	s_wait_xcnt 0x0
	s_or_b32 exec_lo, exec_lo, s0
	s_wait_storecnt 0x0
	s_barrier_signal -1
	s_barrier_wait -1
	scratch_load_b64 v[102:103], off, off offset:40
	;; [unrolled: 40-line block ×20, first 2 shown]
	s_mov_b32 s0, exec_lo
	s_wait_loadcnt 0x0
	ds_store_b64 v1, v[102:103]
	s_wait_dscnt 0x0
	s_barrier_signal -1
	s_barrier_wait -1
	v_cmpx_gt_u32_e32 23, v0
	s_cbranch_execz .LBB48_103
; %bb.100:
	v_mov_b64_e32 v[102:103], 0
	v_dual_add_nc_u32 v9, -1, v0 :: v_dual_mov_b32 v13, v2
	v_add_nc_u32_e32 v11, 0x190, v2
	s_mov_b32 s1, 0
.LBB48_101:                             ; =>This Inner Loop Header: Depth=1
	scratch_load_b64 v[104:105], v13, off
	ds_load_b64 v[106:107], v11
	v_dual_add_nc_u32 v9, 1, v9 :: v_dual_add_nc_u32 v11, 8, v11
	s_wait_xcnt 0x0
	v_add_nc_u32_e32 v13, 8, v13
	s_delay_alu instid0(VALU_DEP_2)
	v_cmp_lt_u32_e32 vcc_lo, 21, v9
	s_or_b32 s1, vcc_lo, s1
	s_wait_loadcnt_dscnt 0x0
	v_fmac_f64_e32 v[102:103], v[104:105], v[106:107]
	s_and_not1_b32 exec_lo, exec_lo, s1
	s_cbranch_execnz .LBB48_101
; %bb.102:
	s_or_b32 exec_lo, exec_lo, s1
	v_mov_b32_e32 v9, 0
	ds_load_b64 v[104:105], v9 offset:184
	s_wait_dscnt 0x0
	v_mul_f64_e32 v[102:103], v[102:103], v[104:105]
	scratch_store_b64 off, v[102:103], off offset:184
.LBB48_103:
	s_wait_xcnt 0x0
	s_or_b32 exec_lo, exec_lo, s0
	s_wait_storecnt 0x0
	s_barrier_signal -1
	s_barrier_wait -1
	scratch_load_b64 v[102:103], off, off offset:192
	s_mov_b32 s0, exec_lo
	s_wait_loadcnt 0x0
	ds_store_b64 v1, v[102:103]
	s_wait_dscnt 0x0
	s_barrier_signal -1
	s_barrier_wait -1
	v_cmpx_gt_u32_e32 24, v0
	s_cbranch_execz .LBB48_107
; %bb.104:
	v_mov_b64_e32 v[102:103], 0
	v_dual_add_nc_u32 v9, -1, v0 :: v_dual_mov_b32 v13, v2
	v_add_nc_u32_e32 v11, 0x190, v2
	s_mov_b32 s1, 0
.LBB48_105:                             ; =>This Inner Loop Header: Depth=1
	scratch_load_b64 v[104:105], v13, off
	ds_load_b64 v[106:107], v11
	v_dual_add_nc_u32 v9, 1, v9 :: v_dual_add_nc_u32 v11, 8, v11
	s_wait_xcnt 0x0
	v_add_nc_u32_e32 v13, 8, v13
	s_delay_alu instid0(VALU_DEP_2)
	v_cmp_lt_u32_e32 vcc_lo, 22, v9
	s_or_b32 s1, vcc_lo, s1
	s_wait_loadcnt_dscnt 0x0
	v_fmac_f64_e32 v[102:103], v[104:105], v[106:107]
	s_and_not1_b32 exec_lo, exec_lo, s1
	s_cbranch_execnz .LBB48_105
; %bb.106:
	s_or_b32 exec_lo, exec_lo, s1
	v_mov_b32_e32 v9, 0
	ds_load_b64 v[104:105], v9 offset:192
	s_wait_dscnt 0x0
	v_mul_f64_e32 v[102:103], v[102:103], v[104:105]
	scratch_store_b64 off, v[102:103], off offset:192
.LBB48_107:
	s_wait_xcnt 0x0
	s_or_b32 exec_lo, exec_lo, s0
	s_wait_storecnt 0x0
	s_barrier_signal -1
	s_barrier_wait -1
	scratch_load_b64 v[102:103], off, off offset:200
	;; [unrolled: 40-line block ×25, first 2 shown]
	s_mov_b32 s0, exec_lo
	s_wait_loadcnt 0x0
	ds_store_b64 v1, v[102:103]
	s_wait_dscnt 0x0
	s_barrier_signal -1
	s_barrier_wait -1
	v_cmpx_ne_u32_e32 48, v0
	s_cbranch_execz .LBB48_203
; %bb.200:
	v_mov_b64_e32 v[102:103], 0
	s_mov_b32 s1, 0
.LBB48_201:                             ; =>This Inner Loop Header: Depth=1
	scratch_load_b64 v[104:105], v2, off
	ds_load_b64 v[106:107], v1
	v_dual_add_nc_u32 v3, 1, v3 :: v_dual_add_nc_u32 v1, 8, v1
	s_wait_xcnt 0x0
	v_add_nc_u32_e32 v2, 8, v2
	s_delay_alu instid0(VALU_DEP_2)
	v_cmp_lt_u32_e32 vcc_lo, 46, v3
	s_or_b32 s1, vcc_lo, s1
	s_wait_loadcnt_dscnt 0x0
	v_fmac_f64_e32 v[102:103], v[104:105], v[106:107]
	s_and_not1_b32 exec_lo, exec_lo, s1
	s_cbranch_execnz .LBB48_201
; %bb.202:
	s_or_b32 exec_lo, exec_lo, s1
	v_mov_b32_e32 v1, 0
	ds_load_b64 v[2:3], v1 offset:384
	s_wait_dscnt 0x0
	v_mul_f64_e32 v[2:3], v[102:103], v[2:3]
	scratch_store_b64 off, v[2:3], off offset:384
.LBB48_203:
	s_wait_xcnt 0x0
	s_or_b32 exec_lo, exec_lo, s0
	s_mov_b32 s1, -1
	s_wait_storecnt 0x0
	s_barrier_signal -1
	s_barrier_wait -1
.LBB48_204:
	s_and_b32 vcc_lo, exec_lo, s1
	s_cbranch_vccz .LBB48_206
; %bb.205:
	v_mov_b32_e32 v1, 0
	s_lshl_b64 s[0:1], s[16:17], 2
	s_delay_alu instid0(SALU_CYCLE_1)
	s_add_nc_u64 s[0:1], s[6:7], s[0:1]
	global_load_b32 v1, v1, s[0:1]
	s_wait_loadcnt 0x0
	v_cmp_ne_u32_e32 vcc_lo, 0, v1
	s_cbranch_vccz .LBB48_207
.LBB48_206:
	s_sendmsg sendmsg(MSG_DEALLOC_VGPRS)
	s_endpgm
.LBB48_207:
	s_wait_xcnt 0x0
	v_lshl_add_u32 v1, v0, 3, 0x190
	s_mov_b32 s0, exec_lo
	v_cmpx_eq_u32_e32 48, v0
	s_cbranch_execz .LBB48_209
; %bb.208:
	scratch_load_b64 v[2:3], off, off offset:376
	v_mov_b64_e32 v[102:103], 0
	scratch_store_b64 off, v[102:103], off offset:376
	s_wait_loadcnt 0x0
	ds_store_b64 v1, v[2:3]
.LBB48_209:
	s_wait_xcnt 0x0
	s_or_b32 exec_lo, exec_lo, s0
	s_wait_storecnt_dscnt 0x0
	s_barrier_signal -1
	s_barrier_wait -1
	scratch_load_b128 v[102:105], off, off offset:376
	v_mov_b32_e32 v2, 0
	s_mov_b32 s0, exec_lo
	ds_load_b64 v[106:107], v2 offset:784
	s_wait_loadcnt_dscnt 0x0
	v_fma_f64 v[104:105], v[104:105], v[106:107], 0
	s_delay_alu instid0(VALU_DEP_1)
	v_add_f64_e64 v[102:103], v[102:103], -v[104:105]
	scratch_store_b64 off, v[102:103], off offset:376
	s_wait_xcnt 0x0
	v_cmpx_lt_u32_e32 46, v0
	s_cbranch_execz .LBB48_211
; %bb.210:
	scratch_load_b64 v[102:103], off, off offset:368
	v_mov_b64_e32 v[104:105], 0
	scratch_store_b64 off, v[104:105], off offset:368
	s_wait_loadcnt 0x0
	ds_store_b64 v1, v[102:103]
.LBB48_211:
	s_wait_xcnt 0x0
	s_or_b32 exec_lo, exec_lo, s0
	s_wait_storecnt_dscnt 0x0
	s_barrier_signal -1
	s_barrier_wait -1
	s_clause 0x1
	scratch_load_b128 v[102:105], off, off offset:368
	scratch_load_b64 v[110:111], off, off offset:384
	ds_load_2addr_b64 v[106:109], v2 offset0:97 offset1:98
	s_mov_b32 s0, exec_lo
	s_wait_loadcnt_dscnt 0x100
	v_fma_f64 v[2:3], v[104:105], v[106:107], 0
	s_wait_loadcnt 0x0
	s_delay_alu instid0(VALU_DEP_1) | instskip(NEXT) | instid1(VALU_DEP_1)
	v_fmac_f64_e32 v[2:3], v[110:111], v[108:109]
	v_add_f64_e64 v[2:3], v[102:103], -v[2:3]
	scratch_store_b64 off, v[2:3], off offset:368
	s_wait_xcnt 0x0
	v_cmpx_lt_u32_e32 45, v0
	s_cbranch_execz .LBB48_213
; %bb.212:
	scratch_load_b64 v[2:3], off, off offset:360
	v_mov_b64_e32 v[102:103], 0
	scratch_store_b64 off, v[102:103], off offset:360
	s_wait_loadcnt 0x0
	ds_store_b64 v1, v[2:3]
.LBB48_213:
	s_wait_xcnt 0x0
	s_or_b32 exec_lo, exec_lo, s0
	s_wait_storecnt_dscnt 0x0
	s_barrier_signal -1
	s_barrier_wait -1
	s_clause 0x1
	scratch_load_b128 v[102:105], off, off offset:360
	scratch_load_b128 v[106:109], off, off offset:376
	v_mov_b32_e32 v2, 0
	ds_load_b128 v[110:113], v2 offset:768
	ds_load_b64 v[114:115], v2 offset:784
	s_mov_b32 s0, exec_lo
	s_wait_loadcnt_dscnt 0x101
	v_fma_f64 v[104:105], v[104:105], v[110:111], 0
	s_wait_loadcnt 0x0
	s_delay_alu instid0(VALU_DEP_1) | instskip(SKIP_1) | instid1(VALU_DEP_1)
	v_fmac_f64_e32 v[104:105], v[106:107], v[112:113]
	s_wait_dscnt 0x0
	v_fmac_f64_e32 v[104:105], v[108:109], v[114:115]
	s_delay_alu instid0(VALU_DEP_1)
	v_add_f64_e64 v[102:103], v[102:103], -v[104:105]
	scratch_store_b64 off, v[102:103], off offset:360
	s_wait_xcnt 0x0
	v_cmpx_lt_u32_e32 44, v0
	s_cbranch_execz .LBB48_215
; %bb.214:
	scratch_load_b64 v[102:103], off, off offset:352
	v_mov_b64_e32 v[104:105], 0
	scratch_store_b64 off, v[104:105], off offset:352
	s_wait_loadcnt 0x0
	ds_store_b64 v1, v[102:103]
.LBB48_215:
	s_wait_xcnt 0x0
	s_or_b32 exec_lo, exec_lo, s0
	s_wait_storecnt_dscnt 0x0
	s_barrier_signal -1
	s_barrier_wait -1
	s_clause 0x2
	scratch_load_b128 v[102:105], off, off offset:352
	scratch_load_b128 v[106:109], off, off offset:368
	scratch_load_b64 v[118:119], off, off offset:384
	ds_load_2addr_b64 v[110:113], v2 offset0:95 offset1:96
	ds_load_2addr_b64 v[114:117], v2 offset0:97 offset1:98
	s_mov_b32 s0, exec_lo
	s_wait_loadcnt_dscnt 0x201
	v_fma_f64 v[2:3], v[104:105], v[110:111], 0
	s_wait_loadcnt 0x1
	s_delay_alu instid0(VALU_DEP_1) | instskip(SKIP_1) | instid1(VALU_DEP_1)
	v_fmac_f64_e32 v[2:3], v[106:107], v[112:113]
	s_wait_dscnt 0x0
	v_fmac_f64_e32 v[2:3], v[108:109], v[114:115]
	s_wait_loadcnt 0x0
	s_delay_alu instid0(VALU_DEP_1) | instskip(NEXT) | instid1(VALU_DEP_1)
	v_fmac_f64_e32 v[2:3], v[118:119], v[116:117]
	v_add_f64_e64 v[2:3], v[102:103], -v[2:3]
	scratch_store_b64 off, v[2:3], off offset:352
	s_wait_xcnt 0x0
	v_cmpx_lt_u32_e32 43, v0
	s_cbranch_execz .LBB48_217
; %bb.216:
	scratch_load_b64 v[2:3], off, off offset:344
	v_mov_b64_e32 v[102:103], 0
	scratch_store_b64 off, v[102:103], off offset:344
	s_wait_loadcnt 0x0
	ds_store_b64 v1, v[2:3]
.LBB48_217:
	s_wait_xcnt 0x0
	s_or_b32 exec_lo, exec_lo, s0
	s_wait_storecnt_dscnt 0x0
	s_barrier_signal -1
	s_barrier_wait -1
	s_clause 0x2
	scratch_load_b128 v[102:105], off, off offset:344
	scratch_load_b128 v[106:109], off, off offset:360
	;; [unrolled: 1-line block ×3, first 2 shown]
	v_mov_b32_e32 v2, 0
	ds_load_b128 v[114:117], v2 offset:752
	ds_load_b128 v[118:121], v2 offset:768
	s_mov_b32 s0, exec_lo
	s_wait_loadcnt_dscnt 0x201
	v_fma_f64 v[104:105], v[104:105], v[114:115], 0
	s_wait_loadcnt 0x1
	s_delay_alu instid0(VALU_DEP_1) | instskip(SKIP_4) | instid1(VALU_DEP_1)
	v_fmac_f64_e32 v[104:105], v[106:107], v[116:117]
	ds_load_b64 v[106:107], v2 offset:784
	s_wait_dscnt 0x1
	v_fmac_f64_e32 v[104:105], v[108:109], v[118:119]
	s_wait_loadcnt 0x0
	v_fmac_f64_e32 v[104:105], v[110:111], v[120:121]
	s_wait_dscnt 0x0
	s_delay_alu instid0(VALU_DEP_1) | instskip(NEXT) | instid1(VALU_DEP_1)
	v_fmac_f64_e32 v[104:105], v[112:113], v[106:107]
	v_add_f64_e64 v[102:103], v[102:103], -v[104:105]
	scratch_store_b64 off, v[102:103], off offset:344
	s_wait_xcnt 0x0
	v_cmpx_lt_u32_e32 42, v0
	s_cbranch_execz .LBB48_219
; %bb.218:
	scratch_load_b64 v[102:103], off, off offset:336
	v_mov_b64_e32 v[104:105], 0
	scratch_store_b64 off, v[104:105], off offset:336
	s_wait_loadcnt 0x0
	ds_store_b64 v1, v[102:103]
.LBB48_219:
	s_wait_xcnt 0x0
	s_or_b32 exec_lo, exec_lo, s0
	s_wait_storecnt_dscnt 0x0
	s_barrier_signal -1
	s_barrier_wait -1
	s_clause 0x3
	scratch_load_b128 v[102:105], off, off offset:336
	scratch_load_b128 v[106:109], off, off offset:352
	scratch_load_b128 v[110:113], off, off offset:368
	scratch_load_b64 v[122:123], off, off offset:384
	ds_load_2addr_b64 v[114:117], v2 offset0:93 offset1:94
	ds_load_2addr_b64 v[118:121], v2 offset0:95 offset1:96
	s_mov_b32 s0, exec_lo
	s_wait_loadcnt_dscnt 0x301
	v_fma_f64 v[114:115], v[104:105], v[114:115], 0
	s_wait_loadcnt 0x2
	s_delay_alu instid0(VALU_DEP_1) | instskip(SKIP_4) | instid1(VALU_DEP_1)
	v_fmac_f64_e32 v[114:115], v[106:107], v[116:117]
	ds_load_2addr_b64 v[104:107], v2 offset0:97 offset1:98
	s_wait_dscnt 0x1
	v_fmac_f64_e32 v[114:115], v[108:109], v[118:119]
	s_wait_loadcnt 0x1
	v_fmac_f64_e32 v[114:115], v[110:111], v[120:121]
	s_wait_dscnt 0x0
	s_delay_alu instid0(VALU_DEP_1) | instskip(SKIP_1) | instid1(VALU_DEP_1)
	v_fmac_f64_e32 v[114:115], v[112:113], v[104:105]
	s_wait_loadcnt 0x0
	v_fmac_f64_e32 v[114:115], v[122:123], v[106:107]
	s_delay_alu instid0(VALU_DEP_1)
	v_add_f64_e64 v[2:3], v[102:103], -v[114:115]
	scratch_store_b64 off, v[2:3], off offset:336
	s_wait_xcnt 0x0
	v_cmpx_lt_u32_e32 41, v0
	s_cbranch_execz .LBB48_221
; %bb.220:
	scratch_load_b64 v[2:3], off, off offset:328
	v_mov_b64_e32 v[102:103], 0
	scratch_store_b64 off, v[102:103], off offset:328
	s_wait_loadcnt 0x0
	ds_store_b64 v1, v[2:3]
.LBB48_221:
	s_wait_xcnt 0x0
	s_or_b32 exec_lo, exec_lo, s0
	s_wait_storecnt_dscnt 0x0
	s_barrier_signal -1
	s_barrier_wait -1
	s_clause 0x3
	scratch_load_b128 v[102:105], off, off offset:328
	scratch_load_b128 v[106:109], off, off offset:344
	;; [unrolled: 1-line block ×4, first 2 shown]
	v_mov_b32_e32 v2, 0
	ds_load_b128 v[118:121], v2 offset:736
	ds_load_b128 v[122:125], v2 offset:752
	s_mov_b32 s0, exec_lo
	s_wait_loadcnt_dscnt 0x301
	v_fma_f64 v[118:119], v[104:105], v[118:119], 0
	s_wait_loadcnt 0x2
	s_delay_alu instid0(VALU_DEP_1) | instskip(SKIP_1) | instid1(VALU_DEP_1)
	v_fmac_f64_e32 v[118:119], v[106:107], v[120:121]
	s_wait_dscnt 0x0
	v_fmac_f64_e32 v[118:119], v[108:109], v[122:123]
	ds_load_b128 v[104:107], v2 offset:768
	ds_load_b64 v[108:109], v2 offset:784
	s_wait_loadcnt 0x1
	v_fmac_f64_e32 v[118:119], v[110:111], v[124:125]
	s_wait_dscnt 0x1
	s_delay_alu instid0(VALU_DEP_1) | instskip(SKIP_1) | instid1(VALU_DEP_1)
	v_fmac_f64_e32 v[118:119], v[112:113], v[104:105]
	s_wait_loadcnt 0x0
	v_fmac_f64_e32 v[118:119], v[114:115], v[106:107]
	s_wait_dscnt 0x0
	s_delay_alu instid0(VALU_DEP_1) | instskip(NEXT) | instid1(VALU_DEP_1)
	v_fmac_f64_e32 v[118:119], v[116:117], v[108:109]
	v_add_f64_e64 v[102:103], v[102:103], -v[118:119]
	scratch_store_b64 off, v[102:103], off offset:328
	s_wait_xcnt 0x0
	v_cmpx_lt_u32_e32 40, v0
	s_cbranch_execz .LBB48_223
; %bb.222:
	scratch_load_b64 v[102:103], off, off offset:320
	v_mov_b64_e32 v[104:105], 0
	scratch_store_b64 off, v[104:105], off offset:320
	s_wait_loadcnt 0x0
	ds_store_b64 v1, v[102:103]
.LBB48_223:
	s_wait_xcnt 0x0
	s_or_b32 exec_lo, exec_lo, s0
	s_wait_storecnt_dscnt 0x0
	s_barrier_signal -1
	s_barrier_wait -1
	s_clause 0x4
	scratch_load_b128 v[102:105], off, off offset:320
	scratch_load_b128 v[106:109], off, off offset:336
	;; [unrolled: 1-line block ×4, first 2 shown]
	scratch_load_b64 v[126:127], off, off offset:384
	ds_load_2addr_b64 v[118:121], v2 offset0:91 offset1:92
	ds_load_2addr_b64 v[122:125], v2 offset0:93 offset1:94
	s_mov_b32 s0, exec_lo
	s_wait_loadcnt_dscnt 0x401
	v_fma_f64 v[118:119], v[104:105], v[118:119], 0
	s_wait_loadcnt 0x3
	s_delay_alu instid0(VALU_DEP_1) | instskip(SKIP_1) | instid1(VALU_DEP_1)
	v_fmac_f64_e32 v[118:119], v[106:107], v[120:121]
	s_wait_dscnt 0x0
	v_fmac_f64_e32 v[118:119], v[108:109], v[122:123]
	s_wait_loadcnt 0x2
	s_delay_alu instid0(VALU_DEP_1)
	v_fmac_f64_e32 v[118:119], v[110:111], v[124:125]
	ds_load_2addr_b64 v[104:107], v2 offset0:95 offset1:96
	ds_load_2addr_b64 v[108:111], v2 offset0:97 offset1:98
	s_wait_dscnt 0x1
	v_fmac_f64_e32 v[118:119], v[112:113], v[104:105]
	s_wait_loadcnt 0x1
	s_delay_alu instid0(VALU_DEP_1) | instskip(SKIP_1) | instid1(VALU_DEP_1)
	v_fmac_f64_e32 v[118:119], v[114:115], v[106:107]
	s_wait_dscnt 0x0
	v_fmac_f64_e32 v[118:119], v[116:117], v[108:109]
	s_wait_loadcnt 0x0
	s_delay_alu instid0(VALU_DEP_1) | instskip(NEXT) | instid1(VALU_DEP_1)
	v_fmac_f64_e32 v[118:119], v[126:127], v[110:111]
	v_add_f64_e64 v[2:3], v[102:103], -v[118:119]
	scratch_store_b64 off, v[2:3], off offset:320
	s_wait_xcnt 0x0
	v_cmpx_lt_u32_e32 39, v0
	s_cbranch_execz .LBB48_225
; %bb.224:
	scratch_load_b64 v[2:3], off, off offset:312
	v_mov_b64_e32 v[102:103], 0
	scratch_store_b64 off, v[102:103], off offset:312
	s_wait_loadcnt 0x0
	ds_store_b64 v1, v[2:3]
.LBB48_225:
	s_wait_xcnt 0x0
	s_or_b32 exec_lo, exec_lo, s0
	s_wait_storecnt_dscnt 0x0
	s_barrier_signal -1
	s_barrier_wait -1
	s_clause 0x4
	scratch_load_b128 v[102:105], off, off offset:312
	scratch_load_b128 v[106:109], off, off offset:328
	;; [unrolled: 1-line block ×5, first 2 shown]
	v_mov_b32_e32 v2, 0
	ds_load_b128 v[122:125], v2 offset:720
	ds_load_b128 v[126:129], v2 offset:736
	s_mov_b32 s0, exec_lo
	s_wait_loadcnt_dscnt 0x401
	v_fma_f64 v[122:123], v[104:105], v[122:123], 0
	s_wait_loadcnt 0x3
	s_delay_alu instid0(VALU_DEP_1) | instskip(SKIP_1) | instid1(VALU_DEP_1)
	v_fmac_f64_e32 v[122:123], v[106:107], v[124:125]
	s_wait_dscnt 0x0
	v_fmac_f64_e32 v[122:123], v[108:109], v[126:127]
	s_wait_loadcnt 0x2
	s_delay_alu instid0(VALU_DEP_1)
	v_fmac_f64_e32 v[122:123], v[110:111], v[128:129]
	ds_load_b128 v[104:107], v2 offset:752
	ds_load_b128 v[108:111], v2 offset:768
	s_wait_dscnt 0x1
	v_fmac_f64_e32 v[122:123], v[112:113], v[104:105]
	ds_load_b64 v[104:105], v2 offset:784
	s_wait_loadcnt 0x1
	v_fmac_f64_e32 v[122:123], v[114:115], v[106:107]
	s_wait_dscnt 0x1
	s_delay_alu instid0(VALU_DEP_1) | instskip(SKIP_1) | instid1(VALU_DEP_1)
	v_fmac_f64_e32 v[122:123], v[116:117], v[108:109]
	s_wait_loadcnt 0x0
	v_fmac_f64_e32 v[122:123], v[118:119], v[110:111]
	s_wait_dscnt 0x0
	s_delay_alu instid0(VALU_DEP_1) | instskip(NEXT) | instid1(VALU_DEP_1)
	v_fmac_f64_e32 v[122:123], v[120:121], v[104:105]
	v_add_f64_e64 v[102:103], v[102:103], -v[122:123]
	scratch_store_b64 off, v[102:103], off offset:312
	s_wait_xcnt 0x0
	v_cmpx_lt_u32_e32 38, v0
	s_cbranch_execz .LBB48_227
; %bb.226:
	scratch_load_b64 v[102:103], off, off offset:304
	v_mov_b64_e32 v[104:105], 0
	scratch_store_b64 off, v[104:105], off offset:304
	s_wait_loadcnt 0x0
	ds_store_b64 v1, v[102:103]
.LBB48_227:
	s_wait_xcnt 0x0
	s_or_b32 exec_lo, exec_lo, s0
	s_wait_storecnt_dscnt 0x0
	s_barrier_signal -1
	s_barrier_wait -1
	s_clause 0x5
	scratch_load_b128 v[102:105], off, off offset:304
	scratch_load_b128 v[106:109], off, off offset:320
	;; [unrolled: 1-line block ×5, first 2 shown]
	scratch_load_b64 v[130:131], off, off offset:384
	ds_load_2addr_b64 v[122:125], v2 offset0:89 offset1:90
	ds_load_2addr_b64 v[126:129], v2 offset0:91 offset1:92
	s_mov_b32 s0, exec_lo
	s_wait_loadcnt_dscnt 0x501
	v_fma_f64 v[122:123], v[104:105], v[122:123], 0
	s_wait_loadcnt 0x4
	s_delay_alu instid0(VALU_DEP_1) | instskip(SKIP_1) | instid1(VALU_DEP_1)
	v_fmac_f64_e32 v[122:123], v[106:107], v[124:125]
	s_wait_dscnt 0x0
	v_fmac_f64_e32 v[122:123], v[108:109], v[126:127]
	s_wait_loadcnt 0x3
	s_delay_alu instid0(VALU_DEP_1)
	v_fmac_f64_e32 v[122:123], v[110:111], v[128:129]
	ds_load_2addr_b64 v[104:107], v2 offset0:93 offset1:94
	ds_load_2addr_b64 v[108:111], v2 offset0:95 offset1:96
	s_wait_dscnt 0x1
	v_fmac_f64_e32 v[122:123], v[112:113], v[104:105]
	s_wait_loadcnt 0x2
	s_delay_alu instid0(VALU_DEP_1) | instskip(SKIP_4) | instid1(VALU_DEP_1)
	v_fmac_f64_e32 v[122:123], v[114:115], v[106:107]
	ds_load_2addr_b64 v[104:107], v2 offset0:97 offset1:98
	s_wait_dscnt 0x1
	v_fmac_f64_e32 v[122:123], v[116:117], v[108:109]
	s_wait_loadcnt 0x1
	v_fmac_f64_e32 v[122:123], v[118:119], v[110:111]
	s_wait_dscnt 0x0
	s_delay_alu instid0(VALU_DEP_1) | instskip(SKIP_1) | instid1(VALU_DEP_1)
	v_fmac_f64_e32 v[122:123], v[120:121], v[104:105]
	s_wait_loadcnt 0x0
	v_fmac_f64_e32 v[122:123], v[130:131], v[106:107]
	s_delay_alu instid0(VALU_DEP_1)
	v_add_f64_e64 v[2:3], v[102:103], -v[122:123]
	scratch_store_b64 off, v[2:3], off offset:304
	s_wait_xcnt 0x0
	v_cmpx_lt_u32_e32 37, v0
	s_cbranch_execz .LBB48_229
; %bb.228:
	scratch_load_b64 v[2:3], off, off offset:296
	v_mov_b64_e32 v[102:103], 0
	scratch_store_b64 off, v[102:103], off offset:296
	s_wait_loadcnt 0x0
	ds_store_b64 v1, v[2:3]
.LBB48_229:
	s_wait_xcnt 0x0
	s_or_b32 exec_lo, exec_lo, s0
	s_wait_storecnt_dscnt 0x0
	s_barrier_signal -1
	s_barrier_wait -1
	s_clause 0x5
	scratch_load_b128 v[102:105], off, off offset:296
	scratch_load_b128 v[106:109], off, off offset:312
	;; [unrolled: 1-line block ×6, first 2 shown]
	v_mov_b32_e32 v2, 0
	ds_load_b128 v[126:129], v2 offset:704
	ds_load_b128 v[130:133], v2 offset:720
	s_mov_b32 s0, exec_lo
	s_wait_loadcnt_dscnt 0x501
	v_fma_f64 v[126:127], v[104:105], v[126:127], 0
	s_wait_loadcnt 0x4
	s_delay_alu instid0(VALU_DEP_1) | instskip(SKIP_1) | instid1(VALU_DEP_1)
	v_fmac_f64_e32 v[126:127], v[106:107], v[128:129]
	s_wait_dscnt 0x0
	v_fmac_f64_e32 v[126:127], v[108:109], v[130:131]
	s_wait_loadcnt 0x3
	s_delay_alu instid0(VALU_DEP_1)
	v_fmac_f64_e32 v[126:127], v[110:111], v[132:133]
	ds_load_b128 v[104:107], v2 offset:736
	ds_load_b128 v[108:111], v2 offset:752
	s_wait_dscnt 0x1
	v_fmac_f64_e32 v[126:127], v[112:113], v[104:105]
	s_wait_loadcnt 0x2
	s_delay_alu instid0(VALU_DEP_1) | instskip(SKIP_1) | instid1(VALU_DEP_1)
	v_fmac_f64_e32 v[126:127], v[114:115], v[106:107]
	s_wait_dscnt 0x0
	v_fmac_f64_e32 v[126:127], v[116:117], v[108:109]
	ds_load_b128 v[104:107], v2 offset:768
	ds_load_b64 v[108:109], v2 offset:784
	s_wait_loadcnt 0x1
	v_fmac_f64_e32 v[126:127], v[118:119], v[110:111]
	s_wait_dscnt 0x1
	s_delay_alu instid0(VALU_DEP_1) | instskip(SKIP_1) | instid1(VALU_DEP_1)
	v_fmac_f64_e32 v[126:127], v[120:121], v[104:105]
	s_wait_loadcnt 0x0
	v_fmac_f64_e32 v[126:127], v[122:123], v[106:107]
	s_wait_dscnt 0x0
	s_delay_alu instid0(VALU_DEP_1) | instskip(NEXT) | instid1(VALU_DEP_1)
	v_fmac_f64_e32 v[126:127], v[124:125], v[108:109]
	v_add_f64_e64 v[102:103], v[102:103], -v[126:127]
	scratch_store_b64 off, v[102:103], off offset:296
	s_wait_xcnt 0x0
	v_cmpx_lt_u32_e32 36, v0
	s_cbranch_execz .LBB48_231
; %bb.230:
	scratch_load_b64 v[102:103], off, off offset:288
	v_mov_b64_e32 v[104:105], 0
	scratch_store_b64 off, v[104:105], off offset:288
	s_wait_loadcnt 0x0
	ds_store_b64 v1, v[102:103]
.LBB48_231:
	s_wait_xcnt 0x0
	s_or_b32 exec_lo, exec_lo, s0
	s_wait_storecnt_dscnt 0x0
	s_barrier_signal -1
	s_barrier_wait -1
	s_clause 0x5
	scratch_load_b128 v[102:105], off, off offset:288
	scratch_load_b128 v[106:109], off, off offset:304
	scratch_load_b128 v[110:113], off, off offset:320
	scratch_load_b128 v[114:117], off, off offset:336
	scratch_load_b128 v[118:121], off, off offset:352
	scratch_load_b128 v[122:125], off, off offset:368
	ds_load_2addr_b64 v[126:129], v2 offset0:87 offset1:88
	ds_load_2addr_b64 v[130:133], v2 offset0:89 offset1:90
	s_mov_b32 s0, exec_lo
	s_wait_loadcnt_dscnt 0x501
	v_fma_f64 v[126:127], v[104:105], v[126:127], 0
	s_wait_loadcnt 0x4
	s_delay_alu instid0(VALU_DEP_1) | instskip(SKIP_4) | instid1(VALU_DEP_1)
	v_fmac_f64_e32 v[126:127], v[106:107], v[128:129]
	scratch_load_b64 v[128:129], off, off offset:384
	s_wait_dscnt 0x0
	v_fmac_f64_e32 v[126:127], v[108:109], v[130:131]
	s_wait_loadcnt 0x4
	v_fmac_f64_e32 v[126:127], v[110:111], v[132:133]
	ds_load_2addr_b64 v[104:107], v2 offset0:91 offset1:92
	ds_load_2addr_b64 v[108:111], v2 offset0:93 offset1:94
	s_wait_dscnt 0x1
	v_fmac_f64_e32 v[126:127], v[112:113], v[104:105]
	s_wait_loadcnt 0x3
	s_delay_alu instid0(VALU_DEP_1) | instskip(SKIP_1) | instid1(VALU_DEP_1)
	v_fmac_f64_e32 v[126:127], v[114:115], v[106:107]
	s_wait_dscnt 0x0
	v_fmac_f64_e32 v[126:127], v[116:117], v[108:109]
	s_wait_loadcnt 0x2
	s_delay_alu instid0(VALU_DEP_1)
	v_fmac_f64_e32 v[126:127], v[118:119], v[110:111]
	ds_load_2addr_b64 v[104:107], v2 offset0:95 offset1:96
	ds_load_2addr_b64 v[108:111], v2 offset0:97 offset1:98
	s_wait_dscnt 0x1
	v_fmac_f64_e32 v[126:127], v[120:121], v[104:105]
	s_wait_loadcnt 0x1
	s_delay_alu instid0(VALU_DEP_1) | instskip(SKIP_1) | instid1(VALU_DEP_1)
	v_fmac_f64_e32 v[126:127], v[122:123], v[106:107]
	s_wait_dscnt 0x0
	v_fmac_f64_e32 v[126:127], v[124:125], v[108:109]
	s_wait_loadcnt 0x0
	s_delay_alu instid0(VALU_DEP_1) | instskip(NEXT) | instid1(VALU_DEP_1)
	v_fmac_f64_e32 v[126:127], v[128:129], v[110:111]
	v_add_f64_e64 v[2:3], v[102:103], -v[126:127]
	scratch_store_b64 off, v[2:3], off offset:288
	s_wait_xcnt 0x0
	v_cmpx_lt_u32_e32 35, v0
	s_cbranch_execz .LBB48_233
; %bb.232:
	scratch_load_b64 v[2:3], off, off offset:280
	v_mov_b64_e32 v[102:103], 0
	scratch_store_b64 off, v[102:103], off offset:280
	s_wait_loadcnt 0x0
	ds_store_b64 v1, v[2:3]
.LBB48_233:
	s_wait_xcnt 0x0
	s_or_b32 exec_lo, exec_lo, s0
	s_wait_storecnt_dscnt 0x0
	s_barrier_signal -1
	s_barrier_wait -1
	s_clause 0x5
	scratch_load_b128 v[102:105], off, off offset:280
	scratch_load_b128 v[106:109], off, off offset:296
	;; [unrolled: 1-line block ×6, first 2 shown]
	v_mov_b32_e32 v2, 0
	ds_load_b128 v[126:129], v2 offset:688
	ds_load_b128 v[130:133], v2 offset:704
	s_mov_b32 s0, exec_lo
	s_wait_loadcnt_dscnt 0x501
	v_fma_f64 v[134:135], v[104:105], v[126:127], 0
	s_wait_loadcnt 0x4
	s_delay_alu instid0(VALU_DEP_1) | instskip(SKIP_4) | instid1(VALU_DEP_1)
	v_fmac_f64_e32 v[134:135], v[106:107], v[128:129]
	scratch_load_b128 v[104:107], off, off offset:376
	s_wait_dscnt 0x0
	v_fmac_f64_e32 v[134:135], v[108:109], v[130:131]
	s_wait_loadcnt 0x4
	v_fmac_f64_e32 v[134:135], v[110:111], v[132:133]
	ds_load_b128 v[108:111], v2 offset:720
	ds_load_b128 v[126:129], v2 offset:736
	s_wait_dscnt 0x1
	v_fmac_f64_e32 v[134:135], v[112:113], v[108:109]
	s_wait_loadcnt 0x3
	s_delay_alu instid0(VALU_DEP_1)
	v_fmac_f64_e32 v[134:135], v[114:115], v[110:111]
	ds_load_b128 v[108:111], v2 offset:752
	ds_load_b128 v[112:115], v2 offset:768
	s_wait_dscnt 0x2
	v_fmac_f64_e32 v[134:135], v[116:117], v[126:127]
	s_wait_loadcnt 0x2
	s_delay_alu instid0(VALU_DEP_1) | instskip(SKIP_1) | instid1(VALU_DEP_1)
	v_fmac_f64_e32 v[134:135], v[118:119], v[128:129]
	s_wait_dscnt 0x1
	v_fmac_f64_e32 v[134:135], v[120:121], v[108:109]
	s_wait_loadcnt 0x1
	s_delay_alu instid0(VALU_DEP_1) | instskip(SKIP_1) | instid1(VALU_DEP_1)
	v_fmac_f64_e32 v[134:135], v[122:123], v[110:111]
	s_wait_dscnt 0x0
	v_fmac_f64_e32 v[134:135], v[124:125], v[112:113]
	s_wait_loadcnt 0x0
	s_delay_alu instid0(VALU_DEP_1) | instskip(SKIP_3) | instid1(VALU_DEP_1)
	v_fmac_f64_e32 v[134:135], v[104:105], v[114:115]
	ds_load_b64 v[104:105], v2 offset:784
	s_wait_dscnt 0x0
	v_fmac_f64_e32 v[134:135], v[106:107], v[104:105]
	v_add_f64_e64 v[102:103], v[102:103], -v[134:135]
	scratch_store_b64 off, v[102:103], off offset:280
	s_wait_xcnt 0x0
	v_cmpx_lt_u32_e32 34, v0
	s_cbranch_execz .LBB48_235
; %bb.234:
	scratch_load_b64 v[102:103], off, off offset:272
	v_mov_b64_e32 v[104:105], 0
	scratch_store_b64 off, v[104:105], off offset:272
	s_wait_loadcnt 0x0
	ds_store_b64 v1, v[102:103]
.LBB48_235:
	s_wait_xcnt 0x0
	s_or_b32 exec_lo, exec_lo, s0
	s_wait_storecnt_dscnt 0x0
	s_barrier_signal -1
	s_barrier_wait -1
	s_clause 0x5
	scratch_load_b128 v[102:105], off, off offset:272
	scratch_load_b128 v[106:109], off, off offset:288
	;; [unrolled: 1-line block ×6, first 2 shown]
	ds_load_2addr_b64 v[126:129], v2 offset0:85 offset1:86
	ds_load_2addr_b64 v[130:133], v2 offset0:87 offset1:88
	s_mov_b32 s0, exec_lo
	s_wait_loadcnt_dscnt 0x501
	v_fma_f64 v[134:135], v[104:105], v[126:127], 0
	s_wait_loadcnt 0x4
	s_delay_alu instid0(VALU_DEP_1)
	v_fmac_f64_e32 v[134:135], v[106:107], v[128:129]
	scratch_load_b128 v[104:107], off, off offset:368
	s_wait_dscnt 0x0
	v_fmac_f64_e32 v[134:135], v[108:109], v[130:131]
	scratch_load_b64 v[130:131], off, off offset:384
	s_wait_loadcnt 0x5
	v_fmac_f64_e32 v[134:135], v[110:111], v[132:133]
	ds_load_2addr_b64 v[108:111], v2 offset0:89 offset1:90
	ds_load_2addr_b64 v[126:129], v2 offset0:91 offset1:92
	s_wait_dscnt 0x1
	v_fmac_f64_e32 v[134:135], v[112:113], v[108:109]
	s_wait_loadcnt 0x4
	s_delay_alu instid0(VALU_DEP_1)
	v_fmac_f64_e32 v[134:135], v[114:115], v[110:111]
	ds_load_2addr_b64 v[108:111], v2 offset0:93 offset1:94
	ds_load_2addr_b64 v[112:115], v2 offset0:95 offset1:96
	s_wait_dscnt 0x2
	v_fmac_f64_e32 v[134:135], v[116:117], v[126:127]
	s_wait_loadcnt 0x3
	s_delay_alu instid0(VALU_DEP_1) | instskip(SKIP_1) | instid1(VALU_DEP_1)
	v_fmac_f64_e32 v[134:135], v[118:119], v[128:129]
	s_wait_dscnt 0x1
	v_fmac_f64_e32 v[134:135], v[120:121], v[108:109]
	s_wait_loadcnt 0x2
	s_delay_alu instid0(VALU_DEP_1) | instskip(SKIP_4) | instid1(VALU_DEP_1)
	v_fmac_f64_e32 v[134:135], v[122:123], v[110:111]
	ds_load_2addr_b64 v[108:111], v2 offset0:97 offset1:98
	s_wait_dscnt 0x1
	v_fmac_f64_e32 v[134:135], v[124:125], v[112:113]
	s_wait_loadcnt 0x1
	v_fmac_f64_e32 v[134:135], v[104:105], v[114:115]
	s_wait_dscnt 0x0
	s_delay_alu instid0(VALU_DEP_1) | instskip(SKIP_1) | instid1(VALU_DEP_1)
	v_fmac_f64_e32 v[134:135], v[106:107], v[108:109]
	s_wait_loadcnt 0x0
	v_fmac_f64_e32 v[134:135], v[130:131], v[110:111]
	s_delay_alu instid0(VALU_DEP_1)
	v_add_f64_e64 v[2:3], v[102:103], -v[134:135]
	scratch_store_b64 off, v[2:3], off offset:272
	s_wait_xcnt 0x0
	v_cmpx_lt_u32_e32 33, v0
	s_cbranch_execz .LBB48_237
; %bb.236:
	scratch_load_b64 v[2:3], off, off offset:264
	v_mov_b64_e32 v[102:103], 0
	scratch_store_b64 off, v[102:103], off offset:264
	s_wait_loadcnt 0x0
	ds_store_b64 v1, v[2:3]
.LBB48_237:
	s_wait_xcnt 0x0
	s_or_b32 exec_lo, exec_lo, s0
	s_wait_storecnt_dscnt 0x0
	s_barrier_signal -1
	s_barrier_wait -1
	s_clause 0x5
	scratch_load_b128 v[102:105], off, off offset:264
	scratch_load_b128 v[106:109], off, off offset:280
	;; [unrolled: 1-line block ×6, first 2 shown]
	v_mov_b32_e32 v2, 0
	ds_load_b128 v[126:129], v2 offset:672
	ds_load_b128 v[130:133], v2 offset:688
	s_mov_b32 s0, exec_lo
	s_wait_loadcnt_dscnt 0x501
	v_fma_f64 v[134:135], v[104:105], v[126:127], 0
	s_wait_loadcnt 0x4
	s_delay_alu instid0(VALU_DEP_1) | instskip(SKIP_4) | instid1(VALU_DEP_1)
	v_fmac_f64_e32 v[134:135], v[106:107], v[128:129]
	scratch_load_b128 v[104:107], off, off offset:360
	s_wait_dscnt 0x0
	v_fmac_f64_e32 v[134:135], v[108:109], v[130:131]
	s_wait_loadcnt 0x4
	v_fmac_f64_e32 v[134:135], v[110:111], v[132:133]
	scratch_load_b128 v[108:111], off, off offset:376
	ds_load_b128 v[126:129], v2 offset:704
	ds_load_b128 v[130:133], v2 offset:720
	s_wait_dscnt 0x1
	v_fmac_f64_e32 v[134:135], v[112:113], v[126:127]
	s_wait_loadcnt 0x4
	s_delay_alu instid0(VALU_DEP_1) | instskip(SKIP_1) | instid1(VALU_DEP_1)
	v_fmac_f64_e32 v[134:135], v[114:115], v[128:129]
	s_wait_dscnt 0x0
	v_fmac_f64_e32 v[134:135], v[116:117], v[130:131]
	s_wait_loadcnt 0x3
	s_delay_alu instid0(VALU_DEP_1)
	v_fmac_f64_e32 v[134:135], v[118:119], v[132:133]
	ds_load_b128 v[112:115], v2 offset:736
	ds_load_b128 v[116:119], v2 offset:752
	s_wait_dscnt 0x1
	v_fmac_f64_e32 v[134:135], v[120:121], v[112:113]
	s_wait_loadcnt 0x2
	s_delay_alu instid0(VALU_DEP_1) | instskip(SKIP_1) | instid1(VALU_DEP_1)
	v_fmac_f64_e32 v[134:135], v[122:123], v[114:115]
	s_wait_dscnt 0x0
	v_fmac_f64_e32 v[134:135], v[124:125], v[116:117]
	s_wait_loadcnt 0x1
	s_delay_alu instid0(VALU_DEP_1)
	v_fmac_f64_e32 v[134:135], v[104:105], v[118:119]
	ds_load_b128 v[112:115], v2 offset:768
	ds_load_b64 v[104:105], v2 offset:784
	s_wait_dscnt 0x1
	v_fmac_f64_e32 v[134:135], v[106:107], v[112:113]
	s_wait_loadcnt 0x0
	s_delay_alu instid0(VALU_DEP_1) | instskip(SKIP_1) | instid1(VALU_DEP_1)
	v_fmac_f64_e32 v[134:135], v[108:109], v[114:115]
	s_wait_dscnt 0x0
	v_fmac_f64_e32 v[134:135], v[110:111], v[104:105]
	s_delay_alu instid0(VALU_DEP_1)
	v_add_f64_e64 v[102:103], v[102:103], -v[134:135]
	scratch_store_b64 off, v[102:103], off offset:264
	s_wait_xcnt 0x0
	v_cmpx_lt_u32_e32 32, v0
	s_cbranch_execz .LBB48_239
; %bb.238:
	scratch_load_b64 v[102:103], off, off offset:256
	v_mov_b64_e32 v[104:105], 0
	scratch_store_b64 off, v[104:105], off offset:256
	s_wait_loadcnt 0x0
	ds_store_b64 v1, v[102:103]
.LBB48_239:
	s_wait_xcnt 0x0
	s_or_b32 exec_lo, exec_lo, s0
	s_wait_storecnt_dscnt 0x0
	s_barrier_signal -1
	s_barrier_wait -1
	s_clause 0x5
	scratch_load_b128 v[102:105], off, off offset:256
	scratch_load_b128 v[106:109], off, off offset:272
	;; [unrolled: 1-line block ×6, first 2 shown]
	ds_load_2addr_b64 v[126:129], v2 offset0:83 offset1:84
	ds_load_2addr_b64 v[130:133], v2 offset0:85 offset1:86
	s_mov_b32 s0, exec_lo
	s_wait_loadcnt_dscnt 0x501
	v_fma_f64 v[134:135], v[104:105], v[126:127], 0
	s_wait_loadcnt 0x4
	s_delay_alu instid0(VALU_DEP_1) | instskip(SKIP_4) | instid1(VALU_DEP_1)
	v_fmac_f64_e32 v[134:135], v[106:107], v[128:129]
	scratch_load_b128 v[104:107], off, off offset:352
	s_wait_dscnt 0x0
	v_fmac_f64_e32 v[134:135], v[108:109], v[130:131]
	s_wait_loadcnt 0x4
	v_fmac_f64_e32 v[134:135], v[110:111], v[132:133]
	scratch_load_b128 v[108:111], off, off offset:368
	ds_load_2addr_b64 v[126:129], v2 offset0:87 offset1:88
	ds_load_2addr_b64 v[130:133], v2 offset0:89 offset1:90
	s_wait_dscnt 0x1
	v_fmac_f64_e32 v[134:135], v[112:113], v[126:127]
	scratch_load_b64 v[126:127], off, off offset:384
	s_wait_loadcnt 0x5
	v_fmac_f64_e32 v[134:135], v[114:115], v[128:129]
	s_wait_dscnt 0x0
	s_delay_alu instid0(VALU_DEP_1) | instskip(SKIP_1) | instid1(VALU_DEP_1)
	v_fmac_f64_e32 v[134:135], v[116:117], v[130:131]
	s_wait_loadcnt 0x4
	v_fmac_f64_e32 v[134:135], v[118:119], v[132:133]
	ds_load_2addr_b64 v[112:115], v2 offset0:91 offset1:92
	ds_load_2addr_b64 v[116:119], v2 offset0:93 offset1:94
	s_wait_dscnt 0x1
	v_fmac_f64_e32 v[134:135], v[120:121], v[112:113]
	s_wait_loadcnt 0x3
	s_delay_alu instid0(VALU_DEP_1) | instskip(SKIP_1) | instid1(VALU_DEP_1)
	v_fmac_f64_e32 v[134:135], v[122:123], v[114:115]
	s_wait_dscnt 0x0
	v_fmac_f64_e32 v[134:135], v[124:125], v[116:117]
	s_wait_loadcnt 0x2
	s_delay_alu instid0(VALU_DEP_1)
	v_fmac_f64_e32 v[134:135], v[104:105], v[118:119]
	ds_load_2addr_b64 v[112:115], v2 offset0:95 offset1:96
	ds_load_2addr_b64 v[116:119], v2 offset0:97 offset1:98
	s_wait_dscnt 0x1
	v_fmac_f64_e32 v[134:135], v[106:107], v[112:113]
	s_wait_loadcnt 0x1
	s_delay_alu instid0(VALU_DEP_1) | instskip(SKIP_1) | instid1(VALU_DEP_1)
	v_fmac_f64_e32 v[134:135], v[108:109], v[114:115]
	s_wait_dscnt 0x0
	v_fmac_f64_e32 v[134:135], v[110:111], v[116:117]
	s_wait_loadcnt 0x0
	s_delay_alu instid0(VALU_DEP_1) | instskip(NEXT) | instid1(VALU_DEP_1)
	v_fmac_f64_e32 v[134:135], v[126:127], v[118:119]
	v_add_f64_e64 v[2:3], v[102:103], -v[134:135]
	scratch_store_b64 off, v[2:3], off offset:256
	s_wait_xcnt 0x0
	v_cmpx_lt_u32_e32 31, v0
	s_cbranch_execz .LBB48_241
; %bb.240:
	scratch_load_b64 v[2:3], off, off offset:248
	v_mov_b64_e32 v[102:103], 0
	scratch_store_b64 off, v[102:103], off offset:248
	s_wait_loadcnt 0x0
	ds_store_b64 v1, v[2:3]
.LBB48_241:
	s_wait_xcnt 0x0
	s_or_b32 exec_lo, exec_lo, s0
	s_wait_storecnt_dscnt 0x0
	s_barrier_signal -1
	s_barrier_wait -1
	s_clause 0x5
	scratch_load_b128 v[102:105], off, off offset:248
	scratch_load_b128 v[106:109], off, off offset:264
	;; [unrolled: 1-line block ×6, first 2 shown]
	v_mov_b32_e32 v2, 0
	ds_load_b128 v[126:129], v2 offset:656
	ds_load_b128 v[130:133], v2 offset:672
	s_mov_b32 s0, exec_lo
	s_wait_loadcnt_dscnt 0x501
	v_fma_f64 v[134:135], v[104:105], v[126:127], 0
	s_wait_loadcnt 0x4
	s_delay_alu instid0(VALU_DEP_1) | instskip(SKIP_4) | instid1(VALU_DEP_1)
	v_fmac_f64_e32 v[134:135], v[106:107], v[128:129]
	scratch_load_b128 v[104:107], off, off offset:344
	s_wait_dscnt 0x0
	v_fmac_f64_e32 v[134:135], v[108:109], v[130:131]
	s_wait_loadcnt 0x4
	v_fmac_f64_e32 v[134:135], v[110:111], v[132:133]
	scratch_load_b128 v[108:111], off, off offset:360
	ds_load_b128 v[126:129], v2 offset:688
	ds_load_b128 v[130:133], v2 offset:704
	s_wait_dscnt 0x1
	v_fmac_f64_e32 v[134:135], v[112:113], v[126:127]
	s_wait_loadcnt 0x4
	s_delay_alu instid0(VALU_DEP_1) | instskip(SKIP_4) | instid1(VALU_DEP_1)
	v_fmac_f64_e32 v[134:135], v[114:115], v[128:129]
	scratch_load_b128 v[112:115], off, off offset:376
	s_wait_dscnt 0x0
	v_fmac_f64_e32 v[134:135], v[116:117], v[130:131]
	s_wait_loadcnt 0x4
	v_fmac_f64_e32 v[134:135], v[118:119], v[132:133]
	ds_load_b128 v[116:119], v2 offset:720
	ds_load_b128 v[126:129], v2 offset:736
	s_wait_dscnt 0x1
	v_fmac_f64_e32 v[134:135], v[120:121], v[116:117]
	s_wait_loadcnt 0x3
	s_delay_alu instid0(VALU_DEP_1)
	v_fmac_f64_e32 v[134:135], v[122:123], v[118:119]
	ds_load_b128 v[116:119], v2 offset:752
	ds_load_b128 v[120:123], v2 offset:768
	s_wait_dscnt 0x2
	v_fmac_f64_e32 v[134:135], v[124:125], v[126:127]
	s_wait_loadcnt 0x2
	s_delay_alu instid0(VALU_DEP_1) | instskip(SKIP_4) | instid1(VALU_DEP_1)
	v_fmac_f64_e32 v[134:135], v[104:105], v[128:129]
	ds_load_b64 v[104:105], v2 offset:784
	s_wait_dscnt 0x2
	v_fmac_f64_e32 v[134:135], v[106:107], v[116:117]
	s_wait_loadcnt 0x1
	v_fmac_f64_e32 v[134:135], v[108:109], v[118:119]
	s_wait_dscnt 0x1
	s_delay_alu instid0(VALU_DEP_1) | instskip(SKIP_1) | instid1(VALU_DEP_1)
	v_fmac_f64_e32 v[134:135], v[110:111], v[120:121]
	s_wait_loadcnt 0x0
	v_fmac_f64_e32 v[134:135], v[112:113], v[122:123]
	s_wait_dscnt 0x0
	s_delay_alu instid0(VALU_DEP_1) | instskip(NEXT) | instid1(VALU_DEP_1)
	v_fmac_f64_e32 v[134:135], v[114:115], v[104:105]
	v_add_f64_e64 v[102:103], v[102:103], -v[134:135]
	scratch_store_b64 off, v[102:103], off offset:248
	s_wait_xcnt 0x0
	v_cmpx_lt_u32_e32 30, v0
	s_cbranch_execz .LBB48_243
; %bb.242:
	scratch_load_b64 v[102:103], off, off offset:240
	v_mov_b64_e32 v[104:105], 0
	scratch_store_b64 off, v[104:105], off offset:240
	s_wait_loadcnt 0x0
	ds_store_b64 v1, v[102:103]
.LBB48_243:
	s_wait_xcnt 0x0
	s_or_b32 exec_lo, exec_lo, s0
	s_wait_storecnt_dscnt 0x0
	s_barrier_signal -1
	s_barrier_wait -1
	s_clause 0x5
	scratch_load_b128 v[102:105], off, off offset:240
	scratch_load_b128 v[106:109], off, off offset:256
	;; [unrolled: 1-line block ×6, first 2 shown]
	ds_load_2addr_b64 v[126:129], v2 offset0:81 offset1:82
	ds_load_2addr_b64 v[130:133], v2 offset0:83 offset1:84
	s_mov_b32 s0, exec_lo
	s_wait_loadcnt_dscnt 0x501
	v_fma_f64 v[134:135], v[104:105], v[126:127], 0
	s_wait_loadcnt 0x4
	s_delay_alu instid0(VALU_DEP_1) | instskip(SKIP_4) | instid1(VALU_DEP_1)
	v_fmac_f64_e32 v[134:135], v[106:107], v[128:129]
	scratch_load_b128 v[104:107], off, off offset:336
	s_wait_dscnt 0x0
	v_fmac_f64_e32 v[134:135], v[108:109], v[130:131]
	s_wait_loadcnt 0x4
	v_fmac_f64_e32 v[134:135], v[110:111], v[132:133]
	scratch_load_b128 v[108:111], off, off offset:352
	ds_load_2addr_b64 v[126:129], v2 offset0:85 offset1:86
	ds_load_2addr_b64 v[130:133], v2 offset0:87 offset1:88
	s_wait_dscnt 0x1
	v_fmac_f64_e32 v[134:135], v[112:113], v[126:127]
	s_wait_loadcnt 0x4
	s_delay_alu instid0(VALU_DEP_1)
	v_fmac_f64_e32 v[134:135], v[114:115], v[128:129]
	scratch_load_b128 v[112:115], off, off offset:368
	s_wait_dscnt 0x0
	v_fmac_f64_e32 v[134:135], v[116:117], v[130:131]
	scratch_load_b64 v[130:131], off, off offset:384
	s_wait_loadcnt 0x5
	v_fmac_f64_e32 v[134:135], v[118:119], v[132:133]
	ds_load_2addr_b64 v[116:119], v2 offset0:89 offset1:90
	ds_load_2addr_b64 v[126:129], v2 offset0:91 offset1:92
	s_wait_dscnt 0x1
	v_fmac_f64_e32 v[134:135], v[120:121], v[116:117]
	s_wait_loadcnt 0x4
	s_delay_alu instid0(VALU_DEP_1)
	v_fmac_f64_e32 v[134:135], v[122:123], v[118:119]
	ds_load_2addr_b64 v[116:119], v2 offset0:93 offset1:94
	ds_load_2addr_b64 v[120:123], v2 offset0:95 offset1:96
	s_wait_dscnt 0x2
	v_fmac_f64_e32 v[134:135], v[124:125], v[126:127]
	s_wait_loadcnt 0x3
	s_delay_alu instid0(VALU_DEP_1) | instskip(SKIP_1) | instid1(VALU_DEP_1)
	v_fmac_f64_e32 v[134:135], v[104:105], v[128:129]
	s_wait_dscnt 0x1
	v_fmac_f64_e32 v[134:135], v[106:107], v[116:117]
	ds_load_2addr_b64 v[104:107], v2 offset0:97 offset1:98
	s_wait_loadcnt 0x2
	v_fmac_f64_e32 v[134:135], v[108:109], v[118:119]
	s_wait_dscnt 0x1
	s_delay_alu instid0(VALU_DEP_1) | instskip(SKIP_1) | instid1(VALU_DEP_1)
	v_fmac_f64_e32 v[134:135], v[110:111], v[120:121]
	s_wait_loadcnt 0x1
	v_fmac_f64_e32 v[134:135], v[112:113], v[122:123]
	s_wait_dscnt 0x0
	s_delay_alu instid0(VALU_DEP_1) | instskip(SKIP_1) | instid1(VALU_DEP_1)
	v_fmac_f64_e32 v[134:135], v[114:115], v[104:105]
	s_wait_loadcnt 0x0
	v_fmac_f64_e32 v[134:135], v[130:131], v[106:107]
	s_delay_alu instid0(VALU_DEP_1)
	v_add_f64_e64 v[2:3], v[102:103], -v[134:135]
	scratch_store_b64 off, v[2:3], off offset:240
	s_wait_xcnt 0x0
	v_cmpx_lt_u32_e32 29, v0
	s_cbranch_execz .LBB48_245
; %bb.244:
	scratch_load_b64 v[2:3], off, off offset:232
	v_mov_b64_e32 v[102:103], 0
	scratch_store_b64 off, v[102:103], off offset:232
	s_wait_loadcnt 0x0
	ds_store_b64 v1, v[2:3]
.LBB48_245:
	s_wait_xcnt 0x0
	s_or_b32 exec_lo, exec_lo, s0
	s_wait_storecnt_dscnt 0x0
	s_barrier_signal -1
	s_barrier_wait -1
	s_clause 0x5
	scratch_load_b128 v[102:105], off, off offset:232
	scratch_load_b128 v[106:109], off, off offset:248
	;; [unrolled: 1-line block ×6, first 2 shown]
	v_mov_b32_e32 v2, 0
	ds_load_b128 v[126:129], v2 offset:640
	ds_load_b128 v[130:133], v2 offset:656
	s_mov_b32 s0, exec_lo
	s_wait_loadcnt_dscnt 0x501
	v_fma_f64 v[134:135], v[104:105], v[126:127], 0
	s_wait_loadcnt 0x4
	s_delay_alu instid0(VALU_DEP_1) | instskip(SKIP_4) | instid1(VALU_DEP_1)
	v_fmac_f64_e32 v[134:135], v[106:107], v[128:129]
	scratch_load_b128 v[104:107], off, off offset:328
	s_wait_dscnt 0x0
	v_fmac_f64_e32 v[134:135], v[108:109], v[130:131]
	s_wait_loadcnt 0x4
	v_fmac_f64_e32 v[134:135], v[110:111], v[132:133]
	scratch_load_b128 v[108:111], off, off offset:344
	ds_load_b128 v[126:129], v2 offset:672
	ds_load_b128 v[130:133], v2 offset:688
	s_wait_dscnt 0x1
	v_fmac_f64_e32 v[134:135], v[112:113], v[126:127]
	s_wait_loadcnt 0x4
	s_delay_alu instid0(VALU_DEP_1) | instskip(SKIP_4) | instid1(VALU_DEP_1)
	v_fmac_f64_e32 v[134:135], v[114:115], v[128:129]
	scratch_load_b128 v[112:115], off, off offset:360
	s_wait_dscnt 0x0
	v_fmac_f64_e32 v[134:135], v[116:117], v[130:131]
	s_wait_loadcnt 0x4
	v_fmac_f64_e32 v[134:135], v[118:119], v[132:133]
	scratch_load_b128 v[116:119], off, off offset:376
	ds_load_b128 v[126:129], v2 offset:704
	ds_load_b128 v[130:133], v2 offset:720
	s_wait_dscnt 0x1
	v_fmac_f64_e32 v[134:135], v[120:121], v[126:127]
	s_wait_loadcnt 0x4
	s_delay_alu instid0(VALU_DEP_1) | instskip(SKIP_1) | instid1(VALU_DEP_1)
	v_fmac_f64_e32 v[134:135], v[122:123], v[128:129]
	s_wait_dscnt 0x0
	v_fmac_f64_e32 v[134:135], v[124:125], v[130:131]
	ds_load_b128 v[120:123], v2 offset:736
	ds_load_b128 v[124:127], v2 offset:752
	s_wait_loadcnt 0x3
	v_fmac_f64_e32 v[134:135], v[104:105], v[132:133]
	s_wait_dscnt 0x1
	s_delay_alu instid0(VALU_DEP_1) | instskip(SKIP_1) | instid1(VALU_DEP_1)
	v_fmac_f64_e32 v[134:135], v[106:107], v[120:121]
	s_wait_loadcnt 0x2
	v_fmac_f64_e32 v[134:135], v[108:109], v[122:123]
	ds_load_b128 v[104:107], v2 offset:768
	ds_load_b64 v[108:109], v2 offset:784
	s_wait_dscnt 0x2
	v_fmac_f64_e32 v[134:135], v[110:111], v[124:125]
	s_wait_loadcnt 0x1
	s_delay_alu instid0(VALU_DEP_1) | instskip(SKIP_1) | instid1(VALU_DEP_1)
	v_fmac_f64_e32 v[134:135], v[112:113], v[126:127]
	s_wait_dscnt 0x1
	v_fmac_f64_e32 v[134:135], v[114:115], v[104:105]
	s_wait_loadcnt 0x0
	s_delay_alu instid0(VALU_DEP_1) | instskip(SKIP_1) | instid1(VALU_DEP_1)
	v_fmac_f64_e32 v[134:135], v[116:117], v[106:107]
	s_wait_dscnt 0x0
	v_fmac_f64_e32 v[134:135], v[118:119], v[108:109]
	s_delay_alu instid0(VALU_DEP_1)
	v_add_f64_e64 v[102:103], v[102:103], -v[134:135]
	scratch_store_b64 off, v[102:103], off offset:232
	s_wait_xcnt 0x0
	v_cmpx_lt_u32_e32 28, v0
	s_cbranch_execz .LBB48_247
; %bb.246:
	scratch_load_b64 v[102:103], off, off offset:224
	v_mov_b64_e32 v[104:105], 0
	scratch_store_b64 off, v[104:105], off offset:224
	s_wait_loadcnt 0x0
	ds_store_b64 v1, v[102:103]
.LBB48_247:
	s_wait_xcnt 0x0
	s_or_b32 exec_lo, exec_lo, s0
	s_wait_storecnt_dscnt 0x0
	s_barrier_signal -1
	s_barrier_wait -1
	s_clause 0x5
	scratch_load_b128 v[102:105], off, off offset:224
	scratch_load_b128 v[106:109], off, off offset:240
	;; [unrolled: 1-line block ×6, first 2 shown]
	ds_load_2addr_b64 v[126:129], v2 offset0:79 offset1:80
	ds_load_2addr_b64 v[130:133], v2 offset0:81 offset1:82
	s_mov_b32 s0, exec_lo
	s_wait_loadcnt_dscnt 0x501
	v_fma_f64 v[134:135], v[104:105], v[126:127], 0
	s_wait_loadcnt 0x4
	s_delay_alu instid0(VALU_DEP_1) | instskip(SKIP_4) | instid1(VALU_DEP_1)
	v_fmac_f64_e32 v[134:135], v[106:107], v[128:129]
	scratch_load_b128 v[104:107], off, off offset:320
	s_wait_dscnt 0x0
	v_fmac_f64_e32 v[134:135], v[108:109], v[130:131]
	s_wait_loadcnt 0x4
	v_fmac_f64_e32 v[134:135], v[110:111], v[132:133]
	scratch_load_b128 v[108:111], off, off offset:336
	ds_load_2addr_b64 v[126:129], v2 offset0:83 offset1:84
	ds_load_2addr_b64 v[130:133], v2 offset0:85 offset1:86
	s_wait_dscnt 0x1
	v_fmac_f64_e32 v[134:135], v[112:113], v[126:127]
	s_wait_loadcnt 0x4
	s_delay_alu instid0(VALU_DEP_1) | instskip(SKIP_4) | instid1(VALU_DEP_1)
	v_fmac_f64_e32 v[134:135], v[114:115], v[128:129]
	scratch_load_b128 v[112:115], off, off offset:352
	s_wait_dscnt 0x0
	v_fmac_f64_e32 v[134:135], v[116:117], v[130:131]
	s_wait_loadcnt 0x4
	v_fmac_f64_e32 v[134:135], v[118:119], v[132:133]
	scratch_load_b128 v[116:119], off, off offset:368
	ds_load_2addr_b64 v[126:129], v2 offset0:87 offset1:88
	ds_load_2addr_b64 v[130:133], v2 offset0:89 offset1:90
	s_wait_dscnt 0x1
	v_fmac_f64_e32 v[134:135], v[120:121], v[126:127]
	s_wait_loadcnt 0x4
	s_delay_alu instid0(VALU_DEP_1)
	v_fmac_f64_e32 v[134:135], v[122:123], v[128:129]
	scratch_load_b64 v[128:129], off, off offset:384
	s_wait_dscnt 0x0
	v_fmac_f64_e32 v[134:135], v[124:125], v[130:131]
	ds_load_2addr_b64 v[120:123], v2 offset0:91 offset1:92
	ds_load_2addr_b64 v[124:127], v2 offset0:93 offset1:94
	s_wait_loadcnt 0x4
	v_fmac_f64_e32 v[134:135], v[104:105], v[132:133]
	s_wait_dscnt 0x1
	s_delay_alu instid0(VALU_DEP_1) | instskip(SKIP_1) | instid1(VALU_DEP_1)
	v_fmac_f64_e32 v[134:135], v[106:107], v[120:121]
	s_wait_loadcnt 0x3
	v_fmac_f64_e32 v[134:135], v[108:109], v[122:123]
	s_wait_dscnt 0x0
	s_delay_alu instid0(VALU_DEP_1)
	v_fmac_f64_e32 v[134:135], v[110:111], v[124:125]
	ds_load_2addr_b64 v[104:107], v2 offset0:95 offset1:96
	ds_load_2addr_b64 v[108:111], v2 offset0:97 offset1:98
	s_wait_loadcnt 0x2
	v_fmac_f64_e32 v[134:135], v[112:113], v[126:127]
	s_wait_dscnt 0x1
	s_delay_alu instid0(VALU_DEP_1) | instskip(SKIP_1) | instid1(VALU_DEP_1)
	v_fmac_f64_e32 v[134:135], v[114:115], v[104:105]
	s_wait_loadcnt 0x1
	v_fmac_f64_e32 v[134:135], v[116:117], v[106:107]
	s_wait_dscnt 0x0
	s_delay_alu instid0(VALU_DEP_1) | instskip(SKIP_1) | instid1(VALU_DEP_1)
	v_fmac_f64_e32 v[134:135], v[118:119], v[108:109]
	s_wait_loadcnt 0x0
	v_fmac_f64_e32 v[134:135], v[128:129], v[110:111]
	s_delay_alu instid0(VALU_DEP_1)
	v_add_f64_e64 v[2:3], v[102:103], -v[134:135]
	scratch_store_b64 off, v[2:3], off offset:224
	s_wait_xcnt 0x0
	v_cmpx_lt_u32_e32 27, v0
	s_cbranch_execz .LBB48_249
; %bb.248:
	scratch_load_b64 v[2:3], off, off offset:216
	v_mov_b64_e32 v[102:103], 0
	scratch_store_b64 off, v[102:103], off offset:216
	s_wait_loadcnt 0x0
	ds_store_b64 v1, v[2:3]
.LBB48_249:
	s_wait_xcnt 0x0
	s_or_b32 exec_lo, exec_lo, s0
	s_wait_storecnt_dscnt 0x0
	s_barrier_signal -1
	s_barrier_wait -1
	s_clause 0x5
	scratch_load_b128 v[102:105], off, off offset:216
	scratch_load_b128 v[106:109], off, off offset:232
	;; [unrolled: 1-line block ×6, first 2 shown]
	v_mov_b32_e32 v2, 0
	ds_load_b128 v[126:129], v2 offset:624
	ds_load_b128 v[130:133], v2 offset:640
	s_mov_b32 s0, exec_lo
	s_wait_loadcnt_dscnt 0x501
	v_fma_f64 v[134:135], v[104:105], v[126:127], 0
	s_wait_loadcnt 0x4
	s_delay_alu instid0(VALU_DEP_1) | instskip(SKIP_4) | instid1(VALU_DEP_1)
	v_fmac_f64_e32 v[134:135], v[106:107], v[128:129]
	scratch_load_b128 v[104:107], off, off offset:312
	s_wait_dscnt 0x0
	v_fmac_f64_e32 v[134:135], v[108:109], v[130:131]
	s_wait_loadcnt 0x4
	v_fmac_f64_e32 v[134:135], v[110:111], v[132:133]
	scratch_load_b128 v[108:111], off, off offset:328
	ds_load_b128 v[126:129], v2 offset:656
	ds_load_b128 v[130:133], v2 offset:672
	s_wait_dscnt 0x1
	v_fmac_f64_e32 v[134:135], v[112:113], v[126:127]
	s_wait_loadcnt 0x4
	s_delay_alu instid0(VALU_DEP_1) | instskip(SKIP_4) | instid1(VALU_DEP_1)
	v_fmac_f64_e32 v[134:135], v[114:115], v[128:129]
	scratch_load_b128 v[112:115], off, off offset:344
	s_wait_dscnt 0x0
	v_fmac_f64_e32 v[134:135], v[116:117], v[130:131]
	s_wait_loadcnt 0x4
	v_fmac_f64_e32 v[134:135], v[118:119], v[132:133]
	scratch_load_b128 v[116:119], off, off offset:360
	ds_load_b128 v[126:129], v2 offset:688
	ds_load_b128 v[130:133], v2 offset:704
	s_wait_dscnt 0x1
	v_fmac_f64_e32 v[134:135], v[120:121], v[126:127]
	s_wait_loadcnt 0x4
	s_delay_alu instid0(VALU_DEP_1)
	v_fmac_f64_e32 v[134:135], v[122:123], v[128:129]
	scratch_load_b128 v[120:123], off, off offset:376
	s_wait_dscnt 0x0
	v_fmac_f64_e32 v[134:135], v[124:125], v[130:131]
	ds_load_b128 v[124:127], v2 offset:720
	ds_load_b128 v[128:131], v2 offset:736
	s_wait_loadcnt 0x4
	v_fmac_f64_e32 v[134:135], v[104:105], v[132:133]
	s_wait_dscnt 0x1
	s_delay_alu instid0(VALU_DEP_1) | instskip(SKIP_1) | instid1(VALU_DEP_1)
	v_fmac_f64_e32 v[134:135], v[106:107], v[124:125]
	s_wait_loadcnt 0x3
	v_fmac_f64_e32 v[134:135], v[108:109], v[126:127]
	s_wait_dscnt 0x0
	s_delay_alu instid0(VALU_DEP_1)
	v_fmac_f64_e32 v[134:135], v[110:111], v[128:129]
	ds_load_b128 v[104:107], v2 offset:752
	ds_load_b128 v[108:111], v2 offset:768
	s_wait_loadcnt 0x2
	v_fmac_f64_e32 v[134:135], v[112:113], v[130:131]
	s_wait_dscnt 0x1
	s_delay_alu instid0(VALU_DEP_1) | instskip(SKIP_4) | instid1(VALU_DEP_1)
	v_fmac_f64_e32 v[134:135], v[114:115], v[104:105]
	ds_load_b64 v[104:105], v2 offset:784
	s_wait_loadcnt 0x1
	v_fmac_f64_e32 v[134:135], v[116:117], v[106:107]
	s_wait_dscnt 0x1
	v_fmac_f64_e32 v[134:135], v[118:119], v[108:109]
	s_wait_loadcnt 0x0
	s_delay_alu instid0(VALU_DEP_1) | instskip(SKIP_1) | instid1(VALU_DEP_1)
	v_fmac_f64_e32 v[134:135], v[120:121], v[110:111]
	s_wait_dscnt 0x0
	v_fmac_f64_e32 v[134:135], v[122:123], v[104:105]
	s_delay_alu instid0(VALU_DEP_1)
	v_add_f64_e64 v[102:103], v[102:103], -v[134:135]
	scratch_store_b64 off, v[102:103], off offset:216
	s_wait_xcnt 0x0
	v_cmpx_lt_u32_e32 26, v0
	s_cbranch_execz .LBB48_251
; %bb.250:
	scratch_load_b64 v[102:103], off, off offset:208
	v_mov_b64_e32 v[104:105], 0
	scratch_store_b64 off, v[104:105], off offset:208
	s_wait_loadcnt 0x0
	ds_store_b64 v1, v[102:103]
.LBB48_251:
	s_wait_xcnt 0x0
	s_or_b32 exec_lo, exec_lo, s0
	s_wait_storecnt_dscnt 0x0
	s_barrier_signal -1
	s_barrier_wait -1
	s_clause 0x5
	scratch_load_b128 v[102:105], off, off offset:208
	scratch_load_b128 v[106:109], off, off offset:224
	;; [unrolled: 1-line block ×6, first 2 shown]
	ds_load_2addr_b64 v[126:129], v2 offset0:77 offset1:78
	ds_load_2addr_b64 v[130:133], v2 offset0:79 offset1:80
	scratch_load_b128 v[134:137], off, off offset:304
	s_mov_b32 s0, exec_lo
	s_wait_loadcnt_dscnt 0x601
	v_fma_f64 v[138:139], v[104:105], v[126:127], 0
	s_wait_loadcnt 0x5
	s_delay_alu instid0(VALU_DEP_1) | instskip(SKIP_4) | instid1(VALU_DEP_1)
	v_fmac_f64_e32 v[138:139], v[106:107], v[128:129]
	scratch_load_b128 v[104:107], off, off offset:320
	s_wait_dscnt 0x0
	v_fmac_f64_e32 v[138:139], v[108:109], v[130:131]
	s_wait_loadcnt 0x5
	v_fmac_f64_e32 v[138:139], v[110:111], v[132:133]
	ds_load_2addr_b64 v[108:111], v2 offset0:81 offset1:82
	ds_load_2addr_b64 v[126:129], v2 offset0:83 offset1:84
	s_wait_dscnt 0x1
	v_fmac_f64_e32 v[138:139], v[112:113], v[108:109]
	s_wait_loadcnt 0x4
	s_delay_alu instid0(VALU_DEP_1)
	v_fmac_f64_e32 v[138:139], v[114:115], v[110:111]
	s_clause 0x1
	scratch_load_b128 v[108:111], off, off offset:336
	scratch_load_b128 v[112:115], off, off offset:352
	s_wait_dscnt 0x0
	v_fmac_f64_e32 v[138:139], v[116:117], v[126:127]
	s_wait_loadcnt 0x5
	s_delay_alu instid0(VALU_DEP_1)
	v_fmac_f64_e32 v[138:139], v[118:119], v[128:129]
	ds_load_2addr_b64 v[116:119], v2 offset0:85 offset1:86
	ds_load_2addr_b64 v[126:129], v2 offset0:87 offset1:88
	s_wait_dscnt 0x1
	v_fmac_f64_e32 v[138:139], v[120:121], v[116:117]
	s_wait_loadcnt 0x4
	s_delay_alu instid0(VALU_DEP_1) | instskip(SKIP_4) | instid1(VALU_DEP_1)
	v_fmac_f64_e32 v[138:139], v[122:123], v[118:119]
	scratch_load_b128 v[116:119], off, off offset:368
	s_wait_dscnt 0x0
	v_fmac_f64_e32 v[138:139], v[124:125], v[126:127]
	s_wait_loadcnt 0x4
	v_fmac_f64_e32 v[138:139], v[134:135], v[128:129]
	scratch_load_b64 v[128:129], off, off offset:384
	ds_load_2addr_b64 v[120:123], v2 offset0:89 offset1:90
	ds_load_2addr_b64 v[124:127], v2 offset0:91 offset1:92
	s_wait_dscnt 0x1
	v_fmac_f64_e32 v[138:139], v[136:137], v[120:121]
	s_wait_loadcnt 0x4
	s_delay_alu instid0(VALU_DEP_1) | instskip(SKIP_1) | instid1(VALU_DEP_1)
	v_fmac_f64_e32 v[138:139], v[104:105], v[122:123]
	s_wait_dscnt 0x0
	v_fmac_f64_e32 v[138:139], v[106:107], v[124:125]
	ds_load_2addr_b64 v[104:107], v2 offset0:93 offset1:94
	ds_load_2addr_b64 v[120:123], v2 offset0:95 offset1:96
	s_wait_loadcnt 0x3
	v_fmac_f64_e32 v[138:139], v[108:109], v[126:127]
	s_wait_dscnt 0x1
	s_delay_alu instid0(VALU_DEP_1) | instskip(SKIP_1) | instid1(VALU_DEP_1)
	v_fmac_f64_e32 v[138:139], v[110:111], v[104:105]
	s_wait_loadcnt 0x2
	v_fmac_f64_e32 v[138:139], v[112:113], v[106:107]
	ds_load_2addr_b64 v[104:107], v2 offset0:97 offset1:98
	s_wait_dscnt 0x1
	v_fmac_f64_e32 v[138:139], v[114:115], v[120:121]
	s_wait_loadcnt 0x1
	s_delay_alu instid0(VALU_DEP_1) | instskip(SKIP_1) | instid1(VALU_DEP_1)
	v_fmac_f64_e32 v[138:139], v[116:117], v[122:123]
	s_wait_dscnt 0x0
	v_fmac_f64_e32 v[138:139], v[118:119], v[104:105]
	s_wait_loadcnt 0x0
	s_delay_alu instid0(VALU_DEP_1) | instskip(NEXT) | instid1(VALU_DEP_1)
	v_fmac_f64_e32 v[138:139], v[128:129], v[106:107]
	v_add_f64_e64 v[2:3], v[102:103], -v[138:139]
	scratch_store_b64 off, v[2:3], off offset:208
	s_wait_xcnt 0x0
	v_cmpx_lt_u32_e32 25, v0
	s_cbranch_execz .LBB48_253
; %bb.252:
	scratch_load_b64 v[2:3], off, off offset:200
	v_mov_b64_e32 v[102:103], 0
	scratch_store_b64 off, v[102:103], off offset:200
	s_wait_loadcnt 0x0
	ds_store_b64 v1, v[2:3]
.LBB48_253:
	s_wait_xcnt 0x0
	s_or_b32 exec_lo, exec_lo, s0
	s_wait_storecnt_dscnt 0x0
	s_barrier_signal -1
	s_barrier_wait -1
	s_clause 0x5
	scratch_load_b128 v[102:105], off, off offset:200
	scratch_load_b128 v[106:109], off, off offset:216
	;; [unrolled: 1-line block ×6, first 2 shown]
	v_mov_b32_e32 v2, 0
	ds_load_b128 v[126:129], v2 offset:608
	ds_load_b128 v[130:133], v2 offset:624
	scratch_load_b128 v[134:137], off, off offset:296
	s_mov_b32 s0, exec_lo
	s_wait_loadcnt_dscnt 0x601
	v_fma_f64 v[138:139], v[104:105], v[126:127], 0
	s_wait_loadcnt 0x5
	s_delay_alu instid0(VALU_DEP_1) | instskip(SKIP_4) | instid1(VALU_DEP_1)
	v_fmac_f64_e32 v[138:139], v[106:107], v[128:129]
	scratch_load_b128 v[104:107], off, off offset:312
	s_wait_dscnt 0x0
	v_fmac_f64_e32 v[138:139], v[108:109], v[130:131]
	s_wait_loadcnt 0x5
	v_fmac_f64_e32 v[138:139], v[110:111], v[132:133]
	ds_load_b128 v[108:111], v2 offset:640
	ds_load_b128 v[126:129], v2 offset:656
	s_wait_dscnt 0x1
	v_fmac_f64_e32 v[138:139], v[112:113], v[108:109]
	s_wait_loadcnt 0x4
	s_delay_alu instid0(VALU_DEP_1)
	v_fmac_f64_e32 v[138:139], v[114:115], v[110:111]
	s_clause 0x1
	scratch_load_b128 v[108:111], off, off offset:328
	scratch_load_b128 v[112:115], off, off offset:344
	s_wait_dscnt 0x0
	v_fmac_f64_e32 v[138:139], v[116:117], v[126:127]
	s_wait_loadcnt 0x5
	s_delay_alu instid0(VALU_DEP_1)
	v_fmac_f64_e32 v[138:139], v[118:119], v[128:129]
	ds_load_b128 v[116:119], v2 offset:672
	ds_load_b128 v[126:129], v2 offset:688
	s_wait_dscnt 0x1
	v_fmac_f64_e32 v[138:139], v[120:121], v[116:117]
	s_wait_loadcnt 0x4
	s_delay_alu instid0(VALU_DEP_1)
	v_fmac_f64_e32 v[138:139], v[122:123], v[118:119]
	s_clause 0x1
	scratch_load_b128 v[116:119], off, off offset:360
	scratch_load_b128 v[120:123], off, off offset:376
	s_wait_dscnt 0x0
	v_fmac_f64_e32 v[138:139], v[124:125], v[126:127]
	s_wait_loadcnt 0x5
	s_delay_alu instid0(VALU_DEP_1)
	v_fmac_f64_e32 v[138:139], v[134:135], v[128:129]
	ds_load_b128 v[124:127], v2 offset:704
	ds_load_b128 v[128:131], v2 offset:720
	s_wait_dscnt 0x1
	v_fmac_f64_e32 v[138:139], v[136:137], v[124:125]
	s_wait_loadcnt 0x4
	s_delay_alu instid0(VALU_DEP_1) | instskip(SKIP_1) | instid1(VALU_DEP_1)
	v_fmac_f64_e32 v[138:139], v[104:105], v[126:127]
	s_wait_dscnt 0x0
	v_fmac_f64_e32 v[138:139], v[106:107], v[128:129]
	ds_load_b128 v[104:107], v2 offset:736
	ds_load_b128 v[124:127], v2 offset:752
	s_wait_loadcnt 0x3
	v_fmac_f64_e32 v[138:139], v[108:109], v[130:131]
	s_wait_dscnt 0x1
	s_delay_alu instid0(VALU_DEP_1) | instskip(SKIP_1) | instid1(VALU_DEP_1)
	v_fmac_f64_e32 v[138:139], v[110:111], v[104:105]
	s_wait_loadcnt 0x2
	v_fmac_f64_e32 v[138:139], v[112:113], v[106:107]
	ds_load_b128 v[104:107], v2 offset:768
	ds_load_b64 v[108:109], v2 offset:784
	s_wait_dscnt 0x2
	v_fmac_f64_e32 v[138:139], v[114:115], v[124:125]
	s_wait_loadcnt 0x1
	s_delay_alu instid0(VALU_DEP_1) | instskip(SKIP_1) | instid1(VALU_DEP_1)
	v_fmac_f64_e32 v[138:139], v[116:117], v[126:127]
	s_wait_dscnt 0x1
	v_fmac_f64_e32 v[138:139], v[118:119], v[104:105]
	s_wait_loadcnt 0x0
	s_delay_alu instid0(VALU_DEP_1) | instskip(SKIP_1) | instid1(VALU_DEP_1)
	v_fmac_f64_e32 v[138:139], v[120:121], v[106:107]
	s_wait_dscnt 0x0
	v_fmac_f64_e32 v[138:139], v[122:123], v[108:109]
	s_delay_alu instid0(VALU_DEP_1)
	v_add_f64_e64 v[102:103], v[102:103], -v[138:139]
	scratch_store_b64 off, v[102:103], off offset:200
	s_wait_xcnt 0x0
	v_cmpx_lt_u32_e32 24, v0
	s_cbranch_execz .LBB48_255
; %bb.254:
	scratch_load_b64 v[102:103], off, off offset:192
	v_mov_b64_e32 v[104:105], 0
	scratch_store_b64 off, v[104:105], off offset:192
	s_wait_loadcnt 0x0
	ds_store_b64 v1, v[102:103]
.LBB48_255:
	s_wait_xcnt 0x0
	s_or_b32 exec_lo, exec_lo, s0
	s_wait_storecnt_dscnt 0x0
	s_barrier_signal -1
	s_barrier_wait -1
	s_clause 0x5
	scratch_load_b128 v[102:105], off, off offset:192
	scratch_load_b128 v[106:109], off, off offset:208
	;; [unrolled: 1-line block ×6, first 2 shown]
	ds_load_2addr_b64 v[126:129], v2 offset0:75 offset1:76
	ds_load_2addr_b64 v[130:133], v2 offset0:77 offset1:78
	scratch_load_b128 v[134:137], off, off offset:288
	s_mov_b32 s0, exec_lo
	s_wait_loadcnt_dscnt 0x601
	v_fma_f64 v[138:139], v[104:105], v[126:127], 0
	s_wait_loadcnt 0x5
	s_delay_alu instid0(VALU_DEP_1) | instskip(SKIP_4) | instid1(VALU_DEP_1)
	v_fmac_f64_e32 v[138:139], v[106:107], v[128:129]
	scratch_load_b128 v[104:107], off, off offset:304
	s_wait_dscnt 0x0
	v_fmac_f64_e32 v[138:139], v[108:109], v[130:131]
	s_wait_loadcnt 0x5
	v_fmac_f64_e32 v[138:139], v[110:111], v[132:133]
	ds_load_2addr_b64 v[108:111], v2 offset0:79 offset1:80
	ds_load_2addr_b64 v[126:129], v2 offset0:81 offset1:82
	s_wait_dscnt 0x1
	v_fmac_f64_e32 v[138:139], v[112:113], v[108:109]
	s_wait_loadcnt 0x4
	s_delay_alu instid0(VALU_DEP_1)
	v_fmac_f64_e32 v[138:139], v[114:115], v[110:111]
	s_clause 0x1
	scratch_load_b128 v[108:111], off, off offset:320
	scratch_load_b128 v[112:115], off, off offset:336
	s_wait_dscnt 0x0
	v_fmac_f64_e32 v[138:139], v[116:117], v[126:127]
	s_wait_loadcnt 0x5
	s_delay_alu instid0(VALU_DEP_1)
	v_fmac_f64_e32 v[138:139], v[118:119], v[128:129]
	ds_load_2addr_b64 v[116:119], v2 offset0:83 offset1:84
	ds_load_2addr_b64 v[126:129], v2 offset0:85 offset1:86
	s_wait_dscnt 0x1
	v_fmac_f64_e32 v[138:139], v[120:121], v[116:117]
	s_wait_loadcnt 0x4
	s_delay_alu instid0(VALU_DEP_1)
	v_fmac_f64_e32 v[138:139], v[122:123], v[118:119]
	s_clause 0x1
	scratch_load_b128 v[116:119], off, off offset:352
	scratch_load_b128 v[120:123], off, off offset:368
	s_wait_dscnt 0x0
	v_fmac_f64_e32 v[138:139], v[124:125], v[126:127]
	s_wait_loadcnt 0x5
	s_delay_alu instid0(VALU_DEP_1)
	v_fmac_f64_e32 v[138:139], v[134:135], v[128:129]
	ds_load_2addr_b64 v[124:127], v2 offset0:87 offset1:88
	ds_load_2addr_b64 v[128:131], v2 offset0:89 offset1:90
	scratch_load_b64 v[132:133], off, off offset:384
	s_wait_dscnt 0x1
	v_fmac_f64_e32 v[138:139], v[136:137], v[124:125]
	s_wait_loadcnt 0x5
	s_delay_alu instid0(VALU_DEP_1) | instskip(SKIP_1) | instid1(VALU_DEP_1)
	v_fmac_f64_e32 v[138:139], v[104:105], v[126:127]
	s_wait_dscnt 0x0
	v_fmac_f64_e32 v[138:139], v[106:107], v[128:129]
	ds_load_2addr_b64 v[104:107], v2 offset0:91 offset1:92
	ds_load_2addr_b64 v[124:127], v2 offset0:93 offset1:94
	s_wait_loadcnt 0x4
	v_fmac_f64_e32 v[138:139], v[108:109], v[130:131]
	s_wait_dscnt 0x1
	s_delay_alu instid0(VALU_DEP_1) | instskip(SKIP_1) | instid1(VALU_DEP_1)
	v_fmac_f64_e32 v[138:139], v[110:111], v[104:105]
	s_wait_loadcnt 0x3
	v_fmac_f64_e32 v[138:139], v[112:113], v[106:107]
	ds_load_2addr_b64 v[104:107], v2 offset0:95 offset1:96
	ds_load_2addr_b64 v[108:111], v2 offset0:97 offset1:98
	s_wait_dscnt 0x2
	v_fmac_f64_e32 v[138:139], v[114:115], v[124:125]
	s_wait_loadcnt 0x2
	s_delay_alu instid0(VALU_DEP_1) | instskip(SKIP_1) | instid1(VALU_DEP_1)
	v_fmac_f64_e32 v[138:139], v[116:117], v[126:127]
	s_wait_dscnt 0x1
	v_fmac_f64_e32 v[138:139], v[118:119], v[104:105]
	s_wait_loadcnt 0x1
	s_delay_alu instid0(VALU_DEP_1) | instskip(SKIP_1) | instid1(VALU_DEP_1)
	v_fmac_f64_e32 v[138:139], v[120:121], v[106:107]
	s_wait_dscnt 0x0
	v_fmac_f64_e32 v[138:139], v[122:123], v[108:109]
	s_wait_loadcnt 0x0
	s_delay_alu instid0(VALU_DEP_1) | instskip(NEXT) | instid1(VALU_DEP_1)
	v_fmac_f64_e32 v[138:139], v[132:133], v[110:111]
	v_add_f64_e64 v[2:3], v[102:103], -v[138:139]
	scratch_store_b64 off, v[2:3], off offset:192
	s_wait_xcnt 0x0
	v_cmpx_lt_u32_e32 23, v0
	s_cbranch_execz .LBB48_257
; %bb.256:
	scratch_load_b64 v[2:3], off, off offset:184
	v_mov_b64_e32 v[102:103], 0
	scratch_store_b64 off, v[102:103], off offset:184
	s_wait_loadcnt 0x0
	ds_store_b64 v1, v[2:3]
.LBB48_257:
	s_wait_xcnt 0x0
	s_or_b32 exec_lo, exec_lo, s0
	s_wait_storecnt_dscnt 0x0
	s_barrier_signal -1
	s_barrier_wait -1
	s_clause 0x5
	scratch_load_b128 v[102:105], off, off offset:184
	scratch_load_b128 v[106:109], off, off offset:200
	;; [unrolled: 1-line block ×6, first 2 shown]
	v_mov_b32_e32 v2, 0
	ds_load_b128 v[126:129], v2 offset:592
	ds_load_b128 v[130:133], v2 offset:608
	scratch_load_b128 v[134:137], off, off offset:280
	s_mov_b32 s0, exec_lo
	s_wait_loadcnt_dscnt 0x601
	v_fma_f64 v[138:139], v[104:105], v[126:127], 0
	s_wait_loadcnt 0x5
	s_delay_alu instid0(VALU_DEP_1) | instskip(SKIP_4) | instid1(VALU_DEP_1)
	v_fmac_f64_e32 v[138:139], v[106:107], v[128:129]
	scratch_load_b128 v[104:107], off, off offset:296
	s_wait_dscnt 0x0
	v_fmac_f64_e32 v[138:139], v[108:109], v[130:131]
	s_wait_loadcnt 0x5
	v_fmac_f64_e32 v[138:139], v[110:111], v[132:133]
	ds_load_b128 v[108:111], v2 offset:624
	ds_load_b128 v[126:129], v2 offset:640
	s_wait_dscnt 0x1
	v_fmac_f64_e32 v[138:139], v[112:113], v[108:109]
	s_wait_loadcnt 0x4
	s_delay_alu instid0(VALU_DEP_1)
	v_fmac_f64_e32 v[138:139], v[114:115], v[110:111]
	s_clause 0x1
	scratch_load_b128 v[108:111], off, off offset:312
	scratch_load_b128 v[112:115], off, off offset:328
	s_wait_dscnt 0x0
	v_fmac_f64_e32 v[138:139], v[116:117], v[126:127]
	s_wait_loadcnt 0x5
	s_delay_alu instid0(VALU_DEP_1)
	v_fmac_f64_e32 v[138:139], v[118:119], v[128:129]
	ds_load_b128 v[116:119], v2 offset:656
	ds_load_b128 v[126:129], v2 offset:672
	s_wait_dscnt 0x1
	v_fmac_f64_e32 v[138:139], v[120:121], v[116:117]
	s_wait_loadcnt 0x4
	s_delay_alu instid0(VALU_DEP_1)
	v_fmac_f64_e32 v[138:139], v[122:123], v[118:119]
	s_clause 0x1
	scratch_load_b128 v[116:119], off, off offset:344
	scratch_load_b128 v[120:123], off, off offset:360
	s_wait_dscnt 0x0
	v_fmac_f64_e32 v[138:139], v[124:125], v[126:127]
	s_wait_loadcnt 0x5
	s_delay_alu instid0(VALU_DEP_1)
	v_fmac_f64_e32 v[138:139], v[134:135], v[128:129]
	ds_load_b128 v[124:127], v2 offset:688
	ds_load_b128 v[128:131], v2 offset:704
	s_wait_dscnt 0x1
	v_fmac_f64_e32 v[138:139], v[136:137], v[124:125]
	s_wait_loadcnt 0x4
	s_delay_alu instid0(VALU_DEP_1) | instskip(SKIP_4) | instid1(VALU_DEP_1)
	v_fmac_f64_e32 v[138:139], v[104:105], v[126:127]
	scratch_load_b128 v[124:127], off, off offset:376
	s_wait_dscnt 0x0
	v_fmac_f64_e32 v[138:139], v[106:107], v[128:129]
	s_wait_loadcnt 0x4
	v_fmac_f64_e32 v[138:139], v[108:109], v[130:131]
	ds_load_b128 v[104:107], v2 offset:720
	ds_load_b128 v[128:131], v2 offset:736
	s_wait_dscnt 0x1
	v_fmac_f64_e32 v[138:139], v[110:111], v[104:105]
	s_wait_loadcnt 0x3
	s_delay_alu instid0(VALU_DEP_1)
	v_fmac_f64_e32 v[138:139], v[112:113], v[106:107]
	ds_load_b128 v[104:107], v2 offset:752
	ds_load_b128 v[108:111], v2 offset:768
	s_wait_dscnt 0x2
	v_fmac_f64_e32 v[138:139], v[114:115], v[128:129]
	s_wait_loadcnt 0x2
	s_delay_alu instid0(VALU_DEP_1) | instskip(SKIP_1) | instid1(VALU_DEP_1)
	v_fmac_f64_e32 v[138:139], v[116:117], v[130:131]
	s_wait_dscnt 0x1
	v_fmac_f64_e32 v[138:139], v[118:119], v[104:105]
	ds_load_b64 v[104:105], v2 offset:784
	s_wait_loadcnt 0x1
	v_fmac_f64_e32 v[138:139], v[120:121], v[106:107]
	s_wait_dscnt 0x1
	s_delay_alu instid0(VALU_DEP_1) | instskip(SKIP_1) | instid1(VALU_DEP_1)
	v_fmac_f64_e32 v[138:139], v[122:123], v[108:109]
	s_wait_loadcnt 0x0
	v_fmac_f64_e32 v[138:139], v[124:125], v[110:111]
	s_wait_dscnt 0x0
	s_delay_alu instid0(VALU_DEP_1) | instskip(NEXT) | instid1(VALU_DEP_1)
	v_fmac_f64_e32 v[138:139], v[126:127], v[104:105]
	v_add_f64_e64 v[102:103], v[102:103], -v[138:139]
	scratch_store_b64 off, v[102:103], off offset:184
	s_wait_xcnt 0x0
	v_cmpx_lt_u32_e32 22, v0
	s_cbranch_execz .LBB48_259
; %bb.258:
	scratch_load_b64 v[102:103], off, off offset:176
	v_mov_b64_e32 v[104:105], 0
	scratch_store_b64 off, v[104:105], off offset:176
	s_wait_loadcnt 0x0
	ds_store_b64 v1, v[102:103]
.LBB48_259:
	s_wait_xcnt 0x0
	s_or_b32 exec_lo, exec_lo, s0
	s_wait_storecnt_dscnt 0x0
	s_barrier_signal -1
	s_barrier_wait -1
	s_clause 0x5
	scratch_load_b128 v[102:105], off, off offset:176
	scratch_load_b128 v[106:109], off, off offset:192
	;; [unrolled: 1-line block ×6, first 2 shown]
	ds_load_2addr_b64 v[126:129], v2 offset0:73 offset1:74
	ds_load_2addr_b64 v[130:133], v2 offset0:75 offset1:76
	scratch_load_b128 v[134:137], off, off offset:272
	s_mov_b32 s0, exec_lo
	s_wait_loadcnt_dscnt 0x601
	v_fma_f64 v[138:139], v[104:105], v[126:127], 0
	s_wait_loadcnt 0x5
	s_delay_alu instid0(VALU_DEP_1) | instskip(SKIP_4) | instid1(VALU_DEP_1)
	v_fmac_f64_e32 v[138:139], v[106:107], v[128:129]
	scratch_load_b128 v[104:107], off, off offset:288
	s_wait_dscnt 0x0
	v_fmac_f64_e32 v[138:139], v[108:109], v[130:131]
	s_wait_loadcnt 0x5
	v_fmac_f64_e32 v[138:139], v[110:111], v[132:133]
	ds_load_2addr_b64 v[108:111], v2 offset0:77 offset1:78
	ds_load_2addr_b64 v[126:129], v2 offset0:79 offset1:80
	scratch_load_b128 v[130:133], off, off offset:304
	s_wait_dscnt 0x1
	v_fmac_f64_e32 v[138:139], v[112:113], v[108:109]
	s_wait_loadcnt 0x5
	s_delay_alu instid0(VALU_DEP_1) | instskip(SKIP_4) | instid1(VALU_DEP_1)
	v_fmac_f64_e32 v[138:139], v[114:115], v[110:111]
	scratch_load_b128 v[108:111], off, off offset:320
	s_wait_dscnt 0x0
	v_fmac_f64_e32 v[138:139], v[116:117], v[126:127]
	s_wait_loadcnt 0x5
	v_fmac_f64_e32 v[138:139], v[118:119], v[128:129]
	ds_load_2addr_b64 v[112:115], v2 offset0:81 offset1:82
	ds_load_2addr_b64 v[116:119], v2 offset0:83 offset1:84
	s_wait_dscnt 0x1
	v_fmac_f64_e32 v[138:139], v[120:121], v[112:113]
	s_wait_loadcnt 0x4
	s_delay_alu instid0(VALU_DEP_1) | instskip(SKIP_4) | instid1(VALU_DEP_1)
	v_fmac_f64_e32 v[138:139], v[122:123], v[114:115]
	scratch_load_b128 v[112:115], off, off offset:336
	s_wait_dscnt 0x0
	v_fmac_f64_e32 v[138:139], v[124:125], v[116:117]
	s_wait_loadcnt 0x4
	v_fmac_f64_e32 v[138:139], v[134:135], v[118:119]
	scratch_load_b128 v[116:119], off, off offset:352
	ds_load_2addr_b64 v[120:123], v2 offset0:85 offset1:86
	ds_load_2addr_b64 v[124:127], v2 offset0:87 offset1:88
	scratch_load_b64 v[128:129], off, off offset:384
	s_wait_dscnt 0x1
	v_fmac_f64_e32 v[138:139], v[136:137], v[120:121]
	s_wait_loadcnt 0x5
	s_delay_alu instid0(VALU_DEP_1) | instskip(SKIP_4) | instid1(VALU_DEP_1)
	v_fmac_f64_e32 v[138:139], v[104:105], v[122:123]
	scratch_load_b128 v[120:123], off, off offset:368
	s_wait_dscnt 0x0
	v_fmac_f64_e32 v[138:139], v[106:107], v[124:125]
	s_wait_loadcnt 0x5
	v_fmac_f64_e32 v[138:139], v[130:131], v[126:127]
	ds_load_2addr_b64 v[104:107], v2 offset0:89 offset1:90
	ds_load_2addr_b64 v[124:127], v2 offset0:91 offset1:92
	s_wait_dscnt 0x1
	v_fmac_f64_e32 v[138:139], v[132:133], v[104:105]
	s_wait_loadcnt 0x4
	s_delay_alu instid0(VALU_DEP_1) | instskip(SKIP_1) | instid1(VALU_DEP_1)
	v_fmac_f64_e32 v[138:139], v[108:109], v[106:107]
	s_wait_dscnt 0x0
	v_fmac_f64_e32 v[138:139], v[110:111], v[124:125]
	ds_load_2addr_b64 v[104:107], v2 offset0:93 offset1:94
	ds_load_2addr_b64 v[108:111], v2 offset0:95 offset1:96
	s_wait_loadcnt 0x3
	v_fmac_f64_e32 v[138:139], v[112:113], v[126:127]
	s_wait_dscnt 0x1
	s_delay_alu instid0(VALU_DEP_1) | instskip(SKIP_1) | instid1(VALU_DEP_1)
	v_fmac_f64_e32 v[138:139], v[114:115], v[104:105]
	s_wait_loadcnt 0x2
	v_fmac_f64_e32 v[138:139], v[116:117], v[106:107]
	ds_load_2addr_b64 v[104:107], v2 offset0:97 offset1:98
	s_wait_dscnt 0x1
	v_fmac_f64_e32 v[138:139], v[118:119], v[108:109]
	s_wait_loadcnt 0x0
	s_delay_alu instid0(VALU_DEP_1) | instskip(SKIP_1) | instid1(VALU_DEP_1)
	v_fmac_f64_e32 v[138:139], v[120:121], v[110:111]
	s_wait_dscnt 0x0
	v_fmac_f64_e32 v[138:139], v[122:123], v[104:105]
	s_delay_alu instid0(VALU_DEP_1) | instskip(NEXT) | instid1(VALU_DEP_1)
	v_fmac_f64_e32 v[138:139], v[128:129], v[106:107]
	v_add_f64_e64 v[2:3], v[102:103], -v[138:139]
	scratch_store_b64 off, v[2:3], off offset:176
	s_wait_xcnt 0x0
	v_cmpx_lt_u32_e32 21, v0
	s_cbranch_execz .LBB48_261
; %bb.260:
	scratch_load_b64 v[2:3], off, off offset:168
	v_mov_b64_e32 v[102:103], 0
	scratch_store_b64 off, v[102:103], off offset:168
	s_wait_loadcnt 0x0
	ds_store_b64 v1, v[2:3]
.LBB48_261:
	s_wait_xcnt 0x0
	s_or_b32 exec_lo, exec_lo, s0
	s_wait_storecnt_dscnt 0x0
	s_barrier_signal -1
	s_barrier_wait -1
	s_clause 0x5
	scratch_load_b128 v[102:105], off, off offset:168
	scratch_load_b128 v[106:109], off, off offset:184
	;; [unrolled: 1-line block ×6, first 2 shown]
	v_mov_b32_e32 v2, 0
	ds_load_b128 v[126:129], v2 offset:576
	ds_load_b128 v[130:133], v2 offset:592
	scratch_load_b128 v[134:137], off, off offset:264
	s_mov_b32 s0, exec_lo
	s_wait_loadcnt_dscnt 0x601
	v_fma_f64 v[138:139], v[104:105], v[126:127], 0
	s_wait_loadcnt 0x5
	s_delay_alu instid0(VALU_DEP_1) | instskip(SKIP_4) | instid1(VALU_DEP_1)
	v_fmac_f64_e32 v[138:139], v[106:107], v[128:129]
	scratch_load_b128 v[104:107], off, off offset:280
	s_wait_dscnt 0x0
	v_fmac_f64_e32 v[138:139], v[108:109], v[130:131]
	s_wait_loadcnt 0x5
	v_fmac_f64_e32 v[138:139], v[110:111], v[132:133]
	ds_load_b128 v[108:111], v2 offset:608
	ds_load_b128 v[126:129], v2 offset:624
	scratch_load_b128 v[130:133], off, off offset:296
	s_wait_dscnt 0x1
	v_fmac_f64_e32 v[138:139], v[112:113], v[108:109]
	s_wait_loadcnt 0x5
	s_delay_alu instid0(VALU_DEP_1) | instskip(SKIP_4) | instid1(VALU_DEP_1)
	v_fmac_f64_e32 v[138:139], v[114:115], v[110:111]
	scratch_load_b128 v[108:111], off, off offset:312
	s_wait_dscnt 0x0
	v_fmac_f64_e32 v[138:139], v[116:117], v[126:127]
	s_wait_loadcnt 0x5
	v_fmac_f64_e32 v[138:139], v[118:119], v[128:129]
	ds_load_b128 v[112:115], v2 offset:640
	ds_load_b128 v[116:119], v2 offset:656
	s_wait_dscnt 0x1
	v_fmac_f64_e32 v[138:139], v[120:121], v[112:113]
	s_wait_loadcnt 0x4
	s_delay_alu instid0(VALU_DEP_1) | instskip(SKIP_4) | instid1(VALU_DEP_1)
	v_fmac_f64_e32 v[138:139], v[122:123], v[114:115]
	scratch_load_b128 v[112:115], off, off offset:328
	s_wait_dscnt 0x0
	v_fmac_f64_e32 v[138:139], v[124:125], v[116:117]
	s_wait_loadcnt 0x4
	v_fmac_f64_e32 v[138:139], v[134:135], v[118:119]
	scratch_load_b128 v[116:119], off, off offset:344
	ds_load_b128 v[120:123], v2 offset:672
	ds_load_b128 v[124:127], v2 offset:688
	s_wait_dscnt 0x1
	v_fmac_f64_e32 v[138:139], v[136:137], v[120:121]
	s_wait_loadcnt 0x4
	s_delay_alu instid0(VALU_DEP_1)
	v_fmac_f64_e32 v[138:139], v[104:105], v[122:123]
	scratch_load_b128 v[120:123], off, off offset:360
	s_wait_dscnt 0x0
	v_fmac_f64_e32 v[138:139], v[106:107], v[124:125]
	scratch_load_b128 v[104:107], off, off offset:376
	s_wait_loadcnt 0x5
	v_fmac_f64_e32 v[138:139], v[130:131], v[126:127]
	ds_load_b128 v[124:127], v2 offset:704
	ds_load_b128 v[128:131], v2 offset:720
	s_wait_dscnt 0x1
	v_fmac_f64_e32 v[138:139], v[132:133], v[124:125]
	s_wait_loadcnt 0x4
	s_delay_alu instid0(VALU_DEP_1) | instskip(SKIP_1) | instid1(VALU_DEP_1)
	v_fmac_f64_e32 v[138:139], v[108:109], v[126:127]
	s_wait_dscnt 0x0
	v_fmac_f64_e32 v[138:139], v[110:111], v[128:129]
	ds_load_b128 v[108:111], v2 offset:736
	ds_load_b128 v[124:127], v2 offset:752
	s_wait_loadcnt 0x3
	v_fmac_f64_e32 v[138:139], v[112:113], v[130:131]
	s_wait_dscnt 0x1
	s_delay_alu instid0(VALU_DEP_1) | instskip(SKIP_1) | instid1(VALU_DEP_1)
	v_fmac_f64_e32 v[138:139], v[114:115], v[108:109]
	s_wait_loadcnt 0x2
	v_fmac_f64_e32 v[138:139], v[116:117], v[110:111]
	ds_load_b128 v[108:111], v2 offset:768
	ds_load_b64 v[112:113], v2 offset:784
	s_wait_dscnt 0x2
	v_fmac_f64_e32 v[138:139], v[118:119], v[124:125]
	s_wait_loadcnt 0x1
	s_delay_alu instid0(VALU_DEP_1) | instskip(SKIP_1) | instid1(VALU_DEP_1)
	v_fmac_f64_e32 v[138:139], v[120:121], v[126:127]
	s_wait_dscnt 0x1
	v_fmac_f64_e32 v[138:139], v[122:123], v[108:109]
	s_wait_loadcnt 0x0
	s_delay_alu instid0(VALU_DEP_1) | instskip(SKIP_1) | instid1(VALU_DEP_1)
	v_fmac_f64_e32 v[138:139], v[104:105], v[110:111]
	s_wait_dscnt 0x0
	v_fmac_f64_e32 v[138:139], v[106:107], v[112:113]
	s_delay_alu instid0(VALU_DEP_1)
	v_add_f64_e64 v[102:103], v[102:103], -v[138:139]
	scratch_store_b64 off, v[102:103], off offset:168
	s_wait_xcnt 0x0
	v_cmpx_lt_u32_e32 20, v0
	s_cbranch_execz .LBB48_263
; %bb.262:
	scratch_load_b64 v[102:103], off, off offset:160
	v_mov_b64_e32 v[104:105], 0
	scratch_store_b64 off, v[104:105], off offset:160
	s_wait_loadcnt 0x0
	ds_store_b64 v1, v[102:103]
.LBB48_263:
	s_wait_xcnt 0x0
	s_or_b32 exec_lo, exec_lo, s0
	s_wait_storecnt_dscnt 0x0
	s_barrier_signal -1
	s_barrier_wait -1
	s_clause 0x5
	scratch_load_b128 v[102:105], off, off offset:160
	scratch_load_b128 v[106:109], off, off offset:176
	;; [unrolled: 1-line block ×6, first 2 shown]
	ds_load_2addr_b64 v[126:129], v2 offset0:71 offset1:72
	ds_load_2addr_b64 v[130:133], v2 offset0:73 offset1:74
	scratch_load_b128 v[134:137], off, off offset:256
	s_mov_b32 s0, exec_lo
	s_wait_loadcnt_dscnt 0x601
	v_fma_f64 v[138:139], v[104:105], v[126:127], 0
	s_wait_loadcnt 0x5
	s_delay_alu instid0(VALU_DEP_1) | instskip(SKIP_4) | instid1(VALU_DEP_1)
	v_fmac_f64_e32 v[138:139], v[106:107], v[128:129]
	scratch_load_b128 v[104:107], off, off offset:272
	s_wait_dscnt 0x0
	v_fmac_f64_e32 v[138:139], v[108:109], v[130:131]
	s_wait_loadcnt 0x5
	v_fmac_f64_e32 v[138:139], v[110:111], v[132:133]
	ds_load_2addr_b64 v[108:111], v2 offset0:75 offset1:76
	ds_load_2addr_b64 v[126:129], v2 offset0:77 offset1:78
	scratch_load_b128 v[130:133], off, off offset:288
	s_wait_dscnt 0x1
	v_fmac_f64_e32 v[138:139], v[112:113], v[108:109]
	s_wait_loadcnt 0x5
	s_delay_alu instid0(VALU_DEP_1) | instskip(SKIP_4) | instid1(VALU_DEP_1)
	v_fmac_f64_e32 v[138:139], v[114:115], v[110:111]
	scratch_load_b128 v[108:111], off, off offset:304
	s_wait_dscnt 0x0
	v_fmac_f64_e32 v[138:139], v[116:117], v[126:127]
	s_wait_loadcnt 0x5
	v_fmac_f64_e32 v[138:139], v[118:119], v[128:129]
	ds_load_2addr_b64 v[112:115], v2 offset0:79 offset1:80
	ds_load_2addr_b64 v[116:119], v2 offset0:81 offset1:82
	s_wait_dscnt 0x1
	v_fmac_f64_e32 v[138:139], v[120:121], v[112:113]
	s_wait_loadcnt 0x4
	s_delay_alu instid0(VALU_DEP_1) | instskip(SKIP_4) | instid1(VALU_DEP_1)
	v_fmac_f64_e32 v[138:139], v[122:123], v[114:115]
	scratch_load_b128 v[112:115], off, off offset:320
	s_wait_dscnt 0x0
	v_fmac_f64_e32 v[138:139], v[124:125], v[116:117]
	s_wait_loadcnt 0x4
	v_fmac_f64_e32 v[138:139], v[134:135], v[118:119]
	scratch_load_b128 v[116:119], off, off offset:336
	ds_load_2addr_b64 v[120:123], v2 offset0:83 offset1:84
	ds_load_2addr_b64 v[124:127], v2 offset0:85 offset1:86
	s_wait_dscnt 0x1
	v_fmac_f64_e32 v[138:139], v[136:137], v[120:121]
	s_wait_loadcnt 0x4
	s_delay_alu instid0(VALU_DEP_1)
	v_fmac_f64_e32 v[138:139], v[104:105], v[122:123]
	scratch_load_b128 v[120:123], off, off offset:352
	s_wait_dscnt 0x0
	v_fmac_f64_e32 v[138:139], v[106:107], v[124:125]
	scratch_load_b128 v[104:107], off, off offset:368
	s_wait_loadcnt 0x5
	v_fmac_f64_e32 v[138:139], v[130:131], v[126:127]
	ds_load_2addr_b64 v[124:127], v2 offset0:87 offset1:88
	ds_load_2addr_b64 v[128:131], v2 offset0:89 offset1:90
	s_wait_dscnt 0x1
	v_fmac_f64_e32 v[138:139], v[132:133], v[124:125]
	scratch_load_b64 v[132:133], off, off offset:384
	s_wait_loadcnt 0x5
	v_fmac_f64_e32 v[138:139], v[108:109], v[126:127]
	s_wait_dscnt 0x0
	s_delay_alu instid0(VALU_DEP_1)
	v_fmac_f64_e32 v[138:139], v[110:111], v[128:129]
	ds_load_2addr_b64 v[108:111], v2 offset0:91 offset1:92
	ds_load_2addr_b64 v[124:127], v2 offset0:93 offset1:94
	s_wait_loadcnt 0x4
	v_fmac_f64_e32 v[138:139], v[112:113], v[130:131]
	s_wait_dscnt 0x1
	s_delay_alu instid0(VALU_DEP_1) | instskip(SKIP_1) | instid1(VALU_DEP_1)
	v_fmac_f64_e32 v[138:139], v[114:115], v[108:109]
	s_wait_loadcnt 0x3
	v_fmac_f64_e32 v[138:139], v[116:117], v[110:111]
	ds_load_2addr_b64 v[108:111], v2 offset0:95 offset1:96
	ds_load_2addr_b64 v[112:115], v2 offset0:97 offset1:98
	s_wait_dscnt 0x2
	v_fmac_f64_e32 v[138:139], v[118:119], v[124:125]
	s_wait_loadcnt 0x2
	s_delay_alu instid0(VALU_DEP_1) | instskip(SKIP_1) | instid1(VALU_DEP_1)
	v_fmac_f64_e32 v[138:139], v[120:121], v[126:127]
	s_wait_dscnt 0x1
	v_fmac_f64_e32 v[138:139], v[122:123], v[108:109]
	s_wait_loadcnt 0x1
	s_delay_alu instid0(VALU_DEP_1) | instskip(SKIP_1) | instid1(VALU_DEP_1)
	v_fmac_f64_e32 v[138:139], v[104:105], v[110:111]
	s_wait_dscnt 0x0
	v_fmac_f64_e32 v[138:139], v[106:107], v[112:113]
	s_wait_loadcnt 0x0
	s_delay_alu instid0(VALU_DEP_1) | instskip(NEXT) | instid1(VALU_DEP_1)
	v_fmac_f64_e32 v[138:139], v[132:133], v[114:115]
	v_add_f64_e64 v[2:3], v[102:103], -v[138:139]
	scratch_store_b64 off, v[2:3], off offset:160
	s_wait_xcnt 0x0
	v_cmpx_lt_u32_e32 19, v0
	s_cbranch_execz .LBB48_265
; %bb.264:
	scratch_load_b64 v[2:3], off, off offset:152
	v_mov_b64_e32 v[102:103], 0
	scratch_store_b64 off, v[102:103], off offset:152
	s_wait_loadcnt 0x0
	ds_store_b64 v1, v[2:3]
.LBB48_265:
	s_wait_xcnt 0x0
	s_or_b32 exec_lo, exec_lo, s0
	s_wait_storecnt_dscnt 0x0
	s_barrier_signal -1
	s_barrier_wait -1
	s_clause 0x5
	scratch_load_b128 v[102:105], off, off offset:152
	scratch_load_b128 v[106:109], off, off offset:168
	scratch_load_b128 v[110:113], off, off offset:184
	scratch_load_b128 v[114:117], off, off offset:200
	scratch_load_b128 v[118:121], off, off offset:216
	scratch_load_b128 v[122:125], off, off offset:232
	v_mov_b32_e32 v2, 0
	ds_load_b128 v[126:129], v2 offset:560
	ds_load_b128 v[130:133], v2 offset:576
	scratch_load_b128 v[134:137], off, off offset:248
	s_mov_b32 s0, exec_lo
	s_wait_loadcnt_dscnt 0x601
	v_fma_f64 v[138:139], v[104:105], v[126:127], 0
	s_wait_loadcnt 0x5
	s_delay_alu instid0(VALU_DEP_1) | instskip(SKIP_4) | instid1(VALU_DEP_1)
	v_fmac_f64_e32 v[138:139], v[106:107], v[128:129]
	scratch_load_b128 v[104:107], off, off offset:264
	s_wait_dscnt 0x0
	v_fmac_f64_e32 v[138:139], v[108:109], v[130:131]
	s_wait_loadcnt 0x5
	v_fmac_f64_e32 v[138:139], v[110:111], v[132:133]
	ds_load_b128 v[108:111], v2 offset:592
	ds_load_b128 v[126:129], v2 offset:608
	scratch_load_b128 v[130:133], off, off offset:280
	s_wait_dscnt 0x1
	v_fmac_f64_e32 v[138:139], v[112:113], v[108:109]
	s_wait_loadcnt 0x5
	s_delay_alu instid0(VALU_DEP_1) | instskip(SKIP_4) | instid1(VALU_DEP_1)
	v_fmac_f64_e32 v[138:139], v[114:115], v[110:111]
	scratch_load_b128 v[108:111], off, off offset:296
	s_wait_dscnt 0x0
	v_fmac_f64_e32 v[138:139], v[116:117], v[126:127]
	s_wait_loadcnt 0x5
	v_fmac_f64_e32 v[138:139], v[118:119], v[128:129]
	ds_load_b128 v[112:115], v2 offset:624
	ds_load_b128 v[116:119], v2 offset:640
	s_wait_dscnt 0x1
	v_fmac_f64_e32 v[138:139], v[120:121], v[112:113]
	s_wait_loadcnt 0x4
	s_delay_alu instid0(VALU_DEP_1) | instskip(SKIP_4) | instid1(VALU_DEP_1)
	v_fmac_f64_e32 v[138:139], v[122:123], v[114:115]
	scratch_load_b128 v[112:115], off, off offset:312
	s_wait_dscnt 0x0
	v_fmac_f64_e32 v[138:139], v[124:125], v[116:117]
	s_wait_loadcnt 0x4
	v_fmac_f64_e32 v[138:139], v[134:135], v[118:119]
	scratch_load_b128 v[116:119], off, off offset:328
	ds_load_b128 v[120:123], v2 offset:656
	ds_load_b128 v[124:127], v2 offset:672
	s_wait_dscnt 0x1
	v_fmac_f64_e32 v[138:139], v[136:137], v[120:121]
	s_wait_loadcnt 0x4
	s_delay_alu instid0(VALU_DEP_1)
	v_fmac_f64_e32 v[138:139], v[104:105], v[122:123]
	scratch_load_b128 v[120:123], off, off offset:344
	s_wait_dscnt 0x0
	v_fmac_f64_e32 v[138:139], v[106:107], v[124:125]
	scratch_load_b128 v[104:107], off, off offset:360
	s_wait_loadcnt 0x5
	v_fmac_f64_e32 v[138:139], v[130:131], v[126:127]
	ds_load_b128 v[124:127], v2 offset:688
	ds_load_b128 v[128:131], v2 offset:704
	s_wait_dscnt 0x1
	v_fmac_f64_e32 v[138:139], v[132:133], v[124:125]
	s_wait_loadcnt 0x4
	s_delay_alu instid0(VALU_DEP_1) | instskip(SKIP_4) | instid1(VALU_DEP_1)
	v_fmac_f64_e32 v[138:139], v[108:109], v[126:127]
	scratch_load_b128 v[124:127], off, off offset:376
	s_wait_dscnt 0x0
	v_fmac_f64_e32 v[138:139], v[110:111], v[128:129]
	s_wait_loadcnt 0x4
	v_fmac_f64_e32 v[138:139], v[112:113], v[130:131]
	ds_load_b128 v[108:111], v2 offset:720
	ds_load_b128 v[128:131], v2 offset:736
	s_wait_dscnt 0x1
	v_fmac_f64_e32 v[138:139], v[114:115], v[108:109]
	s_wait_loadcnt 0x3
	s_delay_alu instid0(VALU_DEP_1)
	v_fmac_f64_e32 v[138:139], v[116:117], v[110:111]
	ds_load_b128 v[108:111], v2 offset:752
	ds_load_b128 v[112:115], v2 offset:768
	s_wait_dscnt 0x2
	v_fmac_f64_e32 v[138:139], v[118:119], v[128:129]
	s_wait_loadcnt 0x2
	s_delay_alu instid0(VALU_DEP_1) | instskip(SKIP_1) | instid1(VALU_DEP_1)
	v_fmac_f64_e32 v[138:139], v[120:121], v[130:131]
	s_wait_dscnt 0x1
	v_fmac_f64_e32 v[138:139], v[122:123], v[108:109]
	s_wait_loadcnt 0x1
	s_delay_alu instid0(VALU_DEP_1) | instskip(SKIP_4) | instid1(VALU_DEP_1)
	v_fmac_f64_e32 v[138:139], v[104:105], v[110:111]
	ds_load_b64 v[104:105], v2 offset:784
	s_wait_dscnt 0x1
	v_fmac_f64_e32 v[138:139], v[106:107], v[112:113]
	s_wait_loadcnt 0x0
	v_fmac_f64_e32 v[138:139], v[124:125], v[114:115]
	s_wait_dscnt 0x0
	s_delay_alu instid0(VALU_DEP_1) | instskip(NEXT) | instid1(VALU_DEP_1)
	v_fmac_f64_e32 v[138:139], v[126:127], v[104:105]
	v_add_f64_e64 v[102:103], v[102:103], -v[138:139]
	scratch_store_b64 off, v[102:103], off offset:152
	s_wait_xcnt 0x0
	v_cmpx_lt_u32_e32 18, v0
	s_cbranch_execz .LBB48_267
; %bb.266:
	scratch_load_b64 v[102:103], off, off offset:144
	v_mov_b64_e32 v[104:105], 0
	scratch_store_b64 off, v[104:105], off offset:144
	s_wait_loadcnt 0x0
	ds_store_b64 v1, v[102:103]
.LBB48_267:
	s_wait_xcnt 0x0
	s_or_b32 exec_lo, exec_lo, s0
	s_wait_storecnt_dscnt 0x0
	s_barrier_signal -1
	s_barrier_wait -1
	s_clause 0x5
	scratch_load_b128 v[102:105], off, off offset:144
	scratch_load_b128 v[106:109], off, off offset:160
	scratch_load_b128 v[110:113], off, off offset:176
	scratch_load_b128 v[114:117], off, off offset:192
	scratch_load_b128 v[118:121], off, off offset:208
	scratch_load_b128 v[122:125], off, off offset:224
	ds_load_2addr_b64 v[126:129], v2 offset0:69 offset1:70
	ds_load_2addr_b64 v[130:133], v2 offset0:71 offset1:72
	scratch_load_b128 v[134:137], off, off offset:240
	s_mov_b32 s0, exec_lo
	s_wait_loadcnt_dscnt 0x601
	v_fma_f64 v[138:139], v[104:105], v[126:127], 0
	s_wait_loadcnt 0x5
	s_delay_alu instid0(VALU_DEP_1) | instskip(SKIP_4) | instid1(VALU_DEP_1)
	v_fmac_f64_e32 v[138:139], v[106:107], v[128:129]
	scratch_load_b128 v[104:107], off, off offset:256
	s_wait_dscnt 0x0
	v_fmac_f64_e32 v[138:139], v[108:109], v[130:131]
	s_wait_loadcnt 0x5
	v_fmac_f64_e32 v[138:139], v[110:111], v[132:133]
	ds_load_2addr_b64 v[108:111], v2 offset0:73 offset1:74
	ds_load_2addr_b64 v[126:129], v2 offset0:75 offset1:76
	scratch_load_b128 v[130:133], off, off offset:272
	s_wait_dscnt 0x1
	v_fmac_f64_e32 v[138:139], v[112:113], v[108:109]
	s_wait_loadcnt 0x5
	s_delay_alu instid0(VALU_DEP_1) | instskip(SKIP_4) | instid1(VALU_DEP_1)
	v_fmac_f64_e32 v[138:139], v[114:115], v[110:111]
	scratch_load_b128 v[108:111], off, off offset:288
	s_wait_dscnt 0x0
	v_fmac_f64_e32 v[138:139], v[116:117], v[126:127]
	s_wait_loadcnt 0x5
	v_fmac_f64_e32 v[138:139], v[118:119], v[128:129]
	ds_load_2addr_b64 v[112:115], v2 offset0:77 offset1:78
	ds_load_2addr_b64 v[116:119], v2 offset0:79 offset1:80
	scratch_load_b128 v[126:129], off, off offset:304
	s_wait_dscnt 0x1
	v_fmac_f64_e32 v[138:139], v[120:121], v[112:113]
	s_wait_loadcnt 0x5
	s_delay_alu instid0(VALU_DEP_1) | instskip(SKIP_4) | instid1(VALU_DEP_1)
	v_fmac_f64_e32 v[138:139], v[122:123], v[114:115]
	scratch_load_b128 v[112:115], off, off offset:320
	s_wait_dscnt 0x0
	v_fmac_f64_e32 v[138:139], v[124:125], v[116:117]
	s_wait_loadcnt 0x5
	v_fmac_f64_e32 v[138:139], v[134:135], v[118:119]
	ds_load_2addr_b64 v[116:119], v2 offset0:81 offset1:82
	ds_load_2addr_b64 v[120:123], v2 offset0:83 offset1:84
	s_wait_dscnt 0x1
	v_fmac_f64_e32 v[138:139], v[136:137], v[116:117]
	s_wait_loadcnt 0x4
	s_delay_alu instid0(VALU_DEP_1)
	v_fmac_f64_e32 v[138:139], v[104:105], v[118:119]
	scratch_load_b128 v[116:119], off, off offset:336
	s_wait_dscnt 0x0
	v_fmac_f64_e32 v[138:139], v[106:107], v[120:121]
	scratch_load_b128 v[104:107], off, off offset:352
	s_wait_loadcnt 0x5
	v_fmac_f64_e32 v[138:139], v[130:131], v[122:123]
	ds_load_2addr_b64 v[120:123], v2 offset0:85 offset1:86
	ds_load_2addr_b64 v[134:137], v2 offset0:87 offset1:88
	scratch_load_b64 v[130:131], off, off offset:384
	s_wait_dscnt 0x1
	v_fmac_f64_e32 v[138:139], v[132:133], v[120:121]
	s_wait_loadcnt 0x5
	s_delay_alu instid0(VALU_DEP_1) | instskip(SKIP_4) | instid1(VALU_DEP_1)
	v_fmac_f64_e32 v[138:139], v[108:109], v[122:123]
	scratch_load_b128 v[120:123], off, off offset:368
	s_wait_dscnt 0x0
	v_fmac_f64_e32 v[138:139], v[110:111], v[134:135]
	s_wait_loadcnt 0x5
	v_fmac_f64_e32 v[138:139], v[126:127], v[136:137]
	ds_load_2addr_b64 v[108:111], v2 offset0:89 offset1:90
	ds_load_2addr_b64 v[124:127], v2 offset0:91 offset1:92
	s_wait_dscnt 0x1
	v_fmac_f64_e32 v[138:139], v[128:129], v[108:109]
	s_wait_loadcnt 0x4
	s_delay_alu instid0(VALU_DEP_1) | instskip(SKIP_1) | instid1(VALU_DEP_1)
	v_fmac_f64_e32 v[138:139], v[112:113], v[110:111]
	s_wait_dscnt 0x0
	v_fmac_f64_e32 v[138:139], v[114:115], v[124:125]
	ds_load_2addr_b64 v[108:111], v2 offset0:93 offset1:94
	ds_load_2addr_b64 v[112:115], v2 offset0:95 offset1:96
	s_wait_loadcnt 0x3
	v_fmac_f64_e32 v[138:139], v[116:117], v[126:127]
	s_wait_dscnt 0x1
	s_delay_alu instid0(VALU_DEP_1) | instskip(SKIP_1) | instid1(VALU_DEP_1)
	v_fmac_f64_e32 v[138:139], v[118:119], v[108:109]
	s_wait_loadcnt 0x2
	v_fmac_f64_e32 v[138:139], v[104:105], v[110:111]
	s_wait_dscnt 0x0
	s_delay_alu instid0(VALU_DEP_1) | instskip(SKIP_4) | instid1(VALU_DEP_1)
	v_fmac_f64_e32 v[138:139], v[106:107], v[112:113]
	ds_load_2addr_b64 v[104:107], v2 offset0:97 offset1:98
	s_wait_loadcnt 0x0
	v_fmac_f64_e32 v[138:139], v[120:121], v[114:115]
	s_wait_dscnt 0x0
	v_fmac_f64_e32 v[138:139], v[122:123], v[104:105]
	s_delay_alu instid0(VALU_DEP_1) | instskip(NEXT) | instid1(VALU_DEP_1)
	v_fmac_f64_e32 v[138:139], v[130:131], v[106:107]
	v_add_f64_e64 v[2:3], v[102:103], -v[138:139]
	scratch_store_b64 off, v[2:3], off offset:144
	s_wait_xcnt 0x0
	v_cmpx_lt_u32_e32 17, v0
	s_cbranch_execz .LBB48_269
; %bb.268:
	scratch_load_b64 v[2:3], off, off offset:136
	v_mov_b64_e32 v[102:103], 0
	scratch_store_b64 off, v[102:103], off offset:136
	s_wait_loadcnt 0x0
	ds_store_b64 v1, v[2:3]
.LBB48_269:
	s_wait_xcnt 0x0
	s_or_b32 exec_lo, exec_lo, s0
	s_wait_storecnt_dscnt 0x0
	s_barrier_signal -1
	s_barrier_wait -1
	s_clause 0x5
	scratch_load_b128 v[102:105], off, off offset:136
	scratch_load_b128 v[106:109], off, off offset:152
	;; [unrolled: 1-line block ×6, first 2 shown]
	v_mov_b32_e32 v2, 0
	ds_load_b128 v[126:129], v2 offset:544
	ds_load_b128 v[130:133], v2 offset:560
	scratch_load_b128 v[134:137], off, off offset:232
	s_mov_b32 s0, exec_lo
	s_wait_loadcnt_dscnt 0x601
	v_fma_f64 v[138:139], v[104:105], v[126:127], 0
	s_wait_loadcnt 0x5
	s_delay_alu instid0(VALU_DEP_1) | instskip(SKIP_4) | instid1(VALU_DEP_1)
	v_fmac_f64_e32 v[138:139], v[106:107], v[128:129]
	scratch_load_b128 v[104:107], off, off offset:248
	s_wait_dscnt 0x0
	v_fmac_f64_e32 v[138:139], v[108:109], v[130:131]
	s_wait_loadcnt 0x5
	v_fmac_f64_e32 v[138:139], v[110:111], v[132:133]
	ds_load_b128 v[108:111], v2 offset:576
	ds_load_b128 v[126:129], v2 offset:592
	scratch_load_b128 v[130:133], off, off offset:264
	s_wait_dscnt 0x1
	v_fmac_f64_e32 v[138:139], v[112:113], v[108:109]
	s_wait_loadcnt 0x5
	s_delay_alu instid0(VALU_DEP_1) | instskip(SKIP_4) | instid1(VALU_DEP_1)
	v_fmac_f64_e32 v[138:139], v[114:115], v[110:111]
	scratch_load_b128 v[108:111], off, off offset:280
	s_wait_dscnt 0x0
	v_fmac_f64_e32 v[138:139], v[116:117], v[126:127]
	s_wait_loadcnt 0x5
	v_fmac_f64_e32 v[138:139], v[118:119], v[128:129]
	ds_load_b128 v[112:115], v2 offset:608
	ds_load_b128 v[116:119], v2 offset:624
	scratch_load_b128 v[126:129], off, off offset:296
	s_wait_dscnt 0x1
	v_fmac_f64_e32 v[138:139], v[120:121], v[112:113]
	s_wait_loadcnt 0x5
	s_delay_alu instid0(VALU_DEP_1) | instskip(SKIP_4) | instid1(VALU_DEP_1)
	v_fmac_f64_e32 v[138:139], v[122:123], v[114:115]
	scratch_load_b128 v[112:115], off, off offset:312
	s_wait_dscnt 0x0
	v_fmac_f64_e32 v[138:139], v[124:125], v[116:117]
	s_wait_loadcnt 0x5
	v_fmac_f64_e32 v[138:139], v[134:135], v[118:119]
	ds_load_b128 v[116:119], v2 offset:640
	ds_load_b128 v[120:123], v2 offset:656
	s_wait_dscnt 0x1
	v_fmac_f64_e32 v[138:139], v[136:137], v[116:117]
	s_wait_loadcnt 0x4
	s_delay_alu instid0(VALU_DEP_1)
	v_fmac_f64_e32 v[138:139], v[104:105], v[118:119]
	scratch_load_b128 v[116:119], off, off offset:328
	s_wait_dscnt 0x0
	v_fmac_f64_e32 v[138:139], v[106:107], v[120:121]
	scratch_load_b128 v[104:107], off, off offset:344
	s_wait_loadcnt 0x5
	v_fmac_f64_e32 v[138:139], v[130:131], v[122:123]
	ds_load_b128 v[120:123], v2 offset:672
	ds_load_b128 v[134:137], v2 offset:688
	s_wait_dscnt 0x1
	v_fmac_f64_e32 v[138:139], v[132:133], v[120:121]
	s_wait_loadcnt 0x4
	s_delay_alu instid0(VALU_DEP_1)
	v_fmac_f64_e32 v[138:139], v[108:109], v[122:123]
	scratch_load_b128 v[120:123], off, off offset:360
	s_wait_dscnt 0x0
	v_fmac_f64_e32 v[138:139], v[110:111], v[134:135]
	scratch_load_b128 v[108:111], off, off offset:376
	s_wait_loadcnt 0x5
	v_fmac_f64_e32 v[138:139], v[126:127], v[136:137]
	ds_load_b128 v[124:127], v2 offset:704
	ds_load_b128 v[130:133], v2 offset:720
	s_wait_dscnt 0x1
	v_fmac_f64_e32 v[138:139], v[128:129], v[124:125]
	s_wait_loadcnt 0x4
	s_delay_alu instid0(VALU_DEP_1) | instskip(SKIP_1) | instid1(VALU_DEP_1)
	v_fmac_f64_e32 v[138:139], v[112:113], v[126:127]
	s_wait_dscnt 0x0
	v_fmac_f64_e32 v[138:139], v[114:115], v[130:131]
	ds_load_b128 v[112:115], v2 offset:736
	ds_load_b128 v[124:127], v2 offset:752
	s_wait_loadcnt 0x3
	v_fmac_f64_e32 v[138:139], v[116:117], v[132:133]
	s_wait_dscnt 0x1
	s_delay_alu instid0(VALU_DEP_1) | instskip(SKIP_1) | instid1(VALU_DEP_1)
	v_fmac_f64_e32 v[138:139], v[118:119], v[112:113]
	s_wait_loadcnt 0x2
	v_fmac_f64_e32 v[138:139], v[104:105], v[114:115]
	s_wait_dscnt 0x0
	s_delay_alu instid0(VALU_DEP_1)
	v_fmac_f64_e32 v[138:139], v[106:107], v[124:125]
	ds_load_b128 v[104:107], v2 offset:768
	ds_load_b64 v[112:113], v2 offset:784
	s_wait_loadcnt 0x1
	v_fmac_f64_e32 v[138:139], v[120:121], v[126:127]
	s_wait_dscnt 0x1
	s_delay_alu instid0(VALU_DEP_1) | instskip(SKIP_1) | instid1(VALU_DEP_1)
	v_fmac_f64_e32 v[138:139], v[122:123], v[104:105]
	s_wait_loadcnt 0x0
	v_fmac_f64_e32 v[138:139], v[108:109], v[106:107]
	s_wait_dscnt 0x0
	s_delay_alu instid0(VALU_DEP_1) | instskip(NEXT) | instid1(VALU_DEP_1)
	v_fmac_f64_e32 v[138:139], v[110:111], v[112:113]
	v_add_f64_e64 v[102:103], v[102:103], -v[138:139]
	scratch_store_b64 off, v[102:103], off offset:136
	s_wait_xcnt 0x0
	v_cmpx_lt_u32_e32 16, v0
	s_cbranch_execz .LBB48_271
; %bb.270:
	scratch_load_b64 v[102:103], off, off offset:128
	v_mov_b64_e32 v[104:105], 0
	scratch_store_b64 off, v[104:105], off offset:128
	s_wait_loadcnt 0x0
	ds_store_b64 v1, v[102:103]
.LBB48_271:
	s_wait_xcnt 0x0
	s_or_b32 exec_lo, exec_lo, s0
	s_wait_storecnt_dscnt 0x0
	s_barrier_signal -1
	s_barrier_wait -1
	s_clause 0x5
	scratch_load_b128 v[102:105], off, off offset:128
	scratch_load_b128 v[106:109], off, off offset:144
	;; [unrolled: 1-line block ×6, first 2 shown]
	ds_load_2addr_b64 v[126:129], v2 offset0:67 offset1:68
	ds_load_2addr_b64 v[130:133], v2 offset0:69 offset1:70
	scratch_load_b128 v[134:137], off, off offset:224
	s_mov_b32 s0, exec_lo
	s_wait_loadcnt_dscnt 0x601
	v_fma_f64 v[138:139], v[104:105], v[126:127], 0
	s_wait_loadcnt 0x5
	s_delay_alu instid0(VALU_DEP_1) | instskip(SKIP_4) | instid1(VALU_DEP_1)
	v_fmac_f64_e32 v[138:139], v[106:107], v[128:129]
	scratch_load_b128 v[104:107], off, off offset:240
	s_wait_dscnt 0x0
	v_fmac_f64_e32 v[138:139], v[108:109], v[130:131]
	s_wait_loadcnt 0x5
	v_fmac_f64_e32 v[138:139], v[110:111], v[132:133]
	ds_load_2addr_b64 v[108:111], v2 offset0:71 offset1:72
	ds_load_2addr_b64 v[126:129], v2 offset0:73 offset1:74
	scratch_load_b128 v[130:133], off, off offset:256
	s_wait_dscnt 0x1
	v_fmac_f64_e32 v[138:139], v[112:113], v[108:109]
	s_wait_loadcnt 0x5
	s_delay_alu instid0(VALU_DEP_1) | instskip(SKIP_4) | instid1(VALU_DEP_1)
	v_fmac_f64_e32 v[138:139], v[114:115], v[110:111]
	scratch_load_b128 v[108:111], off, off offset:272
	s_wait_dscnt 0x0
	v_fmac_f64_e32 v[138:139], v[116:117], v[126:127]
	s_wait_loadcnt 0x5
	v_fmac_f64_e32 v[138:139], v[118:119], v[128:129]
	ds_load_2addr_b64 v[112:115], v2 offset0:75 offset1:76
	ds_load_2addr_b64 v[116:119], v2 offset0:77 offset1:78
	scratch_load_b128 v[126:129], off, off offset:288
	s_wait_dscnt 0x1
	v_fmac_f64_e32 v[138:139], v[120:121], v[112:113]
	s_wait_loadcnt 0x5
	s_delay_alu instid0(VALU_DEP_1) | instskip(SKIP_4) | instid1(VALU_DEP_1)
	v_fmac_f64_e32 v[138:139], v[122:123], v[114:115]
	scratch_load_b128 v[112:115], off, off offset:304
	s_wait_dscnt 0x0
	v_fmac_f64_e32 v[138:139], v[124:125], v[116:117]
	s_wait_loadcnt 0x5
	v_fmac_f64_e32 v[138:139], v[134:135], v[118:119]
	ds_load_2addr_b64 v[116:119], v2 offset0:79 offset1:80
	ds_load_2addr_b64 v[120:123], v2 offset0:81 offset1:82
	s_wait_dscnt 0x1
	v_fmac_f64_e32 v[138:139], v[136:137], v[116:117]
	s_wait_loadcnt 0x4
	s_delay_alu instid0(VALU_DEP_1)
	v_fmac_f64_e32 v[138:139], v[104:105], v[118:119]
	scratch_load_b128 v[116:119], off, off offset:320
	s_wait_dscnt 0x0
	v_fmac_f64_e32 v[138:139], v[106:107], v[120:121]
	scratch_load_b128 v[104:107], off, off offset:336
	s_wait_loadcnt 0x5
	v_fmac_f64_e32 v[138:139], v[130:131], v[122:123]
	ds_load_2addr_b64 v[120:123], v2 offset0:83 offset1:84
	ds_load_2addr_b64 v[134:137], v2 offset0:85 offset1:86
	s_wait_dscnt 0x1
	v_fmac_f64_e32 v[138:139], v[132:133], v[120:121]
	s_wait_loadcnt 0x4
	s_delay_alu instid0(VALU_DEP_1)
	v_fmac_f64_e32 v[138:139], v[108:109], v[122:123]
	scratch_load_b128 v[120:123], off, off offset:352
	s_wait_dscnt 0x0
	v_fmac_f64_e32 v[138:139], v[110:111], v[134:135]
	scratch_load_b128 v[108:111], off, off offset:368
	s_wait_loadcnt 0x5
	v_fmac_f64_e32 v[138:139], v[126:127], v[136:137]
	ds_load_2addr_b64 v[124:127], v2 offset0:87 offset1:88
	ds_load_2addr_b64 v[130:133], v2 offset0:89 offset1:90
	s_wait_dscnt 0x1
	v_fmac_f64_e32 v[138:139], v[128:129], v[124:125]
	scratch_load_b64 v[128:129], off, off offset:384
	s_wait_loadcnt 0x5
	v_fmac_f64_e32 v[138:139], v[112:113], v[126:127]
	s_wait_dscnt 0x0
	s_delay_alu instid0(VALU_DEP_1)
	v_fmac_f64_e32 v[138:139], v[114:115], v[130:131]
	ds_load_2addr_b64 v[112:115], v2 offset0:91 offset1:92
	ds_load_2addr_b64 v[124:127], v2 offset0:93 offset1:94
	s_wait_loadcnt 0x4
	v_fmac_f64_e32 v[138:139], v[116:117], v[132:133]
	s_wait_dscnt 0x1
	s_delay_alu instid0(VALU_DEP_1) | instskip(SKIP_1) | instid1(VALU_DEP_1)
	v_fmac_f64_e32 v[138:139], v[118:119], v[112:113]
	s_wait_loadcnt 0x3
	v_fmac_f64_e32 v[138:139], v[104:105], v[114:115]
	s_wait_dscnt 0x0
	s_delay_alu instid0(VALU_DEP_1)
	v_fmac_f64_e32 v[138:139], v[106:107], v[124:125]
	ds_load_2addr_b64 v[104:107], v2 offset0:95 offset1:96
	ds_load_2addr_b64 v[112:115], v2 offset0:97 offset1:98
	s_wait_loadcnt 0x2
	v_fmac_f64_e32 v[138:139], v[120:121], v[126:127]
	s_wait_dscnt 0x1
	s_delay_alu instid0(VALU_DEP_1) | instskip(SKIP_1) | instid1(VALU_DEP_1)
	v_fmac_f64_e32 v[138:139], v[122:123], v[104:105]
	s_wait_loadcnt 0x1
	v_fmac_f64_e32 v[138:139], v[108:109], v[106:107]
	s_wait_dscnt 0x0
	s_delay_alu instid0(VALU_DEP_1) | instskip(SKIP_1) | instid1(VALU_DEP_1)
	v_fmac_f64_e32 v[138:139], v[110:111], v[112:113]
	s_wait_loadcnt 0x0
	v_fmac_f64_e32 v[138:139], v[128:129], v[114:115]
	s_delay_alu instid0(VALU_DEP_1)
	v_add_f64_e64 v[2:3], v[102:103], -v[138:139]
	scratch_store_b64 off, v[2:3], off offset:128
	s_wait_xcnt 0x0
	v_cmpx_lt_u32_e32 15, v0
	s_cbranch_execz .LBB48_273
; %bb.272:
	scratch_load_b64 v[2:3], off, off offset:120
	v_mov_b64_e32 v[102:103], 0
	scratch_store_b64 off, v[102:103], off offset:120
	s_wait_loadcnt 0x0
	ds_store_b64 v1, v[2:3]
.LBB48_273:
	s_wait_xcnt 0x0
	s_or_b32 exec_lo, exec_lo, s0
	s_wait_storecnt_dscnt 0x0
	s_barrier_signal -1
	s_barrier_wait -1
	s_clause 0x5
	scratch_load_b128 v[102:105], off, off offset:120
	scratch_load_b128 v[106:109], off, off offset:136
	;; [unrolled: 1-line block ×6, first 2 shown]
	v_mov_b32_e32 v2, 0
	ds_load_b128 v[126:129], v2 offset:528
	ds_load_b128 v[130:133], v2 offset:544
	scratch_load_b128 v[134:137], off, off offset:216
	s_mov_b32 s0, exec_lo
	s_wait_loadcnt_dscnt 0x601
	v_fma_f64 v[138:139], v[104:105], v[126:127], 0
	s_wait_loadcnt 0x5
	s_delay_alu instid0(VALU_DEP_1) | instskip(SKIP_4) | instid1(VALU_DEP_1)
	v_fmac_f64_e32 v[138:139], v[106:107], v[128:129]
	scratch_load_b128 v[104:107], off, off offset:232
	s_wait_dscnt 0x0
	v_fmac_f64_e32 v[138:139], v[108:109], v[130:131]
	s_wait_loadcnt 0x5
	v_fmac_f64_e32 v[138:139], v[110:111], v[132:133]
	ds_load_b128 v[108:111], v2 offset:560
	ds_load_b128 v[126:129], v2 offset:576
	scratch_load_b128 v[130:133], off, off offset:248
	s_wait_dscnt 0x1
	v_fmac_f64_e32 v[138:139], v[112:113], v[108:109]
	s_wait_loadcnt 0x5
	s_delay_alu instid0(VALU_DEP_1) | instskip(SKIP_4) | instid1(VALU_DEP_1)
	v_fmac_f64_e32 v[138:139], v[114:115], v[110:111]
	scratch_load_b128 v[108:111], off, off offset:264
	s_wait_dscnt 0x0
	v_fmac_f64_e32 v[138:139], v[116:117], v[126:127]
	s_wait_loadcnt 0x5
	v_fmac_f64_e32 v[138:139], v[118:119], v[128:129]
	ds_load_b128 v[112:115], v2 offset:592
	ds_load_b128 v[116:119], v2 offset:608
	scratch_load_b128 v[126:129], off, off offset:280
	s_wait_dscnt 0x1
	v_fmac_f64_e32 v[138:139], v[120:121], v[112:113]
	s_wait_loadcnt 0x5
	s_delay_alu instid0(VALU_DEP_1) | instskip(SKIP_4) | instid1(VALU_DEP_1)
	v_fmac_f64_e32 v[138:139], v[122:123], v[114:115]
	scratch_load_b128 v[112:115], off, off offset:296
	s_wait_dscnt 0x0
	v_fmac_f64_e32 v[138:139], v[124:125], v[116:117]
	s_wait_loadcnt 0x5
	v_fmac_f64_e32 v[138:139], v[134:135], v[118:119]
	ds_load_b128 v[116:119], v2 offset:624
	ds_load_b128 v[120:123], v2 offset:640
	s_wait_dscnt 0x1
	v_fmac_f64_e32 v[138:139], v[136:137], v[116:117]
	s_wait_loadcnt 0x4
	s_delay_alu instid0(VALU_DEP_1)
	v_fmac_f64_e32 v[138:139], v[104:105], v[118:119]
	scratch_load_b128 v[116:119], off, off offset:312
	s_wait_dscnt 0x0
	v_fmac_f64_e32 v[138:139], v[106:107], v[120:121]
	scratch_load_b128 v[104:107], off, off offset:328
	s_wait_loadcnt 0x5
	v_fmac_f64_e32 v[138:139], v[130:131], v[122:123]
	ds_load_b128 v[120:123], v2 offset:656
	ds_load_b128 v[134:137], v2 offset:672
	s_wait_dscnt 0x1
	v_fmac_f64_e32 v[138:139], v[132:133], v[120:121]
	s_wait_loadcnt 0x4
	s_delay_alu instid0(VALU_DEP_1)
	v_fmac_f64_e32 v[138:139], v[108:109], v[122:123]
	scratch_load_b128 v[120:123], off, off offset:344
	s_wait_dscnt 0x0
	v_fmac_f64_e32 v[138:139], v[110:111], v[134:135]
	scratch_load_b128 v[108:111], off, off offset:360
	s_wait_loadcnt 0x5
	v_fmac_f64_e32 v[138:139], v[126:127], v[136:137]
	ds_load_b128 v[124:127], v2 offset:688
	ds_load_b128 v[130:133], v2 offset:704
	s_wait_dscnt 0x1
	v_fmac_f64_e32 v[138:139], v[128:129], v[124:125]
	s_wait_loadcnt 0x4
	s_delay_alu instid0(VALU_DEP_1)
	v_fmac_f64_e32 v[138:139], v[112:113], v[126:127]
	scratch_load_b128 v[124:127], off, off offset:376
	s_wait_dscnt 0x0
	v_fmac_f64_e32 v[138:139], v[114:115], v[130:131]
	ds_load_b128 v[112:115], v2 offset:720
	ds_load_b128 v[128:131], v2 offset:736
	s_wait_loadcnt 0x4
	v_fmac_f64_e32 v[138:139], v[116:117], v[132:133]
	s_wait_dscnt 0x1
	s_delay_alu instid0(VALU_DEP_1) | instskip(SKIP_1) | instid1(VALU_DEP_1)
	v_fmac_f64_e32 v[138:139], v[118:119], v[112:113]
	s_wait_loadcnt 0x3
	v_fmac_f64_e32 v[138:139], v[104:105], v[114:115]
	s_wait_dscnt 0x0
	s_delay_alu instid0(VALU_DEP_1)
	v_fmac_f64_e32 v[138:139], v[106:107], v[128:129]
	ds_load_b128 v[104:107], v2 offset:752
	ds_load_b128 v[112:115], v2 offset:768
	s_wait_loadcnt 0x2
	v_fmac_f64_e32 v[138:139], v[120:121], v[130:131]
	s_wait_dscnt 0x1
	s_delay_alu instid0(VALU_DEP_1) | instskip(SKIP_4) | instid1(VALU_DEP_1)
	v_fmac_f64_e32 v[138:139], v[122:123], v[104:105]
	ds_load_b64 v[104:105], v2 offset:784
	s_wait_loadcnt 0x1
	v_fmac_f64_e32 v[138:139], v[108:109], v[106:107]
	s_wait_dscnt 0x1
	v_fmac_f64_e32 v[138:139], v[110:111], v[112:113]
	s_wait_loadcnt 0x0
	s_delay_alu instid0(VALU_DEP_1) | instskip(SKIP_1) | instid1(VALU_DEP_1)
	v_fmac_f64_e32 v[138:139], v[124:125], v[114:115]
	s_wait_dscnt 0x0
	v_fmac_f64_e32 v[138:139], v[126:127], v[104:105]
	s_delay_alu instid0(VALU_DEP_1)
	v_add_f64_e64 v[102:103], v[102:103], -v[138:139]
	scratch_store_b64 off, v[102:103], off offset:120
	s_wait_xcnt 0x0
	v_cmpx_lt_u32_e32 14, v0
	s_cbranch_execz .LBB48_275
; %bb.274:
	scratch_load_b64 v[102:103], off, off offset:112
	v_mov_b64_e32 v[104:105], 0
	scratch_store_b64 off, v[104:105], off offset:112
	s_wait_loadcnt 0x0
	ds_store_b64 v1, v[102:103]
.LBB48_275:
	s_wait_xcnt 0x0
	s_or_b32 exec_lo, exec_lo, s0
	s_wait_storecnt_dscnt 0x0
	s_barrier_signal -1
	s_barrier_wait -1
	s_clause 0x5
	scratch_load_b128 v[102:105], off, off offset:112
	scratch_load_b128 v[106:109], off, off offset:128
	;; [unrolled: 1-line block ×6, first 2 shown]
	ds_load_2addr_b64 v[126:129], v2 offset0:65 offset1:66
	ds_load_2addr_b64 v[130:133], v2 offset0:67 offset1:68
	scratch_load_b128 v[134:137], off, off offset:208
	s_mov_b32 s0, exec_lo
	s_wait_loadcnt_dscnt 0x601
	v_fma_f64 v[138:139], v[104:105], v[126:127], 0
	s_wait_loadcnt 0x5
	s_delay_alu instid0(VALU_DEP_1) | instskip(SKIP_4) | instid1(VALU_DEP_1)
	v_fmac_f64_e32 v[138:139], v[106:107], v[128:129]
	scratch_load_b128 v[104:107], off, off offset:224
	s_wait_dscnt 0x0
	v_fmac_f64_e32 v[138:139], v[108:109], v[130:131]
	s_wait_loadcnt 0x5
	v_fmac_f64_e32 v[138:139], v[110:111], v[132:133]
	ds_load_2addr_b64 v[108:111], v2 offset0:69 offset1:70
	ds_load_2addr_b64 v[126:129], v2 offset0:71 offset1:72
	scratch_load_b128 v[130:133], off, off offset:240
	s_wait_dscnt 0x1
	v_fmac_f64_e32 v[138:139], v[112:113], v[108:109]
	s_wait_loadcnt 0x5
	s_delay_alu instid0(VALU_DEP_1) | instskip(SKIP_4) | instid1(VALU_DEP_1)
	v_fmac_f64_e32 v[138:139], v[114:115], v[110:111]
	scratch_load_b128 v[108:111], off, off offset:256
	s_wait_dscnt 0x0
	v_fmac_f64_e32 v[138:139], v[116:117], v[126:127]
	s_wait_loadcnt 0x5
	v_fmac_f64_e32 v[138:139], v[118:119], v[128:129]
	ds_load_2addr_b64 v[112:115], v2 offset0:73 offset1:74
	ds_load_2addr_b64 v[116:119], v2 offset0:75 offset1:76
	scratch_load_b128 v[126:129], off, off offset:272
	s_wait_dscnt 0x1
	v_fmac_f64_e32 v[138:139], v[120:121], v[112:113]
	s_wait_loadcnt 0x5
	s_delay_alu instid0(VALU_DEP_1) | instskip(SKIP_4) | instid1(VALU_DEP_1)
	v_fmac_f64_e32 v[138:139], v[122:123], v[114:115]
	scratch_load_b128 v[112:115], off, off offset:288
	s_wait_dscnt 0x0
	v_fmac_f64_e32 v[138:139], v[124:125], v[116:117]
	s_wait_loadcnt 0x5
	v_fmac_f64_e32 v[138:139], v[134:135], v[118:119]
	ds_load_2addr_b64 v[116:119], v2 offset0:77 offset1:78
	ds_load_2addr_b64 v[120:123], v2 offset0:79 offset1:80
	s_wait_dscnt 0x1
	v_fmac_f64_e32 v[138:139], v[136:137], v[116:117]
	scratch_load_b128 v[134:137], off, off offset:304
	s_wait_loadcnt 0x5
	v_fmac_f64_e32 v[138:139], v[104:105], v[118:119]
	s_wait_dscnt 0x0
	s_delay_alu instid0(VALU_DEP_1)
	v_fmac_f64_e32 v[138:139], v[106:107], v[120:121]
	scratch_load_b128 v[104:107], off, off offset:320
	s_wait_loadcnt 0x5
	v_fmac_f64_e32 v[138:139], v[130:131], v[122:123]
	ds_load_2addr_b64 v[116:119], v2 offset0:81 offset1:82
	ds_load_2addr_b64 v[120:123], v2 offset0:83 offset1:84
	s_wait_dscnt 0x1
	v_fmac_f64_e32 v[138:139], v[132:133], v[116:117]
	s_wait_loadcnt 0x4
	s_delay_alu instid0(VALU_DEP_1)
	v_fmac_f64_e32 v[138:139], v[108:109], v[118:119]
	scratch_load_b128 v[116:119], off, off offset:336
	s_wait_dscnt 0x0
	v_fmac_f64_e32 v[138:139], v[110:111], v[120:121]
	scratch_load_b128 v[108:111], off, off offset:352
	s_wait_loadcnt 0x5
	v_fmac_f64_e32 v[138:139], v[126:127], v[122:123]
	ds_load_2addr_b64 v[120:123], v2 offset0:85 offset1:86
	ds_load_2addr_b64 v[124:127], v2 offset0:87 offset1:88
	s_wait_dscnt 0x1
	v_fmac_f64_e32 v[138:139], v[128:129], v[120:121]
	scratch_load_b64 v[128:129], off, off offset:384
	s_wait_loadcnt 0x5
	v_fmac_f64_e32 v[138:139], v[112:113], v[122:123]
	scratch_load_b128 v[120:123], off, off offset:368
	s_wait_dscnt 0x0
	v_fmac_f64_e32 v[138:139], v[114:115], v[124:125]
	s_wait_loadcnt 0x5
	s_delay_alu instid0(VALU_DEP_1)
	v_fmac_f64_e32 v[138:139], v[134:135], v[126:127]
	ds_load_2addr_b64 v[112:115], v2 offset0:89 offset1:90
	ds_load_2addr_b64 v[124:127], v2 offset0:91 offset1:92
	s_wait_dscnt 0x1
	v_fmac_f64_e32 v[138:139], v[136:137], v[112:113]
	s_wait_loadcnt 0x4
	s_delay_alu instid0(VALU_DEP_1) | instskip(SKIP_1) | instid1(VALU_DEP_1)
	v_fmac_f64_e32 v[138:139], v[104:105], v[114:115]
	s_wait_dscnt 0x0
	v_fmac_f64_e32 v[138:139], v[106:107], v[124:125]
	ds_load_2addr_b64 v[104:107], v2 offset0:93 offset1:94
	ds_load_2addr_b64 v[112:115], v2 offset0:95 offset1:96
	s_wait_loadcnt 0x3
	v_fmac_f64_e32 v[138:139], v[116:117], v[126:127]
	s_wait_dscnt 0x1
	s_delay_alu instid0(VALU_DEP_1) | instskip(SKIP_1) | instid1(VALU_DEP_1)
	v_fmac_f64_e32 v[138:139], v[118:119], v[104:105]
	s_wait_loadcnt 0x2
	v_fmac_f64_e32 v[138:139], v[108:109], v[106:107]
	ds_load_2addr_b64 v[104:107], v2 offset0:97 offset1:98
	s_wait_dscnt 0x1
	v_fmac_f64_e32 v[138:139], v[110:111], v[112:113]
	s_wait_loadcnt 0x0
	s_delay_alu instid0(VALU_DEP_1) | instskip(SKIP_1) | instid1(VALU_DEP_1)
	v_fmac_f64_e32 v[138:139], v[120:121], v[114:115]
	s_wait_dscnt 0x0
	v_fmac_f64_e32 v[138:139], v[122:123], v[104:105]
	s_delay_alu instid0(VALU_DEP_1) | instskip(NEXT) | instid1(VALU_DEP_1)
	v_fmac_f64_e32 v[138:139], v[128:129], v[106:107]
	v_add_f64_e64 v[2:3], v[102:103], -v[138:139]
	scratch_store_b64 off, v[2:3], off offset:112
	s_wait_xcnt 0x0
	v_cmpx_lt_u32_e32 13, v0
	s_cbranch_execz .LBB48_277
; %bb.276:
	scratch_load_b64 v[2:3], off, off offset:104
	v_mov_b64_e32 v[102:103], 0
	scratch_store_b64 off, v[102:103], off offset:104
	s_wait_loadcnt 0x0
	ds_store_b64 v1, v[2:3]
.LBB48_277:
	s_wait_xcnt 0x0
	s_or_b32 exec_lo, exec_lo, s0
	s_wait_storecnt_dscnt 0x0
	s_barrier_signal -1
	s_barrier_wait -1
	s_clause 0x5
	scratch_load_b128 v[102:105], off, off offset:104
	scratch_load_b128 v[106:109], off, off offset:120
	;; [unrolled: 1-line block ×6, first 2 shown]
	v_mov_b32_e32 v2, 0
	ds_load_b128 v[126:129], v2 offset:512
	ds_load_b128 v[130:133], v2 offset:528
	scratch_load_b128 v[134:137], off, off offset:200
	s_mov_b32 s0, exec_lo
	s_wait_loadcnt_dscnt 0x601
	v_fma_f64 v[138:139], v[104:105], v[126:127], 0
	s_wait_loadcnt 0x5
	s_delay_alu instid0(VALU_DEP_1) | instskip(SKIP_4) | instid1(VALU_DEP_1)
	v_fmac_f64_e32 v[138:139], v[106:107], v[128:129]
	scratch_load_b128 v[104:107], off, off offset:216
	s_wait_dscnt 0x0
	v_fmac_f64_e32 v[138:139], v[108:109], v[130:131]
	s_wait_loadcnt 0x5
	v_fmac_f64_e32 v[138:139], v[110:111], v[132:133]
	ds_load_b128 v[108:111], v2 offset:544
	ds_load_b128 v[126:129], v2 offset:560
	scratch_load_b128 v[130:133], off, off offset:232
	s_wait_dscnt 0x1
	v_fmac_f64_e32 v[138:139], v[112:113], v[108:109]
	s_wait_loadcnt 0x5
	s_delay_alu instid0(VALU_DEP_1) | instskip(SKIP_4) | instid1(VALU_DEP_1)
	v_fmac_f64_e32 v[138:139], v[114:115], v[110:111]
	scratch_load_b128 v[108:111], off, off offset:248
	s_wait_dscnt 0x0
	v_fmac_f64_e32 v[138:139], v[116:117], v[126:127]
	s_wait_loadcnt 0x5
	v_fmac_f64_e32 v[138:139], v[118:119], v[128:129]
	ds_load_b128 v[112:115], v2 offset:576
	ds_load_b128 v[116:119], v2 offset:592
	scratch_load_b128 v[126:129], off, off offset:264
	s_wait_dscnt 0x1
	v_fmac_f64_e32 v[138:139], v[120:121], v[112:113]
	s_wait_loadcnt 0x5
	s_delay_alu instid0(VALU_DEP_1) | instskip(SKIP_4) | instid1(VALU_DEP_1)
	v_fmac_f64_e32 v[138:139], v[122:123], v[114:115]
	scratch_load_b128 v[112:115], off, off offset:280
	s_wait_dscnt 0x0
	v_fmac_f64_e32 v[138:139], v[124:125], v[116:117]
	s_wait_loadcnt 0x5
	v_fmac_f64_e32 v[138:139], v[134:135], v[118:119]
	ds_load_b128 v[116:119], v2 offset:608
	ds_load_b128 v[120:123], v2 offset:624
	s_wait_dscnt 0x1
	v_fmac_f64_e32 v[138:139], v[136:137], v[116:117]
	scratch_load_b128 v[134:137], off, off offset:296
	s_wait_loadcnt 0x5
	v_fmac_f64_e32 v[138:139], v[104:105], v[118:119]
	s_wait_dscnt 0x0
	s_delay_alu instid0(VALU_DEP_1)
	v_fmac_f64_e32 v[138:139], v[106:107], v[120:121]
	scratch_load_b128 v[104:107], off, off offset:312
	s_wait_loadcnt 0x5
	v_fmac_f64_e32 v[138:139], v[130:131], v[122:123]
	ds_load_b128 v[116:119], v2 offset:640
	ds_load_b128 v[120:123], v2 offset:656
	s_wait_dscnt 0x1
	v_fmac_f64_e32 v[138:139], v[132:133], v[116:117]
	s_wait_loadcnt 0x4
	s_delay_alu instid0(VALU_DEP_1)
	v_fmac_f64_e32 v[138:139], v[108:109], v[118:119]
	scratch_load_b128 v[116:119], off, off offset:328
	s_wait_dscnt 0x0
	v_fmac_f64_e32 v[138:139], v[110:111], v[120:121]
	scratch_load_b128 v[108:111], off, off offset:344
	s_wait_loadcnt 0x5
	v_fmac_f64_e32 v[138:139], v[126:127], v[122:123]
	ds_load_b128 v[120:123], v2 offset:672
	ds_load_b128 v[124:127], v2 offset:688
	s_wait_dscnt 0x1
	v_fmac_f64_e32 v[138:139], v[128:129], v[120:121]
	s_wait_loadcnt 0x4
	s_delay_alu instid0(VALU_DEP_1)
	v_fmac_f64_e32 v[138:139], v[112:113], v[122:123]
	scratch_load_b128 v[120:123], off, off offset:360
	s_wait_dscnt 0x0
	v_fmac_f64_e32 v[138:139], v[114:115], v[124:125]
	scratch_load_b128 v[112:115], off, off offset:376
	s_wait_loadcnt 0x5
	v_fmac_f64_e32 v[138:139], v[134:135], v[126:127]
	ds_load_b128 v[124:127], v2 offset:704
	ds_load_b128 v[128:131], v2 offset:720
	s_wait_dscnt 0x1
	v_fmac_f64_e32 v[138:139], v[136:137], v[124:125]
	s_wait_loadcnt 0x4
	s_delay_alu instid0(VALU_DEP_1) | instskip(SKIP_1) | instid1(VALU_DEP_1)
	v_fmac_f64_e32 v[138:139], v[104:105], v[126:127]
	s_wait_dscnt 0x0
	v_fmac_f64_e32 v[138:139], v[106:107], v[128:129]
	ds_load_b128 v[104:107], v2 offset:736
	ds_load_b128 v[124:127], v2 offset:752
	s_wait_loadcnt 0x3
	v_fmac_f64_e32 v[138:139], v[116:117], v[130:131]
	s_wait_dscnt 0x1
	s_delay_alu instid0(VALU_DEP_1) | instskip(SKIP_1) | instid1(VALU_DEP_1)
	v_fmac_f64_e32 v[138:139], v[118:119], v[104:105]
	s_wait_loadcnt 0x2
	v_fmac_f64_e32 v[138:139], v[108:109], v[106:107]
	ds_load_b128 v[104:107], v2 offset:768
	ds_load_b64 v[108:109], v2 offset:784
	s_wait_dscnt 0x2
	v_fmac_f64_e32 v[138:139], v[110:111], v[124:125]
	s_wait_loadcnt 0x1
	s_delay_alu instid0(VALU_DEP_1) | instskip(SKIP_1) | instid1(VALU_DEP_1)
	v_fmac_f64_e32 v[138:139], v[120:121], v[126:127]
	s_wait_dscnt 0x1
	v_fmac_f64_e32 v[138:139], v[122:123], v[104:105]
	s_wait_loadcnt 0x0
	s_delay_alu instid0(VALU_DEP_1) | instskip(SKIP_1) | instid1(VALU_DEP_1)
	v_fmac_f64_e32 v[138:139], v[112:113], v[106:107]
	s_wait_dscnt 0x0
	v_fmac_f64_e32 v[138:139], v[114:115], v[108:109]
	s_delay_alu instid0(VALU_DEP_1)
	v_add_f64_e64 v[102:103], v[102:103], -v[138:139]
	scratch_store_b64 off, v[102:103], off offset:104
	s_wait_xcnt 0x0
	v_cmpx_lt_u32_e32 12, v0
	s_cbranch_execz .LBB48_279
; %bb.278:
	scratch_load_b64 v[102:103], off, off offset:96
	v_mov_b64_e32 v[104:105], 0
	scratch_store_b64 off, v[104:105], off offset:96
	s_wait_loadcnt 0x0
	ds_store_b64 v1, v[102:103]
.LBB48_279:
	s_wait_xcnt 0x0
	s_or_b32 exec_lo, exec_lo, s0
	s_wait_storecnt_dscnt 0x0
	s_barrier_signal -1
	s_barrier_wait -1
	s_clause 0x5
	scratch_load_b128 v[102:105], off, off offset:96
	scratch_load_b128 v[106:109], off, off offset:112
	scratch_load_b128 v[110:113], off, off offset:128
	scratch_load_b128 v[114:117], off, off offset:144
	scratch_load_b128 v[118:121], off, off offset:160
	scratch_load_b128 v[122:125], off, off offset:176
	ds_load_2addr_b64 v[126:129], v2 offset0:63 offset1:64
	ds_load_2addr_b64 v[130:133], v2 offset0:65 offset1:66
	scratch_load_b128 v[134:137], off, off offset:192
	s_mov_b32 s0, exec_lo
	s_wait_loadcnt_dscnt 0x601
	v_fma_f64 v[138:139], v[104:105], v[126:127], 0
	s_wait_loadcnt 0x5
	s_delay_alu instid0(VALU_DEP_1) | instskip(SKIP_4) | instid1(VALU_DEP_1)
	v_fmac_f64_e32 v[138:139], v[106:107], v[128:129]
	scratch_load_b128 v[104:107], off, off offset:208
	s_wait_dscnt 0x0
	v_fmac_f64_e32 v[138:139], v[108:109], v[130:131]
	s_wait_loadcnt 0x5
	v_fmac_f64_e32 v[138:139], v[110:111], v[132:133]
	ds_load_2addr_b64 v[108:111], v2 offset0:67 offset1:68
	ds_load_2addr_b64 v[126:129], v2 offset0:69 offset1:70
	scratch_load_b128 v[130:133], off, off offset:224
	s_wait_dscnt 0x1
	v_fmac_f64_e32 v[138:139], v[112:113], v[108:109]
	s_wait_loadcnt 0x5
	s_delay_alu instid0(VALU_DEP_1) | instskip(SKIP_4) | instid1(VALU_DEP_1)
	v_fmac_f64_e32 v[138:139], v[114:115], v[110:111]
	scratch_load_b128 v[108:111], off, off offset:240
	s_wait_dscnt 0x0
	v_fmac_f64_e32 v[138:139], v[116:117], v[126:127]
	s_wait_loadcnt 0x5
	v_fmac_f64_e32 v[138:139], v[118:119], v[128:129]
	ds_load_2addr_b64 v[112:115], v2 offset0:71 offset1:72
	ds_load_2addr_b64 v[116:119], v2 offset0:73 offset1:74
	scratch_load_b128 v[126:129], off, off offset:256
	s_wait_dscnt 0x1
	v_fmac_f64_e32 v[138:139], v[120:121], v[112:113]
	s_wait_loadcnt 0x5
	s_delay_alu instid0(VALU_DEP_1) | instskip(SKIP_4) | instid1(VALU_DEP_1)
	v_fmac_f64_e32 v[138:139], v[122:123], v[114:115]
	scratch_load_b128 v[112:115], off, off offset:272
	s_wait_dscnt 0x0
	v_fmac_f64_e32 v[138:139], v[124:125], v[116:117]
	s_wait_loadcnt 0x5
	v_fmac_f64_e32 v[138:139], v[134:135], v[118:119]
	ds_load_2addr_b64 v[116:119], v2 offset0:75 offset1:76
	ds_load_2addr_b64 v[120:123], v2 offset0:77 offset1:78
	s_wait_dscnt 0x1
	v_fmac_f64_e32 v[138:139], v[136:137], v[116:117]
	scratch_load_b128 v[134:137], off, off offset:288
	s_wait_loadcnt 0x5
	v_fmac_f64_e32 v[138:139], v[104:105], v[118:119]
	s_wait_dscnt 0x0
	s_delay_alu instid0(VALU_DEP_1)
	v_fmac_f64_e32 v[138:139], v[106:107], v[120:121]
	scratch_load_b128 v[104:107], off, off offset:304
	s_wait_loadcnt 0x5
	v_fmac_f64_e32 v[138:139], v[130:131], v[122:123]
	ds_load_2addr_b64 v[116:119], v2 offset0:79 offset1:80
	ds_load_2addr_b64 v[120:123], v2 offset0:81 offset1:82
	s_wait_dscnt 0x1
	v_fmac_f64_e32 v[138:139], v[132:133], v[116:117]
	s_wait_loadcnt 0x4
	s_delay_alu instid0(VALU_DEP_1)
	v_fmac_f64_e32 v[138:139], v[108:109], v[118:119]
	scratch_load_b128 v[116:119], off, off offset:320
	s_wait_dscnt 0x0
	v_fmac_f64_e32 v[138:139], v[110:111], v[120:121]
	scratch_load_b128 v[108:111], off, off offset:336
	s_wait_loadcnt 0x5
	v_fmac_f64_e32 v[138:139], v[126:127], v[122:123]
	ds_load_2addr_b64 v[120:123], v2 offset0:83 offset1:84
	ds_load_2addr_b64 v[124:127], v2 offset0:85 offset1:86
	s_wait_dscnt 0x1
	v_fmac_f64_e32 v[138:139], v[128:129], v[120:121]
	s_wait_loadcnt 0x4
	s_delay_alu instid0(VALU_DEP_1)
	v_fmac_f64_e32 v[138:139], v[112:113], v[122:123]
	scratch_load_b128 v[120:123], off, off offset:352
	s_wait_dscnt 0x0
	v_fmac_f64_e32 v[138:139], v[114:115], v[124:125]
	scratch_load_b128 v[112:115], off, off offset:368
	s_wait_loadcnt 0x5
	v_fmac_f64_e32 v[138:139], v[134:135], v[126:127]
	ds_load_2addr_b64 v[124:127], v2 offset0:87 offset1:88
	ds_load_2addr_b64 v[128:131], v2 offset0:89 offset1:90
	scratch_load_b64 v[132:133], off, off offset:384
	s_wait_dscnt 0x1
	v_fmac_f64_e32 v[138:139], v[136:137], v[124:125]
	s_wait_loadcnt 0x5
	s_delay_alu instid0(VALU_DEP_1) | instskip(SKIP_1) | instid1(VALU_DEP_1)
	v_fmac_f64_e32 v[138:139], v[104:105], v[126:127]
	s_wait_dscnt 0x0
	v_fmac_f64_e32 v[138:139], v[106:107], v[128:129]
	ds_load_2addr_b64 v[104:107], v2 offset0:91 offset1:92
	ds_load_2addr_b64 v[124:127], v2 offset0:93 offset1:94
	s_wait_loadcnt 0x4
	v_fmac_f64_e32 v[138:139], v[116:117], v[130:131]
	s_wait_dscnt 0x1
	s_delay_alu instid0(VALU_DEP_1) | instskip(SKIP_1) | instid1(VALU_DEP_1)
	v_fmac_f64_e32 v[138:139], v[118:119], v[104:105]
	s_wait_loadcnt 0x3
	v_fmac_f64_e32 v[138:139], v[108:109], v[106:107]
	s_wait_dscnt 0x0
	s_delay_alu instid0(VALU_DEP_1)
	v_fmac_f64_e32 v[138:139], v[110:111], v[124:125]
	ds_load_2addr_b64 v[104:107], v2 offset0:95 offset1:96
	ds_load_2addr_b64 v[108:111], v2 offset0:97 offset1:98
	s_wait_loadcnt 0x2
	v_fmac_f64_e32 v[138:139], v[120:121], v[126:127]
	s_wait_dscnt 0x1
	s_delay_alu instid0(VALU_DEP_1) | instskip(SKIP_1) | instid1(VALU_DEP_1)
	v_fmac_f64_e32 v[138:139], v[122:123], v[104:105]
	s_wait_loadcnt 0x1
	v_fmac_f64_e32 v[138:139], v[112:113], v[106:107]
	s_wait_dscnt 0x0
	s_delay_alu instid0(VALU_DEP_1) | instskip(SKIP_1) | instid1(VALU_DEP_1)
	v_fmac_f64_e32 v[138:139], v[114:115], v[108:109]
	s_wait_loadcnt 0x0
	v_fmac_f64_e32 v[138:139], v[132:133], v[110:111]
	s_delay_alu instid0(VALU_DEP_1)
	v_add_f64_e64 v[2:3], v[102:103], -v[138:139]
	scratch_store_b64 off, v[2:3], off offset:96
	s_wait_xcnt 0x0
	v_cmpx_lt_u32_e32 11, v0
	s_cbranch_execz .LBB48_281
; %bb.280:
	scratch_load_b64 v[2:3], off, off offset:88
	v_mov_b64_e32 v[102:103], 0
	scratch_store_b64 off, v[102:103], off offset:88
	s_wait_loadcnt 0x0
	ds_store_b64 v1, v[2:3]
.LBB48_281:
	s_wait_xcnt 0x0
	s_or_b32 exec_lo, exec_lo, s0
	s_wait_storecnt_dscnt 0x0
	s_barrier_signal -1
	s_barrier_wait -1
	s_clause 0x5
	scratch_load_b128 v[102:105], off, off offset:88
	scratch_load_b128 v[106:109], off, off offset:104
	;; [unrolled: 1-line block ×6, first 2 shown]
	v_mov_b32_e32 v2, 0
	ds_load_b128 v[126:129], v2 offset:496
	ds_load_b128 v[130:133], v2 offset:512
	scratch_load_b128 v[134:137], off, off offset:184
	s_mov_b32 s0, exec_lo
	s_wait_loadcnt_dscnt 0x601
	v_fma_f64 v[138:139], v[104:105], v[126:127], 0
	s_wait_loadcnt 0x5
	s_delay_alu instid0(VALU_DEP_1) | instskip(SKIP_4) | instid1(VALU_DEP_1)
	v_fmac_f64_e32 v[138:139], v[106:107], v[128:129]
	scratch_load_b128 v[104:107], off, off offset:200
	s_wait_dscnt 0x0
	v_fmac_f64_e32 v[138:139], v[108:109], v[130:131]
	s_wait_loadcnt 0x5
	v_fmac_f64_e32 v[138:139], v[110:111], v[132:133]
	ds_load_b128 v[108:111], v2 offset:528
	ds_load_b128 v[126:129], v2 offset:544
	scratch_load_b128 v[130:133], off, off offset:216
	s_wait_dscnt 0x1
	v_fmac_f64_e32 v[138:139], v[112:113], v[108:109]
	s_wait_loadcnt 0x5
	s_delay_alu instid0(VALU_DEP_1) | instskip(SKIP_4) | instid1(VALU_DEP_1)
	v_fmac_f64_e32 v[138:139], v[114:115], v[110:111]
	scratch_load_b128 v[108:111], off, off offset:232
	s_wait_dscnt 0x0
	v_fmac_f64_e32 v[138:139], v[116:117], v[126:127]
	s_wait_loadcnt 0x5
	v_fmac_f64_e32 v[138:139], v[118:119], v[128:129]
	ds_load_b128 v[112:115], v2 offset:560
	ds_load_b128 v[116:119], v2 offset:576
	scratch_load_b128 v[126:129], off, off offset:248
	s_wait_dscnt 0x1
	v_fmac_f64_e32 v[138:139], v[120:121], v[112:113]
	s_wait_loadcnt 0x5
	s_delay_alu instid0(VALU_DEP_1) | instskip(SKIP_4) | instid1(VALU_DEP_1)
	v_fmac_f64_e32 v[138:139], v[122:123], v[114:115]
	scratch_load_b128 v[112:115], off, off offset:264
	s_wait_dscnt 0x0
	v_fmac_f64_e32 v[138:139], v[124:125], v[116:117]
	s_wait_loadcnt 0x5
	v_fmac_f64_e32 v[138:139], v[134:135], v[118:119]
	ds_load_b128 v[116:119], v2 offset:592
	ds_load_b128 v[120:123], v2 offset:608
	s_wait_dscnt 0x1
	v_fmac_f64_e32 v[138:139], v[136:137], v[116:117]
	scratch_load_b128 v[134:137], off, off offset:280
	s_wait_loadcnt 0x5
	v_fmac_f64_e32 v[138:139], v[104:105], v[118:119]
	s_wait_dscnt 0x0
	s_delay_alu instid0(VALU_DEP_1)
	v_fmac_f64_e32 v[138:139], v[106:107], v[120:121]
	scratch_load_b128 v[104:107], off, off offset:296
	s_wait_loadcnt 0x5
	v_fmac_f64_e32 v[138:139], v[130:131], v[122:123]
	ds_load_b128 v[116:119], v2 offset:624
	ds_load_b128 v[120:123], v2 offset:640
	s_wait_dscnt 0x1
	v_fmac_f64_e32 v[138:139], v[132:133], v[116:117]
	s_wait_loadcnt 0x4
	s_delay_alu instid0(VALU_DEP_1)
	v_fmac_f64_e32 v[138:139], v[108:109], v[118:119]
	scratch_load_b128 v[116:119], off, off offset:312
	s_wait_dscnt 0x0
	v_fmac_f64_e32 v[138:139], v[110:111], v[120:121]
	scratch_load_b128 v[108:111], off, off offset:328
	s_wait_loadcnt 0x5
	v_fmac_f64_e32 v[138:139], v[126:127], v[122:123]
	ds_load_b128 v[120:123], v2 offset:656
	ds_load_b128 v[124:127], v2 offset:672
	s_wait_dscnt 0x1
	v_fmac_f64_e32 v[138:139], v[128:129], v[120:121]
	s_wait_loadcnt 0x4
	s_delay_alu instid0(VALU_DEP_1)
	v_fmac_f64_e32 v[138:139], v[112:113], v[122:123]
	scratch_load_b128 v[120:123], off, off offset:344
	s_wait_dscnt 0x0
	v_fmac_f64_e32 v[138:139], v[114:115], v[124:125]
	scratch_load_b128 v[112:115], off, off offset:360
	s_wait_loadcnt 0x5
	v_fmac_f64_e32 v[138:139], v[134:135], v[126:127]
	ds_load_b128 v[124:127], v2 offset:688
	ds_load_b128 v[128:131], v2 offset:704
	s_wait_dscnt 0x1
	v_fmac_f64_e32 v[138:139], v[136:137], v[124:125]
	s_wait_loadcnt 0x4
	s_delay_alu instid0(VALU_DEP_1) | instskip(SKIP_4) | instid1(VALU_DEP_1)
	v_fmac_f64_e32 v[138:139], v[104:105], v[126:127]
	scratch_load_b128 v[124:127], off, off offset:376
	s_wait_dscnt 0x0
	v_fmac_f64_e32 v[138:139], v[106:107], v[128:129]
	s_wait_loadcnt 0x4
	v_fmac_f64_e32 v[138:139], v[116:117], v[130:131]
	ds_load_b128 v[104:107], v2 offset:720
	ds_load_b128 v[128:131], v2 offset:736
	s_wait_dscnt 0x1
	v_fmac_f64_e32 v[138:139], v[118:119], v[104:105]
	s_wait_loadcnt 0x3
	s_delay_alu instid0(VALU_DEP_1) | instskip(SKIP_1) | instid1(VALU_DEP_1)
	v_fmac_f64_e32 v[138:139], v[108:109], v[106:107]
	s_wait_dscnt 0x0
	v_fmac_f64_e32 v[138:139], v[110:111], v[128:129]
	ds_load_b128 v[104:107], v2 offset:752
	ds_load_b128 v[108:111], v2 offset:768
	s_wait_loadcnt 0x2
	v_fmac_f64_e32 v[138:139], v[120:121], v[130:131]
	s_wait_dscnt 0x1
	s_delay_alu instid0(VALU_DEP_1) | instskip(SKIP_4) | instid1(VALU_DEP_1)
	v_fmac_f64_e32 v[138:139], v[122:123], v[104:105]
	ds_load_b64 v[104:105], v2 offset:784
	s_wait_loadcnt 0x1
	v_fmac_f64_e32 v[138:139], v[112:113], v[106:107]
	s_wait_dscnt 0x1
	v_fmac_f64_e32 v[138:139], v[114:115], v[108:109]
	s_wait_loadcnt 0x0
	s_delay_alu instid0(VALU_DEP_1) | instskip(SKIP_1) | instid1(VALU_DEP_1)
	v_fmac_f64_e32 v[138:139], v[124:125], v[110:111]
	s_wait_dscnt 0x0
	v_fmac_f64_e32 v[138:139], v[126:127], v[104:105]
	s_delay_alu instid0(VALU_DEP_1)
	v_add_f64_e64 v[102:103], v[102:103], -v[138:139]
	scratch_store_b64 off, v[102:103], off offset:88
	s_wait_xcnt 0x0
	v_cmpx_lt_u32_e32 10, v0
	s_cbranch_execz .LBB48_283
; %bb.282:
	scratch_load_b64 v[102:103], off, off offset:80
	v_mov_b64_e32 v[104:105], 0
	scratch_store_b64 off, v[104:105], off offset:80
	s_wait_loadcnt 0x0
	ds_store_b64 v1, v[102:103]
.LBB48_283:
	s_wait_xcnt 0x0
	s_or_b32 exec_lo, exec_lo, s0
	s_wait_storecnt_dscnt 0x0
	s_barrier_signal -1
	s_barrier_wait -1
	s_clause 0x5
	scratch_load_b128 v[102:105], off, off offset:80
	scratch_load_b128 v[106:109], off, off offset:96
	scratch_load_b128 v[110:113], off, off offset:112
	scratch_load_b128 v[114:117], off, off offset:128
	scratch_load_b128 v[118:121], off, off offset:144
	scratch_load_b128 v[122:125], off, off offset:160
	ds_load_2addr_b64 v[126:129], v2 offset0:61 offset1:62
	ds_load_2addr_b64 v[130:133], v2 offset0:63 offset1:64
	scratch_load_b128 v[134:137], off, off offset:176
	s_mov_b32 s0, exec_lo
	s_wait_loadcnt_dscnt 0x601
	v_fma_f64 v[138:139], v[104:105], v[126:127], 0
	s_wait_loadcnt 0x5
	s_delay_alu instid0(VALU_DEP_1) | instskip(SKIP_4) | instid1(VALU_DEP_1)
	v_fmac_f64_e32 v[138:139], v[106:107], v[128:129]
	scratch_load_b128 v[104:107], off, off offset:192
	s_wait_dscnt 0x0
	v_fmac_f64_e32 v[138:139], v[108:109], v[130:131]
	s_wait_loadcnt 0x5
	v_fmac_f64_e32 v[138:139], v[110:111], v[132:133]
	ds_load_2addr_b64 v[108:111], v2 offset0:65 offset1:66
	ds_load_2addr_b64 v[126:129], v2 offset0:67 offset1:68
	scratch_load_b128 v[130:133], off, off offset:208
	s_wait_dscnt 0x1
	v_fmac_f64_e32 v[138:139], v[112:113], v[108:109]
	s_wait_loadcnt 0x5
	s_delay_alu instid0(VALU_DEP_1) | instskip(SKIP_4) | instid1(VALU_DEP_1)
	v_fmac_f64_e32 v[138:139], v[114:115], v[110:111]
	scratch_load_b128 v[108:111], off, off offset:224
	s_wait_dscnt 0x0
	v_fmac_f64_e32 v[138:139], v[116:117], v[126:127]
	s_wait_loadcnt 0x5
	v_fmac_f64_e32 v[138:139], v[118:119], v[128:129]
	ds_load_2addr_b64 v[112:115], v2 offset0:69 offset1:70
	ds_load_2addr_b64 v[116:119], v2 offset0:71 offset1:72
	scratch_load_b128 v[126:129], off, off offset:240
	s_wait_dscnt 0x1
	v_fmac_f64_e32 v[138:139], v[120:121], v[112:113]
	s_wait_loadcnt 0x5
	s_delay_alu instid0(VALU_DEP_1) | instskip(SKIP_4) | instid1(VALU_DEP_1)
	v_fmac_f64_e32 v[138:139], v[122:123], v[114:115]
	scratch_load_b128 v[112:115], off, off offset:256
	s_wait_dscnt 0x0
	v_fmac_f64_e32 v[138:139], v[124:125], v[116:117]
	s_wait_loadcnt 0x5
	v_fmac_f64_e32 v[138:139], v[134:135], v[118:119]
	ds_load_2addr_b64 v[116:119], v2 offset0:73 offset1:74
	ds_load_2addr_b64 v[120:123], v2 offset0:75 offset1:76
	s_wait_dscnt 0x1
	v_fmac_f64_e32 v[138:139], v[136:137], v[116:117]
	scratch_load_b128 v[134:137], off, off offset:272
	s_wait_loadcnt 0x5
	v_fmac_f64_e32 v[138:139], v[104:105], v[118:119]
	s_wait_dscnt 0x0
	s_delay_alu instid0(VALU_DEP_1)
	v_fmac_f64_e32 v[138:139], v[106:107], v[120:121]
	scratch_load_b128 v[104:107], off, off offset:288
	s_wait_loadcnt 0x5
	v_fmac_f64_e32 v[138:139], v[130:131], v[122:123]
	ds_load_2addr_b64 v[116:119], v2 offset0:77 offset1:78
	ds_load_2addr_b64 v[120:123], v2 offset0:79 offset1:80
	s_wait_dscnt 0x1
	v_fmac_f64_e32 v[138:139], v[132:133], v[116:117]
	scratch_load_b128 v[130:133], off, off offset:304
	s_wait_loadcnt 0x5
	v_fmac_f64_e32 v[138:139], v[108:109], v[118:119]
	s_wait_dscnt 0x0
	s_delay_alu instid0(VALU_DEP_1)
	v_fmac_f64_e32 v[138:139], v[110:111], v[120:121]
	scratch_load_b128 v[108:111], off, off offset:320
	s_wait_loadcnt 0x5
	v_fmac_f64_e32 v[138:139], v[126:127], v[122:123]
	ds_load_2addr_b64 v[116:119], v2 offset0:81 offset1:82
	ds_load_2addr_b64 v[120:123], v2 offset0:83 offset1:84
	s_wait_dscnt 0x1
	v_fmac_f64_e32 v[138:139], v[128:129], v[116:117]
	s_wait_loadcnt 0x4
	s_delay_alu instid0(VALU_DEP_1)
	v_fmac_f64_e32 v[138:139], v[112:113], v[118:119]
	scratch_load_b128 v[116:119], off, off offset:336
	s_wait_dscnt 0x0
	v_fmac_f64_e32 v[138:139], v[114:115], v[120:121]
	scratch_load_b128 v[112:115], off, off offset:352
	s_wait_loadcnt 0x5
	v_fmac_f64_e32 v[138:139], v[134:135], v[122:123]
	ds_load_2addr_b64 v[120:123], v2 offset0:85 offset1:86
	ds_load_2addr_b64 v[124:127], v2 offset0:87 offset1:88
	scratch_load_b64 v[128:129], off, off offset:384
	s_wait_dscnt 0x1
	v_fmac_f64_e32 v[138:139], v[136:137], v[120:121]
	s_wait_loadcnt 0x5
	s_delay_alu instid0(VALU_DEP_1) | instskip(SKIP_4) | instid1(VALU_DEP_1)
	v_fmac_f64_e32 v[138:139], v[104:105], v[122:123]
	scratch_load_b128 v[120:123], off, off offset:368
	s_wait_dscnt 0x0
	v_fmac_f64_e32 v[138:139], v[106:107], v[124:125]
	s_wait_loadcnt 0x5
	v_fmac_f64_e32 v[138:139], v[130:131], v[126:127]
	ds_load_2addr_b64 v[104:107], v2 offset0:89 offset1:90
	ds_load_2addr_b64 v[124:127], v2 offset0:91 offset1:92
	s_wait_dscnt 0x1
	v_fmac_f64_e32 v[138:139], v[132:133], v[104:105]
	s_wait_loadcnt 0x4
	s_delay_alu instid0(VALU_DEP_1) | instskip(SKIP_1) | instid1(VALU_DEP_1)
	v_fmac_f64_e32 v[138:139], v[108:109], v[106:107]
	s_wait_dscnt 0x0
	v_fmac_f64_e32 v[138:139], v[110:111], v[124:125]
	ds_load_2addr_b64 v[104:107], v2 offset0:93 offset1:94
	ds_load_2addr_b64 v[108:111], v2 offset0:95 offset1:96
	s_wait_loadcnt 0x3
	v_fmac_f64_e32 v[138:139], v[116:117], v[126:127]
	s_wait_dscnt 0x1
	s_delay_alu instid0(VALU_DEP_1) | instskip(SKIP_1) | instid1(VALU_DEP_1)
	v_fmac_f64_e32 v[138:139], v[118:119], v[104:105]
	s_wait_loadcnt 0x2
	v_fmac_f64_e32 v[138:139], v[112:113], v[106:107]
	ds_load_2addr_b64 v[104:107], v2 offset0:97 offset1:98
	s_wait_dscnt 0x1
	v_fmac_f64_e32 v[138:139], v[114:115], v[108:109]
	s_wait_loadcnt 0x0
	s_delay_alu instid0(VALU_DEP_1) | instskip(SKIP_1) | instid1(VALU_DEP_1)
	v_fmac_f64_e32 v[138:139], v[120:121], v[110:111]
	s_wait_dscnt 0x0
	v_fmac_f64_e32 v[138:139], v[122:123], v[104:105]
	s_delay_alu instid0(VALU_DEP_1) | instskip(NEXT) | instid1(VALU_DEP_1)
	v_fmac_f64_e32 v[138:139], v[128:129], v[106:107]
	v_add_f64_e64 v[2:3], v[102:103], -v[138:139]
	scratch_store_b64 off, v[2:3], off offset:80
	s_wait_xcnt 0x0
	v_cmpx_lt_u32_e32 9, v0
	s_cbranch_execz .LBB48_285
; %bb.284:
	scratch_load_b64 v[2:3], off, off offset:72
	v_mov_b64_e32 v[102:103], 0
	scratch_store_b64 off, v[102:103], off offset:72
	s_wait_loadcnt 0x0
	ds_store_b64 v1, v[2:3]
.LBB48_285:
	s_wait_xcnt 0x0
	s_or_b32 exec_lo, exec_lo, s0
	s_wait_storecnt_dscnt 0x0
	s_barrier_signal -1
	s_barrier_wait -1
	s_clause 0x5
	scratch_load_b128 v[102:105], off, off offset:72
	scratch_load_b128 v[106:109], off, off offset:88
	;; [unrolled: 1-line block ×6, first 2 shown]
	v_mov_b32_e32 v2, 0
	ds_load_b128 v[126:129], v2 offset:480
	ds_load_b128 v[130:133], v2 offset:496
	scratch_load_b128 v[134:137], off, off offset:168
	s_mov_b32 s0, exec_lo
	s_wait_loadcnt_dscnt 0x601
	v_fma_f64 v[138:139], v[104:105], v[126:127], 0
	s_wait_loadcnt 0x5
	s_delay_alu instid0(VALU_DEP_1) | instskip(SKIP_4) | instid1(VALU_DEP_1)
	v_fmac_f64_e32 v[138:139], v[106:107], v[128:129]
	scratch_load_b128 v[104:107], off, off offset:184
	s_wait_dscnt 0x0
	v_fmac_f64_e32 v[138:139], v[108:109], v[130:131]
	s_wait_loadcnt 0x5
	v_fmac_f64_e32 v[138:139], v[110:111], v[132:133]
	ds_load_b128 v[108:111], v2 offset:512
	ds_load_b128 v[126:129], v2 offset:528
	scratch_load_b128 v[130:133], off, off offset:200
	s_wait_dscnt 0x1
	v_fmac_f64_e32 v[138:139], v[112:113], v[108:109]
	s_wait_loadcnt 0x5
	s_delay_alu instid0(VALU_DEP_1) | instskip(SKIP_4) | instid1(VALU_DEP_1)
	v_fmac_f64_e32 v[138:139], v[114:115], v[110:111]
	scratch_load_b128 v[108:111], off, off offset:216
	s_wait_dscnt 0x0
	v_fmac_f64_e32 v[138:139], v[116:117], v[126:127]
	s_wait_loadcnt 0x5
	v_fmac_f64_e32 v[138:139], v[118:119], v[128:129]
	ds_load_b128 v[112:115], v2 offset:544
	ds_load_b128 v[116:119], v2 offset:560
	scratch_load_b128 v[126:129], off, off offset:232
	s_wait_dscnt 0x1
	v_fmac_f64_e32 v[138:139], v[120:121], v[112:113]
	s_wait_loadcnt 0x5
	s_delay_alu instid0(VALU_DEP_1) | instskip(SKIP_4) | instid1(VALU_DEP_1)
	v_fmac_f64_e32 v[138:139], v[122:123], v[114:115]
	scratch_load_b128 v[112:115], off, off offset:248
	s_wait_dscnt 0x0
	v_fmac_f64_e32 v[138:139], v[124:125], v[116:117]
	s_wait_loadcnt 0x5
	v_fmac_f64_e32 v[138:139], v[134:135], v[118:119]
	ds_load_b128 v[116:119], v2 offset:576
	ds_load_b128 v[120:123], v2 offset:592
	s_wait_dscnt 0x1
	v_fmac_f64_e32 v[138:139], v[136:137], v[116:117]
	scratch_load_b128 v[134:137], off, off offset:264
	s_wait_loadcnt 0x5
	v_fmac_f64_e32 v[138:139], v[104:105], v[118:119]
	s_wait_dscnt 0x0
	s_delay_alu instid0(VALU_DEP_1)
	v_fmac_f64_e32 v[138:139], v[106:107], v[120:121]
	scratch_load_b128 v[104:107], off, off offset:280
	s_wait_loadcnt 0x5
	v_fmac_f64_e32 v[138:139], v[130:131], v[122:123]
	ds_load_b128 v[116:119], v2 offset:608
	ds_load_b128 v[120:123], v2 offset:624
	s_wait_dscnt 0x1
	v_fmac_f64_e32 v[138:139], v[132:133], v[116:117]
	scratch_load_b128 v[130:133], off, off offset:296
	s_wait_loadcnt 0x5
	v_fmac_f64_e32 v[138:139], v[108:109], v[118:119]
	s_wait_dscnt 0x0
	s_delay_alu instid0(VALU_DEP_1)
	v_fmac_f64_e32 v[138:139], v[110:111], v[120:121]
	scratch_load_b128 v[108:111], off, off offset:312
	s_wait_loadcnt 0x5
	v_fmac_f64_e32 v[138:139], v[126:127], v[122:123]
	ds_load_b128 v[116:119], v2 offset:640
	ds_load_b128 v[120:123], v2 offset:656
	s_wait_dscnt 0x1
	v_fmac_f64_e32 v[138:139], v[128:129], v[116:117]
	s_wait_loadcnt 0x4
	s_delay_alu instid0(VALU_DEP_1)
	v_fmac_f64_e32 v[138:139], v[112:113], v[118:119]
	scratch_load_b128 v[116:119], off, off offset:328
	s_wait_dscnt 0x0
	v_fmac_f64_e32 v[138:139], v[114:115], v[120:121]
	scratch_load_b128 v[112:115], off, off offset:344
	s_wait_loadcnt 0x5
	v_fmac_f64_e32 v[138:139], v[134:135], v[122:123]
	ds_load_b128 v[120:123], v2 offset:672
	ds_load_b128 v[124:127], v2 offset:688
	s_wait_dscnt 0x1
	v_fmac_f64_e32 v[138:139], v[136:137], v[120:121]
	s_wait_loadcnt 0x4
	s_delay_alu instid0(VALU_DEP_1)
	v_fmac_f64_e32 v[138:139], v[104:105], v[122:123]
	scratch_load_b128 v[120:123], off, off offset:360
	s_wait_dscnt 0x0
	v_fmac_f64_e32 v[138:139], v[106:107], v[124:125]
	scratch_load_b128 v[104:107], off, off offset:376
	s_wait_loadcnt 0x5
	v_fmac_f64_e32 v[138:139], v[130:131], v[126:127]
	ds_load_b128 v[124:127], v2 offset:704
	ds_load_b128 v[128:131], v2 offset:720
	s_wait_dscnt 0x1
	v_fmac_f64_e32 v[138:139], v[132:133], v[124:125]
	s_wait_loadcnt 0x4
	s_delay_alu instid0(VALU_DEP_1) | instskip(SKIP_1) | instid1(VALU_DEP_1)
	v_fmac_f64_e32 v[138:139], v[108:109], v[126:127]
	s_wait_dscnt 0x0
	v_fmac_f64_e32 v[138:139], v[110:111], v[128:129]
	ds_load_b128 v[108:111], v2 offset:736
	ds_load_b128 v[124:127], v2 offset:752
	s_wait_loadcnt 0x3
	v_fmac_f64_e32 v[138:139], v[116:117], v[130:131]
	s_wait_dscnt 0x1
	s_delay_alu instid0(VALU_DEP_1) | instskip(SKIP_1) | instid1(VALU_DEP_1)
	v_fmac_f64_e32 v[138:139], v[118:119], v[108:109]
	s_wait_loadcnt 0x2
	v_fmac_f64_e32 v[138:139], v[112:113], v[110:111]
	ds_load_b128 v[108:111], v2 offset:768
	ds_load_b64 v[112:113], v2 offset:784
	s_wait_dscnt 0x2
	v_fmac_f64_e32 v[138:139], v[114:115], v[124:125]
	s_wait_loadcnt 0x1
	s_delay_alu instid0(VALU_DEP_1) | instskip(SKIP_1) | instid1(VALU_DEP_1)
	v_fmac_f64_e32 v[138:139], v[120:121], v[126:127]
	s_wait_dscnt 0x1
	v_fmac_f64_e32 v[138:139], v[122:123], v[108:109]
	s_wait_loadcnt 0x0
	s_delay_alu instid0(VALU_DEP_1) | instskip(SKIP_1) | instid1(VALU_DEP_1)
	v_fmac_f64_e32 v[138:139], v[104:105], v[110:111]
	s_wait_dscnt 0x0
	v_fmac_f64_e32 v[138:139], v[106:107], v[112:113]
	s_delay_alu instid0(VALU_DEP_1)
	v_add_f64_e64 v[102:103], v[102:103], -v[138:139]
	scratch_store_b64 off, v[102:103], off offset:72
	s_wait_xcnt 0x0
	v_cmpx_lt_u32_e32 8, v0
	s_cbranch_execz .LBB48_287
; %bb.286:
	scratch_load_b64 v[102:103], off, off offset:64
	v_mov_b64_e32 v[104:105], 0
	scratch_store_b64 off, v[104:105], off offset:64
	s_wait_loadcnt 0x0
	ds_store_b64 v1, v[102:103]
.LBB48_287:
	s_wait_xcnt 0x0
	s_or_b32 exec_lo, exec_lo, s0
	s_wait_storecnt_dscnt 0x0
	s_barrier_signal -1
	s_barrier_wait -1
	s_clause 0x5
	scratch_load_b128 v[102:105], off, off offset:64
	scratch_load_b128 v[106:109], off, off offset:80
	;; [unrolled: 1-line block ×6, first 2 shown]
	ds_load_2addr_b64 v[126:129], v2 offset0:59 offset1:60
	ds_load_2addr_b64 v[130:133], v2 offset0:61 offset1:62
	scratch_load_b128 v[134:137], off, off offset:160
	s_mov_b32 s0, exec_lo
	s_wait_loadcnt_dscnt 0x601
	v_fma_f64 v[138:139], v[104:105], v[126:127], 0
	s_wait_loadcnt 0x5
	s_delay_alu instid0(VALU_DEP_1) | instskip(SKIP_4) | instid1(VALU_DEP_1)
	v_fmac_f64_e32 v[138:139], v[106:107], v[128:129]
	scratch_load_b128 v[104:107], off, off offset:176
	s_wait_dscnt 0x0
	v_fmac_f64_e32 v[138:139], v[108:109], v[130:131]
	s_wait_loadcnt 0x5
	v_fmac_f64_e32 v[138:139], v[110:111], v[132:133]
	ds_load_2addr_b64 v[108:111], v2 offset0:63 offset1:64
	ds_load_2addr_b64 v[126:129], v2 offset0:65 offset1:66
	scratch_load_b128 v[130:133], off, off offset:192
	s_wait_dscnt 0x1
	v_fmac_f64_e32 v[138:139], v[112:113], v[108:109]
	s_wait_loadcnt 0x5
	s_delay_alu instid0(VALU_DEP_1) | instskip(SKIP_4) | instid1(VALU_DEP_1)
	v_fmac_f64_e32 v[138:139], v[114:115], v[110:111]
	scratch_load_b128 v[108:111], off, off offset:208
	s_wait_dscnt 0x0
	v_fmac_f64_e32 v[138:139], v[116:117], v[126:127]
	s_wait_loadcnt 0x5
	v_fmac_f64_e32 v[138:139], v[118:119], v[128:129]
	ds_load_2addr_b64 v[112:115], v2 offset0:67 offset1:68
	ds_load_2addr_b64 v[116:119], v2 offset0:69 offset1:70
	scratch_load_b128 v[126:129], off, off offset:224
	s_wait_dscnt 0x1
	v_fmac_f64_e32 v[138:139], v[120:121], v[112:113]
	s_wait_loadcnt 0x5
	s_delay_alu instid0(VALU_DEP_1) | instskip(SKIP_4) | instid1(VALU_DEP_1)
	v_fmac_f64_e32 v[138:139], v[122:123], v[114:115]
	scratch_load_b128 v[112:115], off, off offset:240
	s_wait_dscnt 0x0
	v_fmac_f64_e32 v[138:139], v[124:125], v[116:117]
	s_wait_loadcnt 0x5
	v_fmac_f64_e32 v[138:139], v[134:135], v[118:119]
	ds_load_2addr_b64 v[116:119], v2 offset0:71 offset1:72
	ds_load_2addr_b64 v[120:123], v2 offset0:73 offset1:74
	s_wait_dscnt 0x1
	v_fmac_f64_e32 v[138:139], v[136:137], v[116:117]
	scratch_load_b128 v[134:137], off, off offset:256
	s_wait_loadcnt 0x5
	v_fmac_f64_e32 v[138:139], v[104:105], v[118:119]
	s_wait_dscnt 0x0
	s_delay_alu instid0(VALU_DEP_1)
	v_fmac_f64_e32 v[138:139], v[106:107], v[120:121]
	scratch_load_b128 v[104:107], off, off offset:272
	s_wait_loadcnt 0x5
	v_fmac_f64_e32 v[138:139], v[130:131], v[122:123]
	ds_load_2addr_b64 v[116:119], v2 offset0:75 offset1:76
	ds_load_2addr_b64 v[120:123], v2 offset0:77 offset1:78
	s_wait_dscnt 0x1
	v_fmac_f64_e32 v[138:139], v[132:133], v[116:117]
	scratch_load_b128 v[130:133], off, off offset:288
	s_wait_loadcnt 0x5
	v_fmac_f64_e32 v[138:139], v[108:109], v[118:119]
	s_wait_dscnt 0x0
	s_delay_alu instid0(VALU_DEP_1)
	v_fmac_f64_e32 v[138:139], v[110:111], v[120:121]
	scratch_load_b128 v[108:111], off, off offset:304
	s_wait_loadcnt 0x5
	v_fmac_f64_e32 v[138:139], v[126:127], v[122:123]
	ds_load_2addr_b64 v[116:119], v2 offset0:79 offset1:80
	ds_load_2addr_b64 v[120:123], v2 offset0:81 offset1:82
	s_wait_dscnt 0x1
	v_fmac_f64_e32 v[138:139], v[128:129], v[116:117]
	s_wait_loadcnt 0x4
	s_delay_alu instid0(VALU_DEP_1)
	v_fmac_f64_e32 v[138:139], v[112:113], v[118:119]
	scratch_load_b128 v[116:119], off, off offset:320
	s_wait_dscnt 0x0
	v_fmac_f64_e32 v[138:139], v[114:115], v[120:121]
	scratch_load_b128 v[112:115], off, off offset:336
	s_wait_loadcnt 0x5
	v_fmac_f64_e32 v[138:139], v[134:135], v[122:123]
	ds_load_2addr_b64 v[120:123], v2 offset0:83 offset1:84
	ds_load_2addr_b64 v[124:127], v2 offset0:85 offset1:86
	s_wait_dscnt 0x1
	v_fmac_f64_e32 v[138:139], v[136:137], v[120:121]
	s_wait_loadcnt 0x4
	s_delay_alu instid0(VALU_DEP_1)
	v_fmac_f64_e32 v[138:139], v[104:105], v[122:123]
	scratch_load_b128 v[120:123], off, off offset:352
	s_wait_dscnt 0x0
	v_fmac_f64_e32 v[138:139], v[106:107], v[124:125]
	scratch_load_b128 v[104:107], off, off offset:368
	s_wait_loadcnt 0x5
	v_fmac_f64_e32 v[138:139], v[130:131], v[126:127]
	ds_load_2addr_b64 v[124:127], v2 offset0:87 offset1:88
	ds_load_2addr_b64 v[128:131], v2 offset0:89 offset1:90
	s_wait_dscnt 0x1
	v_fmac_f64_e32 v[138:139], v[132:133], v[124:125]
	scratch_load_b64 v[132:133], off, off offset:384
	s_wait_loadcnt 0x5
	v_fmac_f64_e32 v[138:139], v[108:109], v[126:127]
	s_wait_dscnt 0x0
	s_delay_alu instid0(VALU_DEP_1)
	v_fmac_f64_e32 v[138:139], v[110:111], v[128:129]
	ds_load_2addr_b64 v[108:111], v2 offset0:91 offset1:92
	ds_load_2addr_b64 v[124:127], v2 offset0:93 offset1:94
	s_wait_loadcnt 0x4
	v_fmac_f64_e32 v[138:139], v[116:117], v[130:131]
	s_wait_dscnt 0x1
	s_delay_alu instid0(VALU_DEP_1) | instskip(SKIP_1) | instid1(VALU_DEP_1)
	v_fmac_f64_e32 v[138:139], v[118:119], v[108:109]
	s_wait_loadcnt 0x3
	v_fmac_f64_e32 v[138:139], v[112:113], v[110:111]
	s_wait_dscnt 0x0
	s_delay_alu instid0(VALU_DEP_1)
	v_fmac_f64_e32 v[138:139], v[114:115], v[124:125]
	ds_load_2addr_b64 v[108:111], v2 offset0:95 offset1:96
	ds_load_2addr_b64 v[112:115], v2 offset0:97 offset1:98
	s_wait_loadcnt 0x2
	v_fmac_f64_e32 v[138:139], v[120:121], v[126:127]
	s_wait_dscnt 0x1
	s_delay_alu instid0(VALU_DEP_1) | instskip(SKIP_1) | instid1(VALU_DEP_1)
	v_fmac_f64_e32 v[138:139], v[122:123], v[108:109]
	s_wait_loadcnt 0x1
	v_fmac_f64_e32 v[138:139], v[104:105], v[110:111]
	s_wait_dscnt 0x0
	s_delay_alu instid0(VALU_DEP_1) | instskip(SKIP_1) | instid1(VALU_DEP_1)
	v_fmac_f64_e32 v[138:139], v[106:107], v[112:113]
	s_wait_loadcnt 0x0
	v_fmac_f64_e32 v[138:139], v[132:133], v[114:115]
	s_delay_alu instid0(VALU_DEP_1)
	v_add_f64_e64 v[2:3], v[102:103], -v[138:139]
	scratch_store_b64 off, v[2:3], off offset:64
	s_wait_xcnt 0x0
	v_cmpx_lt_u32_e32 7, v0
	s_cbranch_execz .LBB48_289
; %bb.288:
	scratch_load_b64 v[2:3], off, off offset:56
	v_mov_b64_e32 v[102:103], 0
	scratch_store_b64 off, v[102:103], off offset:56
	s_wait_loadcnt 0x0
	ds_store_b64 v1, v[2:3]
.LBB48_289:
	s_wait_xcnt 0x0
	s_or_b32 exec_lo, exec_lo, s0
	s_wait_storecnt_dscnt 0x0
	s_barrier_signal -1
	s_barrier_wait -1
	s_clause 0x5
	scratch_load_b128 v[102:105], off, off offset:56
	scratch_load_b128 v[106:109], off, off offset:72
	;; [unrolled: 1-line block ×6, first 2 shown]
	v_mov_b32_e32 v2, 0
	ds_load_b128 v[126:129], v2 offset:464
	ds_load_b128 v[130:133], v2 offset:480
	scratch_load_b128 v[134:137], off, off offset:152
	s_mov_b32 s0, exec_lo
	s_wait_loadcnt_dscnt 0x601
	v_fma_f64 v[138:139], v[104:105], v[126:127], 0
	s_wait_loadcnt 0x5
	s_delay_alu instid0(VALU_DEP_1) | instskip(SKIP_4) | instid1(VALU_DEP_1)
	v_fmac_f64_e32 v[138:139], v[106:107], v[128:129]
	scratch_load_b128 v[104:107], off, off offset:168
	s_wait_dscnt 0x0
	v_fmac_f64_e32 v[138:139], v[108:109], v[130:131]
	s_wait_loadcnt 0x5
	v_fmac_f64_e32 v[138:139], v[110:111], v[132:133]
	ds_load_b128 v[108:111], v2 offset:496
	ds_load_b128 v[126:129], v2 offset:512
	scratch_load_b128 v[130:133], off, off offset:184
	s_wait_dscnt 0x1
	v_fmac_f64_e32 v[138:139], v[112:113], v[108:109]
	s_wait_loadcnt 0x5
	s_delay_alu instid0(VALU_DEP_1) | instskip(SKIP_4) | instid1(VALU_DEP_1)
	v_fmac_f64_e32 v[138:139], v[114:115], v[110:111]
	scratch_load_b128 v[108:111], off, off offset:200
	s_wait_dscnt 0x0
	v_fmac_f64_e32 v[138:139], v[116:117], v[126:127]
	s_wait_loadcnt 0x5
	v_fmac_f64_e32 v[138:139], v[118:119], v[128:129]
	ds_load_b128 v[112:115], v2 offset:528
	ds_load_b128 v[116:119], v2 offset:544
	scratch_load_b128 v[126:129], off, off offset:216
	s_wait_dscnt 0x1
	v_fmac_f64_e32 v[138:139], v[120:121], v[112:113]
	s_wait_loadcnt 0x5
	s_delay_alu instid0(VALU_DEP_1) | instskip(SKIP_4) | instid1(VALU_DEP_1)
	v_fmac_f64_e32 v[138:139], v[122:123], v[114:115]
	scratch_load_b128 v[112:115], off, off offset:232
	s_wait_dscnt 0x0
	v_fmac_f64_e32 v[138:139], v[124:125], v[116:117]
	s_wait_loadcnt 0x5
	v_fmac_f64_e32 v[138:139], v[134:135], v[118:119]
	ds_load_b128 v[116:119], v2 offset:560
	ds_load_b128 v[120:123], v2 offset:576
	s_wait_dscnt 0x1
	v_fmac_f64_e32 v[138:139], v[136:137], v[116:117]
	scratch_load_b128 v[134:137], off, off offset:248
	s_wait_loadcnt 0x5
	v_fmac_f64_e32 v[138:139], v[104:105], v[118:119]
	s_wait_dscnt 0x0
	s_delay_alu instid0(VALU_DEP_1)
	v_fmac_f64_e32 v[138:139], v[106:107], v[120:121]
	scratch_load_b128 v[104:107], off, off offset:264
	s_wait_loadcnt 0x5
	v_fmac_f64_e32 v[138:139], v[130:131], v[122:123]
	ds_load_b128 v[116:119], v2 offset:592
	ds_load_b128 v[120:123], v2 offset:608
	s_wait_dscnt 0x1
	v_fmac_f64_e32 v[138:139], v[132:133], v[116:117]
	scratch_load_b128 v[130:133], off, off offset:280
	s_wait_loadcnt 0x5
	v_fmac_f64_e32 v[138:139], v[108:109], v[118:119]
	s_wait_dscnt 0x0
	s_delay_alu instid0(VALU_DEP_1)
	v_fmac_f64_e32 v[138:139], v[110:111], v[120:121]
	scratch_load_b128 v[108:111], off, off offset:296
	s_wait_loadcnt 0x5
	v_fmac_f64_e32 v[138:139], v[126:127], v[122:123]
	ds_load_b128 v[116:119], v2 offset:624
	ds_load_b128 v[120:123], v2 offset:640
	s_wait_dscnt 0x1
	v_fmac_f64_e32 v[138:139], v[128:129], v[116:117]
	s_wait_loadcnt 0x4
	s_delay_alu instid0(VALU_DEP_1)
	v_fmac_f64_e32 v[138:139], v[112:113], v[118:119]
	scratch_load_b128 v[116:119], off, off offset:312
	s_wait_dscnt 0x0
	v_fmac_f64_e32 v[138:139], v[114:115], v[120:121]
	scratch_load_b128 v[112:115], off, off offset:328
	s_wait_loadcnt 0x5
	v_fmac_f64_e32 v[138:139], v[134:135], v[122:123]
	ds_load_b128 v[120:123], v2 offset:656
	ds_load_b128 v[124:127], v2 offset:672
	s_wait_dscnt 0x1
	v_fmac_f64_e32 v[138:139], v[136:137], v[120:121]
	s_wait_loadcnt 0x4
	s_delay_alu instid0(VALU_DEP_1)
	v_fmac_f64_e32 v[138:139], v[104:105], v[122:123]
	scratch_load_b128 v[120:123], off, off offset:344
	s_wait_dscnt 0x0
	v_fmac_f64_e32 v[138:139], v[106:107], v[124:125]
	scratch_load_b128 v[104:107], off, off offset:360
	s_wait_loadcnt 0x5
	v_fmac_f64_e32 v[138:139], v[130:131], v[126:127]
	ds_load_b128 v[124:127], v2 offset:688
	ds_load_b128 v[128:131], v2 offset:704
	s_wait_dscnt 0x1
	v_fmac_f64_e32 v[138:139], v[132:133], v[124:125]
	s_wait_loadcnt 0x4
	s_delay_alu instid0(VALU_DEP_1) | instskip(SKIP_4) | instid1(VALU_DEP_1)
	v_fmac_f64_e32 v[138:139], v[108:109], v[126:127]
	scratch_load_b128 v[124:127], off, off offset:376
	s_wait_dscnt 0x0
	v_fmac_f64_e32 v[138:139], v[110:111], v[128:129]
	s_wait_loadcnt 0x4
	v_fmac_f64_e32 v[138:139], v[116:117], v[130:131]
	ds_load_b128 v[108:111], v2 offset:720
	ds_load_b128 v[128:131], v2 offset:736
	s_wait_dscnt 0x1
	v_fmac_f64_e32 v[138:139], v[118:119], v[108:109]
	s_wait_loadcnt 0x3
	s_delay_alu instid0(VALU_DEP_1) | instskip(SKIP_1) | instid1(VALU_DEP_1)
	v_fmac_f64_e32 v[138:139], v[112:113], v[110:111]
	s_wait_dscnt 0x0
	v_fmac_f64_e32 v[138:139], v[114:115], v[128:129]
	ds_load_b128 v[108:111], v2 offset:752
	ds_load_b128 v[112:115], v2 offset:768
	s_wait_loadcnt 0x2
	v_fmac_f64_e32 v[138:139], v[120:121], v[130:131]
	s_wait_dscnt 0x1
	s_delay_alu instid0(VALU_DEP_1) | instskip(SKIP_1) | instid1(VALU_DEP_1)
	v_fmac_f64_e32 v[138:139], v[122:123], v[108:109]
	s_wait_loadcnt 0x1
	v_fmac_f64_e32 v[138:139], v[104:105], v[110:111]
	ds_load_b64 v[104:105], v2 offset:784
	s_wait_dscnt 0x1
	v_fmac_f64_e32 v[138:139], v[106:107], v[112:113]
	s_wait_loadcnt 0x0
	s_delay_alu instid0(VALU_DEP_1) | instskip(SKIP_1) | instid1(VALU_DEP_1)
	v_fmac_f64_e32 v[138:139], v[124:125], v[114:115]
	s_wait_dscnt 0x0
	v_fmac_f64_e32 v[138:139], v[126:127], v[104:105]
	s_delay_alu instid0(VALU_DEP_1)
	v_add_f64_e64 v[102:103], v[102:103], -v[138:139]
	scratch_store_b64 off, v[102:103], off offset:56
	s_wait_xcnt 0x0
	v_cmpx_lt_u32_e32 6, v0
	s_cbranch_execz .LBB48_291
; %bb.290:
	scratch_load_b64 v[102:103], off, off offset:48
	v_mov_b64_e32 v[104:105], 0
	scratch_store_b64 off, v[104:105], off offset:48
	s_wait_loadcnt 0x0
	ds_store_b64 v1, v[102:103]
.LBB48_291:
	s_wait_xcnt 0x0
	s_or_b32 exec_lo, exec_lo, s0
	s_wait_storecnt_dscnt 0x0
	s_barrier_signal -1
	s_barrier_wait -1
	s_clause 0x5
	scratch_load_b128 v[102:105], off, off offset:48
	scratch_load_b128 v[106:109], off, off offset:64
	;; [unrolled: 1-line block ×6, first 2 shown]
	ds_load_2addr_b64 v[126:129], v2 offset0:57 offset1:58
	ds_load_2addr_b64 v[130:133], v2 offset0:59 offset1:60
	scratch_load_b128 v[134:137], off, off offset:144
	s_mov_b32 s0, exec_lo
	s_wait_loadcnt_dscnt 0x601
	v_fma_f64 v[138:139], v[104:105], v[126:127], 0
	s_wait_loadcnt 0x5
	s_delay_alu instid0(VALU_DEP_1) | instskip(SKIP_4) | instid1(VALU_DEP_1)
	v_fmac_f64_e32 v[138:139], v[106:107], v[128:129]
	scratch_load_b128 v[104:107], off, off offset:160
	s_wait_dscnt 0x0
	v_fmac_f64_e32 v[138:139], v[108:109], v[130:131]
	s_wait_loadcnt 0x5
	v_fmac_f64_e32 v[138:139], v[110:111], v[132:133]
	ds_load_2addr_b64 v[108:111], v2 offset0:61 offset1:62
	ds_load_2addr_b64 v[126:129], v2 offset0:63 offset1:64
	scratch_load_b128 v[130:133], off, off offset:176
	s_wait_dscnt 0x1
	v_fmac_f64_e32 v[138:139], v[112:113], v[108:109]
	s_wait_loadcnt 0x5
	s_delay_alu instid0(VALU_DEP_1) | instskip(SKIP_4) | instid1(VALU_DEP_1)
	v_fmac_f64_e32 v[138:139], v[114:115], v[110:111]
	scratch_load_b128 v[108:111], off, off offset:192
	s_wait_dscnt 0x0
	v_fmac_f64_e32 v[138:139], v[116:117], v[126:127]
	s_wait_loadcnt 0x5
	v_fmac_f64_e32 v[138:139], v[118:119], v[128:129]
	ds_load_2addr_b64 v[112:115], v2 offset0:65 offset1:66
	ds_load_2addr_b64 v[116:119], v2 offset0:67 offset1:68
	scratch_load_b128 v[126:129], off, off offset:208
	s_wait_dscnt 0x1
	v_fmac_f64_e32 v[138:139], v[120:121], v[112:113]
	s_wait_loadcnt 0x5
	s_delay_alu instid0(VALU_DEP_1) | instskip(SKIP_4) | instid1(VALU_DEP_1)
	v_fmac_f64_e32 v[138:139], v[122:123], v[114:115]
	scratch_load_b128 v[112:115], off, off offset:224
	s_wait_dscnt 0x0
	v_fmac_f64_e32 v[138:139], v[124:125], v[116:117]
	s_wait_loadcnt 0x5
	v_fmac_f64_e32 v[138:139], v[134:135], v[118:119]
	ds_load_2addr_b64 v[116:119], v2 offset0:69 offset1:70
	ds_load_2addr_b64 v[120:123], v2 offset0:71 offset1:72
	s_wait_dscnt 0x1
	v_fmac_f64_e32 v[138:139], v[136:137], v[116:117]
	scratch_load_b128 v[134:137], off, off offset:240
	s_wait_loadcnt 0x5
	v_fmac_f64_e32 v[138:139], v[104:105], v[118:119]
	s_wait_dscnt 0x0
	s_delay_alu instid0(VALU_DEP_1)
	v_fmac_f64_e32 v[138:139], v[106:107], v[120:121]
	scratch_load_b128 v[104:107], off, off offset:256
	s_wait_loadcnt 0x5
	v_fmac_f64_e32 v[138:139], v[130:131], v[122:123]
	ds_load_2addr_b64 v[116:119], v2 offset0:73 offset1:74
	ds_load_2addr_b64 v[120:123], v2 offset0:75 offset1:76
	s_wait_dscnt 0x1
	v_fmac_f64_e32 v[138:139], v[132:133], v[116:117]
	scratch_load_b128 v[130:133], off, off offset:272
	s_wait_loadcnt 0x5
	v_fmac_f64_e32 v[138:139], v[108:109], v[118:119]
	s_wait_dscnt 0x0
	s_delay_alu instid0(VALU_DEP_1)
	v_fmac_f64_e32 v[138:139], v[110:111], v[120:121]
	scratch_load_b128 v[108:111], off, off offset:288
	s_wait_loadcnt 0x5
	v_fmac_f64_e32 v[138:139], v[126:127], v[122:123]
	ds_load_2addr_b64 v[116:119], v2 offset0:77 offset1:78
	ds_load_2addr_b64 v[120:123], v2 offset0:79 offset1:80
	scratch_load_b128 v[124:127], off, off offset:304
	s_wait_dscnt 0x1
	v_fmac_f64_e32 v[138:139], v[128:129], v[116:117]
	s_wait_loadcnt 0x5
	s_delay_alu instid0(VALU_DEP_1) | instskip(SKIP_1) | instid1(VALU_DEP_1)
	v_fmac_f64_e32 v[138:139], v[112:113], v[118:119]
	s_wait_dscnt 0x0
	v_fmac_f64_e32 v[138:139], v[114:115], v[120:121]
	scratch_load_b128 v[112:115], off, off offset:320
	s_wait_loadcnt 0x5
	v_fmac_f64_e32 v[138:139], v[134:135], v[122:123]
	ds_load_2addr_b64 v[116:119], v2 offset0:81 offset1:82
	ds_load_2addr_b64 v[120:123], v2 offset0:83 offset1:84
	s_wait_dscnt 0x1
	v_fmac_f64_e32 v[138:139], v[136:137], v[116:117]
	s_wait_loadcnt 0x4
	s_delay_alu instid0(VALU_DEP_1)
	v_fmac_f64_e32 v[138:139], v[104:105], v[118:119]
	scratch_load_b128 v[116:119], off, off offset:336
	s_wait_dscnt 0x0
	v_fmac_f64_e32 v[138:139], v[106:107], v[120:121]
	scratch_load_b128 v[104:107], off, off offset:352
	s_wait_loadcnt 0x5
	v_fmac_f64_e32 v[138:139], v[130:131], v[122:123]
	ds_load_2addr_b64 v[120:123], v2 offset0:85 offset1:86
	ds_load_2addr_b64 v[128:131], v2 offset0:87 offset1:88
	s_wait_dscnt 0x1
	v_fmac_f64_e32 v[138:139], v[132:133], v[120:121]
	s_wait_loadcnt 0x4
	s_delay_alu instid0(VALU_DEP_1) | instskip(SKIP_4) | instid1(VALU_DEP_1)
	v_fmac_f64_e32 v[138:139], v[108:109], v[122:123]
	scratch_load_b128 v[120:123], off, off offset:368
	s_wait_dscnt 0x0
	v_fmac_f64_e32 v[138:139], v[110:111], v[128:129]
	s_wait_loadcnt 0x4
	v_fmac_f64_e32 v[138:139], v[124:125], v[130:131]
	scratch_load_b64 v[124:125], off, off offset:384
	ds_load_2addr_b64 v[108:111], v2 offset0:89 offset1:90
	ds_load_2addr_b64 v[128:131], v2 offset0:91 offset1:92
	s_wait_dscnt 0x1
	v_fmac_f64_e32 v[138:139], v[126:127], v[108:109]
	s_wait_loadcnt 0x4
	s_delay_alu instid0(VALU_DEP_1) | instskip(SKIP_1) | instid1(VALU_DEP_1)
	v_fmac_f64_e32 v[138:139], v[112:113], v[110:111]
	s_wait_dscnt 0x0
	v_fmac_f64_e32 v[138:139], v[114:115], v[128:129]
	ds_load_2addr_b64 v[108:111], v2 offset0:93 offset1:94
	ds_load_2addr_b64 v[112:115], v2 offset0:95 offset1:96
	s_wait_loadcnt 0x3
	v_fmac_f64_e32 v[138:139], v[116:117], v[130:131]
	s_wait_dscnt 0x1
	s_delay_alu instid0(VALU_DEP_1) | instskip(SKIP_1) | instid1(VALU_DEP_1)
	v_fmac_f64_e32 v[138:139], v[118:119], v[108:109]
	s_wait_loadcnt 0x2
	v_fmac_f64_e32 v[138:139], v[104:105], v[110:111]
	s_wait_dscnt 0x0
	s_delay_alu instid0(VALU_DEP_1) | instskip(SKIP_4) | instid1(VALU_DEP_1)
	v_fmac_f64_e32 v[138:139], v[106:107], v[112:113]
	ds_load_2addr_b64 v[104:107], v2 offset0:97 offset1:98
	s_wait_loadcnt 0x1
	v_fmac_f64_e32 v[138:139], v[120:121], v[114:115]
	s_wait_dscnt 0x0
	v_fmac_f64_e32 v[138:139], v[122:123], v[104:105]
	s_wait_loadcnt 0x0
	s_delay_alu instid0(VALU_DEP_1) | instskip(NEXT) | instid1(VALU_DEP_1)
	v_fmac_f64_e32 v[138:139], v[124:125], v[106:107]
	v_add_f64_e64 v[2:3], v[102:103], -v[138:139]
	scratch_store_b64 off, v[2:3], off offset:48
	s_wait_xcnt 0x0
	v_cmpx_lt_u32_e32 5, v0
	s_cbranch_execz .LBB48_293
; %bb.292:
	scratch_load_b64 v[2:3], off, off offset:40
	v_mov_b64_e32 v[102:103], 0
	scratch_store_b64 off, v[102:103], off offset:40
	s_wait_loadcnt 0x0
	ds_store_b64 v1, v[2:3]
.LBB48_293:
	s_wait_xcnt 0x0
	s_or_b32 exec_lo, exec_lo, s0
	s_wait_storecnt_dscnt 0x0
	s_barrier_signal -1
	s_barrier_wait -1
	s_clause 0x5
	scratch_load_b128 v[102:105], off, off offset:40
	scratch_load_b128 v[106:109], off, off offset:56
	;; [unrolled: 1-line block ×6, first 2 shown]
	v_mov_b32_e32 v2, 0
	ds_load_b128 v[126:129], v2 offset:448
	ds_load_b128 v[130:133], v2 offset:464
	scratch_load_b128 v[134:137], off, off offset:136
	s_mov_b32 s0, exec_lo
	s_wait_loadcnt_dscnt 0x601
	v_fma_f64 v[138:139], v[104:105], v[126:127], 0
	s_wait_loadcnt 0x5
	s_delay_alu instid0(VALU_DEP_1) | instskip(SKIP_4) | instid1(VALU_DEP_1)
	v_fmac_f64_e32 v[138:139], v[106:107], v[128:129]
	scratch_load_b128 v[104:107], off, off offset:152
	s_wait_dscnt 0x0
	v_fmac_f64_e32 v[138:139], v[108:109], v[130:131]
	s_wait_loadcnt 0x5
	v_fmac_f64_e32 v[138:139], v[110:111], v[132:133]
	ds_load_b128 v[108:111], v2 offset:480
	ds_load_b128 v[126:129], v2 offset:496
	scratch_load_b128 v[130:133], off, off offset:168
	s_wait_dscnt 0x1
	v_fmac_f64_e32 v[138:139], v[112:113], v[108:109]
	s_wait_loadcnt 0x5
	s_delay_alu instid0(VALU_DEP_1) | instskip(SKIP_4) | instid1(VALU_DEP_1)
	v_fmac_f64_e32 v[138:139], v[114:115], v[110:111]
	scratch_load_b128 v[108:111], off, off offset:184
	s_wait_dscnt 0x0
	v_fmac_f64_e32 v[138:139], v[116:117], v[126:127]
	s_wait_loadcnt 0x5
	v_fmac_f64_e32 v[138:139], v[118:119], v[128:129]
	ds_load_b128 v[112:115], v2 offset:512
	ds_load_b128 v[116:119], v2 offset:528
	scratch_load_b128 v[126:129], off, off offset:200
	s_wait_dscnt 0x1
	v_fmac_f64_e32 v[138:139], v[120:121], v[112:113]
	s_wait_loadcnt 0x5
	s_delay_alu instid0(VALU_DEP_1) | instskip(SKIP_4) | instid1(VALU_DEP_1)
	v_fmac_f64_e32 v[138:139], v[122:123], v[114:115]
	scratch_load_b128 v[112:115], off, off offset:216
	s_wait_dscnt 0x0
	v_fmac_f64_e32 v[138:139], v[124:125], v[116:117]
	s_wait_loadcnt 0x5
	v_fmac_f64_e32 v[138:139], v[134:135], v[118:119]
	ds_load_b128 v[116:119], v2 offset:544
	ds_load_b128 v[120:123], v2 offset:560
	s_wait_dscnt 0x1
	v_fmac_f64_e32 v[138:139], v[136:137], v[116:117]
	scratch_load_b128 v[134:137], off, off offset:232
	s_wait_loadcnt 0x5
	v_fmac_f64_e32 v[138:139], v[104:105], v[118:119]
	s_wait_dscnt 0x0
	s_delay_alu instid0(VALU_DEP_1)
	v_fmac_f64_e32 v[138:139], v[106:107], v[120:121]
	scratch_load_b128 v[104:107], off, off offset:248
	s_wait_loadcnt 0x5
	v_fmac_f64_e32 v[138:139], v[130:131], v[122:123]
	ds_load_b128 v[116:119], v2 offset:576
	ds_load_b128 v[120:123], v2 offset:592
	s_wait_dscnt 0x1
	v_fmac_f64_e32 v[138:139], v[132:133], v[116:117]
	scratch_load_b128 v[130:133], off, off offset:264
	s_wait_loadcnt 0x5
	v_fmac_f64_e32 v[138:139], v[108:109], v[118:119]
	s_wait_dscnt 0x0
	s_delay_alu instid0(VALU_DEP_1)
	v_fmac_f64_e32 v[138:139], v[110:111], v[120:121]
	scratch_load_b128 v[108:111], off, off offset:280
	s_wait_loadcnt 0x5
	v_fmac_f64_e32 v[138:139], v[126:127], v[122:123]
	ds_load_b128 v[116:119], v2 offset:608
	ds_load_b128 v[120:123], v2 offset:624
	scratch_load_b128 v[124:127], off, off offset:296
	s_wait_dscnt 0x1
	v_fmac_f64_e32 v[138:139], v[128:129], v[116:117]
	s_wait_loadcnt 0x5
	s_delay_alu instid0(VALU_DEP_1) | instskip(SKIP_1) | instid1(VALU_DEP_1)
	v_fmac_f64_e32 v[138:139], v[112:113], v[118:119]
	s_wait_dscnt 0x0
	v_fmac_f64_e32 v[138:139], v[114:115], v[120:121]
	scratch_load_b128 v[112:115], off, off offset:312
	s_wait_loadcnt 0x5
	v_fmac_f64_e32 v[138:139], v[134:135], v[122:123]
	ds_load_b128 v[116:119], v2 offset:640
	ds_load_b128 v[120:123], v2 offset:656
	s_wait_dscnt 0x1
	v_fmac_f64_e32 v[138:139], v[136:137], v[116:117]
	s_wait_loadcnt 0x4
	s_delay_alu instid0(VALU_DEP_1)
	v_fmac_f64_e32 v[138:139], v[104:105], v[118:119]
	scratch_load_b128 v[116:119], off, off offset:328
	s_wait_dscnt 0x0
	v_fmac_f64_e32 v[138:139], v[106:107], v[120:121]
	scratch_load_b128 v[104:107], off, off offset:344
	s_wait_loadcnt 0x5
	v_fmac_f64_e32 v[138:139], v[130:131], v[122:123]
	ds_load_b128 v[120:123], v2 offset:672
	ds_load_b128 v[128:131], v2 offset:688
	s_wait_dscnt 0x1
	v_fmac_f64_e32 v[138:139], v[132:133], v[120:121]
	s_wait_loadcnt 0x4
	s_delay_alu instid0(VALU_DEP_1)
	v_fmac_f64_e32 v[138:139], v[108:109], v[122:123]
	scratch_load_b128 v[120:123], off, off offset:360
	s_wait_dscnt 0x0
	v_fmac_f64_e32 v[138:139], v[110:111], v[128:129]
	scratch_load_b128 v[108:111], off, off offset:376
	s_wait_loadcnt 0x5
	v_fmac_f64_e32 v[138:139], v[124:125], v[130:131]
	ds_load_b128 v[128:131], v2 offset:704
	ds_load_b128 v[132:135], v2 offset:720
	s_wait_dscnt 0x1
	v_fmac_f64_e32 v[138:139], v[126:127], v[128:129]
	s_wait_loadcnt 0x4
	s_delay_alu instid0(VALU_DEP_1) | instskip(SKIP_1) | instid1(VALU_DEP_1)
	v_fmac_f64_e32 v[138:139], v[112:113], v[130:131]
	s_wait_dscnt 0x0
	v_fmac_f64_e32 v[138:139], v[114:115], v[132:133]
	ds_load_b128 v[112:115], v2 offset:736
	ds_load_b128 v[124:127], v2 offset:752
	s_wait_loadcnt 0x3
	v_fmac_f64_e32 v[138:139], v[116:117], v[134:135]
	s_wait_dscnt 0x1
	s_delay_alu instid0(VALU_DEP_1) | instskip(SKIP_1) | instid1(VALU_DEP_1)
	v_fmac_f64_e32 v[138:139], v[118:119], v[112:113]
	s_wait_loadcnt 0x2
	v_fmac_f64_e32 v[138:139], v[104:105], v[114:115]
	s_wait_dscnt 0x0
	s_delay_alu instid0(VALU_DEP_1)
	v_fmac_f64_e32 v[138:139], v[106:107], v[124:125]
	ds_load_b128 v[104:107], v2 offset:768
	ds_load_b64 v[112:113], v2 offset:784
	s_wait_loadcnt 0x1
	v_fmac_f64_e32 v[138:139], v[120:121], v[126:127]
	s_wait_dscnt 0x1
	s_delay_alu instid0(VALU_DEP_1) | instskip(SKIP_1) | instid1(VALU_DEP_1)
	v_fmac_f64_e32 v[138:139], v[122:123], v[104:105]
	s_wait_loadcnt 0x0
	v_fmac_f64_e32 v[138:139], v[108:109], v[106:107]
	s_wait_dscnt 0x0
	s_delay_alu instid0(VALU_DEP_1) | instskip(NEXT) | instid1(VALU_DEP_1)
	v_fmac_f64_e32 v[138:139], v[110:111], v[112:113]
	v_add_f64_e64 v[102:103], v[102:103], -v[138:139]
	scratch_store_b64 off, v[102:103], off offset:40
	s_wait_xcnt 0x0
	v_cmpx_lt_u32_e32 4, v0
	s_cbranch_execz .LBB48_295
; %bb.294:
	scratch_load_b64 v[102:103], off, off offset:32
	v_mov_b64_e32 v[104:105], 0
	scratch_store_b64 off, v[104:105], off offset:32
	s_wait_loadcnt 0x0
	ds_store_b64 v1, v[102:103]
.LBB48_295:
	s_wait_xcnt 0x0
	s_or_b32 exec_lo, exec_lo, s0
	s_wait_storecnt_dscnt 0x0
	s_barrier_signal -1
	s_barrier_wait -1
	s_clause 0x5
	scratch_load_b128 v[102:105], off, off offset:32
	scratch_load_b128 v[106:109], off, off offset:48
	;; [unrolled: 1-line block ×6, first 2 shown]
	ds_load_2addr_b64 v[126:129], v2 offset0:55 offset1:56
	ds_load_2addr_b64 v[130:133], v2 offset0:57 offset1:58
	scratch_load_b128 v[134:137], off, off offset:128
	s_mov_b32 s0, exec_lo
	s_wait_loadcnt_dscnt 0x601
	v_fma_f64 v[138:139], v[104:105], v[126:127], 0
	s_wait_loadcnt 0x5
	s_delay_alu instid0(VALU_DEP_1) | instskip(SKIP_4) | instid1(VALU_DEP_1)
	v_fmac_f64_e32 v[138:139], v[106:107], v[128:129]
	scratch_load_b128 v[104:107], off, off offset:144
	s_wait_dscnt 0x0
	v_fmac_f64_e32 v[138:139], v[108:109], v[130:131]
	s_wait_loadcnt 0x5
	v_fmac_f64_e32 v[138:139], v[110:111], v[132:133]
	ds_load_2addr_b64 v[108:111], v2 offset0:59 offset1:60
	ds_load_2addr_b64 v[126:129], v2 offset0:61 offset1:62
	scratch_load_b128 v[130:133], off, off offset:160
	s_wait_dscnt 0x1
	v_fmac_f64_e32 v[138:139], v[112:113], v[108:109]
	s_wait_loadcnt 0x5
	s_delay_alu instid0(VALU_DEP_1) | instskip(SKIP_4) | instid1(VALU_DEP_1)
	v_fmac_f64_e32 v[138:139], v[114:115], v[110:111]
	scratch_load_b128 v[108:111], off, off offset:176
	s_wait_dscnt 0x0
	v_fmac_f64_e32 v[138:139], v[116:117], v[126:127]
	s_wait_loadcnt 0x5
	v_fmac_f64_e32 v[138:139], v[118:119], v[128:129]
	ds_load_2addr_b64 v[112:115], v2 offset0:63 offset1:64
	ds_load_2addr_b64 v[116:119], v2 offset0:65 offset1:66
	scratch_load_b128 v[126:129], off, off offset:192
	s_wait_dscnt 0x1
	v_fmac_f64_e32 v[138:139], v[120:121], v[112:113]
	s_wait_loadcnt 0x5
	s_delay_alu instid0(VALU_DEP_1) | instskip(SKIP_4) | instid1(VALU_DEP_1)
	v_fmac_f64_e32 v[138:139], v[122:123], v[114:115]
	scratch_load_b128 v[112:115], off, off offset:208
	s_wait_dscnt 0x0
	v_fmac_f64_e32 v[138:139], v[124:125], v[116:117]
	s_wait_loadcnt 0x5
	v_fmac_f64_e32 v[138:139], v[134:135], v[118:119]
	ds_load_2addr_b64 v[116:119], v2 offset0:67 offset1:68
	ds_load_2addr_b64 v[120:123], v2 offset0:69 offset1:70
	s_wait_dscnt 0x1
	v_fmac_f64_e32 v[138:139], v[136:137], v[116:117]
	scratch_load_b128 v[134:137], off, off offset:224
	s_wait_loadcnt 0x5
	v_fmac_f64_e32 v[138:139], v[104:105], v[118:119]
	s_wait_dscnt 0x0
	s_delay_alu instid0(VALU_DEP_1)
	v_fmac_f64_e32 v[138:139], v[106:107], v[120:121]
	scratch_load_b128 v[104:107], off, off offset:240
	s_wait_loadcnt 0x5
	v_fmac_f64_e32 v[138:139], v[130:131], v[122:123]
	ds_load_2addr_b64 v[116:119], v2 offset0:71 offset1:72
	ds_load_2addr_b64 v[120:123], v2 offset0:73 offset1:74
	s_wait_dscnt 0x1
	v_fmac_f64_e32 v[138:139], v[132:133], v[116:117]
	scratch_load_b128 v[130:133], off, off offset:256
	s_wait_loadcnt 0x5
	v_fmac_f64_e32 v[138:139], v[108:109], v[118:119]
	s_wait_dscnt 0x0
	s_delay_alu instid0(VALU_DEP_1)
	v_fmac_f64_e32 v[138:139], v[110:111], v[120:121]
	scratch_load_b128 v[108:111], off, off offset:272
	s_wait_loadcnt 0x5
	v_fmac_f64_e32 v[138:139], v[126:127], v[122:123]
	ds_load_2addr_b64 v[116:119], v2 offset0:75 offset1:76
	ds_load_2addr_b64 v[120:123], v2 offset0:77 offset1:78
	scratch_load_b128 v[124:127], off, off offset:288
	s_wait_dscnt 0x1
	v_fmac_f64_e32 v[138:139], v[128:129], v[116:117]
	s_wait_loadcnt 0x5
	s_delay_alu instid0(VALU_DEP_1) | instskip(SKIP_1) | instid1(VALU_DEP_1)
	v_fmac_f64_e32 v[138:139], v[112:113], v[118:119]
	s_wait_dscnt 0x0
	v_fmac_f64_e32 v[138:139], v[114:115], v[120:121]
	scratch_load_b128 v[112:115], off, off offset:304
	s_wait_loadcnt 0x5
	v_fmac_f64_e32 v[138:139], v[134:135], v[122:123]
	ds_load_2addr_b64 v[116:119], v2 offset0:79 offset1:80
	ds_load_2addr_b64 v[120:123], v2 offset0:81 offset1:82
	s_wait_dscnt 0x1
	v_fmac_f64_e32 v[138:139], v[136:137], v[116:117]
	s_wait_loadcnt 0x4
	s_delay_alu instid0(VALU_DEP_1)
	v_fmac_f64_e32 v[138:139], v[104:105], v[118:119]
	scratch_load_b128 v[116:119], off, off offset:320
	s_wait_dscnt 0x0
	v_fmac_f64_e32 v[138:139], v[106:107], v[120:121]
	scratch_load_b128 v[104:107], off, off offset:336
	s_wait_loadcnt 0x5
	v_fmac_f64_e32 v[138:139], v[130:131], v[122:123]
	ds_load_2addr_b64 v[120:123], v2 offset0:83 offset1:84
	ds_load_2addr_b64 v[128:131], v2 offset0:85 offset1:86
	s_wait_dscnt 0x1
	v_fmac_f64_e32 v[138:139], v[132:133], v[120:121]
	s_wait_loadcnt 0x4
	s_delay_alu instid0(VALU_DEP_1)
	v_fmac_f64_e32 v[138:139], v[108:109], v[122:123]
	scratch_load_b128 v[120:123], off, off offset:352
	s_wait_dscnt 0x0
	v_fmac_f64_e32 v[138:139], v[110:111], v[128:129]
	scratch_load_b128 v[108:111], off, off offset:368
	s_wait_loadcnt 0x5
	v_fmac_f64_e32 v[138:139], v[124:125], v[130:131]
	ds_load_2addr_b64 v[128:131], v2 offset0:87 offset1:88
	ds_load_2addr_b64 v[132:135], v2 offset0:89 offset1:90
	s_wait_dscnt 0x1
	v_fmac_f64_e32 v[138:139], v[126:127], v[128:129]
	scratch_load_b64 v[128:129], off, off offset:384
	s_wait_loadcnt 0x5
	v_fmac_f64_e32 v[138:139], v[112:113], v[130:131]
	s_wait_dscnt 0x0
	s_delay_alu instid0(VALU_DEP_1)
	v_fmac_f64_e32 v[138:139], v[114:115], v[132:133]
	ds_load_2addr_b64 v[112:115], v2 offset0:91 offset1:92
	ds_load_2addr_b64 v[124:127], v2 offset0:93 offset1:94
	s_wait_loadcnt 0x4
	v_fmac_f64_e32 v[138:139], v[116:117], v[134:135]
	s_wait_dscnt 0x1
	s_delay_alu instid0(VALU_DEP_1) | instskip(SKIP_1) | instid1(VALU_DEP_1)
	v_fmac_f64_e32 v[138:139], v[118:119], v[112:113]
	s_wait_loadcnt 0x3
	v_fmac_f64_e32 v[138:139], v[104:105], v[114:115]
	s_wait_dscnt 0x0
	s_delay_alu instid0(VALU_DEP_1)
	v_fmac_f64_e32 v[138:139], v[106:107], v[124:125]
	ds_load_2addr_b64 v[104:107], v2 offset0:95 offset1:96
	ds_load_2addr_b64 v[112:115], v2 offset0:97 offset1:98
	s_wait_loadcnt 0x2
	v_fmac_f64_e32 v[138:139], v[120:121], v[126:127]
	s_wait_dscnt 0x1
	s_delay_alu instid0(VALU_DEP_1) | instskip(SKIP_1) | instid1(VALU_DEP_1)
	v_fmac_f64_e32 v[138:139], v[122:123], v[104:105]
	s_wait_loadcnt 0x1
	v_fmac_f64_e32 v[138:139], v[108:109], v[106:107]
	s_wait_dscnt 0x0
	s_delay_alu instid0(VALU_DEP_1) | instskip(SKIP_1) | instid1(VALU_DEP_1)
	v_fmac_f64_e32 v[138:139], v[110:111], v[112:113]
	s_wait_loadcnt 0x0
	v_fmac_f64_e32 v[138:139], v[128:129], v[114:115]
	s_delay_alu instid0(VALU_DEP_1)
	v_add_f64_e64 v[2:3], v[102:103], -v[138:139]
	scratch_store_b64 off, v[2:3], off offset:32
	s_wait_xcnt 0x0
	v_cmpx_lt_u32_e32 3, v0
	s_cbranch_execz .LBB48_297
; %bb.296:
	scratch_load_b64 v[2:3], off, off offset:24
	v_mov_b64_e32 v[102:103], 0
	scratch_store_b64 off, v[102:103], off offset:24
	s_wait_loadcnt 0x0
	ds_store_b64 v1, v[2:3]
.LBB48_297:
	s_wait_xcnt 0x0
	s_or_b32 exec_lo, exec_lo, s0
	s_wait_storecnt_dscnt 0x0
	s_barrier_signal -1
	s_barrier_wait -1
	s_clause 0x5
	scratch_load_b128 v[102:105], off, off offset:24
	scratch_load_b128 v[106:109], off, off offset:40
	;; [unrolled: 1-line block ×6, first 2 shown]
	v_mov_b32_e32 v2, 0
	ds_load_b128 v[126:129], v2 offset:432
	ds_load_b128 v[130:133], v2 offset:448
	scratch_load_b128 v[134:137], off, off offset:120
	s_mov_b32 s0, exec_lo
	s_wait_loadcnt_dscnt 0x601
	v_fma_f64 v[138:139], v[104:105], v[126:127], 0
	s_wait_loadcnt 0x5
	s_delay_alu instid0(VALU_DEP_1) | instskip(SKIP_4) | instid1(VALU_DEP_1)
	v_fmac_f64_e32 v[138:139], v[106:107], v[128:129]
	scratch_load_b128 v[104:107], off, off offset:136
	s_wait_dscnt 0x0
	v_fmac_f64_e32 v[138:139], v[108:109], v[130:131]
	s_wait_loadcnt 0x5
	v_fmac_f64_e32 v[138:139], v[110:111], v[132:133]
	ds_load_b128 v[108:111], v2 offset:464
	ds_load_b128 v[126:129], v2 offset:480
	scratch_load_b128 v[130:133], off, off offset:152
	s_wait_dscnt 0x1
	v_fmac_f64_e32 v[138:139], v[112:113], v[108:109]
	s_wait_loadcnt 0x5
	s_delay_alu instid0(VALU_DEP_1) | instskip(SKIP_4) | instid1(VALU_DEP_1)
	v_fmac_f64_e32 v[138:139], v[114:115], v[110:111]
	scratch_load_b128 v[108:111], off, off offset:168
	s_wait_dscnt 0x0
	v_fmac_f64_e32 v[138:139], v[116:117], v[126:127]
	s_wait_loadcnt 0x5
	v_fmac_f64_e32 v[138:139], v[118:119], v[128:129]
	ds_load_b128 v[112:115], v2 offset:496
	ds_load_b128 v[116:119], v2 offset:512
	scratch_load_b128 v[126:129], off, off offset:184
	s_wait_dscnt 0x1
	v_fmac_f64_e32 v[138:139], v[120:121], v[112:113]
	s_wait_loadcnt 0x5
	s_delay_alu instid0(VALU_DEP_1) | instskip(SKIP_4) | instid1(VALU_DEP_1)
	v_fmac_f64_e32 v[138:139], v[122:123], v[114:115]
	scratch_load_b128 v[112:115], off, off offset:200
	s_wait_dscnt 0x0
	v_fmac_f64_e32 v[138:139], v[124:125], v[116:117]
	s_wait_loadcnt 0x5
	v_fmac_f64_e32 v[138:139], v[134:135], v[118:119]
	ds_load_b128 v[116:119], v2 offset:528
	ds_load_b128 v[120:123], v2 offset:544
	s_wait_dscnt 0x1
	v_fmac_f64_e32 v[138:139], v[136:137], v[116:117]
	scratch_load_b128 v[134:137], off, off offset:216
	s_wait_loadcnt 0x5
	v_fmac_f64_e32 v[138:139], v[104:105], v[118:119]
	s_wait_dscnt 0x0
	s_delay_alu instid0(VALU_DEP_1)
	v_fmac_f64_e32 v[138:139], v[106:107], v[120:121]
	scratch_load_b128 v[104:107], off, off offset:232
	s_wait_loadcnt 0x5
	v_fmac_f64_e32 v[138:139], v[130:131], v[122:123]
	ds_load_b128 v[116:119], v2 offset:560
	ds_load_b128 v[120:123], v2 offset:576
	s_wait_dscnt 0x1
	v_fmac_f64_e32 v[138:139], v[132:133], v[116:117]
	scratch_load_b128 v[130:133], off, off offset:248
	s_wait_loadcnt 0x5
	v_fmac_f64_e32 v[138:139], v[108:109], v[118:119]
	s_wait_dscnt 0x0
	s_delay_alu instid0(VALU_DEP_1)
	v_fmac_f64_e32 v[138:139], v[110:111], v[120:121]
	scratch_load_b128 v[108:111], off, off offset:264
	s_wait_loadcnt 0x5
	v_fmac_f64_e32 v[138:139], v[126:127], v[122:123]
	ds_load_b128 v[116:119], v2 offset:592
	ds_load_b128 v[120:123], v2 offset:608
	scratch_load_b128 v[124:127], off, off offset:280
	s_wait_dscnt 0x1
	v_fmac_f64_e32 v[138:139], v[128:129], v[116:117]
	s_wait_loadcnt 0x5
	s_delay_alu instid0(VALU_DEP_1) | instskip(SKIP_1) | instid1(VALU_DEP_1)
	v_fmac_f64_e32 v[138:139], v[112:113], v[118:119]
	s_wait_dscnt 0x0
	v_fmac_f64_e32 v[138:139], v[114:115], v[120:121]
	scratch_load_b128 v[112:115], off, off offset:296
	s_wait_loadcnt 0x5
	v_fmac_f64_e32 v[138:139], v[134:135], v[122:123]
	ds_load_b128 v[116:119], v2 offset:624
	ds_load_b128 v[120:123], v2 offset:640
	s_wait_dscnt 0x1
	v_fmac_f64_e32 v[138:139], v[136:137], v[116:117]
	s_wait_loadcnt 0x4
	s_delay_alu instid0(VALU_DEP_1)
	v_fmac_f64_e32 v[138:139], v[104:105], v[118:119]
	scratch_load_b128 v[116:119], off, off offset:312
	s_wait_dscnt 0x0
	v_fmac_f64_e32 v[138:139], v[106:107], v[120:121]
	scratch_load_b128 v[104:107], off, off offset:328
	s_wait_loadcnt 0x5
	v_fmac_f64_e32 v[138:139], v[130:131], v[122:123]
	ds_load_b128 v[120:123], v2 offset:656
	ds_load_b128 v[128:131], v2 offset:672
	s_wait_dscnt 0x1
	v_fmac_f64_e32 v[138:139], v[132:133], v[120:121]
	s_wait_loadcnt 0x4
	s_delay_alu instid0(VALU_DEP_1)
	v_fmac_f64_e32 v[138:139], v[108:109], v[122:123]
	scratch_load_b128 v[120:123], off, off offset:344
	s_wait_dscnt 0x0
	v_fmac_f64_e32 v[138:139], v[110:111], v[128:129]
	scratch_load_b128 v[108:111], off, off offset:360
	s_wait_loadcnt 0x5
	v_fmac_f64_e32 v[138:139], v[124:125], v[130:131]
	ds_load_b128 v[128:131], v2 offset:688
	ds_load_b128 v[132:135], v2 offset:704
	s_wait_dscnt 0x1
	v_fmac_f64_e32 v[138:139], v[126:127], v[128:129]
	scratch_load_b128 v[124:127], off, off offset:376
	s_wait_loadcnt 0x5
	v_fmac_f64_e32 v[138:139], v[112:113], v[130:131]
	s_wait_dscnt 0x0
	s_delay_alu instid0(VALU_DEP_1)
	v_fmac_f64_e32 v[138:139], v[114:115], v[132:133]
	ds_load_b128 v[112:115], v2 offset:720
	ds_load_b128 v[128:131], v2 offset:736
	s_wait_loadcnt 0x4
	v_fmac_f64_e32 v[138:139], v[116:117], v[134:135]
	s_wait_dscnt 0x1
	s_delay_alu instid0(VALU_DEP_1) | instskip(SKIP_1) | instid1(VALU_DEP_1)
	v_fmac_f64_e32 v[138:139], v[118:119], v[112:113]
	s_wait_loadcnt 0x3
	v_fmac_f64_e32 v[138:139], v[104:105], v[114:115]
	s_wait_dscnt 0x0
	s_delay_alu instid0(VALU_DEP_1)
	v_fmac_f64_e32 v[138:139], v[106:107], v[128:129]
	ds_load_b128 v[104:107], v2 offset:752
	ds_load_b128 v[112:115], v2 offset:768
	s_wait_loadcnt 0x2
	v_fmac_f64_e32 v[138:139], v[120:121], v[130:131]
	s_wait_dscnt 0x1
	s_delay_alu instid0(VALU_DEP_1) | instskip(SKIP_4) | instid1(VALU_DEP_1)
	v_fmac_f64_e32 v[138:139], v[122:123], v[104:105]
	ds_load_b64 v[104:105], v2 offset:784
	s_wait_loadcnt 0x1
	v_fmac_f64_e32 v[138:139], v[108:109], v[106:107]
	s_wait_dscnt 0x1
	v_fmac_f64_e32 v[138:139], v[110:111], v[112:113]
	s_wait_loadcnt 0x0
	s_delay_alu instid0(VALU_DEP_1) | instskip(SKIP_1) | instid1(VALU_DEP_1)
	v_fmac_f64_e32 v[138:139], v[124:125], v[114:115]
	s_wait_dscnt 0x0
	v_fmac_f64_e32 v[138:139], v[126:127], v[104:105]
	s_delay_alu instid0(VALU_DEP_1)
	v_add_f64_e64 v[102:103], v[102:103], -v[138:139]
	scratch_store_b64 off, v[102:103], off offset:24
	s_wait_xcnt 0x0
	v_cmpx_lt_u32_e32 2, v0
	s_cbranch_execz .LBB48_299
; %bb.298:
	scratch_load_b64 v[102:103], off, off offset:16
	v_mov_b64_e32 v[104:105], 0
	scratch_store_b64 off, v[104:105], off offset:16
	s_wait_loadcnt 0x0
	ds_store_b64 v1, v[102:103]
.LBB48_299:
	s_wait_xcnt 0x0
	s_or_b32 exec_lo, exec_lo, s0
	s_wait_storecnt_dscnt 0x0
	s_barrier_signal -1
	s_barrier_wait -1
	s_clause 0x5
	scratch_load_b128 v[102:105], off, off offset:16
	scratch_load_b128 v[106:109], off, off offset:32
	;; [unrolled: 1-line block ×6, first 2 shown]
	ds_load_2addr_b64 v[126:129], v2 offset0:53 offset1:54
	ds_load_2addr_b64 v[130:133], v2 offset0:55 offset1:56
	scratch_load_b128 v[134:137], off, off offset:112
	s_mov_b32 s0, exec_lo
	s_wait_loadcnt_dscnt 0x601
	v_fma_f64 v[138:139], v[104:105], v[126:127], 0
	s_wait_loadcnt 0x5
	s_delay_alu instid0(VALU_DEP_1) | instskip(SKIP_4) | instid1(VALU_DEP_1)
	v_fmac_f64_e32 v[138:139], v[106:107], v[128:129]
	scratch_load_b128 v[104:107], off, off offset:128
	s_wait_dscnt 0x0
	v_fmac_f64_e32 v[138:139], v[108:109], v[130:131]
	s_wait_loadcnt 0x5
	v_fmac_f64_e32 v[138:139], v[110:111], v[132:133]
	ds_load_2addr_b64 v[108:111], v2 offset0:57 offset1:58
	ds_load_2addr_b64 v[126:129], v2 offset0:59 offset1:60
	scratch_load_b128 v[130:133], off, off offset:144
	s_wait_dscnt 0x1
	v_fmac_f64_e32 v[138:139], v[112:113], v[108:109]
	s_wait_loadcnt 0x5
	s_delay_alu instid0(VALU_DEP_1) | instskip(SKIP_4) | instid1(VALU_DEP_1)
	v_fmac_f64_e32 v[138:139], v[114:115], v[110:111]
	scratch_load_b128 v[108:111], off, off offset:160
	s_wait_dscnt 0x0
	v_fmac_f64_e32 v[138:139], v[116:117], v[126:127]
	s_wait_loadcnt 0x5
	v_fmac_f64_e32 v[138:139], v[118:119], v[128:129]
	ds_load_2addr_b64 v[112:115], v2 offset0:61 offset1:62
	ds_load_2addr_b64 v[116:119], v2 offset0:63 offset1:64
	scratch_load_b128 v[126:129], off, off offset:176
	s_wait_dscnt 0x1
	v_fmac_f64_e32 v[138:139], v[120:121], v[112:113]
	s_wait_loadcnt 0x5
	s_delay_alu instid0(VALU_DEP_1) | instskip(SKIP_4) | instid1(VALU_DEP_1)
	v_fmac_f64_e32 v[138:139], v[122:123], v[114:115]
	scratch_load_b128 v[112:115], off, off offset:192
	s_wait_dscnt 0x0
	v_fmac_f64_e32 v[138:139], v[124:125], v[116:117]
	s_wait_loadcnt 0x5
	v_fmac_f64_e32 v[138:139], v[134:135], v[118:119]
	ds_load_2addr_b64 v[116:119], v2 offset0:65 offset1:66
	ds_load_2addr_b64 v[120:123], v2 offset0:67 offset1:68
	s_wait_dscnt 0x1
	v_fmac_f64_e32 v[138:139], v[136:137], v[116:117]
	scratch_load_b128 v[134:137], off, off offset:208
	s_wait_loadcnt 0x5
	v_fmac_f64_e32 v[138:139], v[104:105], v[118:119]
	s_wait_dscnt 0x0
	s_delay_alu instid0(VALU_DEP_1)
	v_fmac_f64_e32 v[138:139], v[106:107], v[120:121]
	scratch_load_b128 v[104:107], off, off offset:224
	s_wait_loadcnt 0x5
	v_fmac_f64_e32 v[138:139], v[130:131], v[122:123]
	ds_load_2addr_b64 v[116:119], v2 offset0:69 offset1:70
	ds_load_2addr_b64 v[120:123], v2 offset0:71 offset1:72
	s_wait_dscnt 0x1
	v_fmac_f64_e32 v[138:139], v[132:133], v[116:117]
	scratch_load_b128 v[130:133], off, off offset:240
	s_wait_loadcnt 0x5
	v_fmac_f64_e32 v[138:139], v[108:109], v[118:119]
	s_wait_dscnt 0x0
	s_delay_alu instid0(VALU_DEP_1)
	v_fmac_f64_e32 v[138:139], v[110:111], v[120:121]
	scratch_load_b128 v[108:111], off, off offset:256
	s_wait_loadcnt 0x5
	v_fmac_f64_e32 v[138:139], v[126:127], v[122:123]
	ds_load_2addr_b64 v[116:119], v2 offset0:73 offset1:74
	ds_load_2addr_b64 v[120:123], v2 offset0:75 offset1:76
	scratch_load_b128 v[124:127], off, off offset:272
	s_wait_dscnt 0x1
	v_fmac_f64_e32 v[138:139], v[128:129], v[116:117]
	s_wait_loadcnt 0x5
	s_delay_alu instid0(VALU_DEP_1) | instskip(SKIP_1) | instid1(VALU_DEP_1)
	v_fmac_f64_e32 v[138:139], v[112:113], v[118:119]
	s_wait_dscnt 0x0
	v_fmac_f64_e32 v[138:139], v[114:115], v[120:121]
	scratch_load_b128 v[112:115], off, off offset:288
	s_wait_loadcnt 0x5
	v_fmac_f64_e32 v[138:139], v[134:135], v[122:123]
	ds_load_2addr_b64 v[116:119], v2 offset0:77 offset1:78
	ds_load_2addr_b64 v[120:123], v2 offset0:79 offset1:80
	s_wait_dscnt 0x1
	v_fmac_f64_e32 v[138:139], v[136:137], v[116:117]
	scratch_load_b128 v[134:137], off, off offset:304
	s_wait_loadcnt 0x5
	v_fmac_f64_e32 v[138:139], v[104:105], v[118:119]
	s_wait_dscnt 0x0
	s_delay_alu instid0(VALU_DEP_1)
	v_fmac_f64_e32 v[138:139], v[106:107], v[120:121]
	scratch_load_b128 v[104:107], off, off offset:320
	s_wait_loadcnt 0x5
	v_fmac_f64_e32 v[138:139], v[130:131], v[122:123]
	ds_load_2addr_b64 v[116:119], v2 offset0:81 offset1:82
	ds_load_2addr_b64 v[120:123], v2 offset0:83 offset1:84
	s_wait_dscnt 0x1
	v_fmac_f64_e32 v[138:139], v[132:133], v[116:117]
	s_wait_loadcnt 0x4
	s_delay_alu instid0(VALU_DEP_1)
	v_fmac_f64_e32 v[138:139], v[108:109], v[118:119]
	scratch_load_b128 v[116:119], off, off offset:336
	s_wait_dscnt 0x0
	v_fmac_f64_e32 v[138:139], v[110:111], v[120:121]
	scratch_load_b128 v[108:111], off, off offset:352
	s_wait_loadcnt 0x5
	v_fmac_f64_e32 v[138:139], v[124:125], v[122:123]
	ds_load_2addr_b64 v[120:123], v2 offset0:85 offset1:86
	ds_load_2addr_b64 v[128:131], v2 offset0:87 offset1:88
	s_wait_dscnt 0x1
	v_fmac_f64_e32 v[138:139], v[126:127], v[120:121]
	s_wait_loadcnt 0x4
	s_delay_alu instid0(VALU_DEP_1)
	v_fmac_f64_e32 v[138:139], v[112:113], v[122:123]
	scratch_load_b128 v[120:123], off, off offset:368
	s_wait_dscnt 0x0
	v_fmac_f64_e32 v[138:139], v[114:115], v[128:129]
	scratch_load_b64 v[128:129], off, off offset:384
	ds_load_2addr_b64 v[112:115], v2 offset0:89 offset1:90
	ds_load_2addr_b64 v[124:127], v2 offset0:91 offset1:92
	s_wait_loadcnt 0x5
	v_fmac_f64_e32 v[138:139], v[134:135], v[130:131]
	s_wait_dscnt 0x1
	s_delay_alu instid0(VALU_DEP_1) | instskip(SKIP_1) | instid1(VALU_DEP_1)
	v_fmac_f64_e32 v[138:139], v[136:137], v[112:113]
	s_wait_loadcnt 0x4
	v_fmac_f64_e32 v[138:139], v[104:105], v[114:115]
	s_wait_dscnt 0x0
	s_delay_alu instid0(VALU_DEP_1)
	v_fmac_f64_e32 v[138:139], v[106:107], v[124:125]
	ds_load_2addr_b64 v[104:107], v2 offset0:93 offset1:94
	ds_load_2addr_b64 v[112:115], v2 offset0:95 offset1:96
	s_wait_loadcnt 0x3
	v_fmac_f64_e32 v[138:139], v[116:117], v[126:127]
	s_wait_dscnt 0x1
	s_delay_alu instid0(VALU_DEP_1) | instskip(SKIP_1) | instid1(VALU_DEP_1)
	v_fmac_f64_e32 v[138:139], v[118:119], v[104:105]
	s_wait_loadcnt 0x2
	v_fmac_f64_e32 v[138:139], v[108:109], v[106:107]
	ds_load_2addr_b64 v[104:107], v2 offset0:97 offset1:98
	s_wait_dscnt 0x1
	v_fmac_f64_e32 v[138:139], v[110:111], v[112:113]
	s_wait_loadcnt 0x1
	s_delay_alu instid0(VALU_DEP_1) | instskip(SKIP_1) | instid1(VALU_DEP_1)
	v_fmac_f64_e32 v[138:139], v[120:121], v[114:115]
	s_wait_dscnt 0x0
	v_fmac_f64_e32 v[138:139], v[122:123], v[104:105]
	s_wait_loadcnt 0x0
	s_delay_alu instid0(VALU_DEP_1) | instskip(NEXT) | instid1(VALU_DEP_1)
	v_fmac_f64_e32 v[138:139], v[128:129], v[106:107]
	v_add_f64_e64 v[2:3], v[102:103], -v[138:139]
	scratch_store_b64 off, v[2:3], off offset:16
	s_wait_xcnt 0x0
	v_cmpx_lt_u32_e32 1, v0
	s_cbranch_execz .LBB48_301
; %bb.300:
	scratch_load_b64 v[2:3], off, off offset:8
	v_mov_b64_e32 v[102:103], 0
	scratch_store_b64 off, v[102:103], off offset:8
	s_wait_loadcnt 0x0
	ds_store_b64 v1, v[2:3]
.LBB48_301:
	s_wait_xcnt 0x0
	s_or_b32 exec_lo, exec_lo, s0
	s_wait_storecnt_dscnt 0x0
	s_barrier_signal -1
	s_barrier_wait -1
	s_clause 0x5
	scratch_load_b128 v[104:107], off, off offset:8
	scratch_load_b128 v[108:111], off, off offset:24
	;; [unrolled: 1-line block ×6, first 2 shown]
	v_dual_mov_b32 v102, 0 :: v_dual_ashrrev_i32 v9, 31, v8
	ds_load_b128 v[128:131], v102 offset:416
	ds_load_b128 v[132:135], v102 offset:432
	scratch_load_b128 v[136:139], off, off offset:104
	v_dual_ashrrev_i32 v11, 31, v10 :: v_dual_ashrrev_i32 v13, 31, v12
	v_dual_ashrrev_i32 v15, 31, v14 :: v_dual_ashrrev_i32 v17, 31, v16
	;; [unrolled: 1-line block ×22, first 2 shown]
	v_ashrrev_i32_e32 v99, 31, v98
	s_mov_b32 s0, exec_lo
	v_ashrrev_i32_e32 v53, 31, v52
	s_wait_loadcnt_dscnt 0x601
	v_fma_f64 v[2:3], v[106:107], v[128:129], 0
	s_wait_loadcnt 0x5
	s_delay_alu instid0(VALU_DEP_1) | instskip(SKIP_4) | instid1(VALU_DEP_1)
	v_fmac_f64_e32 v[2:3], v[108:109], v[130:131]
	scratch_load_b128 v[106:109], off, off offset:120
	s_wait_dscnt 0x0
	v_fmac_f64_e32 v[2:3], v[110:111], v[132:133]
	s_wait_loadcnt 0x5
	v_fmac_f64_e32 v[2:3], v[112:113], v[134:135]
	ds_load_b128 v[110:113], v102 offset:448
	ds_load_b128 v[128:131], v102 offset:464
	scratch_load_b128 v[132:135], off, off offset:136
	s_wait_dscnt 0x1
	v_fmac_f64_e32 v[2:3], v[114:115], v[110:111]
	s_wait_loadcnt 0x5
	s_delay_alu instid0(VALU_DEP_1) | instskip(SKIP_4) | instid1(VALU_DEP_1)
	v_fmac_f64_e32 v[2:3], v[116:117], v[112:113]
	scratch_load_b128 v[110:113], off, off offset:152
	s_wait_dscnt 0x0
	v_fmac_f64_e32 v[2:3], v[118:119], v[128:129]
	s_wait_loadcnt 0x5
	v_fmac_f64_e32 v[2:3], v[120:121], v[130:131]
	ds_load_b128 v[114:117], v102 offset:480
	ds_load_b128 v[118:121], v102 offset:496
	scratch_load_b128 v[128:131], off, off offset:168
	s_wait_dscnt 0x1
	v_fmac_f64_e32 v[2:3], v[122:123], v[114:115]
	s_wait_loadcnt 0x5
	s_delay_alu instid0(VALU_DEP_1) | instskip(SKIP_4) | instid1(VALU_DEP_1)
	v_fmac_f64_e32 v[2:3], v[124:125], v[116:117]
	scratch_load_b128 v[114:117], off, off offset:184
	s_wait_dscnt 0x0
	v_fmac_f64_e32 v[2:3], v[126:127], v[118:119]
	s_wait_loadcnt 0x5
	v_fmac_f64_e32 v[2:3], v[136:137], v[120:121]
	ds_load_b128 v[118:121], v102 offset:512
	ds_load_b128 v[122:125], v102 offset:528
	s_wait_dscnt 0x1
	v_fmac_f64_e32 v[2:3], v[138:139], v[118:119]
	scratch_load_b128 v[136:139], off, off offset:200
	s_wait_loadcnt 0x5
	v_fmac_f64_e32 v[2:3], v[106:107], v[120:121]
	s_wait_dscnt 0x0
	s_delay_alu instid0(VALU_DEP_1)
	v_fmac_f64_e32 v[2:3], v[108:109], v[122:123]
	scratch_load_b128 v[106:109], off, off offset:216
	s_wait_loadcnt 0x5
	v_fmac_f64_e32 v[2:3], v[132:133], v[124:125]
	ds_load_b128 v[118:121], v102 offset:544
	ds_load_b128 v[122:125], v102 offset:560
	s_wait_dscnt 0x1
	v_fmac_f64_e32 v[2:3], v[134:135], v[118:119]
	scratch_load_b128 v[132:135], off, off offset:232
	s_wait_loadcnt 0x5
	v_fmac_f64_e32 v[2:3], v[110:111], v[120:121]
	s_wait_dscnt 0x0
	s_delay_alu instid0(VALU_DEP_1)
	v_fmac_f64_e32 v[2:3], v[112:113], v[122:123]
	scratch_load_b128 v[110:113], off, off offset:248
	s_wait_loadcnt 0x5
	v_fmac_f64_e32 v[2:3], v[128:129], v[124:125]
	ds_load_b128 v[118:121], v102 offset:576
	ds_load_b128 v[122:125], v102 offset:592
	scratch_load_b128 v[126:129], off, off offset:264
	s_wait_dscnt 0x1
	v_fmac_f64_e32 v[2:3], v[130:131], v[118:119]
	s_wait_loadcnt 0x5
	s_delay_alu instid0(VALU_DEP_1) | instskip(SKIP_1) | instid1(VALU_DEP_1)
	v_fmac_f64_e32 v[2:3], v[114:115], v[120:121]
	s_wait_dscnt 0x0
	v_fmac_f64_e32 v[2:3], v[116:117], v[122:123]
	scratch_load_b128 v[114:117], off, off offset:280
	s_wait_loadcnt 0x5
	v_fmac_f64_e32 v[2:3], v[136:137], v[124:125]
	ds_load_b128 v[118:121], v102 offset:608
	ds_load_b128 v[122:125], v102 offset:624
	s_wait_dscnt 0x1
	v_fmac_f64_e32 v[2:3], v[138:139], v[118:119]
	scratch_load_b128 v[136:139], off, off offset:296
	s_wait_loadcnt 0x5
	v_fmac_f64_e32 v[2:3], v[106:107], v[120:121]
	s_wait_dscnt 0x0
	s_delay_alu instid0(VALU_DEP_1)
	v_fmac_f64_e32 v[2:3], v[108:109], v[122:123]
	scratch_load_b128 v[106:109], off, off offset:312
	s_wait_loadcnt 0x5
	v_fmac_f64_e32 v[2:3], v[132:133], v[124:125]
	ds_load_b128 v[118:121], v102 offset:640
	ds_load_b128 v[122:125], v102 offset:656
	s_wait_dscnt 0x1
	v_fmac_f64_e32 v[2:3], v[134:135], v[118:119]
	s_wait_loadcnt 0x4
	s_delay_alu instid0(VALU_DEP_1)
	v_fmac_f64_e32 v[2:3], v[110:111], v[120:121]
	scratch_load_b128 v[118:121], off, off offset:328
	s_wait_dscnt 0x0
	v_fmac_f64_e32 v[2:3], v[112:113], v[122:123]
	scratch_load_b128 v[110:113], off, off offset:344
	s_wait_loadcnt 0x5
	v_fmac_f64_e32 v[2:3], v[126:127], v[124:125]
	ds_load_b128 v[122:125], v102 offset:672
	ds_load_b128 v[130:133], v102 offset:688
	s_wait_dscnt 0x1
	v_fmac_f64_e32 v[2:3], v[128:129], v[122:123]
	s_wait_loadcnt 0x4
	s_delay_alu instid0(VALU_DEP_1)
	v_fmac_f64_e32 v[2:3], v[114:115], v[124:125]
	scratch_load_b128 v[122:125], off, off offset:360
	s_wait_dscnt 0x0
	v_fmac_f64_e32 v[2:3], v[116:117], v[130:131]
	scratch_load_b128 v[114:117], off, off offset:376
	s_wait_loadcnt 0x5
	v_fmac_f64_e32 v[2:3], v[136:137], v[132:133]
	ds_load_b128 v[126:129], v102 offset:704
	ds_load_b128 v[130:133], v102 offset:720
	s_wait_dscnt 0x1
	v_fmac_f64_e32 v[2:3], v[138:139], v[126:127]
	s_wait_loadcnt 0x4
	s_delay_alu instid0(VALU_DEP_1) | instskip(SKIP_1) | instid1(VALU_DEP_1)
	v_fmac_f64_e32 v[2:3], v[106:107], v[128:129]
	s_wait_dscnt 0x0
	v_fmac_f64_e32 v[2:3], v[108:109], v[130:131]
	ds_load_b128 v[106:109], v102 offset:736
	ds_load_b128 v[126:129], v102 offset:752
	s_wait_loadcnt 0x3
	v_fmac_f64_e32 v[2:3], v[118:119], v[132:133]
	s_wait_dscnt 0x1
	s_delay_alu instid0(VALU_DEP_1) | instskip(SKIP_1) | instid1(VALU_DEP_1)
	v_fmac_f64_e32 v[2:3], v[120:121], v[106:107]
	s_wait_loadcnt 0x2
	v_fmac_f64_e32 v[2:3], v[110:111], v[108:109]
	ds_load_b128 v[106:109], v102 offset:768
	s_wait_dscnt 0x1
	v_fmac_f64_e32 v[2:3], v[112:113], v[126:127]
	s_wait_loadcnt 0x1
	s_delay_alu instid0(VALU_DEP_1) | instskip(SKIP_1) | instid1(VALU_DEP_1)
	v_fmac_f64_e32 v[2:3], v[122:123], v[128:129]
	s_wait_dscnt 0x0
	v_fmac_f64_e32 v[2:3], v[124:125], v[106:107]
	ds_load_b64 v[106:107], v102 offset:784
	s_wait_loadcnt 0x0
	v_fmac_f64_e32 v[2:3], v[114:115], v[108:109]
	s_wait_dscnt 0x0
	s_delay_alu instid0(VALU_DEP_1) | instskip(NEXT) | instid1(VALU_DEP_1)
	v_fmac_f64_e32 v[2:3], v[116:117], v[106:107]
	v_add_f64_e64 v[2:3], v[104:105], -v[2:3]
	scratch_store_b64 off, v[2:3], off offset:8
	s_wait_xcnt 0x0
	v_cmpx_ne_u32_e32 0, v0
	s_cbranch_execz .LBB48_303
; %bb.302:
	scratch_load_b64 v[2:3], off, off
	v_mov_b64_e32 v[104:105], 0
	scratch_store_b64 off, v[104:105], off
	s_wait_loadcnt 0x0
	ds_store_b64 v1, v[2:3]
.LBB48_303:
	s_wait_xcnt 0x0
	s_or_b32 exec_lo, exec_lo, s0
	s_wait_storecnt_dscnt 0x0
	s_barrier_signal -1
	s_barrier_wait -1
	s_clause 0x5
	scratch_load_b128 v[104:107], off, off
	scratch_load_b128 v[0:3], off, off offset:16
	scratch_load_b128 v[108:111], off, off offset:32
	;; [unrolled: 1-line block ×5, first 2 shown]
	ds_load_2addr_b64 v[124:127], v102 offset0:51 offset1:52
	scratch_load_b128 v[128:131], off, off offset:96
	s_and_b32 vcc_lo, exec_lo, s18
	s_wait_loadcnt_dscnt 0x600
	v_fma_f64 v[134:135], v[106:107], v[124:125], 0
	s_wait_loadcnt 0x5
	s_delay_alu instid0(VALU_DEP_1)
	v_fmac_f64_e32 v[134:135], v[0:1], v[126:127]
	ds_load_2addr_b64 v[124:127], v102 offset0:53 offset1:54
	s_wait_dscnt 0x0
	v_fmac_f64_e32 v[134:135], v[2:3], v[124:125]
	scratch_load_b128 v[0:3], off, off offset:112
	s_wait_loadcnt 0x5
	v_fmac_f64_e32 v[134:135], v[108:109], v[126:127]
	ds_load_2addr_b64 v[106:109], v102 offset0:55 offset1:56
	scratch_load_b128 v[124:127], off, off offset:128
	s_wait_dscnt 0x0
	v_fmac_f64_e32 v[134:135], v[110:111], v[106:107]
	s_wait_loadcnt 0x5
	s_delay_alu instid0(VALU_DEP_1)
	v_fmac_f64_e32 v[134:135], v[112:113], v[108:109]
	ds_load_2addr_b64 v[106:109], v102 offset0:57 offset1:58
	scratch_load_b128 v[110:113], off, off offset:144
	s_wait_dscnt 0x0
	v_fmac_f64_e32 v[134:135], v[114:115], v[106:107]
	s_wait_loadcnt 0x5
	s_delay_alu instid0(VALU_DEP_1)
	;; [unrolled: 7-line block ×4, first 2 shown]
	v_fmac_f64_e32 v[134:135], v[128:129], v[108:109]
	ds_load_2addr_b64 v[106:109], v102 offset0:63 offset1:64
	s_wait_dscnt 0x0
	v_fmac_f64_e32 v[134:135], v[130:131], v[106:107]
	scratch_load_b128 v[128:131], off, off offset:192
	s_wait_loadcnt 0x5
	v_fmac_f64_e32 v[134:135], v[0:1], v[108:109]
	ds_load_2addr_b64 v[106:109], v102 offset0:65 offset1:66
	s_wait_dscnt 0x0
	v_fmac_f64_e32 v[134:135], v[2:3], v[106:107]
	scratch_load_b128 v[0:3], off, off offset:208
	s_wait_loadcnt 0x5
	v_fmac_f64_e32 v[134:135], v[124:125], v[108:109]
	ds_load_2addr_b64 v[106:109], v102 offset0:67 offset1:68
	scratch_load_b128 v[122:125], off, off offset:224
	s_wait_dscnt 0x0
	v_fmac_f64_e32 v[134:135], v[126:127], v[106:107]
	s_wait_loadcnt 0x5
	s_delay_alu instid0(VALU_DEP_1)
	v_fmac_f64_e32 v[134:135], v[110:111], v[108:109]
	ds_load_2addr_b64 v[106:109], v102 offset0:69 offset1:70
	s_wait_dscnt 0x0
	v_fmac_f64_e32 v[134:135], v[112:113], v[106:107]
	scratch_load_b128 v[110:113], off, off offset:240
	s_wait_loadcnt 0x5
	v_fmac_f64_e32 v[134:135], v[114:115], v[108:109]
	ds_load_2addr_b64 v[106:109], v102 offset0:71 offset1:72
	s_wait_dscnt 0x0
	v_fmac_f64_e32 v[134:135], v[116:117], v[106:107]
	scratch_load_b128 v[114:117], off, off offset:256
	s_wait_loadcnt 0x5
	;; [unrolled: 6-line block ×3, first 2 shown]
	v_fmac_f64_e32 v[134:135], v[128:129], v[108:109]
	ds_load_2addr_b64 v[106:109], v102 offset0:75 offset1:76
	scratch_load_b128 v[126:129], off, off offset:288
	s_wait_dscnt 0x0
	v_fmac_f64_e32 v[134:135], v[130:131], v[106:107]
	scratch_load_b128 v[130:133], off, off offset:304
	s_wait_loadcnt 0x6
	v_fmac_f64_e32 v[134:135], v[0:1], v[108:109]
	ds_load_2addr_b64 v[106:109], v102 offset0:77 offset1:78
	s_wait_dscnt 0x0
	v_fmac_f64_e32 v[134:135], v[2:3], v[106:107]
	ds_load_2addr_b64 v[0:3], v102 offset0:79 offset1:80
	s_wait_loadcnt 0x5
	v_fmac_f64_e32 v[134:135], v[122:123], v[108:109]
	scratch_load_b128 v[106:109], off, off offset:320
	s_wait_dscnt 0x0
	v_fmac_f64_e32 v[134:135], v[124:125], v[0:1]
	ds_load_2addr_b64 v[122:125], v102 offset0:85 offset1:86
	s_wait_loadcnt 0x5
	v_fmac_f64_e32 v[134:135], v[110:111], v[2:3]
	ds_load_2addr_b64 v[0:3], v102 offset0:81 offset1:82
	s_wait_dscnt 0x0
	v_fmac_f64_e32 v[134:135], v[112:113], v[0:1]
	scratch_load_b128 v[110:113], off, off offset:336
	s_wait_loadcnt 0x5
	v_fmac_f64_e32 v[134:135], v[114:115], v[2:3]
	ds_load_2addr_b64 v[0:3], v102 offset0:83 offset1:84
	s_wait_dscnt 0x0
	v_fmac_f64_e32 v[134:135], v[116:117], v[0:1]
	scratch_load_b128 v[114:117], off, off offset:352
	s_wait_loadcnt 0x5
	v_fmac_f64_e32 v[134:135], v[118:119], v[2:3]
	scratch_load_b128 v[0:3], off, off offset:368
	v_fmac_f64_e32 v[134:135], v[120:121], v[122:123]
	ds_load_2addr_b64 v[118:121], v102 offset0:87 offset1:88
	scratch_load_b64 v[122:123], off, off offset:384
	s_wait_loadcnt 0x6
	v_fmac_f64_e32 v[134:135], v[126:127], v[124:125]
	s_wait_dscnt 0x0
	s_delay_alu instid0(VALU_DEP_1) | instskip(SKIP_1) | instid1(VALU_DEP_1)
	v_fmac_f64_e32 v[134:135], v[128:129], v[118:119]
	s_wait_loadcnt 0x5
	v_fmac_f64_e32 v[134:135], v[130:131], v[120:121]
	ds_load_2addr_b64 v[118:121], v102 offset0:89 offset1:90
	s_wait_dscnt 0x0
	v_fmac_f64_e32 v[134:135], v[132:133], v[118:119]
	s_wait_loadcnt 0x4
	s_delay_alu instid0(VALU_DEP_1)
	v_fmac_f64_e32 v[134:135], v[106:107], v[120:121]
	ds_load_2addr_b64 v[118:121], v102 offset0:91 offset1:92
	s_wait_dscnt 0x0
	v_fmac_f64_e32 v[134:135], v[108:109], v[118:119]
	ds_load_2addr_b64 v[106:109], v102 offset0:93 offset1:94
	s_wait_loadcnt 0x3
	v_fmac_f64_e32 v[134:135], v[110:111], v[120:121]
	s_wait_dscnt 0x0
	s_delay_alu instid0(VALU_DEP_1) | instskip(SKIP_1) | instid1(VALU_DEP_1)
	v_fmac_f64_e32 v[134:135], v[112:113], v[106:107]
	s_wait_loadcnt 0x2
	v_fmac_f64_e32 v[134:135], v[114:115], v[108:109]
	ds_load_2addr_b64 v[106:109], v102 offset0:95 offset1:96
	s_wait_dscnt 0x0
	v_fmac_f64_e32 v[134:135], v[116:117], v[106:107]
	s_wait_loadcnt 0x1
	s_delay_alu instid0(VALU_DEP_1) | instskip(SKIP_4) | instid1(VALU_DEP_1)
	v_fmac_f64_e32 v[134:135], v[0:1], v[108:109]
	ds_load_2addr_b64 v[106:109], v102 offset0:97 offset1:98
	s_wait_dscnt 0x0
	v_fmac_f64_e32 v[134:135], v[2:3], v[106:107]
	s_wait_loadcnt 0x0
	v_fmac_f64_e32 v[134:135], v[122:123], v[108:109]
	s_delay_alu instid0(VALU_DEP_1)
	v_add_f64_e64 v[126:127], v[104:105], -v[134:135]
	scratch_store_b64 off, v[126:127], off
	s_cbranch_vccz .LBB48_400
; %bb.304:
	v_mov_b32_e32 v0, 0
	global_load_b32 v1, v0, s[2:3] offset:188
	s_wait_loadcnt 0x0
	v_cmp_ne_u32_e32 vcc_lo, 48, v1
	s_cbranch_vccz .LBB48_306
; %bb.305:
	v_lshlrev_b32_e32 v1, 3, v1
	scratch_load_b64 v[102:103], v1, off offset:-8
	s_wait_loadcnt 0x0
	scratch_store_b64 off, v[102:103], off offset:376
	scratch_store_b64 v1, v[2:3], off offset:-8
.LBB48_306:
	global_load_b32 v0, v0, s[2:3] offset:184
	s_wait_loadcnt 0x0
	v_cmp_eq_u32_e32 vcc_lo, 47, v0
	s_cbranch_vccnz .LBB48_308
; %bb.307:
	s_wait_xcnt 0x0
	v_lshlrev_b32_e32 v0, 3, v0
	s_delay_alu instid0(VALU_DEP_1)
	v_mov_b32_e32 v102, v0
	scratch_load_b64 v[0:1], v102, off offset:-8
	scratch_load_b64 v[2:3], off, off offset:368
	s_wait_loadcnt 0x1
	scratch_store_b64 off, v[0:1], off offset:368
	s_wait_loadcnt 0x0
	scratch_store_b64 v102, v[2:3], off offset:-8
.LBB48_308:
	s_wait_xcnt 0x0
	v_mov_b32_e32 v0, 0
	global_load_b32 v1, v0, s[2:3] offset:180
	s_wait_loadcnt 0x0
	v_cmp_eq_u32_e32 vcc_lo, 46, v1
	s_cbranch_vccnz .LBB48_310
; %bb.309:
	v_lshlrev_b32_e32 v1, 3, v1
	scratch_load_b64 v[2:3], v1, off offset:-8
	scratch_load_b64 v[102:103], off, off offset:360
	s_wait_loadcnt 0x1
	scratch_store_b64 off, v[2:3], off offset:360
	s_wait_loadcnt 0x0
	scratch_store_b64 v1, v[102:103], off offset:-8
.LBB48_310:
	global_load_b32 v0, v0, s[2:3] offset:176
	s_wait_loadcnt 0x0
	v_cmp_eq_u32_e32 vcc_lo, 45, v0
	s_cbranch_vccnz .LBB48_312
; %bb.311:
	s_wait_xcnt 0x0
	v_lshlrev_b32_e32 v0, 3, v0
	s_delay_alu instid0(VALU_DEP_1)
	v_mov_b32_e32 v102, v0
	scratch_load_b64 v[0:1], v102, off offset:-8
	scratch_load_b64 v[2:3], off, off offset:352
	s_wait_loadcnt 0x1
	scratch_store_b64 off, v[0:1], off offset:352
	s_wait_loadcnt 0x0
	scratch_store_b64 v102, v[2:3], off offset:-8
.LBB48_312:
	s_wait_xcnt 0x0
	v_mov_b32_e32 v0, 0
	global_load_b32 v1, v0, s[2:3] offset:172
	s_wait_loadcnt 0x0
	v_cmp_eq_u32_e32 vcc_lo, 44, v1
	s_cbranch_vccnz .LBB48_314
; %bb.313:
	v_lshlrev_b32_e32 v1, 3, v1
	scratch_load_b64 v[2:3], v1, off offset:-8
	scratch_load_b64 v[102:103], off, off offset:344
	s_wait_loadcnt 0x1
	scratch_store_b64 off, v[2:3], off offset:344
	s_wait_loadcnt 0x0
	scratch_store_b64 v1, v[102:103], off offset:-8
.LBB48_314:
	;; [unrolled: 31-line block ×23, first 2 shown]
	global_load_b32 v0, v0, s[2:3]
	scratch_load_b64 v[126:127], off, off
	s_wait_loadcnt 0x1
	v_cmp_eq_u32_e32 vcc_lo, 1, v0
	s_cbranch_vccnz .LBB48_400
; %bb.399:
	s_wait_xcnt 0x1
	v_lshlrev_b32_e32 v0, 3, v0
	s_delay_alu instid0(VALU_DEP_1)
	v_mov_b32_e32 v2, v0
	scratch_load_b64 v[0:1], v2, off offset:-8
	s_wait_loadcnt 0x0
	scratch_store_b64 off, v[0:1], off
	scratch_store_b64 v2, v[126:127], off offset:-8
	scratch_load_b64 v[126:127], off, off
.LBB48_400:
	v_lshl_add_u64 v[128:129], v[8:9], 3, s[4:5]
	v_lshl_add_u64 v[122:123], v[10:11], 3, s[4:5]
	;; [unrolled: 1-line block ×45, first 2 shown]
	s_wait_xcnt 0x1
	v_lshl_add_u64 v[0:1], v[98:99], 3, s[4:5]
	s_clause 0x8
	scratch_load_b128 v[72:75], off, off offset:8
	scratch_load_b128 v[76:79], off, off offset:24
	;; [unrolled: 1-line block ×9, first 2 shown]
	s_wait_loadcnt 0x9
	global_store_b64 v[6:7], v[126:127], off
	s_clause 0x1
	scratch_load_b128 v[138:141], off, off offset:152
	scratch_load_b128 v[142:145], off, off offset:168
	v_lshl_add_u64 v[2:3], v[100:101], 3, s[4:5]
	s_wait_loadcnt 0xa
	s_clause 0x1
	global_store_b64 v[4:5], v[72:73], off
	global_store_b64 v[128:129], v[74:75], off
	s_clause 0x1
	scratch_load_b128 v[4:7], off, off offset:184
	scratch_load_b128 v[72:75], off, off offset:200
	s_wait_loadcnt 0xb
	s_clause 0x1
	global_store_b64 v[122:123], v[76:77], off
	global_store_b64 v[124:125], v[78:79], off
	s_clause 0x1
	scratch_load_b128 v[76:79], off, off offset:216
	scratch_load_b128 v[122:125], off, off offset:232
	;; [unrolled: 7-line block ×6, first 2 shown]
	s_wait_loadcnt 0x10
	s_clause 0x1
	global_store_b64 v[102:103], v[96:97], off
	global_store_b64 v[104:105], v[98:99], off
	scratch_load_b128 v[96:99], off, off offset:376
	s_wait_loadcnt 0x10
	s_clause 0x1
	global_store_b64 v[8:9], v[130:131], off
	global_store_b64 v[10:11], v[132:133], off
	s_wait_loadcnt 0xf
	s_clause 0x1
	global_store_b64 v[12:13], v[134:135], off
	global_store_b64 v[14:15], v[136:137], off
	;; [unrolled: 4-line block ×17, first 2 shown]
	s_sendmsg sendmsg(MSG_DEALLOC_VGPRS)
	s_endpgm
	.section	.rodata,"a",@progbits
	.p2align	6, 0x0
	.amdhsa_kernel _ZN9rocsolver6v33100L18getri_kernel_smallILi49EdPdEEvT1_iilPiilS4_bb
		.amdhsa_group_segment_fixed_size 792
		.amdhsa_private_segment_fixed_size 400
		.amdhsa_kernarg_size 60
		.amdhsa_user_sgpr_count 2
		.amdhsa_user_sgpr_dispatch_ptr 0
		.amdhsa_user_sgpr_queue_ptr 0
		.amdhsa_user_sgpr_kernarg_segment_ptr 1
		.amdhsa_user_sgpr_dispatch_id 0
		.amdhsa_user_sgpr_kernarg_preload_length 0
		.amdhsa_user_sgpr_kernarg_preload_offset 0
		.amdhsa_user_sgpr_private_segment_size 0
		.amdhsa_wavefront_size32 1
		.amdhsa_uses_dynamic_stack 0
		.amdhsa_enable_private_segment 1
		.amdhsa_system_sgpr_workgroup_id_x 1
		.amdhsa_system_sgpr_workgroup_id_y 0
		.amdhsa_system_sgpr_workgroup_id_z 0
		.amdhsa_system_sgpr_workgroup_info 0
		.amdhsa_system_vgpr_workitem_id 0
		.amdhsa_next_free_vgpr 148
		.amdhsa_next_free_sgpr 19
		.amdhsa_named_barrier_count 0
		.amdhsa_reserve_vcc 1
		.amdhsa_float_round_mode_32 0
		.amdhsa_float_round_mode_16_64 0
		.amdhsa_float_denorm_mode_32 3
		.amdhsa_float_denorm_mode_16_64 3
		.amdhsa_fp16_overflow 0
		.amdhsa_memory_ordered 1
		.amdhsa_forward_progress 1
		.amdhsa_inst_pref_size 255
		.amdhsa_round_robin_scheduling 0
		.amdhsa_exception_fp_ieee_invalid_op 0
		.amdhsa_exception_fp_denorm_src 0
		.amdhsa_exception_fp_ieee_div_zero 0
		.amdhsa_exception_fp_ieee_overflow 0
		.amdhsa_exception_fp_ieee_underflow 0
		.amdhsa_exception_fp_ieee_inexact 0
		.amdhsa_exception_int_div_zero 0
	.end_amdhsa_kernel
	.section	.text._ZN9rocsolver6v33100L18getri_kernel_smallILi49EdPdEEvT1_iilPiilS4_bb,"axG",@progbits,_ZN9rocsolver6v33100L18getri_kernel_smallILi49EdPdEEvT1_iilPiilS4_bb,comdat
.Lfunc_end48:
	.size	_ZN9rocsolver6v33100L18getri_kernel_smallILi49EdPdEEvT1_iilPiilS4_bb, .Lfunc_end48-_ZN9rocsolver6v33100L18getri_kernel_smallILi49EdPdEEvT1_iilPiilS4_bb
                                        ; -- End function
	.set _ZN9rocsolver6v33100L18getri_kernel_smallILi49EdPdEEvT1_iilPiilS4_bb.num_vgpr, 148
	.set _ZN9rocsolver6v33100L18getri_kernel_smallILi49EdPdEEvT1_iilPiilS4_bb.num_agpr, 0
	.set _ZN9rocsolver6v33100L18getri_kernel_smallILi49EdPdEEvT1_iilPiilS4_bb.numbered_sgpr, 19
	.set _ZN9rocsolver6v33100L18getri_kernel_smallILi49EdPdEEvT1_iilPiilS4_bb.num_named_barrier, 0
	.set _ZN9rocsolver6v33100L18getri_kernel_smallILi49EdPdEEvT1_iilPiilS4_bb.private_seg_size, 400
	.set _ZN9rocsolver6v33100L18getri_kernel_smallILi49EdPdEEvT1_iilPiilS4_bb.uses_vcc, 1
	.set _ZN9rocsolver6v33100L18getri_kernel_smallILi49EdPdEEvT1_iilPiilS4_bb.uses_flat_scratch, 1
	.set _ZN9rocsolver6v33100L18getri_kernel_smallILi49EdPdEEvT1_iilPiilS4_bb.has_dyn_sized_stack, 0
	.set _ZN9rocsolver6v33100L18getri_kernel_smallILi49EdPdEEvT1_iilPiilS4_bb.has_recursion, 0
	.set _ZN9rocsolver6v33100L18getri_kernel_smallILi49EdPdEEvT1_iilPiilS4_bb.has_indirect_call, 0
	.section	.AMDGPU.csdata,"",@progbits
; Kernel info:
; codeLenInByte = 46204
; TotalNumSgprs: 21
; NumVgprs: 148
; ScratchSize: 400
; MemoryBound: 0
; FloatMode: 240
; IeeeMode: 1
; LDSByteSize: 792 bytes/workgroup (compile time only)
; SGPRBlocks: 0
; VGPRBlocks: 9
; NumSGPRsForWavesPerEU: 21
; NumVGPRsForWavesPerEU: 148
; NamedBarCnt: 0
; Occupancy: 6
; WaveLimiterHint : 1
; COMPUTE_PGM_RSRC2:SCRATCH_EN: 1
; COMPUTE_PGM_RSRC2:USER_SGPR: 2
; COMPUTE_PGM_RSRC2:TRAP_HANDLER: 0
; COMPUTE_PGM_RSRC2:TGID_X_EN: 1
; COMPUTE_PGM_RSRC2:TGID_Y_EN: 0
; COMPUTE_PGM_RSRC2:TGID_Z_EN: 0
; COMPUTE_PGM_RSRC2:TIDIG_COMP_CNT: 0
	.section	.text._ZN9rocsolver6v33100L18getri_kernel_smallILi50EdPdEEvT1_iilPiilS4_bb,"axG",@progbits,_ZN9rocsolver6v33100L18getri_kernel_smallILi50EdPdEEvT1_iilPiilS4_bb,comdat
	.globl	_ZN9rocsolver6v33100L18getri_kernel_smallILi50EdPdEEvT1_iilPiilS4_bb ; -- Begin function _ZN9rocsolver6v33100L18getri_kernel_smallILi50EdPdEEvT1_iilPiilS4_bb
	.p2align	8
	.type	_ZN9rocsolver6v33100L18getri_kernel_smallILi50EdPdEEvT1_iilPiilS4_bb,@function
_ZN9rocsolver6v33100L18getri_kernel_smallILi50EdPdEEvT1_iilPiilS4_bb: ; @_ZN9rocsolver6v33100L18getri_kernel_smallILi50EdPdEEvT1_iilPiilS4_bb
; %bb.0:
	s_mov_b32 s2, exec_lo
	v_cmpx_gt_u32_e32 50, v0
	s_cbranch_execz .LBB49_210
; %bb.1:
	s_clause 0x2
	s_load_b32 s2, s[0:1], 0x38
	s_load_b128 s[12:15], s[0:1], 0x10
	s_load_b128 s[4:7], s[0:1], 0x28
	s_getreg_b32 s9, hwreg(HW_REG_IB_STS2, 6, 4)
	s_wait_kmcnt 0x0
	s_bitcmp1_b32 s2, 8
	s_cselect_b32 s18, -1, 0
	s_bfe_u32 s3, ttmp6, 0x4000c
	s_and_b32 s8, ttmp6, 15
	s_add_co_i32 s3, s3, 1
	s_delay_alu instid0(SALU_CYCLE_1) | instskip(NEXT) | instid1(SALU_CYCLE_1)
	s_mul_i32 s3, ttmp9, s3
	s_add_co_i32 s8, s8, s3
	s_cmp_eq_u32 s9, 0
	s_cselect_b32 s16, ttmp9, s8
	s_bfe_u32 s2, s2, 0x10008
	s_ashr_i32 s17, s16, 31
	s_cmp_eq_u32 s2, 0
                                        ; implicit-def: $sgpr2_sgpr3
	s_cbranch_scc1 .LBB49_3
; %bb.2:
	s_load_b32 s2, s[0:1], 0x20
	s_mul_u64 s[4:5], s[4:5], s[16:17]
	s_delay_alu instid0(SALU_CYCLE_1) | instskip(NEXT) | instid1(SALU_CYCLE_1)
	s_lshl_b64 s[4:5], s[4:5], 2
	s_add_nc_u64 s[4:5], s[14:15], s[4:5]
	s_wait_kmcnt 0x0
	s_ashr_i32 s3, s2, 31
	s_delay_alu instid0(SALU_CYCLE_1) | instskip(NEXT) | instid1(SALU_CYCLE_1)
	s_lshl_b64 s[2:3], s[2:3], 2
	s_add_nc_u64 s[2:3], s[4:5], s[2:3]
.LBB49_3:
	s_clause 0x1
	s_load_b128 s[8:11], s[0:1], 0x0
	s_load_b32 s14, s[0:1], 0x38
	s_wait_xcnt 0x0
	s_mul_u64 s[0:1], s[12:13], s[16:17]
	v_lshlrev_b32_e32 v2, 3, v0
	s_lshl_b64 s[0:1], s[0:1], 3
	v_mov_b32_e32 v3, 0
	s_wait_kmcnt 0x0
	v_add3_u32 v8, s11, s11, v0
	s_ashr_i32 s5, s10, 31
	s_mov_b32 s4, s10
	s_add_nc_u64 s[0:1], s[8:9], s[0:1]
	s_lshl_b64 s[4:5], s[4:5], 3
	v_add_nc_u32_e32 v10, s11, v8
	s_add_nc_u64 s[4:5], s[0:1], s[4:5]
	s_ashr_i32 s1, s11, 31
	s_mov_b32 s0, s11
	s_bitcmp0_b32 s14, 0
	v_add_nc_u32_e32 v12, s11, v10
	v_add_nc_u64_e32 v[4:5], s[4:5], v[2:3]
	s_delay_alu instid0(VALU_DEP_2) | instskip(NEXT) | instid1(VALU_DEP_2)
	v_add_nc_u32_e32 v14, s11, v12
	v_lshl_add_u64 v[6:7], s[0:1], 3, v[4:5]
	s_mov_b32 s1, -1
	s_delay_alu instid0(VALU_DEP_2)
	v_add_nc_u32_e32 v16, s11, v14
	s_clause 0x3
	global_load_b64 v[76:77], v0, s[4:5] scale_offset
	global_load_b64 v[78:79], v[6:7], off
	global_load_b64 v[80:81], v8, s[4:5] scale_offset
	global_load_b64 v[82:83], v10, s[4:5] scale_offset
	v_add_nc_u32_e32 v18, s11, v16
	s_delay_alu instid0(VALU_DEP_1)
	v_add_nc_u32_e32 v20, s11, v18
	s_clause 0x3
	global_load_b64 v[84:85], v12, s[4:5] scale_offset
	global_load_b64 v[86:87], v14, s[4:5] scale_offset
	;; [unrolled: 1-line block ×4, first 2 shown]
	v_add_nc_u32_e32 v22, s11, v20
	s_delay_alu instid0(VALU_DEP_1) | instskip(NEXT) | instid1(VALU_DEP_1)
	v_add_nc_u32_e32 v24, s11, v22
	v_add_nc_u32_e32 v26, s11, v24
	s_delay_alu instid0(VALU_DEP_1) | instskip(SKIP_4) | instid1(VALU_DEP_1)
	v_add_nc_u32_e32 v28, s11, v26
	s_clause 0x1
	global_load_b64 v[92:93], v20, s[4:5] scale_offset
	global_load_b64 v[94:95], v22, s[4:5] scale_offset
	v_add_nc_u32_e32 v30, s11, v28
	v_add_nc_u32_e32 v32, s11, v30
	s_delay_alu instid0(VALU_DEP_1) | instskip(NEXT) | instid1(VALU_DEP_1)
	v_add_nc_u32_e32 v34, s11, v32
	v_add_nc_u32_e32 v36, s11, v34
	s_clause 0x3
	global_load_b64 v[96:97], v24, s[4:5] scale_offset
	global_load_b64 v[98:99], v26, s[4:5] scale_offset
	;; [unrolled: 1-line block ×4, first 2 shown]
	v_add_nc_u32_e32 v38, s11, v36
	s_delay_alu instid0(VALU_DEP_1)
	v_add_nc_u32_e32 v40, s11, v38
	s_clause 0x3
	global_load_b64 v[104:105], v32, s[4:5] scale_offset
	global_load_b64 v[106:107], v34, s[4:5] scale_offset
	;; [unrolled: 1-line block ×4, first 2 shown]
	v_add_nc_u32_e32 v42, s11, v40
	s_delay_alu instid0(VALU_DEP_1) | instskip(NEXT) | instid1(VALU_DEP_1)
	v_add_nc_u32_e32 v44, s11, v42
	v_add_nc_u32_e32 v46, s11, v44
	s_delay_alu instid0(VALU_DEP_1) | instskip(NEXT) | instid1(VALU_DEP_1)
	v_add_nc_u32_e32 v48, s11, v46
	v_add_nc_u32_e32 v50, s11, v48
	s_delay_alu instid0(VALU_DEP_1)
	v_add_nc_u32_e32 v52, s11, v50
	s_clause 0x3
	global_load_b64 v[112:113], v40, s[4:5] scale_offset
	global_load_b64 v[114:115], v42, s[4:5] scale_offset
	;; [unrolled: 1-line block ×4, first 2 shown]
	v_add_nc_u32_e32 v54, s11, v52
	s_delay_alu instid0(VALU_DEP_1) | instskip(NEXT) | instid1(VALU_DEP_1)
	v_add_nc_u32_e32 v56, s11, v54
	v_add_nc_u32_e32 v58, s11, v56
	s_delay_alu instid0(VALU_DEP_1)
	v_add_nc_u32_e32 v60, s11, v58
	s_clause 0x3
	global_load_b64 v[120:121], v48, s[4:5] scale_offset
	global_load_b64 v[122:123], v50, s[4:5] scale_offset
	global_load_b64 v[124:125], v52, s[4:5] scale_offset
	global_load_b64 v[126:127], v54, s[4:5] scale_offset
	v_add_nc_u32_e32 v62, s11, v60
	s_delay_alu instid0(VALU_DEP_1) | instskip(SKIP_4) | instid1(VALU_DEP_1)
	v_add_nc_u32_e32 v64, s11, v62
	s_clause 0x1
	global_load_b64 v[128:129], v56, s[4:5] scale_offset
	global_load_b64 v[130:131], v58, s[4:5] scale_offset
	v_add_nc_u32_e32 v66, s11, v64
	v_add_nc_u32_e32 v68, s11, v66
	s_delay_alu instid0(VALU_DEP_1) | instskip(NEXT) | instid1(VALU_DEP_1)
	v_add_nc_u32_e32 v70, s11, v68
	v_add_nc_u32_e32 v72, s11, v70
	s_clause 0x3
	global_load_b64 v[132:133], v60, s[4:5] scale_offset
	global_load_b64 v[134:135], v62, s[4:5] scale_offset
	;; [unrolled: 1-line block ×4, first 2 shown]
	v_add_nc_u32_e32 v74, s11, v72
	s_wait_loadcnt 0x1e
	scratch_store_b128 off, v[76:79], off
	s_wait_loadcnt 0x1c
	scratch_store_b128 off, v[80:83], off offset:16
	s_wait_xcnt 0x1
	v_add_nc_u32_e32 v76, s11, v74
	s_delay_alu instid0(VALU_DEP_1)
	v_add_nc_u32_e32 v78, s11, v76
	s_wait_loadcnt 0x1a
	scratch_store_b128 off, v[84:87], off offset:32
	s_wait_loadcnt 0x18
	scratch_store_b128 off, v[88:91], off offset:48
	s_wait_xcnt 0x2
	v_add_nc_u32_e32 v80, s11, v78
	s_delay_alu instid0(VALU_DEP_1) | instskip(SKIP_1) | instid1(VALU_DEP_1)
	v_add_nc_u32_e32 v82, s11, v80
	s_wait_xcnt 0x1
	v_add_nc_u32_e32 v84, s11, v82
	s_delay_alu instid0(VALU_DEP_1) | instskip(SKIP_4) | instid1(VALU_DEP_1)
	v_add_nc_u32_e32 v86, s11, v84
	s_wait_loadcnt 0x16
	scratch_store_b128 off, v[92:95], off offset:64
	s_wait_xcnt 0x1
	v_add_nc_u32_e32 v88, s11, v86
	v_add_nc_u32_e32 v90, s11, v88
	s_wait_xcnt 0x0
	s_delay_alu instid0(VALU_DEP_1)
	v_add_nc_u32_e32 v92, s11, v90
	s_wait_loadcnt 0x14
	scratch_store_b128 off, v[96:99], off offset:80
	s_clause 0x1
	global_load_b64 v[140:141], v68, s[4:5] scale_offset
	global_load_b64 v[142:143], v70, s[4:5] scale_offset
	s_wait_loadcnt 0x14
	scratch_store_b128 off, v[100:103], off offset:96
	s_wait_loadcnt 0x12
	scratch_store_b128 off, v[104:107], off offset:112
	;; [unrolled: 2-line block ×3, first 2 shown]
	s_clause 0x3
	global_load_b64 v[104:105], v72, s[4:5] scale_offset
	global_load_b64 v[106:107], v74, s[4:5] scale_offset
	;; [unrolled: 1-line block ×4, first 2 shown]
	v_add_nc_u32_e32 v94, s11, v92
	s_wait_loadcnt 0x12
	scratch_store_b128 off, v[112:115], off offset:144
	s_wait_loadcnt 0x10
	scratch_store_b128 off, v[116:119], off offset:160
	v_add_nc_u32_e32 v96, s11, v94
	s_clause 0x3
	global_load_b64 v[112:113], v80, s[4:5] scale_offset
	global_load_b64 v[114:115], v82, s[4:5] scale_offset
	;; [unrolled: 1-line block ×4, first 2 shown]
	v_add_nc_u32_e32 v98, s11, v96
	s_delay_alu instid0(VALU_DEP_1) | instskip(NEXT) | instid1(VALU_DEP_1)
	v_add_nc_u32_e32 v100, s11, v98
	v_add_nc_u32_e32 v102, s11, v100
	s_wait_loadcnt 0x12
	scratch_store_b128 off, v[120:123], off offset:176
	s_wait_loadcnt 0x10
	scratch_store_b128 off, v[124:127], off offset:192
	;; [unrolled: 2-line block ×3, first 2 shown]
	s_clause 0x3
	global_load_b64 v[120:121], v88, s[4:5] scale_offset
	global_load_b64 v[122:123], v90, s[4:5] scale_offset
	;; [unrolled: 1-line block ×4, first 2 shown]
	s_wait_loadcnt 0x10
	scratch_store_b128 off, v[132:135], off offset:224
	s_clause 0x1
	global_load_b64 v[128:129], v96, s[4:5] scale_offset
	global_load_b64 v[130:131], v98, s[4:5] scale_offset
	s_wait_loadcnt 0x10
	scratch_store_b128 off, v[136:139], off offset:240
	s_clause 0x1
	global_load_b64 v[132:133], v100, s[4:5] scale_offset
	global_load_b64 v[134:135], v102, s[4:5] scale_offset
	s_wait_loadcnt 0x10
	scratch_store_b128 off, v[140:143], off offset:256
	s_wait_loadcnt 0xe
	scratch_store_b128 off, v[104:107], off offset:272
	;; [unrolled: 2-line block ×9, first 2 shown]
	s_cbranch_scc1 .LBB49_208
; %bb.4:
	v_cmp_eq_u32_e64 s0, 0, v0
	s_wait_xcnt 0x0
	s_and_saveexec_b32 s1, s0
; %bb.5:
	v_mov_b32_e32 v1, 0
	ds_store_b32 v1, v1 offset:800
; %bb.6:
	s_or_b32 exec_lo, exec_lo, s1
	s_wait_storecnt_dscnt 0x0
	s_barrier_signal -1
	s_barrier_wait -1
	scratch_load_b64 v[104:105], v0, off scale_offset
	s_mov_b32 s8, exec_lo
	s_wait_loadcnt 0x0
	v_cmpx_eq_f64_e32 0, v[104:105]
	s_cbranch_execz .LBB49_10
; %bb.7:
	v_mov_b32_e32 v1, 0
	s_mov_b32 s9, 0
	ds_load_b32 v3, v1 offset:800
	s_wait_dscnt 0x0
	v_readfirstlane_b32 s1, v3
	v_add_nc_u32_e32 v3, 1, v0
	s_cmp_eq_u32 s1, 0
	s_delay_alu instid0(VALU_DEP_1) | instskip(SKIP_1) | instid1(SALU_CYCLE_1)
	v_cmp_gt_i32_e32 vcc_lo, s1, v3
	s_cselect_b32 s10, -1, 0
	s_or_b32 s10, s10, vcc_lo
	s_delay_alu instid0(SALU_CYCLE_1)
	s_and_b32 exec_lo, exec_lo, s10
	s_cbranch_execz .LBB49_10
; %bb.8:
	v_mov_b32_e32 v9, s1
.LBB49_9:                               ; =>This Inner Loop Header: Depth=1
	ds_cmpstore_rtn_b32 v9, v1, v3, v9 offset:800
	s_wait_dscnt 0x0
	v_cmp_ne_u32_e32 vcc_lo, 0, v9
	v_cmp_le_i32_e64 s1, v9, v3
	s_and_b32 s1, vcc_lo, s1
	s_delay_alu instid0(SALU_CYCLE_1) | instskip(NEXT) | instid1(SALU_CYCLE_1)
	s_and_b32 s1, exec_lo, s1
	s_or_b32 s9, s1, s9
	s_delay_alu instid0(SALU_CYCLE_1)
	s_and_not1_b32 exec_lo, exec_lo, s9
	s_cbranch_execnz .LBB49_9
.LBB49_10:
	s_or_b32 exec_lo, exec_lo, s8
	v_mov_b32_e32 v1, 0
	s_barrier_signal -1
	s_barrier_wait -1
	ds_load_b32 v3, v1 offset:800
	s_and_saveexec_b32 s1, s0
	s_cbranch_execz .LBB49_12
; %bb.11:
	s_lshl_b64 s[8:9], s[16:17], 2
	s_delay_alu instid0(SALU_CYCLE_1)
	s_add_nc_u64 s[8:9], s[6:7], s[8:9]
	s_wait_dscnt 0x0
	global_store_b32 v1, v3, s[8:9]
.LBB49_12:
	s_wait_xcnt 0x0
	s_or_b32 exec_lo, exec_lo, s1
	s_wait_dscnt 0x0
	v_cmp_ne_u32_e32 vcc_lo, 0, v3
	s_mov_b32 s1, 0
	s_cbranch_vccnz .LBB49_208
; %bb.13:
	v_lshl_add_u32 v3, v0, 3, 0
	v_add_nc_u32_e32 v1, 0x190, v2
	scratch_load_b64 v[104:105], v3, off
	s_wait_loadcnt 0x0
	v_div_scale_f64 v[106:107], null, v[104:105], v[104:105], 1.0
	v_div_scale_f64 v[112:113], vcc_lo, 1.0, v[104:105], 1.0
	s_delay_alu instid0(VALU_DEP_2) | instskip(SKIP_1) | instid1(TRANS32_DEP_1)
	v_rcp_f64_e32 v[108:109], v[106:107]
	v_nop
	v_fma_f64 v[110:111], -v[106:107], v[108:109], 1.0
	s_delay_alu instid0(VALU_DEP_1) | instskip(NEXT) | instid1(VALU_DEP_1)
	v_fmac_f64_e32 v[108:109], v[108:109], v[110:111]
	v_fma_f64 v[110:111], -v[106:107], v[108:109], 1.0
	s_delay_alu instid0(VALU_DEP_1) | instskip(NEXT) | instid1(VALU_DEP_1)
	v_fmac_f64_e32 v[108:109], v[108:109], v[110:111]
	v_mul_f64_e32 v[110:111], v[112:113], v[108:109]
	s_delay_alu instid0(VALU_DEP_1) | instskip(NEXT) | instid1(VALU_DEP_1)
	v_fma_f64 v[106:107], -v[106:107], v[110:111], v[112:113]
	v_div_fmas_f64 v[106:107], v[106:107], v[108:109], v[110:111]
	s_delay_alu instid0(VALU_DEP_1)
	v_div_fixup_f64 v[104:105], v[106:107], v[104:105], 1.0
	scratch_store_b64 v3, v[104:105], off
	scratch_load_b64 v[106:107], off, off offset:8
	s_wait_xcnt 0x1
	v_xor_b32_e32 v105, 0x80000000, v105
	s_wait_loadcnt 0x0
	ds_store_2addr_b64 v2, v[104:105], v[106:107] offset1:50
	s_wait_storecnt_dscnt 0x0
	s_barrier_signal -1
	s_barrier_wait -1
	s_wait_xcnt 0x0
	s_and_saveexec_b32 s1, s0
	s_cbranch_execz .LBB49_15
; %bb.14:
	scratch_load_b64 v[104:105], v3, off
	ds_load_b64 v[106:107], v1
	s_wait_loadcnt_dscnt 0x0
	v_fma_f64 v[104:105], v[104:105], v[106:107], 0
	v_mov_b32_e32 v9, 0
	ds_load_b64 v[108:109], v9 offset:8
	s_wait_dscnt 0x0
	v_mul_f64_e32 v[104:105], v[104:105], v[108:109]
	scratch_store_b64 off, v[104:105], off offset:8
.LBB49_15:
	s_wait_xcnt 0x0
	s_or_b32 exec_lo, exec_lo, s1
	s_wait_storecnt 0x0
	s_barrier_signal -1
	s_barrier_wait -1
	scratch_load_b64 v[104:105], off, off offset:16
	s_mov_b32 s1, exec_lo
	s_wait_loadcnt 0x0
	ds_store_b64 v1, v[104:105]
	s_wait_dscnt 0x0
	s_barrier_signal -1
	s_barrier_wait -1
	v_cmpx_gt_u32_e32 2, v0
	s_cbranch_execz .LBB49_19
; %bb.16:
	scratch_load_b64 v[104:105], v3, off
	ds_load_b64 v[106:107], v1
	s_wait_loadcnt_dscnt 0x0
	v_fma_f64 v[104:105], v[104:105], v[106:107], 0
	s_and_saveexec_b32 s8, s0
	s_cbranch_execz .LBB49_18
; %bb.17:
	scratch_load_b64 v[106:107], off, off offset:8
	v_mov_b32_e32 v3, 0
	ds_load_b64 v[108:109], v3 offset:408
	s_wait_loadcnt_dscnt 0x0
	v_fmac_f64_e32 v[104:105], v[106:107], v[108:109]
.LBB49_18:
	s_or_b32 exec_lo, exec_lo, s8
	v_mov_b32_e32 v3, 0
	ds_load_b64 v[106:107], v3 offset:16
	s_wait_dscnt 0x0
	v_mul_f64_e32 v[104:105], v[104:105], v[106:107]
	scratch_store_b64 off, v[104:105], off offset:16
.LBB49_19:
	s_wait_xcnt 0x0
	s_or_b32 exec_lo, exec_lo, s1
	s_wait_storecnt 0x0
	s_barrier_signal -1
	s_barrier_wait -1
	scratch_load_b64 v[104:105], off, off offset:24
	v_add_nc_u32_e32 v3, -1, v0
	s_mov_b32 s0, exec_lo
	s_wait_loadcnt 0x0
	ds_store_b64 v1, v[104:105]
	s_wait_dscnt 0x0
	s_barrier_signal -1
	s_barrier_wait -1
	v_cmpx_gt_u32_e32 3, v0
	s_cbranch_execz .LBB49_23
; %bb.20:
	v_mov_b64_e32 v[104:105], 0
	v_dual_add_nc_u32 v9, -1, v0 :: v_dual_mov_b32 v13, v2
	v_add_nc_u32_e32 v11, 0x190, v2
	s_mov_b32 s1, 0
.LBB49_21:                              ; =>This Inner Loop Header: Depth=1
	scratch_load_b64 v[106:107], v13, off
	ds_load_b64 v[108:109], v11
	v_dual_add_nc_u32 v9, 1, v9 :: v_dual_add_nc_u32 v11, 8, v11
	s_wait_xcnt 0x0
	v_add_nc_u32_e32 v13, 8, v13
	s_delay_alu instid0(VALU_DEP_2)
	v_cmp_lt_u32_e32 vcc_lo, 1, v9
	s_or_b32 s1, vcc_lo, s1
	s_wait_loadcnt_dscnt 0x0
	v_fmac_f64_e32 v[104:105], v[106:107], v[108:109]
	s_and_not1_b32 exec_lo, exec_lo, s1
	s_cbranch_execnz .LBB49_21
; %bb.22:
	s_or_b32 exec_lo, exec_lo, s1
	v_mov_b32_e32 v9, 0
	ds_load_b64 v[106:107], v9 offset:24
	s_wait_dscnt 0x0
	v_mul_f64_e32 v[104:105], v[104:105], v[106:107]
	scratch_store_b64 off, v[104:105], off offset:24
.LBB49_23:
	s_wait_xcnt 0x0
	s_or_b32 exec_lo, exec_lo, s0
	s_wait_storecnt 0x0
	s_barrier_signal -1
	s_barrier_wait -1
	scratch_load_b64 v[104:105], off, off offset:32
	s_mov_b32 s0, exec_lo
	s_wait_loadcnt 0x0
	ds_store_b64 v1, v[104:105]
	s_wait_dscnt 0x0
	s_barrier_signal -1
	s_barrier_wait -1
	v_cmpx_gt_u32_e32 4, v0
	s_cbranch_execz .LBB49_27
; %bb.24:
	v_mov_b64_e32 v[104:105], 0
	v_dual_add_nc_u32 v9, -1, v0 :: v_dual_mov_b32 v13, v2
	v_add_nc_u32_e32 v11, 0x190, v2
	s_mov_b32 s1, 0
.LBB49_25:                              ; =>This Inner Loop Header: Depth=1
	scratch_load_b64 v[106:107], v13, off
	ds_load_b64 v[108:109], v11
	v_dual_add_nc_u32 v9, 1, v9 :: v_dual_add_nc_u32 v11, 8, v11
	s_wait_xcnt 0x0
	v_add_nc_u32_e32 v13, 8, v13
	s_delay_alu instid0(VALU_DEP_2)
	v_cmp_lt_u32_e32 vcc_lo, 2, v9
	s_or_b32 s1, vcc_lo, s1
	s_wait_loadcnt_dscnt 0x0
	v_fmac_f64_e32 v[104:105], v[106:107], v[108:109]
	s_and_not1_b32 exec_lo, exec_lo, s1
	s_cbranch_execnz .LBB49_25
; %bb.26:
	s_or_b32 exec_lo, exec_lo, s1
	v_mov_b32_e32 v9, 0
	ds_load_b64 v[106:107], v9 offset:32
	s_wait_dscnt 0x0
	v_mul_f64_e32 v[104:105], v[104:105], v[106:107]
	scratch_store_b64 off, v[104:105], off offset:32
.LBB49_27:
	s_wait_xcnt 0x0
	s_or_b32 exec_lo, exec_lo, s0
	s_wait_storecnt 0x0
	s_barrier_signal -1
	s_barrier_wait -1
	scratch_load_b64 v[104:105], off, off offset:40
	;; [unrolled: 40-line block ×20, first 2 shown]
	s_mov_b32 s0, exec_lo
	s_wait_loadcnt 0x0
	ds_store_b64 v1, v[104:105]
	s_wait_dscnt 0x0
	s_barrier_signal -1
	s_barrier_wait -1
	v_cmpx_gt_u32_e32 23, v0
	s_cbranch_execz .LBB49_103
; %bb.100:
	v_mov_b64_e32 v[104:105], 0
	v_dual_add_nc_u32 v9, -1, v0 :: v_dual_mov_b32 v13, v2
	v_add_nc_u32_e32 v11, 0x190, v2
	s_mov_b32 s1, 0
.LBB49_101:                             ; =>This Inner Loop Header: Depth=1
	scratch_load_b64 v[106:107], v13, off
	ds_load_b64 v[108:109], v11
	v_dual_add_nc_u32 v9, 1, v9 :: v_dual_add_nc_u32 v11, 8, v11
	s_wait_xcnt 0x0
	v_add_nc_u32_e32 v13, 8, v13
	s_delay_alu instid0(VALU_DEP_2)
	v_cmp_lt_u32_e32 vcc_lo, 21, v9
	s_or_b32 s1, vcc_lo, s1
	s_wait_loadcnt_dscnt 0x0
	v_fmac_f64_e32 v[104:105], v[106:107], v[108:109]
	s_and_not1_b32 exec_lo, exec_lo, s1
	s_cbranch_execnz .LBB49_101
; %bb.102:
	s_or_b32 exec_lo, exec_lo, s1
	v_mov_b32_e32 v9, 0
	ds_load_b64 v[106:107], v9 offset:184
	s_wait_dscnt 0x0
	v_mul_f64_e32 v[104:105], v[104:105], v[106:107]
	scratch_store_b64 off, v[104:105], off offset:184
.LBB49_103:
	s_wait_xcnt 0x0
	s_or_b32 exec_lo, exec_lo, s0
	s_wait_storecnt 0x0
	s_barrier_signal -1
	s_barrier_wait -1
	scratch_load_b64 v[104:105], off, off offset:192
	s_mov_b32 s0, exec_lo
	s_wait_loadcnt 0x0
	ds_store_b64 v1, v[104:105]
	s_wait_dscnt 0x0
	s_barrier_signal -1
	s_barrier_wait -1
	v_cmpx_gt_u32_e32 24, v0
	s_cbranch_execz .LBB49_107
; %bb.104:
	v_mov_b64_e32 v[104:105], 0
	v_dual_add_nc_u32 v9, -1, v0 :: v_dual_mov_b32 v13, v2
	v_add_nc_u32_e32 v11, 0x190, v2
	s_mov_b32 s1, 0
.LBB49_105:                             ; =>This Inner Loop Header: Depth=1
	scratch_load_b64 v[106:107], v13, off
	ds_load_b64 v[108:109], v11
	v_dual_add_nc_u32 v9, 1, v9 :: v_dual_add_nc_u32 v11, 8, v11
	s_wait_xcnt 0x0
	v_add_nc_u32_e32 v13, 8, v13
	s_delay_alu instid0(VALU_DEP_2)
	v_cmp_lt_u32_e32 vcc_lo, 22, v9
	s_or_b32 s1, vcc_lo, s1
	s_wait_loadcnt_dscnt 0x0
	v_fmac_f64_e32 v[104:105], v[106:107], v[108:109]
	s_and_not1_b32 exec_lo, exec_lo, s1
	s_cbranch_execnz .LBB49_105
; %bb.106:
	s_or_b32 exec_lo, exec_lo, s1
	v_mov_b32_e32 v9, 0
	ds_load_b64 v[106:107], v9 offset:192
	s_wait_dscnt 0x0
	v_mul_f64_e32 v[104:105], v[104:105], v[106:107]
	scratch_store_b64 off, v[104:105], off offset:192
.LBB49_107:
	s_wait_xcnt 0x0
	s_or_b32 exec_lo, exec_lo, s0
	s_wait_storecnt 0x0
	s_barrier_signal -1
	s_barrier_wait -1
	scratch_load_b64 v[104:105], off, off offset:200
	;; [unrolled: 40-line block ×26, first 2 shown]
	s_mov_b32 s0, exec_lo
	s_wait_loadcnt 0x0
	ds_store_b64 v1, v[104:105]
	s_wait_dscnt 0x0
	s_barrier_signal -1
	s_barrier_wait -1
	v_cmpx_ne_u32_e32 49, v0
	s_cbranch_execz .LBB49_207
; %bb.204:
	v_mov_b64_e32 v[104:105], 0
	s_mov_b32 s1, 0
.LBB49_205:                             ; =>This Inner Loop Header: Depth=1
	scratch_load_b64 v[106:107], v2, off
	ds_load_b64 v[108:109], v1
	v_dual_add_nc_u32 v3, 1, v3 :: v_dual_add_nc_u32 v1, 8, v1
	s_wait_xcnt 0x0
	v_add_nc_u32_e32 v2, 8, v2
	s_delay_alu instid0(VALU_DEP_2)
	v_cmp_lt_u32_e32 vcc_lo, 47, v3
	s_or_b32 s1, vcc_lo, s1
	s_wait_loadcnt_dscnt 0x0
	v_fmac_f64_e32 v[104:105], v[106:107], v[108:109]
	s_and_not1_b32 exec_lo, exec_lo, s1
	s_cbranch_execnz .LBB49_205
; %bb.206:
	s_or_b32 exec_lo, exec_lo, s1
	v_mov_b32_e32 v1, 0
	ds_load_b64 v[2:3], v1 offset:392
	s_wait_dscnt 0x0
	v_mul_f64_e32 v[2:3], v[104:105], v[2:3]
	scratch_store_b64 off, v[2:3], off offset:392
.LBB49_207:
	s_wait_xcnt 0x0
	s_or_b32 exec_lo, exec_lo, s0
	s_mov_b32 s1, -1
	s_wait_storecnt 0x0
	s_barrier_signal -1
	s_barrier_wait -1
.LBB49_208:
	s_and_b32 vcc_lo, exec_lo, s1
	s_cbranch_vccz .LBB49_210
; %bb.209:
	v_mov_b32_e32 v1, 0
	s_lshl_b64 s[0:1], s[16:17], 2
	s_delay_alu instid0(SALU_CYCLE_1)
	s_add_nc_u64 s[0:1], s[6:7], s[0:1]
	global_load_b32 v1, v1, s[0:1]
	s_wait_loadcnt 0x0
	v_cmp_ne_u32_e32 vcc_lo, 0, v1
	s_cbranch_vccz .LBB49_211
.LBB49_210:
	s_sendmsg sendmsg(MSG_DEALLOC_VGPRS)
	s_endpgm
.LBB49_211:
	s_wait_xcnt 0x0
	v_lshl_add_u32 v1, v0, 3, 0x190
	s_mov_b32 s0, exec_lo
	v_cmpx_eq_u32_e32 49, v0
	s_cbranch_execz .LBB49_213
; %bb.212:
	scratch_load_b64 v[2:3], off, off offset:384
	v_mov_b64_e32 v[104:105], 0
	scratch_store_b64 off, v[104:105], off offset:384
	s_wait_loadcnt 0x0
	ds_store_b64 v1, v[2:3]
.LBB49_213:
	s_wait_xcnt 0x0
	s_or_b32 exec_lo, exec_lo, s0
	s_wait_storecnt_dscnt 0x0
	s_barrier_signal -1
	s_barrier_wait -1
	scratch_load_b128 v[104:107], off, off offset:384
	v_mov_b32_e32 v2, 0
	s_mov_b32 s0, exec_lo
	ds_load_b64 v[108:109], v2 offset:792
	s_wait_loadcnt_dscnt 0x0
	v_fma_f64 v[106:107], v[106:107], v[108:109], 0
	s_delay_alu instid0(VALU_DEP_1)
	v_add_f64_e64 v[104:105], v[104:105], -v[106:107]
	scratch_store_b64 off, v[104:105], off offset:384
	s_wait_xcnt 0x0
	v_cmpx_lt_u32_e32 47, v0
	s_cbranch_execz .LBB49_215
; %bb.214:
	scratch_load_b64 v[104:105], off, off offset:376
	v_mov_b64_e32 v[106:107], 0
	scratch_store_b64 off, v[106:107], off offset:376
	s_wait_loadcnt 0x0
	ds_store_b64 v1, v[104:105]
.LBB49_215:
	s_wait_xcnt 0x0
	s_or_b32 exec_lo, exec_lo, s0
	s_wait_storecnt_dscnt 0x0
	s_barrier_signal -1
	s_barrier_wait -1
	s_clause 0x1
	scratch_load_b128 v[104:107], off, off offset:376
	scratch_load_b64 v[112:113], off, off offset:392
	ds_load_b128 v[108:111], v2 offset:784
	s_mov_b32 s0, exec_lo
	s_wait_loadcnt_dscnt 0x100
	v_fma_f64 v[2:3], v[106:107], v[108:109], 0
	s_wait_loadcnt 0x0
	s_delay_alu instid0(VALU_DEP_1) | instskip(NEXT) | instid1(VALU_DEP_1)
	v_fmac_f64_e32 v[2:3], v[112:113], v[110:111]
	v_add_f64_e64 v[2:3], v[104:105], -v[2:3]
	scratch_store_b64 off, v[2:3], off offset:376
	s_wait_xcnt 0x0
	v_cmpx_lt_u32_e32 46, v0
	s_cbranch_execz .LBB49_217
; %bb.216:
	scratch_load_b64 v[2:3], off, off offset:368
	v_mov_b64_e32 v[104:105], 0
	scratch_store_b64 off, v[104:105], off offset:368
	s_wait_loadcnt 0x0
	ds_store_b64 v1, v[2:3]
.LBB49_217:
	s_wait_xcnt 0x0
	s_or_b32 exec_lo, exec_lo, s0
	s_wait_storecnt_dscnt 0x0
	s_barrier_signal -1
	s_barrier_wait -1
	s_clause 0x1
	scratch_load_b128 v[104:107], off, off offset:368
	scratch_load_b128 v[108:111], off, off offset:384
	v_mov_b32_e32 v2, 0
	ds_load_2addr_b64 v[112:115], v2 offset0:97 offset1:98
	ds_load_b64 v[116:117], v2 offset:792
	s_mov_b32 s0, exec_lo
	s_wait_loadcnt_dscnt 0x101
	v_fma_f64 v[106:107], v[106:107], v[112:113], 0
	s_wait_loadcnt 0x0
	s_delay_alu instid0(VALU_DEP_1) | instskip(SKIP_1) | instid1(VALU_DEP_1)
	v_fmac_f64_e32 v[106:107], v[108:109], v[114:115]
	s_wait_dscnt 0x0
	v_fmac_f64_e32 v[106:107], v[110:111], v[116:117]
	s_delay_alu instid0(VALU_DEP_1)
	v_add_f64_e64 v[104:105], v[104:105], -v[106:107]
	scratch_store_b64 off, v[104:105], off offset:368
	s_wait_xcnt 0x0
	v_cmpx_lt_u32_e32 45, v0
	s_cbranch_execz .LBB49_219
; %bb.218:
	scratch_load_b64 v[104:105], off, off offset:360
	v_mov_b64_e32 v[106:107], 0
	scratch_store_b64 off, v[106:107], off offset:360
	s_wait_loadcnt 0x0
	ds_store_b64 v1, v[104:105]
.LBB49_219:
	s_wait_xcnt 0x0
	s_or_b32 exec_lo, exec_lo, s0
	s_wait_storecnt_dscnt 0x0
	s_barrier_signal -1
	s_barrier_wait -1
	s_clause 0x2
	scratch_load_b128 v[104:107], off, off offset:360
	scratch_load_b128 v[108:111], off, off offset:376
	scratch_load_b64 v[120:121], off, off offset:392
	ds_load_b128 v[112:115], v2 offset:768
	ds_load_b128 v[116:119], v2 offset:784
	s_mov_b32 s0, exec_lo
	s_wait_loadcnt_dscnt 0x201
	v_fma_f64 v[2:3], v[106:107], v[112:113], 0
	s_wait_loadcnt 0x1
	s_delay_alu instid0(VALU_DEP_1) | instskip(SKIP_1) | instid1(VALU_DEP_1)
	v_fmac_f64_e32 v[2:3], v[108:109], v[114:115]
	s_wait_dscnt 0x0
	v_fmac_f64_e32 v[2:3], v[110:111], v[116:117]
	s_wait_loadcnt 0x0
	s_delay_alu instid0(VALU_DEP_1) | instskip(NEXT) | instid1(VALU_DEP_1)
	v_fmac_f64_e32 v[2:3], v[120:121], v[118:119]
	v_add_f64_e64 v[2:3], v[104:105], -v[2:3]
	scratch_store_b64 off, v[2:3], off offset:360
	s_wait_xcnt 0x0
	v_cmpx_lt_u32_e32 44, v0
	s_cbranch_execz .LBB49_221
; %bb.220:
	scratch_load_b64 v[2:3], off, off offset:352
	v_mov_b64_e32 v[104:105], 0
	scratch_store_b64 off, v[104:105], off offset:352
	s_wait_loadcnt 0x0
	ds_store_b64 v1, v[2:3]
.LBB49_221:
	s_wait_xcnt 0x0
	s_or_b32 exec_lo, exec_lo, s0
	s_wait_storecnt_dscnt 0x0
	s_barrier_signal -1
	s_barrier_wait -1
	s_clause 0x2
	scratch_load_b128 v[104:107], off, off offset:352
	scratch_load_b128 v[108:111], off, off offset:368
	;; [unrolled: 1-line block ×3, first 2 shown]
	v_mov_b32_e32 v2, 0
	ds_load_2addr_b64 v[116:119], v2 offset0:95 offset1:96
	ds_load_2addr_b64 v[120:123], v2 offset0:97 offset1:98
	s_mov_b32 s0, exec_lo
	s_wait_loadcnt_dscnt 0x201
	v_fma_f64 v[106:107], v[106:107], v[116:117], 0
	s_wait_loadcnt 0x1
	s_delay_alu instid0(VALU_DEP_1) | instskip(SKIP_4) | instid1(VALU_DEP_1)
	v_fmac_f64_e32 v[106:107], v[108:109], v[118:119]
	ds_load_b64 v[108:109], v2 offset:792
	s_wait_dscnt 0x1
	v_fmac_f64_e32 v[106:107], v[110:111], v[120:121]
	s_wait_loadcnt 0x0
	v_fmac_f64_e32 v[106:107], v[112:113], v[122:123]
	s_wait_dscnt 0x0
	s_delay_alu instid0(VALU_DEP_1) | instskip(NEXT) | instid1(VALU_DEP_1)
	v_fmac_f64_e32 v[106:107], v[114:115], v[108:109]
	v_add_f64_e64 v[104:105], v[104:105], -v[106:107]
	scratch_store_b64 off, v[104:105], off offset:352
	s_wait_xcnt 0x0
	v_cmpx_lt_u32_e32 43, v0
	s_cbranch_execz .LBB49_223
; %bb.222:
	scratch_load_b64 v[104:105], off, off offset:344
	v_mov_b64_e32 v[106:107], 0
	scratch_store_b64 off, v[106:107], off offset:344
	s_wait_loadcnt 0x0
	ds_store_b64 v1, v[104:105]
.LBB49_223:
	s_wait_xcnt 0x0
	s_or_b32 exec_lo, exec_lo, s0
	s_wait_storecnt_dscnt 0x0
	s_barrier_signal -1
	s_barrier_wait -1
	s_clause 0x3
	scratch_load_b128 v[104:107], off, off offset:344
	scratch_load_b128 v[108:111], off, off offset:360
	;; [unrolled: 1-line block ×3, first 2 shown]
	scratch_load_b64 v[124:125], off, off offset:392
	ds_load_b128 v[116:119], v2 offset:752
	ds_load_b128 v[120:123], v2 offset:768
	s_mov_b32 s0, exec_lo
	s_wait_loadcnt_dscnt 0x301
	v_fma_f64 v[116:117], v[106:107], v[116:117], 0
	s_wait_loadcnt 0x2
	s_delay_alu instid0(VALU_DEP_1) | instskip(SKIP_4) | instid1(VALU_DEP_1)
	v_fmac_f64_e32 v[116:117], v[108:109], v[118:119]
	ds_load_b128 v[106:109], v2 offset:784
	s_wait_dscnt 0x1
	v_fmac_f64_e32 v[116:117], v[110:111], v[120:121]
	s_wait_loadcnt 0x1
	v_fmac_f64_e32 v[116:117], v[112:113], v[122:123]
	s_wait_dscnt 0x0
	s_delay_alu instid0(VALU_DEP_1) | instskip(SKIP_1) | instid1(VALU_DEP_1)
	v_fmac_f64_e32 v[116:117], v[114:115], v[106:107]
	s_wait_loadcnt 0x0
	v_fmac_f64_e32 v[116:117], v[124:125], v[108:109]
	s_delay_alu instid0(VALU_DEP_1)
	v_add_f64_e64 v[2:3], v[104:105], -v[116:117]
	scratch_store_b64 off, v[2:3], off offset:344
	s_wait_xcnt 0x0
	v_cmpx_lt_u32_e32 42, v0
	s_cbranch_execz .LBB49_225
; %bb.224:
	scratch_load_b64 v[2:3], off, off offset:336
	v_mov_b64_e32 v[104:105], 0
	scratch_store_b64 off, v[104:105], off offset:336
	s_wait_loadcnt 0x0
	ds_store_b64 v1, v[2:3]
.LBB49_225:
	s_wait_xcnt 0x0
	s_or_b32 exec_lo, exec_lo, s0
	s_wait_storecnt_dscnt 0x0
	s_barrier_signal -1
	s_barrier_wait -1
	s_clause 0x3
	scratch_load_b128 v[104:107], off, off offset:336
	scratch_load_b128 v[108:111], off, off offset:352
	;; [unrolled: 1-line block ×4, first 2 shown]
	v_mov_b32_e32 v2, 0
	ds_load_2addr_b64 v[120:123], v2 offset0:93 offset1:94
	ds_load_2addr_b64 v[124:127], v2 offset0:95 offset1:96
	s_mov_b32 s0, exec_lo
	s_wait_loadcnt_dscnt 0x301
	v_fma_f64 v[120:121], v[106:107], v[120:121], 0
	s_wait_loadcnt 0x2
	s_delay_alu instid0(VALU_DEP_1) | instskip(SKIP_1) | instid1(VALU_DEP_1)
	v_fmac_f64_e32 v[120:121], v[108:109], v[122:123]
	s_wait_dscnt 0x0
	v_fmac_f64_e32 v[120:121], v[110:111], v[124:125]
	ds_load_2addr_b64 v[106:109], v2 offset0:97 offset1:98
	ds_load_b64 v[110:111], v2 offset:792
	s_wait_loadcnt 0x1
	v_fmac_f64_e32 v[120:121], v[112:113], v[126:127]
	s_wait_dscnt 0x1
	s_delay_alu instid0(VALU_DEP_1) | instskip(SKIP_1) | instid1(VALU_DEP_1)
	v_fmac_f64_e32 v[120:121], v[114:115], v[106:107]
	s_wait_loadcnt 0x0
	v_fmac_f64_e32 v[120:121], v[116:117], v[108:109]
	s_wait_dscnt 0x0
	s_delay_alu instid0(VALU_DEP_1) | instskip(NEXT) | instid1(VALU_DEP_1)
	v_fmac_f64_e32 v[120:121], v[118:119], v[110:111]
	v_add_f64_e64 v[104:105], v[104:105], -v[120:121]
	scratch_store_b64 off, v[104:105], off offset:336
	s_wait_xcnt 0x0
	v_cmpx_lt_u32_e32 41, v0
	s_cbranch_execz .LBB49_227
; %bb.226:
	scratch_load_b64 v[104:105], off, off offset:328
	v_mov_b64_e32 v[106:107], 0
	scratch_store_b64 off, v[106:107], off offset:328
	s_wait_loadcnt 0x0
	ds_store_b64 v1, v[104:105]
.LBB49_227:
	s_wait_xcnt 0x0
	s_or_b32 exec_lo, exec_lo, s0
	s_wait_storecnt_dscnt 0x0
	s_barrier_signal -1
	s_barrier_wait -1
	s_clause 0x4
	scratch_load_b128 v[104:107], off, off offset:328
	scratch_load_b128 v[108:111], off, off offset:344
	;; [unrolled: 1-line block ×4, first 2 shown]
	scratch_load_b64 v[128:129], off, off offset:392
	ds_load_b128 v[120:123], v2 offset:736
	ds_load_b128 v[124:127], v2 offset:752
	s_mov_b32 s0, exec_lo
	s_wait_loadcnt_dscnt 0x401
	v_fma_f64 v[120:121], v[106:107], v[120:121], 0
	s_wait_loadcnt 0x3
	s_delay_alu instid0(VALU_DEP_1) | instskip(SKIP_1) | instid1(VALU_DEP_1)
	v_fmac_f64_e32 v[120:121], v[108:109], v[122:123]
	s_wait_dscnt 0x0
	v_fmac_f64_e32 v[120:121], v[110:111], v[124:125]
	s_wait_loadcnt 0x2
	s_delay_alu instid0(VALU_DEP_1)
	v_fmac_f64_e32 v[120:121], v[112:113], v[126:127]
	ds_load_b128 v[106:109], v2 offset:768
	ds_load_b128 v[110:113], v2 offset:784
	s_wait_dscnt 0x1
	v_fmac_f64_e32 v[120:121], v[114:115], v[106:107]
	s_wait_loadcnt 0x1
	s_delay_alu instid0(VALU_DEP_1) | instskip(SKIP_1) | instid1(VALU_DEP_1)
	v_fmac_f64_e32 v[120:121], v[116:117], v[108:109]
	s_wait_dscnt 0x0
	v_fmac_f64_e32 v[120:121], v[118:119], v[110:111]
	s_wait_loadcnt 0x0
	s_delay_alu instid0(VALU_DEP_1) | instskip(NEXT) | instid1(VALU_DEP_1)
	v_fmac_f64_e32 v[120:121], v[128:129], v[112:113]
	v_add_f64_e64 v[2:3], v[104:105], -v[120:121]
	scratch_store_b64 off, v[2:3], off offset:328
	s_wait_xcnt 0x0
	v_cmpx_lt_u32_e32 40, v0
	s_cbranch_execz .LBB49_229
; %bb.228:
	scratch_load_b64 v[2:3], off, off offset:320
	v_mov_b64_e32 v[104:105], 0
	scratch_store_b64 off, v[104:105], off offset:320
	s_wait_loadcnt 0x0
	ds_store_b64 v1, v[2:3]
.LBB49_229:
	s_wait_xcnt 0x0
	s_or_b32 exec_lo, exec_lo, s0
	s_wait_storecnt_dscnt 0x0
	s_barrier_signal -1
	s_barrier_wait -1
	s_clause 0x4
	scratch_load_b128 v[104:107], off, off offset:320
	scratch_load_b128 v[108:111], off, off offset:336
	;; [unrolled: 1-line block ×5, first 2 shown]
	v_mov_b32_e32 v2, 0
	ds_load_2addr_b64 v[124:127], v2 offset0:91 offset1:92
	ds_load_2addr_b64 v[128:131], v2 offset0:93 offset1:94
	s_mov_b32 s0, exec_lo
	s_wait_loadcnt_dscnt 0x401
	v_fma_f64 v[124:125], v[106:107], v[124:125], 0
	s_wait_loadcnt 0x3
	s_delay_alu instid0(VALU_DEP_1) | instskip(SKIP_1) | instid1(VALU_DEP_1)
	v_fmac_f64_e32 v[124:125], v[108:109], v[126:127]
	s_wait_dscnt 0x0
	v_fmac_f64_e32 v[124:125], v[110:111], v[128:129]
	s_wait_loadcnt 0x2
	s_delay_alu instid0(VALU_DEP_1)
	v_fmac_f64_e32 v[124:125], v[112:113], v[130:131]
	ds_load_2addr_b64 v[106:109], v2 offset0:95 offset1:96
	ds_load_2addr_b64 v[110:113], v2 offset0:97 offset1:98
	s_wait_dscnt 0x1
	v_fmac_f64_e32 v[124:125], v[114:115], v[106:107]
	ds_load_b64 v[106:107], v2 offset:792
	s_wait_loadcnt 0x1
	v_fmac_f64_e32 v[124:125], v[116:117], v[108:109]
	s_wait_dscnt 0x1
	s_delay_alu instid0(VALU_DEP_1) | instskip(SKIP_1) | instid1(VALU_DEP_1)
	v_fmac_f64_e32 v[124:125], v[118:119], v[110:111]
	s_wait_loadcnt 0x0
	v_fmac_f64_e32 v[124:125], v[120:121], v[112:113]
	s_wait_dscnt 0x0
	s_delay_alu instid0(VALU_DEP_1) | instskip(NEXT) | instid1(VALU_DEP_1)
	v_fmac_f64_e32 v[124:125], v[122:123], v[106:107]
	v_add_f64_e64 v[104:105], v[104:105], -v[124:125]
	scratch_store_b64 off, v[104:105], off offset:320
	s_wait_xcnt 0x0
	v_cmpx_lt_u32_e32 39, v0
	s_cbranch_execz .LBB49_231
; %bb.230:
	scratch_load_b64 v[104:105], off, off offset:312
	v_mov_b64_e32 v[106:107], 0
	scratch_store_b64 off, v[106:107], off offset:312
	s_wait_loadcnt 0x0
	ds_store_b64 v1, v[104:105]
.LBB49_231:
	s_wait_xcnt 0x0
	s_or_b32 exec_lo, exec_lo, s0
	s_wait_storecnt_dscnt 0x0
	s_barrier_signal -1
	s_barrier_wait -1
	s_clause 0x5
	scratch_load_b128 v[104:107], off, off offset:312
	scratch_load_b128 v[108:111], off, off offset:328
	;; [unrolled: 1-line block ×5, first 2 shown]
	scratch_load_b64 v[132:133], off, off offset:392
	ds_load_b128 v[124:127], v2 offset:720
	ds_load_b128 v[128:131], v2 offset:736
	s_mov_b32 s0, exec_lo
	s_wait_loadcnt_dscnt 0x501
	v_fma_f64 v[124:125], v[106:107], v[124:125], 0
	s_wait_loadcnt 0x4
	s_delay_alu instid0(VALU_DEP_1) | instskip(SKIP_1) | instid1(VALU_DEP_1)
	v_fmac_f64_e32 v[124:125], v[108:109], v[126:127]
	s_wait_dscnt 0x0
	v_fmac_f64_e32 v[124:125], v[110:111], v[128:129]
	s_wait_loadcnt 0x3
	s_delay_alu instid0(VALU_DEP_1)
	v_fmac_f64_e32 v[124:125], v[112:113], v[130:131]
	ds_load_b128 v[106:109], v2 offset:752
	ds_load_b128 v[110:113], v2 offset:768
	s_wait_dscnt 0x1
	v_fmac_f64_e32 v[124:125], v[114:115], v[106:107]
	s_wait_loadcnt 0x2
	s_delay_alu instid0(VALU_DEP_1) | instskip(SKIP_4) | instid1(VALU_DEP_1)
	v_fmac_f64_e32 v[124:125], v[116:117], v[108:109]
	ds_load_b128 v[106:109], v2 offset:784
	s_wait_dscnt 0x1
	v_fmac_f64_e32 v[124:125], v[118:119], v[110:111]
	s_wait_loadcnt 0x1
	v_fmac_f64_e32 v[124:125], v[120:121], v[112:113]
	s_wait_dscnt 0x0
	s_delay_alu instid0(VALU_DEP_1) | instskip(SKIP_1) | instid1(VALU_DEP_1)
	v_fmac_f64_e32 v[124:125], v[122:123], v[106:107]
	s_wait_loadcnt 0x0
	v_fmac_f64_e32 v[124:125], v[132:133], v[108:109]
	s_delay_alu instid0(VALU_DEP_1)
	v_add_f64_e64 v[2:3], v[104:105], -v[124:125]
	scratch_store_b64 off, v[2:3], off offset:312
	s_wait_xcnt 0x0
	v_cmpx_lt_u32_e32 38, v0
	s_cbranch_execz .LBB49_233
; %bb.232:
	scratch_load_b64 v[2:3], off, off offset:304
	v_mov_b64_e32 v[104:105], 0
	scratch_store_b64 off, v[104:105], off offset:304
	s_wait_loadcnt 0x0
	ds_store_b64 v1, v[2:3]
.LBB49_233:
	s_wait_xcnt 0x0
	s_or_b32 exec_lo, exec_lo, s0
	s_wait_storecnt_dscnt 0x0
	s_barrier_signal -1
	s_barrier_wait -1
	s_clause 0x5
	scratch_load_b128 v[104:107], off, off offset:304
	scratch_load_b128 v[108:111], off, off offset:320
	;; [unrolled: 1-line block ×6, first 2 shown]
	v_mov_b32_e32 v2, 0
	ds_load_2addr_b64 v[128:131], v2 offset0:89 offset1:90
	ds_load_2addr_b64 v[132:135], v2 offset0:91 offset1:92
	s_mov_b32 s0, exec_lo
	s_wait_loadcnt_dscnt 0x501
	v_fma_f64 v[128:129], v[106:107], v[128:129], 0
	s_wait_loadcnt 0x4
	s_delay_alu instid0(VALU_DEP_1) | instskip(SKIP_1) | instid1(VALU_DEP_1)
	v_fmac_f64_e32 v[128:129], v[108:109], v[130:131]
	s_wait_dscnt 0x0
	v_fmac_f64_e32 v[128:129], v[110:111], v[132:133]
	s_wait_loadcnt 0x3
	s_delay_alu instid0(VALU_DEP_1)
	v_fmac_f64_e32 v[128:129], v[112:113], v[134:135]
	ds_load_2addr_b64 v[106:109], v2 offset0:93 offset1:94
	ds_load_2addr_b64 v[110:113], v2 offset0:95 offset1:96
	s_wait_dscnt 0x1
	v_fmac_f64_e32 v[128:129], v[114:115], v[106:107]
	s_wait_loadcnt 0x2
	s_delay_alu instid0(VALU_DEP_1) | instskip(SKIP_1) | instid1(VALU_DEP_1)
	v_fmac_f64_e32 v[128:129], v[116:117], v[108:109]
	s_wait_dscnt 0x0
	v_fmac_f64_e32 v[128:129], v[118:119], v[110:111]
	ds_load_2addr_b64 v[106:109], v2 offset0:97 offset1:98
	ds_load_b64 v[110:111], v2 offset:792
	s_wait_loadcnt 0x1
	v_fmac_f64_e32 v[128:129], v[120:121], v[112:113]
	s_wait_dscnt 0x1
	s_delay_alu instid0(VALU_DEP_1) | instskip(SKIP_1) | instid1(VALU_DEP_1)
	v_fmac_f64_e32 v[128:129], v[122:123], v[106:107]
	s_wait_loadcnt 0x0
	v_fmac_f64_e32 v[128:129], v[124:125], v[108:109]
	s_wait_dscnt 0x0
	s_delay_alu instid0(VALU_DEP_1) | instskip(NEXT) | instid1(VALU_DEP_1)
	v_fmac_f64_e32 v[128:129], v[126:127], v[110:111]
	v_add_f64_e64 v[104:105], v[104:105], -v[128:129]
	scratch_store_b64 off, v[104:105], off offset:304
	s_wait_xcnt 0x0
	v_cmpx_lt_u32_e32 37, v0
	s_cbranch_execz .LBB49_235
; %bb.234:
	scratch_load_b64 v[104:105], off, off offset:296
	v_mov_b64_e32 v[106:107], 0
	scratch_store_b64 off, v[106:107], off offset:296
	s_wait_loadcnt 0x0
	ds_store_b64 v1, v[104:105]
.LBB49_235:
	s_wait_xcnt 0x0
	s_or_b32 exec_lo, exec_lo, s0
	s_wait_storecnt_dscnt 0x0
	s_barrier_signal -1
	s_barrier_wait -1
	s_clause 0x5
	scratch_load_b128 v[104:107], off, off offset:296
	scratch_load_b128 v[108:111], off, off offset:312
	;; [unrolled: 1-line block ×6, first 2 shown]
	ds_load_b128 v[128:131], v2 offset:704
	ds_load_b128 v[132:135], v2 offset:720
	s_mov_b32 s0, exec_lo
	s_wait_loadcnt_dscnt 0x501
	v_fma_f64 v[128:129], v[106:107], v[128:129], 0
	s_wait_loadcnt 0x4
	s_delay_alu instid0(VALU_DEP_1) | instskip(SKIP_4) | instid1(VALU_DEP_1)
	v_fmac_f64_e32 v[128:129], v[108:109], v[130:131]
	scratch_load_b64 v[130:131], off, off offset:392
	s_wait_dscnt 0x0
	v_fmac_f64_e32 v[128:129], v[110:111], v[132:133]
	s_wait_loadcnt 0x4
	v_fmac_f64_e32 v[128:129], v[112:113], v[134:135]
	ds_load_b128 v[106:109], v2 offset:736
	ds_load_b128 v[110:113], v2 offset:752
	s_wait_dscnt 0x1
	v_fmac_f64_e32 v[128:129], v[114:115], v[106:107]
	s_wait_loadcnt 0x3
	s_delay_alu instid0(VALU_DEP_1) | instskip(SKIP_1) | instid1(VALU_DEP_1)
	v_fmac_f64_e32 v[128:129], v[116:117], v[108:109]
	s_wait_dscnt 0x0
	v_fmac_f64_e32 v[128:129], v[118:119], v[110:111]
	s_wait_loadcnt 0x2
	s_delay_alu instid0(VALU_DEP_1)
	v_fmac_f64_e32 v[128:129], v[120:121], v[112:113]
	ds_load_b128 v[106:109], v2 offset:768
	ds_load_b128 v[110:113], v2 offset:784
	s_wait_dscnt 0x1
	v_fmac_f64_e32 v[128:129], v[122:123], v[106:107]
	s_wait_loadcnt 0x1
	s_delay_alu instid0(VALU_DEP_1) | instskip(SKIP_1) | instid1(VALU_DEP_1)
	v_fmac_f64_e32 v[128:129], v[124:125], v[108:109]
	s_wait_dscnt 0x0
	v_fmac_f64_e32 v[128:129], v[126:127], v[110:111]
	s_wait_loadcnt 0x0
	s_delay_alu instid0(VALU_DEP_1) | instskip(NEXT) | instid1(VALU_DEP_1)
	v_fmac_f64_e32 v[128:129], v[130:131], v[112:113]
	v_add_f64_e64 v[2:3], v[104:105], -v[128:129]
	scratch_store_b64 off, v[2:3], off offset:296
	s_wait_xcnt 0x0
	v_cmpx_lt_u32_e32 36, v0
	s_cbranch_execz .LBB49_237
; %bb.236:
	scratch_load_b64 v[2:3], off, off offset:288
	v_mov_b64_e32 v[104:105], 0
	scratch_store_b64 off, v[104:105], off offset:288
	s_wait_loadcnt 0x0
	ds_store_b64 v1, v[2:3]
.LBB49_237:
	s_wait_xcnt 0x0
	s_or_b32 exec_lo, exec_lo, s0
	s_wait_storecnt_dscnt 0x0
	s_barrier_signal -1
	s_barrier_wait -1
	s_clause 0x5
	scratch_load_b128 v[104:107], off, off offset:288
	scratch_load_b128 v[108:111], off, off offset:304
	;; [unrolled: 1-line block ×6, first 2 shown]
	v_mov_b32_e32 v2, 0
	ds_load_2addr_b64 v[128:131], v2 offset0:87 offset1:88
	ds_load_2addr_b64 v[132:135], v2 offset0:89 offset1:90
	s_mov_b32 s0, exec_lo
	s_wait_loadcnt_dscnt 0x501
	v_fma_f64 v[136:137], v[106:107], v[128:129], 0
	s_wait_loadcnt 0x4
	s_delay_alu instid0(VALU_DEP_1) | instskip(SKIP_4) | instid1(VALU_DEP_1)
	v_fmac_f64_e32 v[136:137], v[108:109], v[130:131]
	scratch_load_b128 v[106:109], off, off offset:384
	s_wait_dscnt 0x0
	v_fmac_f64_e32 v[136:137], v[110:111], v[132:133]
	s_wait_loadcnt 0x4
	v_fmac_f64_e32 v[136:137], v[112:113], v[134:135]
	ds_load_2addr_b64 v[110:113], v2 offset0:91 offset1:92
	ds_load_2addr_b64 v[128:131], v2 offset0:93 offset1:94
	s_wait_dscnt 0x1
	v_fmac_f64_e32 v[136:137], v[114:115], v[110:111]
	s_wait_loadcnt 0x3
	s_delay_alu instid0(VALU_DEP_1)
	v_fmac_f64_e32 v[136:137], v[116:117], v[112:113]
	ds_load_2addr_b64 v[110:113], v2 offset0:95 offset1:96
	ds_load_2addr_b64 v[114:117], v2 offset0:97 offset1:98
	s_wait_dscnt 0x2
	v_fmac_f64_e32 v[136:137], v[118:119], v[128:129]
	s_wait_loadcnt 0x2
	s_delay_alu instid0(VALU_DEP_1) | instskip(SKIP_1) | instid1(VALU_DEP_1)
	v_fmac_f64_e32 v[136:137], v[120:121], v[130:131]
	s_wait_dscnt 0x1
	v_fmac_f64_e32 v[136:137], v[122:123], v[110:111]
	s_wait_loadcnt 0x1
	s_delay_alu instid0(VALU_DEP_1) | instskip(SKIP_1) | instid1(VALU_DEP_1)
	v_fmac_f64_e32 v[136:137], v[124:125], v[112:113]
	s_wait_dscnt 0x0
	v_fmac_f64_e32 v[136:137], v[126:127], v[114:115]
	s_wait_loadcnt 0x0
	s_delay_alu instid0(VALU_DEP_1) | instskip(SKIP_3) | instid1(VALU_DEP_1)
	v_fmac_f64_e32 v[136:137], v[106:107], v[116:117]
	ds_load_b64 v[106:107], v2 offset:792
	s_wait_dscnt 0x0
	v_fmac_f64_e32 v[136:137], v[108:109], v[106:107]
	v_add_f64_e64 v[104:105], v[104:105], -v[136:137]
	scratch_store_b64 off, v[104:105], off offset:288
	s_wait_xcnt 0x0
	v_cmpx_lt_u32_e32 35, v0
	s_cbranch_execz .LBB49_239
; %bb.238:
	scratch_load_b64 v[104:105], off, off offset:280
	v_mov_b64_e32 v[106:107], 0
	scratch_store_b64 off, v[106:107], off offset:280
	s_wait_loadcnt 0x0
	ds_store_b64 v1, v[104:105]
.LBB49_239:
	s_wait_xcnt 0x0
	s_or_b32 exec_lo, exec_lo, s0
	s_wait_storecnt_dscnt 0x0
	s_barrier_signal -1
	s_barrier_wait -1
	s_clause 0x5
	scratch_load_b128 v[104:107], off, off offset:280
	scratch_load_b128 v[108:111], off, off offset:296
	;; [unrolled: 1-line block ×6, first 2 shown]
	ds_load_b128 v[128:131], v2 offset:688
	ds_load_b128 v[132:135], v2 offset:704
	s_mov_b32 s0, exec_lo
	s_wait_loadcnt_dscnt 0x501
	v_fma_f64 v[136:137], v[106:107], v[128:129], 0
	s_wait_loadcnt 0x4
	s_delay_alu instid0(VALU_DEP_1)
	v_fmac_f64_e32 v[136:137], v[108:109], v[130:131]
	scratch_load_b128 v[106:109], off, off offset:376
	s_wait_dscnt 0x0
	v_fmac_f64_e32 v[136:137], v[110:111], v[132:133]
	scratch_load_b64 v[132:133], off, off offset:392
	s_wait_loadcnt 0x5
	v_fmac_f64_e32 v[136:137], v[112:113], v[134:135]
	ds_load_b128 v[110:113], v2 offset:720
	ds_load_b128 v[128:131], v2 offset:736
	s_wait_dscnt 0x1
	v_fmac_f64_e32 v[136:137], v[114:115], v[110:111]
	s_wait_loadcnt 0x4
	s_delay_alu instid0(VALU_DEP_1)
	v_fmac_f64_e32 v[136:137], v[116:117], v[112:113]
	ds_load_b128 v[110:113], v2 offset:752
	ds_load_b128 v[114:117], v2 offset:768
	s_wait_dscnt 0x2
	v_fmac_f64_e32 v[136:137], v[118:119], v[128:129]
	s_wait_loadcnt 0x3
	s_delay_alu instid0(VALU_DEP_1) | instskip(SKIP_1) | instid1(VALU_DEP_1)
	v_fmac_f64_e32 v[136:137], v[120:121], v[130:131]
	s_wait_dscnt 0x1
	v_fmac_f64_e32 v[136:137], v[122:123], v[110:111]
	s_wait_loadcnt 0x2
	s_delay_alu instid0(VALU_DEP_1) | instskip(SKIP_4) | instid1(VALU_DEP_1)
	v_fmac_f64_e32 v[136:137], v[124:125], v[112:113]
	ds_load_b128 v[110:113], v2 offset:784
	s_wait_dscnt 0x1
	v_fmac_f64_e32 v[136:137], v[126:127], v[114:115]
	s_wait_loadcnt 0x1
	v_fmac_f64_e32 v[136:137], v[106:107], v[116:117]
	s_wait_dscnt 0x0
	s_delay_alu instid0(VALU_DEP_1) | instskip(SKIP_1) | instid1(VALU_DEP_1)
	v_fmac_f64_e32 v[136:137], v[108:109], v[110:111]
	s_wait_loadcnt 0x0
	v_fmac_f64_e32 v[136:137], v[132:133], v[112:113]
	s_delay_alu instid0(VALU_DEP_1)
	v_add_f64_e64 v[2:3], v[104:105], -v[136:137]
	scratch_store_b64 off, v[2:3], off offset:280
	s_wait_xcnt 0x0
	v_cmpx_lt_u32_e32 34, v0
	s_cbranch_execz .LBB49_241
; %bb.240:
	scratch_load_b64 v[2:3], off, off offset:272
	v_mov_b64_e32 v[104:105], 0
	scratch_store_b64 off, v[104:105], off offset:272
	s_wait_loadcnt 0x0
	ds_store_b64 v1, v[2:3]
.LBB49_241:
	s_wait_xcnt 0x0
	s_or_b32 exec_lo, exec_lo, s0
	s_wait_storecnt_dscnt 0x0
	s_barrier_signal -1
	s_barrier_wait -1
	s_clause 0x5
	scratch_load_b128 v[104:107], off, off offset:272
	scratch_load_b128 v[108:111], off, off offset:288
	;; [unrolled: 1-line block ×6, first 2 shown]
	v_mov_b32_e32 v2, 0
	ds_load_2addr_b64 v[128:131], v2 offset0:85 offset1:86
	ds_load_2addr_b64 v[132:135], v2 offset0:87 offset1:88
	s_mov_b32 s0, exec_lo
	s_wait_loadcnt_dscnt 0x501
	v_fma_f64 v[136:137], v[106:107], v[128:129], 0
	s_wait_loadcnt 0x4
	s_delay_alu instid0(VALU_DEP_1) | instskip(SKIP_4) | instid1(VALU_DEP_1)
	v_fmac_f64_e32 v[136:137], v[108:109], v[130:131]
	scratch_load_b128 v[106:109], off, off offset:368
	s_wait_dscnt 0x0
	v_fmac_f64_e32 v[136:137], v[110:111], v[132:133]
	s_wait_loadcnt 0x4
	v_fmac_f64_e32 v[136:137], v[112:113], v[134:135]
	scratch_load_b128 v[110:113], off, off offset:384
	ds_load_2addr_b64 v[128:131], v2 offset0:89 offset1:90
	ds_load_2addr_b64 v[132:135], v2 offset0:91 offset1:92
	s_wait_dscnt 0x1
	v_fmac_f64_e32 v[136:137], v[114:115], v[128:129]
	s_wait_loadcnt 0x4
	s_delay_alu instid0(VALU_DEP_1) | instskip(SKIP_1) | instid1(VALU_DEP_1)
	v_fmac_f64_e32 v[136:137], v[116:117], v[130:131]
	s_wait_dscnt 0x0
	v_fmac_f64_e32 v[136:137], v[118:119], v[132:133]
	s_wait_loadcnt 0x3
	s_delay_alu instid0(VALU_DEP_1)
	v_fmac_f64_e32 v[136:137], v[120:121], v[134:135]
	ds_load_2addr_b64 v[114:117], v2 offset0:93 offset1:94
	ds_load_2addr_b64 v[118:121], v2 offset0:95 offset1:96
	s_wait_dscnt 0x1
	v_fmac_f64_e32 v[136:137], v[122:123], v[114:115]
	s_wait_loadcnt 0x2
	s_delay_alu instid0(VALU_DEP_1) | instskip(SKIP_1) | instid1(VALU_DEP_1)
	v_fmac_f64_e32 v[136:137], v[124:125], v[116:117]
	s_wait_dscnt 0x0
	v_fmac_f64_e32 v[136:137], v[126:127], v[118:119]
	s_wait_loadcnt 0x1
	s_delay_alu instid0(VALU_DEP_1)
	v_fmac_f64_e32 v[136:137], v[106:107], v[120:121]
	ds_load_2addr_b64 v[114:117], v2 offset0:97 offset1:98
	ds_load_b64 v[106:107], v2 offset:792
	s_wait_dscnt 0x1
	v_fmac_f64_e32 v[136:137], v[108:109], v[114:115]
	s_wait_loadcnt 0x0
	s_delay_alu instid0(VALU_DEP_1) | instskip(SKIP_1) | instid1(VALU_DEP_1)
	v_fmac_f64_e32 v[136:137], v[110:111], v[116:117]
	s_wait_dscnt 0x0
	v_fmac_f64_e32 v[136:137], v[112:113], v[106:107]
	s_delay_alu instid0(VALU_DEP_1)
	v_add_f64_e64 v[104:105], v[104:105], -v[136:137]
	scratch_store_b64 off, v[104:105], off offset:272
	s_wait_xcnt 0x0
	v_cmpx_lt_u32_e32 33, v0
	s_cbranch_execz .LBB49_243
; %bb.242:
	scratch_load_b64 v[104:105], off, off offset:264
	v_mov_b64_e32 v[106:107], 0
	scratch_store_b64 off, v[106:107], off offset:264
	s_wait_loadcnt 0x0
	ds_store_b64 v1, v[104:105]
.LBB49_243:
	s_wait_xcnt 0x0
	s_or_b32 exec_lo, exec_lo, s0
	s_wait_storecnt_dscnt 0x0
	s_barrier_signal -1
	s_barrier_wait -1
	s_clause 0x5
	scratch_load_b128 v[104:107], off, off offset:264
	scratch_load_b128 v[108:111], off, off offset:280
	;; [unrolled: 1-line block ×6, first 2 shown]
	ds_load_b128 v[128:131], v2 offset:672
	ds_load_b128 v[132:135], v2 offset:688
	s_mov_b32 s0, exec_lo
	s_wait_loadcnt_dscnt 0x501
	v_fma_f64 v[136:137], v[106:107], v[128:129], 0
	s_wait_loadcnt 0x4
	s_delay_alu instid0(VALU_DEP_1) | instskip(SKIP_4) | instid1(VALU_DEP_1)
	v_fmac_f64_e32 v[136:137], v[108:109], v[130:131]
	scratch_load_b128 v[106:109], off, off offset:360
	s_wait_dscnt 0x0
	v_fmac_f64_e32 v[136:137], v[110:111], v[132:133]
	s_wait_loadcnt 0x4
	v_fmac_f64_e32 v[136:137], v[112:113], v[134:135]
	scratch_load_b128 v[110:113], off, off offset:376
	ds_load_b128 v[128:131], v2 offset:704
	ds_load_b128 v[132:135], v2 offset:720
	s_wait_dscnt 0x1
	v_fmac_f64_e32 v[136:137], v[114:115], v[128:129]
	scratch_load_b64 v[128:129], off, off offset:392
	s_wait_loadcnt 0x5
	v_fmac_f64_e32 v[136:137], v[116:117], v[130:131]
	s_wait_dscnt 0x0
	s_delay_alu instid0(VALU_DEP_1) | instskip(SKIP_1) | instid1(VALU_DEP_1)
	v_fmac_f64_e32 v[136:137], v[118:119], v[132:133]
	s_wait_loadcnt 0x4
	v_fmac_f64_e32 v[136:137], v[120:121], v[134:135]
	ds_load_b128 v[114:117], v2 offset:736
	ds_load_b128 v[118:121], v2 offset:752
	s_wait_dscnt 0x1
	v_fmac_f64_e32 v[136:137], v[122:123], v[114:115]
	s_wait_loadcnt 0x3
	s_delay_alu instid0(VALU_DEP_1) | instskip(SKIP_1) | instid1(VALU_DEP_1)
	v_fmac_f64_e32 v[136:137], v[124:125], v[116:117]
	s_wait_dscnt 0x0
	v_fmac_f64_e32 v[136:137], v[126:127], v[118:119]
	s_wait_loadcnt 0x2
	s_delay_alu instid0(VALU_DEP_1)
	v_fmac_f64_e32 v[136:137], v[106:107], v[120:121]
	ds_load_b128 v[114:117], v2 offset:768
	ds_load_b128 v[118:121], v2 offset:784
	s_wait_dscnt 0x1
	v_fmac_f64_e32 v[136:137], v[108:109], v[114:115]
	s_wait_loadcnt 0x1
	s_delay_alu instid0(VALU_DEP_1) | instskip(SKIP_1) | instid1(VALU_DEP_1)
	v_fmac_f64_e32 v[136:137], v[110:111], v[116:117]
	s_wait_dscnt 0x0
	v_fmac_f64_e32 v[136:137], v[112:113], v[118:119]
	s_wait_loadcnt 0x0
	s_delay_alu instid0(VALU_DEP_1) | instskip(NEXT) | instid1(VALU_DEP_1)
	v_fmac_f64_e32 v[136:137], v[128:129], v[120:121]
	v_add_f64_e64 v[2:3], v[104:105], -v[136:137]
	scratch_store_b64 off, v[2:3], off offset:264
	s_wait_xcnt 0x0
	v_cmpx_lt_u32_e32 32, v0
	s_cbranch_execz .LBB49_245
; %bb.244:
	scratch_load_b64 v[2:3], off, off offset:256
	v_mov_b64_e32 v[104:105], 0
	scratch_store_b64 off, v[104:105], off offset:256
	s_wait_loadcnt 0x0
	ds_store_b64 v1, v[2:3]
.LBB49_245:
	s_wait_xcnt 0x0
	s_or_b32 exec_lo, exec_lo, s0
	s_wait_storecnt_dscnt 0x0
	s_barrier_signal -1
	s_barrier_wait -1
	s_clause 0x5
	scratch_load_b128 v[104:107], off, off offset:256
	scratch_load_b128 v[108:111], off, off offset:272
	;; [unrolled: 1-line block ×6, first 2 shown]
	v_mov_b32_e32 v2, 0
	ds_load_2addr_b64 v[128:131], v2 offset0:83 offset1:84
	ds_load_2addr_b64 v[132:135], v2 offset0:85 offset1:86
	s_mov_b32 s0, exec_lo
	s_wait_loadcnt_dscnt 0x501
	v_fma_f64 v[136:137], v[106:107], v[128:129], 0
	s_wait_loadcnt 0x4
	s_delay_alu instid0(VALU_DEP_1) | instskip(SKIP_4) | instid1(VALU_DEP_1)
	v_fmac_f64_e32 v[136:137], v[108:109], v[130:131]
	scratch_load_b128 v[106:109], off, off offset:352
	s_wait_dscnt 0x0
	v_fmac_f64_e32 v[136:137], v[110:111], v[132:133]
	s_wait_loadcnt 0x4
	v_fmac_f64_e32 v[136:137], v[112:113], v[134:135]
	scratch_load_b128 v[110:113], off, off offset:368
	ds_load_2addr_b64 v[128:131], v2 offset0:87 offset1:88
	ds_load_2addr_b64 v[132:135], v2 offset0:89 offset1:90
	s_wait_dscnt 0x1
	v_fmac_f64_e32 v[136:137], v[114:115], v[128:129]
	s_wait_loadcnt 0x4
	s_delay_alu instid0(VALU_DEP_1) | instskip(SKIP_4) | instid1(VALU_DEP_1)
	v_fmac_f64_e32 v[136:137], v[116:117], v[130:131]
	scratch_load_b128 v[114:117], off, off offset:384
	s_wait_dscnt 0x0
	v_fmac_f64_e32 v[136:137], v[118:119], v[132:133]
	s_wait_loadcnt 0x4
	v_fmac_f64_e32 v[136:137], v[120:121], v[134:135]
	ds_load_2addr_b64 v[118:121], v2 offset0:91 offset1:92
	ds_load_2addr_b64 v[128:131], v2 offset0:93 offset1:94
	s_wait_dscnt 0x1
	v_fmac_f64_e32 v[136:137], v[122:123], v[118:119]
	s_wait_loadcnt 0x3
	s_delay_alu instid0(VALU_DEP_1)
	v_fmac_f64_e32 v[136:137], v[124:125], v[120:121]
	ds_load_2addr_b64 v[118:121], v2 offset0:95 offset1:96
	ds_load_2addr_b64 v[122:125], v2 offset0:97 offset1:98
	s_wait_dscnt 0x2
	v_fmac_f64_e32 v[136:137], v[126:127], v[128:129]
	s_wait_loadcnt 0x2
	s_delay_alu instid0(VALU_DEP_1) | instskip(SKIP_4) | instid1(VALU_DEP_1)
	v_fmac_f64_e32 v[136:137], v[106:107], v[130:131]
	ds_load_b64 v[106:107], v2 offset:792
	s_wait_dscnt 0x2
	v_fmac_f64_e32 v[136:137], v[108:109], v[118:119]
	s_wait_loadcnt 0x1
	v_fmac_f64_e32 v[136:137], v[110:111], v[120:121]
	s_wait_dscnt 0x1
	s_delay_alu instid0(VALU_DEP_1) | instskip(SKIP_1) | instid1(VALU_DEP_1)
	v_fmac_f64_e32 v[136:137], v[112:113], v[122:123]
	s_wait_loadcnt 0x0
	v_fmac_f64_e32 v[136:137], v[114:115], v[124:125]
	s_wait_dscnt 0x0
	s_delay_alu instid0(VALU_DEP_1) | instskip(NEXT) | instid1(VALU_DEP_1)
	v_fmac_f64_e32 v[136:137], v[116:117], v[106:107]
	v_add_f64_e64 v[104:105], v[104:105], -v[136:137]
	scratch_store_b64 off, v[104:105], off offset:256
	s_wait_xcnt 0x0
	v_cmpx_lt_u32_e32 31, v0
	s_cbranch_execz .LBB49_247
; %bb.246:
	scratch_load_b64 v[104:105], off, off offset:248
	v_mov_b64_e32 v[106:107], 0
	scratch_store_b64 off, v[106:107], off offset:248
	s_wait_loadcnt 0x0
	ds_store_b64 v1, v[104:105]
.LBB49_247:
	s_wait_xcnt 0x0
	s_or_b32 exec_lo, exec_lo, s0
	s_wait_storecnt_dscnt 0x0
	s_barrier_signal -1
	s_barrier_wait -1
	s_clause 0x5
	scratch_load_b128 v[104:107], off, off offset:248
	scratch_load_b128 v[108:111], off, off offset:264
	;; [unrolled: 1-line block ×6, first 2 shown]
	ds_load_b128 v[128:131], v2 offset:656
	ds_load_b128 v[132:135], v2 offset:672
	s_mov_b32 s0, exec_lo
	s_wait_loadcnt_dscnt 0x501
	v_fma_f64 v[136:137], v[106:107], v[128:129], 0
	s_wait_loadcnt 0x4
	s_delay_alu instid0(VALU_DEP_1) | instskip(SKIP_4) | instid1(VALU_DEP_1)
	v_fmac_f64_e32 v[136:137], v[108:109], v[130:131]
	scratch_load_b128 v[106:109], off, off offset:344
	s_wait_dscnt 0x0
	v_fmac_f64_e32 v[136:137], v[110:111], v[132:133]
	s_wait_loadcnt 0x4
	v_fmac_f64_e32 v[136:137], v[112:113], v[134:135]
	scratch_load_b128 v[110:113], off, off offset:360
	ds_load_b128 v[128:131], v2 offset:688
	ds_load_b128 v[132:135], v2 offset:704
	s_wait_dscnt 0x1
	v_fmac_f64_e32 v[136:137], v[114:115], v[128:129]
	s_wait_loadcnt 0x4
	s_delay_alu instid0(VALU_DEP_1)
	v_fmac_f64_e32 v[136:137], v[116:117], v[130:131]
	scratch_load_b128 v[114:117], off, off offset:376
	s_wait_dscnt 0x0
	v_fmac_f64_e32 v[136:137], v[118:119], v[132:133]
	scratch_load_b64 v[132:133], off, off offset:392
	s_wait_loadcnt 0x5
	v_fmac_f64_e32 v[136:137], v[120:121], v[134:135]
	ds_load_b128 v[118:121], v2 offset:720
	ds_load_b128 v[128:131], v2 offset:736
	s_wait_dscnt 0x1
	v_fmac_f64_e32 v[136:137], v[122:123], v[118:119]
	s_wait_loadcnt 0x4
	s_delay_alu instid0(VALU_DEP_1)
	v_fmac_f64_e32 v[136:137], v[124:125], v[120:121]
	ds_load_b128 v[118:121], v2 offset:752
	ds_load_b128 v[122:125], v2 offset:768
	s_wait_dscnt 0x2
	v_fmac_f64_e32 v[136:137], v[126:127], v[128:129]
	s_wait_loadcnt 0x3
	s_delay_alu instid0(VALU_DEP_1) | instskip(SKIP_1) | instid1(VALU_DEP_1)
	v_fmac_f64_e32 v[136:137], v[106:107], v[130:131]
	s_wait_dscnt 0x1
	v_fmac_f64_e32 v[136:137], v[108:109], v[118:119]
	ds_load_b128 v[106:109], v2 offset:784
	s_wait_loadcnt 0x2
	v_fmac_f64_e32 v[136:137], v[110:111], v[120:121]
	s_wait_dscnt 0x1
	s_delay_alu instid0(VALU_DEP_1) | instskip(SKIP_1) | instid1(VALU_DEP_1)
	v_fmac_f64_e32 v[136:137], v[112:113], v[122:123]
	s_wait_loadcnt 0x1
	v_fmac_f64_e32 v[136:137], v[114:115], v[124:125]
	s_wait_dscnt 0x0
	s_delay_alu instid0(VALU_DEP_1) | instskip(SKIP_1) | instid1(VALU_DEP_1)
	v_fmac_f64_e32 v[136:137], v[116:117], v[106:107]
	s_wait_loadcnt 0x0
	v_fmac_f64_e32 v[136:137], v[132:133], v[108:109]
	s_delay_alu instid0(VALU_DEP_1)
	v_add_f64_e64 v[2:3], v[104:105], -v[136:137]
	scratch_store_b64 off, v[2:3], off offset:248
	s_wait_xcnt 0x0
	v_cmpx_lt_u32_e32 30, v0
	s_cbranch_execz .LBB49_249
; %bb.248:
	scratch_load_b64 v[2:3], off, off offset:240
	v_mov_b64_e32 v[104:105], 0
	scratch_store_b64 off, v[104:105], off offset:240
	s_wait_loadcnt 0x0
	ds_store_b64 v1, v[2:3]
.LBB49_249:
	s_wait_xcnt 0x0
	s_or_b32 exec_lo, exec_lo, s0
	s_wait_storecnt_dscnt 0x0
	s_barrier_signal -1
	s_barrier_wait -1
	s_clause 0x5
	scratch_load_b128 v[104:107], off, off offset:240
	scratch_load_b128 v[108:111], off, off offset:256
	;; [unrolled: 1-line block ×6, first 2 shown]
	v_mov_b32_e32 v2, 0
	ds_load_2addr_b64 v[128:131], v2 offset0:81 offset1:82
	ds_load_2addr_b64 v[132:135], v2 offset0:83 offset1:84
	s_mov_b32 s0, exec_lo
	s_wait_loadcnt_dscnt 0x501
	v_fma_f64 v[136:137], v[106:107], v[128:129], 0
	s_wait_loadcnt 0x4
	s_delay_alu instid0(VALU_DEP_1) | instskip(SKIP_4) | instid1(VALU_DEP_1)
	v_fmac_f64_e32 v[136:137], v[108:109], v[130:131]
	scratch_load_b128 v[106:109], off, off offset:336
	s_wait_dscnt 0x0
	v_fmac_f64_e32 v[136:137], v[110:111], v[132:133]
	s_wait_loadcnt 0x4
	v_fmac_f64_e32 v[136:137], v[112:113], v[134:135]
	scratch_load_b128 v[110:113], off, off offset:352
	ds_load_2addr_b64 v[128:131], v2 offset0:85 offset1:86
	ds_load_2addr_b64 v[132:135], v2 offset0:87 offset1:88
	s_wait_dscnt 0x1
	v_fmac_f64_e32 v[136:137], v[114:115], v[128:129]
	s_wait_loadcnt 0x4
	s_delay_alu instid0(VALU_DEP_1) | instskip(SKIP_4) | instid1(VALU_DEP_1)
	v_fmac_f64_e32 v[136:137], v[116:117], v[130:131]
	scratch_load_b128 v[114:117], off, off offset:368
	s_wait_dscnt 0x0
	v_fmac_f64_e32 v[136:137], v[118:119], v[132:133]
	s_wait_loadcnt 0x4
	v_fmac_f64_e32 v[136:137], v[120:121], v[134:135]
	scratch_load_b128 v[118:121], off, off offset:384
	ds_load_2addr_b64 v[128:131], v2 offset0:89 offset1:90
	ds_load_2addr_b64 v[132:135], v2 offset0:91 offset1:92
	s_wait_dscnt 0x1
	v_fmac_f64_e32 v[136:137], v[122:123], v[128:129]
	s_wait_loadcnt 0x4
	s_delay_alu instid0(VALU_DEP_1) | instskip(SKIP_1) | instid1(VALU_DEP_1)
	v_fmac_f64_e32 v[136:137], v[124:125], v[130:131]
	s_wait_dscnt 0x0
	v_fmac_f64_e32 v[136:137], v[126:127], v[132:133]
	ds_load_2addr_b64 v[122:125], v2 offset0:93 offset1:94
	ds_load_2addr_b64 v[126:129], v2 offset0:95 offset1:96
	s_wait_loadcnt 0x3
	v_fmac_f64_e32 v[136:137], v[106:107], v[134:135]
	s_wait_dscnt 0x1
	s_delay_alu instid0(VALU_DEP_1) | instskip(SKIP_1) | instid1(VALU_DEP_1)
	v_fmac_f64_e32 v[136:137], v[108:109], v[122:123]
	s_wait_loadcnt 0x2
	v_fmac_f64_e32 v[136:137], v[110:111], v[124:125]
	ds_load_2addr_b64 v[106:109], v2 offset0:97 offset1:98
	ds_load_b64 v[110:111], v2 offset:792
	s_wait_dscnt 0x2
	v_fmac_f64_e32 v[136:137], v[112:113], v[126:127]
	s_wait_loadcnt 0x1
	s_delay_alu instid0(VALU_DEP_1) | instskip(SKIP_1) | instid1(VALU_DEP_1)
	v_fmac_f64_e32 v[136:137], v[114:115], v[128:129]
	s_wait_dscnt 0x1
	v_fmac_f64_e32 v[136:137], v[116:117], v[106:107]
	s_wait_loadcnt 0x0
	s_delay_alu instid0(VALU_DEP_1) | instskip(SKIP_1) | instid1(VALU_DEP_1)
	v_fmac_f64_e32 v[136:137], v[118:119], v[108:109]
	s_wait_dscnt 0x0
	v_fmac_f64_e32 v[136:137], v[120:121], v[110:111]
	s_delay_alu instid0(VALU_DEP_1)
	v_add_f64_e64 v[104:105], v[104:105], -v[136:137]
	scratch_store_b64 off, v[104:105], off offset:240
	s_wait_xcnt 0x0
	v_cmpx_lt_u32_e32 29, v0
	s_cbranch_execz .LBB49_251
; %bb.250:
	scratch_load_b64 v[104:105], off, off offset:232
	v_mov_b64_e32 v[106:107], 0
	scratch_store_b64 off, v[106:107], off offset:232
	s_wait_loadcnt 0x0
	ds_store_b64 v1, v[104:105]
.LBB49_251:
	s_wait_xcnt 0x0
	s_or_b32 exec_lo, exec_lo, s0
	s_wait_storecnt_dscnt 0x0
	s_barrier_signal -1
	s_barrier_wait -1
	s_clause 0x5
	scratch_load_b128 v[104:107], off, off offset:232
	scratch_load_b128 v[108:111], off, off offset:248
	;; [unrolled: 1-line block ×6, first 2 shown]
	ds_load_b128 v[128:131], v2 offset:640
	ds_load_b128 v[132:135], v2 offset:656
	s_mov_b32 s0, exec_lo
	s_wait_loadcnt_dscnt 0x501
	v_fma_f64 v[136:137], v[106:107], v[128:129], 0
	s_wait_loadcnt 0x4
	s_delay_alu instid0(VALU_DEP_1) | instskip(SKIP_4) | instid1(VALU_DEP_1)
	v_fmac_f64_e32 v[136:137], v[108:109], v[130:131]
	scratch_load_b128 v[106:109], off, off offset:328
	s_wait_dscnt 0x0
	v_fmac_f64_e32 v[136:137], v[110:111], v[132:133]
	s_wait_loadcnt 0x4
	v_fmac_f64_e32 v[136:137], v[112:113], v[134:135]
	scratch_load_b128 v[110:113], off, off offset:344
	ds_load_b128 v[128:131], v2 offset:672
	ds_load_b128 v[132:135], v2 offset:688
	s_wait_dscnt 0x1
	v_fmac_f64_e32 v[136:137], v[114:115], v[128:129]
	s_wait_loadcnt 0x4
	s_delay_alu instid0(VALU_DEP_1) | instskip(SKIP_4) | instid1(VALU_DEP_1)
	v_fmac_f64_e32 v[136:137], v[116:117], v[130:131]
	scratch_load_b128 v[114:117], off, off offset:360
	s_wait_dscnt 0x0
	v_fmac_f64_e32 v[136:137], v[118:119], v[132:133]
	s_wait_loadcnt 0x4
	v_fmac_f64_e32 v[136:137], v[120:121], v[134:135]
	scratch_load_b128 v[118:121], off, off offset:376
	ds_load_b128 v[128:131], v2 offset:704
	ds_load_b128 v[132:135], v2 offset:720
	s_wait_dscnt 0x1
	v_fmac_f64_e32 v[136:137], v[122:123], v[128:129]
	s_wait_loadcnt 0x4
	s_delay_alu instid0(VALU_DEP_1)
	v_fmac_f64_e32 v[136:137], v[124:125], v[130:131]
	scratch_load_b64 v[130:131], off, off offset:392
	s_wait_dscnt 0x0
	v_fmac_f64_e32 v[136:137], v[126:127], v[132:133]
	ds_load_b128 v[122:125], v2 offset:736
	ds_load_b128 v[126:129], v2 offset:752
	s_wait_loadcnt 0x4
	v_fmac_f64_e32 v[136:137], v[106:107], v[134:135]
	s_wait_dscnt 0x1
	s_delay_alu instid0(VALU_DEP_1) | instskip(SKIP_1) | instid1(VALU_DEP_1)
	v_fmac_f64_e32 v[136:137], v[108:109], v[122:123]
	s_wait_loadcnt 0x3
	v_fmac_f64_e32 v[136:137], v[110:111], v[124:125]
	s_wait_dscnt 0x0
	s_delay_alu instid0(VALU_DEP_1)
	v_fmac_f64_e32 v[136:137], v[112:113], v[126:127]
	ds_load_b128 v[106:109], v2 offset:768
	ds_load_b128 v[110:113], v2 offset:784
	s_wait_loadcnt 0x2
	v_fmac_f64_e32 v[136:137], v[114:115], v[128:129]
	s_wait_dscnt 0x1
	s_delay_alu instid0(VALU_DEP_1) | instskip(SKIP_1) | instid1(VALU_DEP_1)
	v_fmac_f64_e32 v[136:137], v[116:117], v[106:107]
	s_wait_loadcnt 0x1
	v_fmac_f64_e32 v[136:137], v[118:119], v[108:109]
	s_wait_dscnt 0x0
	s_delay_alu instid0(VALU_DEP_1) | instskip(SKIP_1) | instid1(VALU_DEP_1)
	v_fmac_f64_e32 v[136:137], v[120:121], v[110:111]
	s_wait_loadcnt 0x0
	v_fmac_f64_e32 v[136:137], v[130:131], v[112:113]
	s_delay_alu instid0(VALU_DEP_1)
	v_add_f64_e64 v[2:3], v[104:105], -v[136:137]
	scratch_store_b64 off, v[2:3], off offset:232
	s_wait_xcnt 0x0
	v_cmpx_lt_u32_e32 28, v0
	s_cbranch_execz .LBB49_253
; %bb.252:
	scratch_load_b64 v[2:3], off, off offset:224
	v_mov_b64_e32 v[104:105], 0
	scratch_store_b64 off, v[104:105], off offset:224
	s_wait_loadcnt 0x0
	ds_store_b64 v1, v[2:3]
.LBB49_253:
	s_wait_xcnt 0x0
	s_or_b32 exec_lo, exec_lo, s0
	s_wait_storecnt_dscnt 0x0
	s_barrier_signal -1
	s_barrier_wait -1
	s_clause 0x5
	scratch_load_b128 v[104:107], off, off offset:224
	scratch_load_b128 v[108:111], off, off offset:240
	;; [unrolled: 1-line block ×6, first 2 shown]
	v_mov_b32_e32 v2, 0
	ds_load_2addr_b64 v[128:131], v2 offset0:79 offset1:80
	ds_load_2addr_b64 v[132:135], v2 offset0:81 offset1:82
	s_mov_b32 s0, exec_lo
	s_wait_loadcnt_dscnt 0x501
	v_fma_f64 v[136:137], v[106:107], v[128:129], 0
	s_wait_loadcnt 0x4
	s_delay_alu instid0(VALU_DEP_1) | instskip(SKIP_4) | instid1(VALU_DEP_1)
	v_fmac_f64_e32 v[136:137], v[108:109], v[130:131]
	scratch_load_b128 v[106:109], off, off offset:320
	s_wait_dscnt 0x0
	v_fmac_f64_e32 v[136:137], v[110:111], v[132:133]
	s_wait_loadcnt 0x4
	v_fmac_f64_e32 v[136:137], v[112:113], v[134:135]
	scratch_load_b128 v[110:113], off, off offset:336
	ds_load_2addr_b64 v[128:131], v2 offset0:83 offset1:84
	ds_load_2addr_b64 v[132:135], v2 offset0:85 offset1:86
	s_wait_dscnt 0x1
	v_fmac_f64_e32 v[136:137], v[114:115], v[128:129]
	s_wait_loadcnt 0x4
	s_delay_alu instid0(VALU_DEP_1) | instskip(SKIP_4) | instid1(VALU_DEP_1)
	v_fmac_f64_e32 v[136:137], v[116:117], v[130:131]
	scratch_load_b128 v[114:117], off, off offset:352
	s_wait_dscnt 0x0
	v_fmac_f64_e32 v[136:137], v[118:119], v[132:133]
	s_wait_loadcnt 0x4
	v_fmac_f64_e32 v[136:137], v[120:121], v[134:135]
	scratch_load_b128 v[118:121], off, off offset:368
	ds_load_2addr_b64 v[128:131], v2 offset0:87 offset1:88
	ds_load_2addr_b64 v[132:135], v2 offset0:89 offset1:90
	s_wait_dscnt 0x1
	v_fmac_f64_e32 v[136:137], v[122:123], v[128:129]
	s_wait_loadcnt 0x4
	s_delay_alu instid0(VALU_DEP_1)
	v_fmac_f64_e32 v[136:137], v[124:125], v[130:131]
	scratch_load_b128 v[122:125], off, off offset:384
	s_wait_dscnt 0x0
	v_fmac_f64_e32 v[136:137], v[126:127], v[132:133]
	ds_load_2addr_b64 v[126:129], v2 offset0:91 offset1:92
	ds_load_2addr_b64 v[130:133], v2 offset0:93 offset1:94
	s_wait_loadcnt 0x4
	v_fmac_f64_e32 v[136:137], v[106:107], v[134:135]
	s_wait_dscnt 0x1
	s_delay_alu instid0(VALU_DEP_1) | instskip(SKIP_1) | instid1(VALU_DEP_1)
	v_fmac_f64_e32 v[136:137], v[108:109], v[126:127]
	s_wait_loadcnt 0x3
	v_fmac_f64_e32 v[136:137], v[110:111], v[128:129]
	s_wait_dscnt 0x0
	s_delay_alu instid0(VALU_DEP_1)
	v_fmac_f64_e32 v[136:137], v[112:113], v[130:131]
	ds_load_2addr_b64 v[106:109], v2 offset0:95 offset1:96
	ds_load_2addr_b64 v[110:113], v2 offset0:97 offset1:98
	s_wait_loadcnt 0x2
	v_fmac_f64_e32 v[136:137], v[114:115], v[132:133]
	s_wait_dscnt 0x1
	s_delay_alu instid0(VALU_DEP_1) | instskip(SKIP_4) | instid1(VALU_DEP_1)
	v_fmac_f64_e32 v[136:137], v[116:117], v[106:107]
	ds_load_b64 v[106:107], v2 offset:792
	s_wait_loadcnt 0x1
	v_fmac_f64_e32 v[136:137], v[118:119], v[108:109]
	s_wait_dscnt 0x1
	v_fmac_f64_e32 v[136:137], v[120:121], v[110:111]
	s_wait_loadcnt 0x0
	s_delay_alu instid0(VALU_DEP_1) | instskip(SKIP_1) | instid1(VALU_DEP_1)
	v_fmac_f64_e32 v[136:137], v[122:123], v[112:113]
	s_wait_dscnt 0x0
	v_fmac_f64_e32 v[136:137], v[124:125], v[106:107]
	s_delay_alu instid0(VALU_DEP_1)
	v_add_f64_e64 v[104:105], v[104:105], -v[136:137]
	scratch_store_b64 off, v[104:105], off offset:224
	s_wait_xcnt 0x0
	v_cmpx_lt_u32_e32 27, v0
	s_cbranch_execz .LBB49_255
; %bb.254:
	scratch_load_b64 v[104:105], off, off offset:216
	v_mov_b64_e32 v[106:107], 0
	scratch_store_b64 off, v[106:107], off offset:216
	s_wait_loadcnt 0x0
	ds_store_b64 v1, v[104:105]
.LBB49_255:
	s_wait_xcnt 0x0
	s_or_b32 exec_lo, exec_lo, s0
	s_wait_storecnt_dscnt 0x0
	s_barrier_signal -1
	s_barrier_wait -1
	s_clause 0x5
	scratch_load_b128 v[104:107], off, off offset:216
	scratch_load_b128 v[108:111], off, off offset:232
	;; [unrolled: 1-line block ×6, first 2 shown]
	ds_load_b128 v[128:131], v2 offset:624
	ds_load_b128 v[132:135], v2 offset:640
	scratch_load_b128 v[136:139], off, off offset:312
	s_mov_b32 s0, exec_lo
	s_wait_loadcnt_dscnt 0x601
	v_fma_f64 v[140:141], v[106:107], v[128:129], 0
	s_wait_loadcnt 0x5
	s_delay_alu instid0(VALU_DEP_1) | instskip(SKIP_4) | instid1(VALU_DEP_1)
	v_fmac_f64_e32 v[140:141], v[108:109], v[130:131]
	scratch_load_b128 v[106:109], off, off offset:328
	s_wait_dscnt 0x0
	v_fmac_f64_e32 v[140:141], v[110:111], v[132:133]
	s_wait_loadcnt 0x5
	v_fmac_f64_e32 v[140:141], v[112:113], v[134:135]
	ds_load_b128 v[110:113], v2 offset:656
	ds_load_b128 v[128:131], v2 offset:672
	s_wait_dscnt 0x1
	v_fmac_f64_e32 v[140:141], v[114:115], v[110:111]
	s_wait_loadcnt 0x4
	s_delay_alu instid0(VALU_DEP_1)
	v_fmac_f64_e32 v[140:141], v[116:117], v[112:113]
	s_clause 0x1
	scratch_load_b128 v[110:113], off, off offset:344
	scratch_load_b128 v[114:117], off, off offset:360
	s_wait_dscnt 0x0
	v_fmac_f64_e32 v[140:141], v[118:119], v[128:129]
	s_wait_loadcnt 0x5
	s_delay_alu instid0(VALU_DEP_1)
	v_fmac_f64_e32 v[140:141], v[120:121], v[130:131]
	ds_load_b128 v[118:121], v2 offset:688
	ds_load_b128 v[128:131], v2 offset:704
	s_wait_dscnt 0x1
	v_fmac_f64_e32 v[140:141], v[122:123], v[118:119]
	s_wait_loadcnt 0x4
	s_delay_alu instid0(VALU_DEP_1) | instskip(SKIP_4) | instid1(VALU_DEP_1)
	v_fmac_f64_e32 v[140:141], v[124:125], v[120:121]
	scratch_load_b128 v[118:121], off, off offset:376
	s_wait_dscnt 0x0
	v_fmac_f64_e32 v[140:141], v[126:127], v[128:129]
	s_wait_loadcnt 0x4
	v_fmac_f64_e32 v[140:141], v[136:137], v[130:131]
	scratch_load_b64 v[130:131], off, off offset:392
	ds_load_b128 v[122:125], v2 offset:720
	ds_load_b128 v[126:129], v2 offset:736
	s_wait_dscnt 0x1
	v_fmac_f64_e32 v[140:141], v[138:139], v[122:123]
	s_wait_loadcnt 0x4
	s_delay_alu instid0(VALU_DEP_1) | instskip(SKIP_1) | instid1(VALU_DEP_1)
	v_fmac_f64_e32 v[140:141], v[106:107], v[124:125]
	s_wait_dscnt 0x0
	v_fmac_f64_e32 v[140:141], v[108:109], v[126:127]
	ds_load_b128 v[106:109], v2 offset:752
	ds_load_b128 v[122:125], v2 offset:768
	s_wait_loadcnt 0x3
	v_fmac_f64_e32 v[140:141], v[110:111], v[128:129]
	s_wait_dscnt 0x1
	s_delay_alu instid0(VALU_DEP_1) | instskip(SKIP_1) | instid1(VALU_DEP_1)
	v_fmac_f64_e32 v[140:141], v[112:113], v[106:107]
	s_wait_loadcnt 0x2
	v_fmac_f64_e32 v[140:141], v[114:115], v[108:109]
	ds_load_b128 v[106:109], v2 offset:784
	s_wait_dscnt 0x1
	v_fmac_f64_e32 v[140:141], v[116:117], v[122:123]
	s_wait_loadcnt 0x1
	s_delay_alu instid0(VALU_DEP_1) | instskip(SKIP_1) | instid1(VALU_DEP_1)
	v_fmac_f64_e32 v[140:141], v[118:119], v[124:125]
	s_wait_dscnt 0x0
	v_fmac_f64_e32 v[140:141], v[120:121], v[106:107]
	s_wait_loadcnt 0x0
	s_delay_alu instid0(VALU_DEP_1) | instskip(NEXT) | instid1(VALU_DEP_1)
	v_fmac_f64_e32 v[140:141], v[130:131], v[108:109]
	v_add_f64_e64 v[2:3], v[104:105], -v[140:141]
	scratch_store_b64 off, v[2:3], off offset:216
	s_wait_xcnt 0x0
	v_cmpx_lt_u32_e32 26, v0
	s_cbranch_execz .LBB49_257
; %bb.256:
	scratch_load_b64 v[2:3], off, off offset:208
	v_mov_b64_e32 v[104:105], 0
	scratch_store_b64 off, v[104:105], off offset:208
	s_wait_loadcnt 0x0
	ds_store_b64 v1, v[2:3]
.LBB49_257:
	s_wait_xcnt 0x0
	s_or_b32 exec_lo, exec_lo, s0
	s_wait_storecnt_dscnt 0x0
	s_barrier_signal -1
	s_barrier_wait -1
	s_clause 0x5
	scratch_load_b128 v[104:107], off, off offset:208
	scratch_load_b128 v[108:111], off, off offset:224
	;; [unrolled: 1-line block ×6, first 2 shown]
	v_mov_b32_e32 v2, 0
	ds_load_2addr_b64 v[128:131], v2 offset0:77 offset1:78
	ds_load_2addr_b64 v[132:135], v2 offset0:79 offset1:80
	scratch_load_b128 v[136:139], off, off offset:304
	s_mov_b32 s0, exec_lo
	s_wait_loadcnt_dscnt 0x601
	v_fma_f64 v[140:141], v[106:107], v[128:129], 0
	s_wait_loadcnt 0x5
	s_delay_alu instid0(VALU_DEP_1) | instskip(SKIP_4) | instid1(VALU_DEP_1)
	v_fmac_f64_e32 v[140:141], v[108:109], v[130:131]
	scratch_load_b128 v[106:109], off, off offset:320
	s_wait_dscnt 0x0
	v_fmac_f64_e32 v[140:141], v[110:111], v[132:133]
	s_wait_loadcnt 0x5
	v_fmac_f64_e32 v[140:141], v[112:113], v[134:135]
	ds_load_2addr_b64 v[110:113], v2 offset0:81 offset1:82
	ds_load_2addr_b64 v[128:131], v2 offset0:83 offset1:84
	s_wait_dscnt 0x1
	v_fmac_f64_e32 v[140:141], v[114:115], v[110:111]
	s_wait_loadcnt 0x4
	s_delay_alu instid0(VALU_DEP_1)
	v_fmac_f64_e32 v[140:141], v[116:117], v[112:113]
	s_clause 0x1
	scratch_load_b128 v[110:113], off, off offset:336
	scratch_load_b128 v[114:117], off, off offset:352
	s_wait_dscnt 0x0
	v_fmac_f64_e32 v[140:141], v[118:119], v[128:129]
	s_wait_loadcnt 0x5
	s_delay_alu instid0(VALU_DEP_1)
	v_fmac_f64_e32 v[140:141], v[120:121], v[130:131]
	ds_load_2addr_b64 v[118:121], v2 offset0:85 offset1:86
	ds_load_2addr_b64 v[128:131], v2 offset0:87 offset1:88
	s_wait_dscnt 0x1
	v_fmac_f64_e32 v[140:141], v[122:123], v[118:119]
	s_wait_loadcnt 0x4
	s_delay_alu instid0(VALU_DEP_1)
	v_fmac_f64_e32 v[140:141], v[124:125], v[120:121]
	s_clause 0x1
	scratch_load_b128 v[118:121], off, off offset:368
	scratch_load_b128 v[122:125], off, off offset:384
	s_wait_dscnt 0x0
	v_fmac_f64_e32 v[140:141], v[126:127], v[128:129]
	s_wait_loadcnt 0x5
	s_delay_alu instid0(VALU_DEP_1)
	v_fmac_f64_e32 v[140:141], v[136:137], v[130:131]
	ds_load_2addr_b64 v[126:129], v2 offset0:89 offset1:90
	ds_load_2addr_b64 v[130:133], v2 offset0:91 offset1:92
	s_wait_dscnt 0x1
	v_fmac_f64_e32 v[140:141], v[138:139], v[126:127]
	s_wait_loadcnt 0x4
	s_delay_alu instid0(VALU_DEP_1) | instskip(SKIP_1) | instid1(VALU_DEP_1)
	v_fmac_f64_e32 v[140:141], v[106:107], v[128:129]
	s_wait_dscnt 0x0
	v_fmac_f64_e32 v[140:141], v[108:109], v[130:131]
	ds_load_2addr_b64 v[106:109], v2 offset0:93 offset1:94
	ds_load_2addr_b64 v[126:129], v2 offset0:95 offset1:96
	s_wait_loadcnt 0x3
	v_fmac_f64_e32 v[140:141], v[110:111], v[132:133]
	s_wait_dscnt 0x1
	s_delay_alu instid0(VALU_DEP_1) | instskip(SKIP_1) | instid1(VALU_DEP_1)
	v_fmac_f64_e32 v[140:141], v[112:113], v[106:107]
	s_wait_loadcnt 0x2
	v_fmac_f64_e32 v[140:141], v[114:115], v[108:109]
	ds_load_2addr_b64 v[106:109], v2 offset0:97 offset1:98
	ds_load_b64 v[110:111], v2 offset:792
	s_wait_dscnt 0x2
	v_fmac_f64_e32 v[140:141], v[116:117], v[126:127]
	s_wait_loadcnt 0x1
	s_delay_alu instid0(VALU_DEP_1) | instskip(SKIP_1) | instid1(VALU_DEP_1)
	v_fmac_f64_e32 v[140:141], v[118:119], v[128:129]
	s_wait_dscnt 0x1
	v_fmac_f64_e32 v[140:141], v[120:121], v[106:107]
	s_wait_loadcnt 0x0
	s_delay_alu instid0(VALU_DEP_1) | instskip(SKIP_1) | instid1(VALU_DEP_1)
	v_fmac_f64_e32 v[140:141], v[122:123], v[108:109]
	s_wait_dscnt 0x0
	v_fmac_f64_e32 v[140:141], v[124:125], v[110:111]
	s_delay_alu instid0(VALU_DEP_1)
	v_add_f64_e64 v[104:105], v[104:105], -v[140:141]
	scratch_store_b64 off, v[104:105], off offset:208
	s_wait_xcnt 0x0
	v_cmpx_lt_u32_e32 25, v0
	s_cbranch_execz .LBB49_259
; %bb.258:
	scratch_load_b64 v[104:105], off, off offset:200
	v_mov_b64_e32 v[106:107], 0
	scratch_store_b64 off, v[106:107], off offset:200
	s_wait_loadcnt 0x0
	ds_store_b64 v1, v[104:105]
.LBB49_259:
	s_wait_xcnt 0x0
	s_or_b32 exec_lo, exec_lo, s0
	s_wait_storecnt_dscnt 0x0
	s_barrier_signal -1
	s_barrier_wait -1
	s_clause 0x5
	scratch_load_b128 v[104:107], off, off offset:200
	scratch_load_b128 v[108:111], off, off offset:216
	;; [unrolled: 1-line block ×6, first 2 shown]
	ds_load_b128 v[128:131], v2 offset:608
	ds_load_b128 v[132:135], v2 offset:624
	scratch_load_b128 v[136:139], off, off offset:296
	s_mov_b32 s0, exec_lo
	s_wait_loadcnt_dscnt 0x601
	v_fma_f64 v[140:141], v[106:107], v[128:129], 0
	s_wait_loadcnt 0x5
	s_delay_alu instid0(VALU_DEP_1) | instskip(SKIP_4) | instid1(VALU_DEP_1)
	v_fmac_f64_e32 v[140:141], v[108:109], v[130:131]
	scratch_load_b128 v[106:109], off, off offset:312
	s_wait_dscnt 0x0
	v_fmac_f64_e32 v[140:141], v[110:111], v[132:133]
	s_wait_loadcnt 0x5
	v_fmac_f64_e32 v[140:141], v[112:113], v[134:135]
	ds_load_b128 v[110:113], v2 offset:640
	ds_load_b128 v[128:131], v2 offset:656
	s_wait_dscnt 0x1
	v_fmac_f64_e32 v[140:141], v[114:115], v[110:111]
	s_wait_loadcnt 0x4
	s_delay_alu instid0(VALU_DEP_1)
	v_fmac_f64_e32 v[140:141], v[116:117], v[112:113]
	s_clause 0x1
	scratch_load_b128 v[110:113], off, off offset:328
	scratch_load_b128 v[114:117], off, off offset:344
	s_wait_dscnt 0x0
	v_fmac_f64_e32 v[140:141], v[118:119], v[128:129]
	s_wait_loadcnt 0x5
	s_delay_alu instid0(VALU_DEP_1)
	v_fmac_f64_e32 v[140:141], v[120:121], v[130:131]
	ds_load_b128 v[118:121], v2 offset:672
	ds_load_b128 v[128:131], v2 offset:688
	s_wait_dscnt 0x1
	v_fmac_f64_e32 v[140:141], v[122:123], v[118:119]
	s_wait_loadcnt 0x4
	s_delay_alu instid0(VALU_DEP_1)
	v_fmac_f64_e32 v[140:141], v[124:125], v[120:121]
	s_clause 0x1
	scratch_load_b128 v[118:121], off, off offset:360
	scratch_load_b128 v[122:125], off, off offset:376
	s_wait_dscnt 0x0
	v_fmac_f64_e32 v[140:141], v[126:127], v[128:129]
	s_wait_loadcnt 0x5
	s_delay_alu instid0(VALU_DEP_1)
	v_fmac_f64_e32 v[140:141], v[136:137], v[130:131]
	ds_load_b128 v[126:129], v2 offset:704
	ds_load_b128 v[130:133], v2 offset:720
	scratch_load_b64 v[134:135], off, off offset:392
	s_wait_dscnt 0x1
	v_fmac_f64_e32 v[140:141], v[138:139], v[126:127]
	s_wait_loadcnt 0x5
	s_delay_alu instid0(VALU_DEP_1) | instskip(SKIP_1) | instid1(VALU_DEP_1)
	v_fmac_f64_e32 v[140:141], v[106:107], v[128:129]
	s_wait_dscnt 0x0
	v_fmac_f64_e32 v[140:141], v[108:109], v[130:131]
	ds_load_b128 v[106:109], v2 offset:736
	ds_load_b128 v[126:129], v2 offset:752
	s_wait_loadcnt 0x4
	v_fmac_f64_e32 v[140:141], v[110:111], v[132:133]
	s_wait_dscnt 0x1
	s_delay_alu instid0(VALU_DEP_1) | instskip(SKIP_1) | instid1(VALU_DEP_1)
	v_fmac_f64_e32 v[140:141], v[112:113], v[106:107]
	s_wait_loadcnt 0x3
	v_fmac_f64_e32 v[140:141], v[114:115], v[108:109]
	ds_load_b128 v[106:109], v2 offset:768
	ds_load_b128 v[110:113], v2 offset:784
	s_wait_dscnt 0x2
	v_fmac_f64_e32 v[140:141], v[116:117], v[126:127]
	s_wait_loadcnt 0x2
	s_delay_alu instid0(VALU_DEP_1) | instskip(SKIP_1) | instid1(VALU_DEP_1)
	v_fmac_f64_e32 v[140:141], v[118:119], v[128:129]
	s_wait_dscnt 0x1
	v_fmac_f64_e32 v[140:141], v[120:121], v[106:107]
	s_wait_loadcnt 0x1
	s_delay_alu instid0(VALU_DEP_1) | instskip(SKIP_1) | instid1(VALU_DEP_1)
	v_fmac_f64_e32 v[140:141], v[122:123], v[108:109]
	s_wait_dscnt 0x0
	v_fmac_f64_e32 v[140:141], v[124:125], v[110:111]
	s_wait_loadcnt 0x0
	s_delay_alu instid0(VALU_DEP_1) | instskip(NEXT) | instid1(VALU_DEP_1)
	v_fmac_f64_e32 v[140:141], v[134:135], v[112:113]
	v_add_f64_e64 v[2:3], v[104:105], -v[140:141]
	scratch_store_b64 off, v[2:3], off offset:200
	s_wait_xcnt 0x0
	v_cmpx_lt_u32_e32 24, v0
	s_cbranch_execz .LBB49_261
; %bb.260:
	scratch_load_b64 v[2:3], off, off offset:192
	v_mov_b64_e32 v[104:105], 0
	scratch_store_b64 off, v[104:105], off offset:192
	s_wait_loadcnt 0x0
	ds_store_b64 v1, v[2:3]
.LBB49_261:
	s_wait_xcnt 0x0
	s_or_b32 exec_lo, exec_lo, s0
	s_wait_storecnt_dscnt 0x0
	s_barrier_signal -1
	s_barrier_wait -1
	s_clause 0x5
	scratch_load_b128 v[104:107], off, off offset:192
	scratch_load_b128 v[108:111], off, off offset:208
	;; [unrolled: 1-line block ×6, first 2 shown]
	v_mov_b32_e32 v2, 0
	ds_load_2addr_b64 v[128:131], v2 offset0:75 offset1:76
	ds_load_2addr_b64 v[132:135], v2 offset0:77 offset1:78
	scratch_load_b128 v[136:139], off, off offset:288
	s_mov_b32 s0, exec_lo
	s_wait_loadcnt_dscnt 0x601
	v_fma_f64 v[140:141], v[106:107], v[128:129], 0
	s_wait_loadcnt 0x5
	s_delay_alu instid0(VALU_DEP_1) | instskip(SKIP_4) | instid1(VALU_DEP_1)
	v_fmac_f64_e32 v[140:141], v[108:109], v[130:131]
	scratch_load_b128 v[106:109], off, off offset:304
	s_wait_dscnt 0x0
	v_fmac_f64_e32 v[140:141], v[110:111], v[132:133]
	s_wait_loadcnt 0x5
	v_fmac_f64_e32 v[140:141], v[112:113], v[134:135]
	ds_load_2addr_b64 v[110:113], v2 offset0:79 offset1:80
	ds_load_2addr_b64 v[128:131], v2 offset0:81 offset1:82
	s_wait_dscnt 0x1
	v_fmac_f64_e32 v[140:141], v[114:115], v[110:111]
	s_wait_loadcnt 0x4
	s_delay_alu instid0(VALU_DEP_1)
	v_fmac_f64_e32 v[140:141], v[116:117], v[112:113]
	s_clause 0x1
	scratch_load_b128 v[110:113], off, off offset:320
	scratch_load_b128 v[114:117], off, off offset:336
	s_wait_dscnt 0x0
	v_fmac_f64_e32 v[140:141], v[118:119], v[128:129]
	s_wait_loadcnt 0x5
	s_delay_alu instid0(VALU_DEP_1)
	v_fmac_f64_e32 v[140:141], v[120:121], v[130:131]
	ds_load_2addr_b64 v[118:121], v2 offset0:83 offset1:84
	ds_load_2addr_b64 v[128:131], v2 offset0:85 offset1:86
	s_wait_dscnt 0x1
	v_fmac_f64_e32 v[140:141], v[122:123], v[118:119]
	s_wait_loadcnt 0x4
	s_delay_alu instid0(VALU_DEP_1)
	v_fmac_f64_e32 v[140:141], v[124:125], v[120:121]
	s_clause 0x1
	scratch_load_b128 v[118:121], off, off offset:352
	scratch_load_b128 v[122:125], off, off offset:368
	s_wait_dscnt 0x0
	v_fmac_f64_e32 v[140:141], v[126:127], v[128:129]
	s_wait_loadcnt 0x5
	s_delay_alu instid0(VALU_DEP_1)
	v_fmac_f64_e32 v[140:141], v[136:137], v[130:131]
	ds_load_2addr_b64 v[126:129], v2 offset0:87 offset1:88
	ds_load_2addr_b64 v[130:133], v2 offset0:89 offset1:90
	s_wait_dscnt 0x1
	v_fmac_f64_e32 v[140:141], v[138:139], v[126:127]
	s_wait_loadcnt 0x4
	s_delay_alu instid0(VALU_DEP_1) | instskip(SKIP_4) | instid1(VALU_DEP_1)
	v_fmac_f64_e32 v[140:141], v[106:107], v[128:129]
	scratch_load_b128 v[126:129], off, off offset:384
	s_wait_dscnt 0x0
	v_fmac_f64_e32 v[140:141], v[108:109], v[130:131]
	s_wait_loadcnt 0x4
	v_fmac_f64_e32 v[140:141], v[110:111], v[132:133]
	ds_load_2addr_b64 v[106:109], v2 offset0:91 offset1:92
	ds_load_2addr_b64 v[130:133], v2 offset0:93 offset1:94
	s_wait_dscnt 0x1
	v_fmac_f64_e32 v[140:141], v[112:113], v[106:107]
	s_wait_loadcnt 0x3
	s_delay_alu instid0(VALU_DEP_1)
	v_fmac_f64_e32 v[140:141], v[114:115], v[108:109]
	ds_load_2addr_b64 v[106:109], v2 offset0:95 offset1:96
	ds_load_2addr_b64 v[110:113], v2 offset0:97 offset1:98
	s_wait_dscnt 0x2
	v_fmac_f64_e32 v[140:141], v[116:117], v[130:131]
	s_wait_loadcnt 0x2
	s_delay_alu instid0(VALU_DEP_1) | instskip(SKIP_1) | instid1(VALU_DEP_1)
	v_fmac_f64_e32 v[140:141], v[118:119], v[132:133]
	s_wait_dscnt 0x1
	v_fmac_f64_e32 v[140:141], v[120:121], v[106:107]
	ds_load_b64 v[106:107], v2 offset:792
	s_wait_loadcnt 0x1
	v_fmac_f64_e32 v[140:141], v[122:123], v[108:109]
	s_wait_dscnt 0x1
	s_delay_alu instid0(VALU_DEP_1) | instskip(SKIP_1) | instid1(VALU_DEP_1)
	v_fmac_f64_e32 v[140:141], v[124:125], v[110:111]
	s_wait_loadcnt 0x0
	v_fmac_f64_e32 v[140:141], v[126:127], v[112:113]
	s_wait_dscnt 0x0
	s_delay_alu instid0(VALU_DEP_1) | instskip(NEXT) | instid1(VALU_DEP_1)
	v_fmac_f64_e32 v[140:141], v[128:129], v[106:107]
	v_add_f64_e64 v[104:105], v[104:105], -v[140:141]
	scratch_store_b64 off, v[104:105], off offset:192
	s_wait_xcnt 0x0
	v_cmpx_lt_u32_e32 23, v0
	s_cbranch_execz .LBB49_263
; %bb.262:
	scratch_load_b64 v[104:105], off, off offset:184
	v_mov_b64_e32 v[106:107], 0
	scratch_store_b64 off, v[106:107], off offset:184
	s_wait_loadcnt 0x0
	ds_store_b64 v1, v[104:105]
.LBB49_263:
	s_wait_xcnt 0x0
	s_or_b32 exec_lo, exec_lo, s0
	s_wait_storecnt_dscnt 0x0
	s_barrier_signal -1
	s_barrier_wait -1
	s_clause 0x5
	scratch_load_b128 v[104:107], off, off offset:184
	scratch_load_b128 v[108:111], off, off offset:200
	;; [unrolled: 1-line block ×6, first 2 shown]
	ds_load_b128 v[128:131], v2 offset:592
	ds_load_b128 v[132:135], v2 offset:608
	scratch_load_b128 v[136:139], off, off offset:280
	s_mov_b32 s0, exec_lo
	s_wait_loadcnt_dscnt 0x601
	v_fma_f64 v[140:141], v[106:107], v[128:129], 0
	s_wait_loadcnt 0x5
	s_delay_alu instid0(VALU_DEP_1) | instskip(SKIP_4) | instid1(VALU_DEP_1)
	v_fmac_f64_e32 v[140:141], v[108:109], v[130:131]
	scratch_load_b128 v[106:109], off, off offset:296
	s_wait_dscnt 0x0
	v_fmac_f64_e32 v[140:141], v[110:111], v[132:133]
	s_wait_loadcnt 0x5
	v_fmac_f64_e32 v[140:141], v[112:113], v[134:135]
	ds_load_b128 v[110:113], v2 offset:624
	ds_load_b128 v[128:131], v2 offset:640
	scratch_load_b128 v[132:135], off, off offset:312
	s_wait_dscnt 0x1
	v_fmac_f64_e32 v[140:141], v[114:115], v[110:111]
	s_wait_loadcnt 0x5
	s_delay_alu instid0(VALU_DEP_1) | instskip(SKIP_4) | instid1(VALU_DEP_1)
	v_fmac_f64_e32 v[140:141], v[116:117], v[112:113]
	scratch_load_b128 v[110:113], off, off offset:328
	s_wait_dscnt 0x0
	v_fmac_f64_e32 v[140:141], v[118:119], v[128:129]
	s_wait_loadcnt 0x5
	v_fmac_f64_e32 v[140:141], v[120:121], v[130:131]
	ds_load_b128 v[114:117], v2 offset:656
	ds_load_b128 v[118:121], v2 offset:672
	s_wait_dscnt 0x1
	v_fmac_f64_e32 v[140:141], v[122:123], v[114:115]
	s_wait_loadcnt 0x4
	s_delay_alu instid0(VALU_DEP_1) | instskip(SKIP_4) | instid1(VALU_DEP_1)
	v_fmac_f64_e32 v[140:141], v[124:125], v[116:117]
	scratch_load_b128 v[114:117], off, off offset:344
	s_wait_dscnt 0x0
	v_fmac_f64_e32 v[140:141], v[126:127], v[118:119]
	s_wait_loadcnt 0x4
	v_fmac_f64_e32 v[140:141], v[136:137], v[120:121]
	scratch_load_b128 v[118:121], off, off offset:360
	ds_load_b128 v[122:125], v2 offset:688
	ds_load_b128 v[126:129], v2 offset:704
	scratch_load_b64 v[130:131], off, off offset:392
	s_wait_dscnt 0x1
	v_fmac_f64_e32 v[140:141], v[138:139], v[122:123]
	s_wait_loadcnt 0x5
	s_delay_alu instid0(VALU_DEP_1) | instskip(SKIP_4) | instid1(VALU_DEP_1)
	v_fmac_f64_e32 v[140:141], v[106:107], v[124:125]
	scratch_load_b128 v[122:125], off, off offset:376
	s_wait_dscnt 0x0
	v_fmac_f64_e32 v[140:141], v[108:109], v[126:127]
	s_wait_loadcnt 0x5
	v_fmac_f64_e32 v[140:141], v[132:133], v[128:129]
	ds_load_b128 v[106:109], v2 offset:720
	ds_load_b128 v[126:129], v2 offset:736
	s_wait_dscnt 0x1
	v_fmac_f64_e32 v[140:141], v[134:135], v[106:107]
	s_wait_loadcnt 0x4
	s_delay_alu instid0(VALU_DEP_1) | instskip(SKIP_1) | instid1(VALU_DEP_1)
	v_fmac_f64_e32 v[140:141], v[110:111], v[108:109]
	s_wait_dscnt 0x0
	v_fmac_f64_e32 v[140:141], v[112:113], v[126:127]
	ds_load_b128 v[106:109], v2 offset:752
	ds_load_b128 v[110:113], v2 offset:768
	s_wait_loadcnt 0x3
	v_fmac_f64_e32 v[140:141], v[114:115], v[128:129]
	s_wait_dscnt 0x1
	s_delay_alu instid0(VALU_DEP_1) | instskip(SKIP_1) | instid1(VALU_DEP_1)
	v_fmac_f64_e32 v[140:141], v[116:117], v[106:107]
	s_wait_loadcnt 0x2
	v_fmac_f64_e32 v[140:141], v[118:119], v[108:109]
	ds_load_b128 v[106:109], v2 offset:784
	s_wait_dscnt 0x1
	v_fmac_f64_e32 v[140:141], v[120:121], v[110:111]
	s_wait_loadcnt 0x0
	s_delay_alu instid0(VALU_DEP_1) | instskip(SKIP_1) | instid1(VALU_DEP_1)
	v_fmac_f64_e32 v[140:141], v[122:123], v[112:113]
	s_wait_dscnt 0x0
	v_fmac_f64_e32 v[140:141], v[124:125], v[106:107]
	s_delay_alu instid0(VALU_DEP_1) | instskip(NEXT) | instid1(VALU_DEP_1)
	v_fmac_f64_e32 v[140:141], v[130:131], v[108:109]
	v_add_f64_e64 v[2:3], v[104:105], -v[140:141]
	scratch_store_b64 off, v[2:3], off offset:184
	s_wait_xcnt 0x0
	v_cmpx_lt_u32_e32 22, v0
	s_cbranch_execz .LBB49_265
; %bb.264:
	scratch_load_b64 v[2:3], off, off offset:176
	v_mov_b64_e32 v[104:105], 0
	scratch_store_b64 off, v[104:105], off offset:176
	s_wait_loadcnt 0x0
	ds_store_b64 v1, v[2:3]
.LBB49_265:
	s_wait_xcnt 0x0
	s_or_b32 exec_lo, exec_lo, s0
	s_wait_storecnt_dscnt 0x0
	s_barrier_signal -1
	s_barrier_wait -1
	s_clause 0x5
	scratch_load_b128 v[104:107], off, off offset:176
	scratch_load_b128 v[108:111], off, off offset:192
	;; [unrolled: 1-line block ×6, first 2 shown]
	v_mov_b32_e32 v2, 0
	ds_load_2addr_b64 v[128:131], v2 offset0:73 offset1:74
	ds_load_2addr_b64 v[132:135], v2 offset0:75 offset1:76
	scratch_load_b128 v[136:139], off, off offset:272
	s_mov_b32 s0, exec_lo
	s_wait_loadcnt_dscnt 0x601
	v_fma_f64 v[140:141], v[106:107], v[128:129], 0
	s_wait_loadcnt 0x5
	s_delay_alu instid0(VALU_DEP_1) | instskip(SKIP_4) | instid1(VALU_DEP_1)
	v_fmac_f64_e32 v[140:141], v[108:109], v[130:131]
	scratch_load_b128 v[106:109], off, off offset:288
	s_wait_dscnt 0x0
	v_fmac_f64_e32 v[140:141], v[110:111], v[132:133]
	s_wait_loadcnt 0x5
	v_fmac_f64_e32 v[140:141], v[112:113], v[134:135]
	ds_load_2addr_b64 v[110:113], v2 offset0:77 offset1:78
	ds_load_2addr_b64 v[128:131], v2 offset0:79 offset1:80
	scratch_load_b128 v[132:135], off, off offset:304
	s_wait_dscnt 0x1
	v_fmac_f64_e32 v[140:141], v[114:115], v[110:111]
	s_wait_loadcnt 0x5
	s_delay_alu instid0(VALU_DEP_1) | instskip(SKIP_4) | instid1(VALU_DEP_1)
	v_fmac_f64_e32 v[140:141], v[116:117], v[112:113]
	scratch_load_b128 v[110:113], off, off offset:320
	s_wait_dscnt 0x0
	v_fmac_f64_e32 v[140:141], v[118:119], v[128:129]
	s_wait_loadcnt 0x5
	v_fmac_f64_e32 v[140:141], v[120:121], v[130:131]
	ds_load_2addr_b64 v[114:117], v2 offset0:81 offset1:82
	ds_load_2addr_b64 v[118:121], v2 offset0:83 offset1:84
	s_wait_dscnt 0x1
	v_fmac_f64_e32 v[140:141], v[122:123], v[114:115]
	s_wait_loadcnt 0x4
	s_delay_alu instid0(VALU_DEP_1) | instskip(SKIP_4) | instid1(VALU_DEP_1)
	v_fmac_f64_e32 v[140:141], v[124:125], v[116:117]
	scratch_load_b128 v[114:117], off, off offset:336
	s_wait_dscnt 0x0
	v_fmac_f64_e32 v[140:141], v[126:127], v[118:119]
	s_wait_loadcnt 0x4
	v_fmac_f64_e32 v[140:141], v[136:137], v[120:121]
	scratch_load_b128 v[118:121], off, off offset:352
	ds_load_2addr_b64 v[122:125], v2 offset0:85 offset1:86
	ds_load_2addr_b64 v[126:129], v2 offset0:87 offset1:88
	s_wait_dscnt 0x1
	v_fmac_f64_e32 v[140:141], v[138:139], v[122:123]
	s_wait_loadcnt 0x4
	s_delay_alu instid0(VALU_DEP_1)
	v_fmac_f64_e32 v[140:141], v[106:107], v[124:125]
	scratch_load_b128 v[122:125], off, off offset:368
	s_wait_dscnt 0x0
	v_fmac_f64_e32 v[140:141], v[108:109], v[126:127]
	scratch_load_b128 v[106:109], off, off offset:384
	s_wait_loadcnt 0x5
	v_fmac_f64_e32 v[140:141], v[132:133], v[128:129]
	ds_load_2addr_b64 v[126:129], v2 offset0:89 offset1:90
	ds_load_2addr_b64 v[130:133], v2 offset0:91 offset1:92
	s_wait_dscnt 0x1
	v_fmac_f64_e32 v[140:141], v[134:135], v[126:127]
	s_wait_loadcnt 0x4
	s_delay_alu instid0(VALU_DEP_1) | instskip(SKIP_1) | instid1(VALU_DEP_1)
	v_fmac_f64_e32 v[140:141], v[110:111], v[128:129]
	s_wait_dscnt 0x0
	v_fmac_f64_e32 v[140:141], v[112:113], v[130:131]
	ds_load_2addr_b64 v[110:113], v2 offset0:93 offset1:94
	ds_load_2addr_b64 v[126:129], v2 offset0:95 offset1:96
	s_wait_loadcnt 0x3
	v_fmac_f64_e32 v[140:141], v[114:115], v[132:133]
	s_wait_dscnt 0x1
	s_delay_alu instid0(VALU_DEP_1) | instskip(SKIP_1) | instid1(VALU_DEP_1)
	v_fmac_f64_e32 v[140:141], v[116:117], v[110:111]
	s_wait_loadcnt 0x2
	v_fmac_f64_e32 v[140:141], v[118:119], v[112:113]
	ds_load_2addr_b64 v[110:113], v2 offset0:97 offset1:98
	ds_load_b64 v[114:115], v2 offset:792
	s_wait_dscnt 0x2
	v_fmac_f64_e32 v[140:141], v[120:121], v[126:127]
	s_wait_loadcnt 0x1
	s_delay_alu instid0(VALU_DEP_1) | instskip(SKIP_1) | instid1(VALU_DEP_1)
	v_fmac_f64_e32 v[140:141], v[122:123], v[128:129]
	s_wait_dscnt 0x1
	v_fmac_f64_e32 v[140:141], v[124:125], v[110:111]
	s_wait_loadcnt 0x0
	s_delay_alu instid0(VALU_DEP_1) | instskip(SKIP_1) | instid1(VALU_DEP_1)
	v_fmac_f64_e32 v[140:141], v[106:107], v[112:113]
	s_wait_dscnt 0x0
	v_fmac_f64_e32 v[140:141], v[108:109], v[114:115]
	s_delay_alu instid0(VALU_DEP_1)
	v_add_f64_e64 v[104:105], v[104:105], -v[140:141]
	scratch_store_b64 off, v[104:105], off offset:176
	s_wait_xcnt 0x0
	v_cmpx_lt_u32_e32 21, v0
	s_cbranch_execz .LBB49_267
; %bb.266:
	scratch_load_b64 v[104:105], off, off offset:168
	v_mov_b64_e32 v[106:107], 0
	scratch_store_b64 off, v[106:107], off offset:168
	s_wait_loadcnt 0x0
	ds_store_b64 v1, v[104:105]
.LBB49_267:
	s_wait_xcnt 0x0
	s_or_b32 exec_lo, exec_lo, s0
	s_wait_storecnt_dscnt 0x0
	s_barrier_signal -1
	s_barrier_wait -1
	s_clause 0x5
	scratch_load_b128 v[104:107], off, off offset:168
	scratch_load_b128 v[108:111], off, off offset:184
	;; [unrolled: 1-line block ×6, first 2 shown]
	ds_load_b128 v[128:131], v2 offset:576
	ds_load_b128 v[132:135], v2 offset:592
	scratch_load_b128 v[136:139], off, off offset:264
	s_mov_b32 s0, exec_lo
	s_wait_loadcnt_dscnt 0x601
	v_fma_f64 v[140:141], v[106:107], v[128:129], 0
	s_wait_loadcnt 0x5
	s_delay_alu instid0(VALU_DEP_1) | instskip(SKIP_4) | instid1(VALU_DEP_1)
	v_fmac_f64_e32 v[140:141], v[108:109], v[130:131]
	scratch_load_b128 v[106:109], off, off offset:280
	s_wait_dscnt 0x0
	v_fmac_f64_e32 v[140:141], v[110:111], v[132:133]
	s_wait_loadcnt 0x5
	v_fmac_f64_e32 v[140:141], v[112:113], v[134:135]
	ds_load_b128 v[110:113], v2 offset:608
	ds_load_b128 v[128:131], v2 offset:624
	scratch_load_b128 v[132:135], off, off offset:296
	s_wait_dscnt 0x1
	v_fmac_f64_e32 v[140:141], v[114:115], v[110:111]
	s_wait_loadcnt 0x5
	s_delay_alu instid0(VALU_DEP_1) | instskip(SKIP_4) | instid1(VALU_DEP_1)
	v_fmac_f64_e32 v[140:141], v[116:117], v[112:113]
	scratch_load_b128 v[110:113], off, off offset:312
	s_wait_dscnt 0x0
	v_fmac_f64_e32 v[140:141], v[118:119], v[128:129]
	s_wait_loadcnt 0x5
	v_fmac_f64_e32 v[140:141], v[120:121], v[130:131]
	ds_load_b128 v[114:117], v2 offset:640
	ds_load_b128 v[118:121], v2 offset:656
	s_wait_dscnt 0x1
	v_fmac_f64_e32 v[140:141], v[122:123], v[114:115]
	s_wait_loadcnt 0x4
	s_delay_alu instid0(VALU_DEP_1) | instskip(SKIP_4) | instid1(VALU_DEP_1)
	v_fmac_f64_e32 v[140:141], v[124:125], v[116:117]
	scratch_load_b128 v[114:117], off, off offset:328
	s_wait_dscnt 0x0
	v_fmac_f64_e32 v[140:141], v[126:127], v[118:119]
	s_wait_loadcnt 0x4
	v_fmac_f64_e32 v[140:141], v[136:137], v[120:121]
	scratch_load_b128 v[118:121], off, off offset:344
	ds_load_b128 v[122:125], v2 offset:672
	ds_load_b128 v[126:129], v2 offset:688
	s_wait_dscnt 0x1
	v_fmac_f64_e32 v[140:141], v[138:139], v[122:123]
	s_wait_loadcnt 0x4
	s_delay_alu instid0(VALU_DEP_1)
	v_fmac_f64_e32 v[140:141], v[106:107], v[124:125]
	scratch_load_b128 v[122:125], off, off offset:360
	s_wait_dscnt 0x0
	v_fmac_f64_e32 v[140:141], v[108:109], v[126:127]
	scratch_load_b128 v[106:109], off, off offset:376
	s_wait_loadcnt 0x5
	v_fmac_f64_e32 v[140:141], v[132:133], v[128:129]
	ds_load_b128 v[126:129], v2 offset:704
	ds_load_b128 v[130:133], v2 offset:720
	s_wait_dscnt 0x1
	v_fmac_f64_e32 v[140:141], v[134:135], v[126:127]
	scratch_load_b64 v[134:135], off, off offset:392
	s_wait_loadcnt 0x5
	v_fmac_f64_e32 v[140:141], v[110:111], v[128:129]
	s_wait_dscnt 0x0
	s_delay_alu instid0(VALU_DEP_1)
	v_fmac_f64_e32 v[140:141], v[112:113], v[130:131]
	ds_load_b128 v[110:113], v2 offset:736
	ds_load_b128 v[126:129], v2 offset:752
	s_wait_loadcnt 0x4
	v_fmac_f64_e32 v[140:141], v[114:115], v[132:133]
	s_wait_dscnt 0x1
	s_delay_alu instid0(VALU_DEP_1) | instskip(SKIP_1) | instid1(VALU_DEP_1)
	v_fmac_f64_e32 v[140:141], v[116:117], v[110:111]
	s_wait_loadcnt 0x3
	v_fmac_f64_e32 v[140:141], v[118:119], v[112:113]
	ds_load_b128 v[110:113], v2 offset:768
	ds_load_b128 v[114:117], v2 offset:784
	s_wait_dscnt 0x2
	v_fmac_f64_e32 v[140:141], v[120:121], v[126:127]
	s_wait_loadcnt 0x2
	s_delay_alu instid0(VALU_DEP_1) | instskip(SKIP_1) | instid1(VALU_DEP_1)
	v_fmac_f64_e32 v[140:141], v[122:123], v[128:129]
	s_wait_dscnt 0x1
	v_fmac_f64_e32 v[140:141], v[124:125], v[110:111]
	s_wait_loadcnt 0x1
	s_delay_alu instid0(VALU_DEP_1) | instskip(SKIP_1) | instid1(VALU_DEP_1)
	v_fmac_f64_e32 v[140:141], v[106:107], v[112:113]
	s_wait_dscnt 0x0
	v_fmac_f64_e32 v[140:141], v[108:109], v[114:115]
	s_wait_loadcnt 0x0
	s_delay_alu instid0(VALU_DEP_1) | instskip(NEXT) | instid1(VALU_DEP_1)
	v_fmac_f64_e32 v[140:141], v[134:135], v[116:117]
	v_add_f64_e64 v[2:3], v[104:105], -v[140:141]
	scratch_store_b64 off, v[2:3], off offset:168
	s_wait_xcnt 0x0
	v_cmpx_lt_u32_e32 20, v0
	s_cbranch_execz .LBB49_269
; %bb.268:
	scratch_load_b64 v[2:3], off, off offset:160
	v_mov_b64_e32 v[104:105], 0
	scratch_store_b64 off, v[104:105], off offset:160
	s_wait_loadcnt 0x0
	ds_store_b64 v1, v[2:3]
.LBB49_269:
	s_wait_xcnt 0x0
	s_or_b32 exec_lo, exec_lo, s0
	s_wait_storecnt_dscnt 0x0
	s_barrier_signal -1
	s_barrier_wait -1
	s_clause 0x5
	scratch_load_b128 v[104:107], off, off offset:160
	scratch_load_b128 v[108:111], off, off offset:176
	;; [unrolled: 1-line block ×6, first 2 shown]
	v_mov_b32_e32 v2, 0
	ds_load_2addr_b64 v[128:131], v2 offset0:71 offset1:72
	ds_load_2addr_b64 v[132:135], v2 offset0:73 offset1:74
	scratch_load_b128 v[136:139], off, off offset:256
	s_mov_b32 s0, exec_lo
	s_wait_loadcnt_dscnt 0x601
	v_fma_f64 v[140:141], v[106:107], v[128:129], 0
	s_wait_loadcnt 0x5
	s_delay_alu instid0(VALU_DEP_1) | instskip(SKIP_4) | instid1(VALU_DEP_1)
	v_fmac_f64_e32 v[140:141], v[108:109], v[130:131]
	scratch_load_b128 v[106:109], off, off offset:272
	s_wait_dscnt 0x0
	v_fmac_f64_e32 v[140:141], v[110:111], v[132:133]
	s_wait_loadcnt 0x5
	v_fmac_f64_e32 v[140:141], v[112:113], v[134:135]
	ds_load_2addr_b64 v[110:113], v2 offset0:75 offset1:76
	ds_load_2addr_b64 v[128:131], v2 offset0:77 offset1:78
	scratch_load_b128 v[132:135], off, off offset:288
	s_wait_dscnt 0x1
	v_fmac_f64_e32 v[140:141], v[114:115], v[110:111]
	s_wait_loadcnt 0x5
	s_delay_alu instid0(VALU_DEP_1) | instskip(SKIP_4) | instid1(VALU_DEP_1)
	v_fmac_f64_e32 v[140:141], v[116:117], v[112:113]
	scratch_load_b128 v[110:113], off, off offset:304
	s_wait_dscnt 0x0
	v_fmac_f64_e32 v[140:141], v[118:119], v[128:129]
	s_wait_loadcnt 0x5
	v_fmac_f64_e32 v[140:141], v[120:121], v[130:131]
	ds_load_2addr_b64 v[114:117], v2 offset0:79 offset1:80
	ds_load_2addr_b64 v[118:121], v2 offset0:81 offset1:82
	s_wait_dscnt 0x1
	v_fmac_f64_e32 v[140:141], v[122:123], v[114:115]
	s_wait_loadcnt 0x4
	s_delay_alu instid0(VALU_DEP_1) | instskip(SKIP_4) | instid1(VALU_DEP_1)
	v_fmac_f64_e32 v[140:141], v[124:125], v[116:117]
	scratch_load_b128 v[114:117], off, off offset:320
	s_wait_dscnt 0x0
	v_fmac_f64_e32 v[140:141], v[126:127], v[118:119]
	s_wait_loadcnt 0x4
	v_fmac_f64_e32 v[140:141], v[136:137], v[120:121]
	scratch_load_b128 v[118:121], off, off offset:336
	ds_load_2addr_b64 v[122:125], v2 offset0:83 offset1:84
	ds_load_2addr_b64 v[126:129], v2 offset0:85 offset1:86
	s_wait_dscnt 0x1
	v_fmac_f64_e32 v[140:141], v[138:139], v[122:123]
	s_wait_loadcnt 0x4
	s_delay_alu instid0(VALU_DEP_1)
	v_fmac_f64_e32 v[140:141], v[106:107], v[124:125]
	scratch_load_b128 v[122:125], off, off offset:352
	s_wait_dscnt 0x0
	v_fmac_f64_e32 v[140:141], v[108:109], v[126:127]
	scratch_load_b128 v[106:109], off, off offset:368
	s_wait_loadcnt 0x5
	v_fmac_f64_e32 v[140:141], v[132:133], v[128:129]
	ds_load_2addr_b64 v[126:129], v2 offset0:87 offset1:88
	ds_load_2addr_b64 v[130:133], v2 offset0:89 offset1:90
	s_wait_dscnt 0x1
	v_fmac_f64_e32 v[140:141], v[134:135], v[126:127]
	s_wait_loadcnt 0x4
	s_delay_alu instid0(VALU_DEP_1) | instskip(SKIP_4) | instid1(VALU_DEP_1)
	v_fmac_f64_e32 v[140:141], v[110:111], v[128:129]
	scratch_load_b128 v[126:129], off, off offset:384
	s_wait_dscnt 0x0
	v_fmac_f64_e32 v[140:141], v[112:113], v[130:131]
	s_wait_loadcnt 0x4
	v_fmac_f64_e32 v[140:141], v[114:115], v[132:133]
	ds_load_2addr_b64 v[110:113], v2 offset0:91 offset1:92
	ds_load_2addr_b64 v[130:133], v2 offset0:93 offset1:94
	s_wait_dscnt 0x1
	v_fmac_f64_e32 v[140:141], v[116:117], v[110:111]
	s_wait_loadcnt 0x3
	s_delay_alu instid0(VALU_DEP_1)
	v_fmac_f64_e32 v[140:141], v[118:119], v[112:113]
	ds_load_2addr_b64 v[110:113], v2 offset0:95 offset1:96
	ds_load_2addr_b64 v[114:117], v2 offset0:97 offset1:98
	s_wait_dscnt 0x2
	v_fmac_f64_e32 v[140:141], v[120:121], v[130:131]
	s_wait_loadcnt 0x2
	s_delay_alu instid0(VALU_DEP_1) | instskip(SKIP_1) | instid1(VALU_DEP_1)
	v_fmac_f64_e32 v[140:141], v[122:123], v[132:133]
	s_wait_dscnt 0x1
	v_fmac_f64_e32 v[140:141], v[124:125], v[110:111]
	s_wait_loadcnt 0x1
	s_delay_alu instid0(VALU_DEP_1) | instskip(SKIP_4) | instid1(VALU_DEP_1)
	v_fmac_f64_e32 v[140:141], v[106:107], v[112:113]
	ds_load_b64 v[106:107], v2 offset:792
	s_wait_dscnt 0x1
	v_fmac_f64_e32 v[140:141], v[108:109], v[114:115]
	s_wait_loadcnt 0x0
	v_fmac_f64_e32 v[140:141], v[126:127], v[116:117]
	s_wait_dscnt 0x0
	s_delay_alu instid0(VALU_DEP_1) | instskip(NEXT) | instid1(VALU_DEP_1)
	v_fmac_f64_e32 v[140:141], v[128:129], v[106:107]
	v_add_f64_e64 v[104:105], v[104:105], -v[140:141]
	scratch_store_b64 off, v[104:105], off offset:160
	s_wait_xcnt 0x0
	v_cmpx_lt_u32_e32 19, v0
	s_cbranch_execz .LBB49_271
; %bb.270:
	scratch_load_b64 v[104:105], off, off offset:152
	v_mov_b64_e32 v[106:107], 0
	scratch_store_b64 off, v[106:107], off offset:152
	s_wait_loadcnt 0x0
	ds_store_b64 v1, v[104:105]
.LBB49_271:
	s_wait_xcnt 0x0
	s_or_b32 exec_lo, exec_lo, s0
	s_wait_storecnt_dscnt 0x0
	s_barrier_signal -1
	s_barrier_wait -1
	s_clause 0x5
	scratch_load_b128 v[104:107], off, off offset:152
	scratch_load_b128 v[108:111], off, off offset:168
	;; [unrolled: 1-line block ×6, first 2 shown]
	ds_load_b128 v[128:131], v2 offset:560
	ds_load_b128 v[132:135], v2 offset:576
	scratch_load_b128 v[136:139], off, off offset:248
	s_mov_b32 s0, exec_lo
	s_wait_loadcnt_dscnt 0x601
	v_fma_f64 v[140:141], v[106:107], v[128:129], 0
	s_wait_loadcnt 0x5
	s_delay_alu instid0(VALU_DEP_1) | instskip(SKIP_4) | instid1(VALU_DEP_1)
	v_fmac_f64_e32 v[140:141], v[108:109], v[130:131]
	scratch_load_b128 v[106:109], off, off offset:264
	s_wait_dscnt 0x0
	v_fmac_f64_e32 v[140:141], v[110:111], v[132:133]
	s_wait_loadcnt 0x5
	v_fmac_f64_e32 v[140:141], v[112:113], v[134:135]
	ds_load_b128 v[110:113], v2 offset:592
	ds_load_b128 v[128:131], v2 offset:608
	scratch_load_b128 v[132:135], off, off offset:280
	s_wait_dscnt 0x1
	v_fmac_f64_e32 v[140:141], v[114:115], v[110:111]
	s_wait_loadcnt 0x5
	s_delay_alu instid0(VALU_DEP_1) | instskip(SKIP_4) | instid1(VALU_DEP_1)
	v_fmac_f64_e32 v[140:141], v[116:117], v[112:113]
	scratch_load_b128 v[110:113], off, off offset:296
	s_wait_dscnt 0x0
	v_fmac_f64_e32 v[140:141], v[118:119], v[128:129]
	s_wait_loadcnt 0x5
	v_fmac_f64_e32 v[140:141], v[120:121], v[130:131]
	ds_load_b128 v[114:117], v2 offset:624
	ds_load_b128 v[118:121], v2 offset:640
	scratch_load_b128 v[128:131], off, off offset:312
	s_wait_dscnt 0x1
	v_fmac_f64_e32 v[140:141], v[122:123], v[114:115]
	s_wait_loadcnt 0x5
	s_delay_alu instid0(VALU_DEP_1) | instskip(SKIP_4) | instid1(VALU_DEP_1)
	v_fmac_f64_e32 v[140:141], v[124:125], v[116:117]
	scratch_load_b128 v[114:117], off, off offset:328
	s_wait_dscnt 0x0
	v_fmac_f64_e32 v[140:141], v[126:127], v[118:119]
	s_wait_loadcnt 0x5
	v_fmac_f64_e32 v[140:141], v[136:137], v[120:121]
	ds_load_b128 v[118:121], v2 offset:656
	ds_load_b128 v[122:125], v2 offset:672
	s_wait_dscnt 0x1
	v_fmac_f64_e32 v[140:141], v[138:139], v[118:119]
	s_wait_loadcnt 0x4
	s_delay_alu instid0(VALU_DEP_1)
	v_fmac_f64_e32 v[140:141], v[106:107], v[120:121]
	scratch_load_b128 v[118:121], off, off offset:344
	s_wait_dscnt 0x0
	v_fmac_f64_e32 v[140:141], v[108:109], v[122:123]
	scratch_load_b128 v[106:109], off, off offset:360
	s_wait_loadcnt 0x5
	v_fmac_f64_e32 v[140:141], v[132:133], v[124:125]
	ds_load_b128 v[122:125], v2 offset:688
	ds_load_b128 v[136:139], v2 offset:704
	scratch_load_b64 v[132:133], off, off offset:392
	s_wait_dscnt 0x1
	v_fmac_f64_e32 v[140:141], v[134:135], v[122:123]
	s_wait_loadcnt 0x5
	s_delay_alu instid0(VALU_DEP_1) | instskip(SKIP_4) | instid1(VALU_DEP_1)
	v_fmac_f64_e32 v[140:141], v[110:111], v[124:125]
	scratch_load_b128 v[122:125], off, off offset:376
	s_wait_dscnt 0x0
	v_fmac_f64_e32 v[140:141], v[112:113], v[136:137]
	s_wait_loadcnt 0x5
	v_fmac_f64_e32 v[140:141], v[128:129], v[138:139]
	ds_load_b128 v[110:113], v2 offset:720
	ds_load_b128 v[126:129], v2 offset:736
	s_wait_dscnt 0x1
	v_fmac_f64_e32 v[140:141], v[130:131], v[110:111]
	s_wait_loadcnt 0x4
	s_delay_alu instid0(VALU_DEP_1) | instskip(SKIP_1) | instid1(VALU_DEP_1)
	v_fmac_f64_e32 v[140:141], v[114:115], v[112:113]
	s_wait_dscnt 0x0
	v_fmac_f64_e32 v[140:141], v[116:117], v[126:127]
	ds_load_b128 v[110:113], v2 offset:752
	ds_load_b128 v[114:117], v2 offset:768
	s_wait_loadcnt 0x3
	v_fmac_f64_e32 v[140:141], v[118:119], v[128:129]
	s_wait_dscnt 0x1
	s_delay_alu instid0(VALU_DEP_1) | instskip(SKIP_1) | instid1(VALU_DEP_1)
	v_fmac_f64_e32 v[140:141], v[120:121], v[110:111]
	s_wait_loadcnt 0x2
	v_fmac_f64_e32 v[140:141], v[106:107], v[112:113]
	s_wait_dscnt 0x0
	s_delay_alu instid0(VALU_DEP_1) | instskip(SKIP_4) | instid1(VALU_DEP_1)
	v_fmac_f64_e32 v[140:141], v[108:109], v[114:115]
	ds_load_b128 v[106:109], v2 offset:784
	s_wait_loadcnt 0x0
	v_fmac_f64_e32 v[140:141], v[122:123], v[116:117]
	s_wait_dscnt 0x0
	v_fmac_f64_e32 v[140:141], v[124:125], v[106:107]
	s_delay_alu instid0(VALU_DEP_1) | instskip(NEXT) | instid1(VALU_DEP_1)
	v_fmac_f64_e32 v[140:141], v[132:133], v[108:109]
	v_add_f64_e64 v[2:3], v[104:105], -v[140:141]
	scratch_store_b64 off, v[2:3], off offset:152
	s_wait_xcnt 0x0
	v_cmpx_lt_u32_e32 18, v0
	s_cbranch_execz .LBB49_273
; %bb.272:
	scratch_load_b64 v[2:3], off, off offset:144
	v_mov_b64_e32 v[104:105], 0
	scratch_store_b64 off, v[104:105], off offset:144
	s_wait_loadcnt 0x0
	ds_store_b64 v1, v[2:3]
.LBB49_273:
	s_wait_xcnt 0x0
	s_or_b32 exec_lo, exec_lo, s0
	s_wait_storecnt_dscnt 0x0
	s_barrier_signal -1
	s_barrier_wait -1
	s_clause 0x5
	scratch_load_b128 v[104:107], off, off offset:144
	scratch_load_b128 v[108:111], off, off offset:160
	;; [unrolled: 1-line block ×6, first 2 shown]
	v_mov_b32_e32 v2, 0
	ds_load_2addr_b64 v[128:131], v2 offset0:69 offset1:70
	ds_load_2addr_b64 v[132:135], v2 offset0:71 offset1:72
	scratch_load_b128 v[136:139], off, off offset:240
	s_mov_b32 s0, exec_lo
	s_wait_loadcnt_dscnt 0x601
	v_fma_f64 v[140:141], v[106:107], v[128:129], 0
	s_wait_loadcnt 0x5
	s_delay_alu instid0(VALU_DEP_1) | instskip(SKIP_4) | instid1(VALU_DEP_1)
	v_fmac_f64_e32 v[140:141], v[108:109], v[130:131]
	scratch_load_b128 v[106:109], off, off offset:256
	s_wait_dscnt 0x0
	v_fmac_f64_e32 v[140:141], v[110:111], v[132:133]
	s_wait_loadcnt 0x5
	v_fmac_f64_e32 v[140:141], v[112:113], v[134:135]
	ds_load_2addr_b64 v[110:113], v2 offset0:73 offset1:74
	ds_load_2addr_b64 v[128:131], v2 offset0:75 offset1:76
	scratch_load_b128 v[132:135], off, off offset:272
	s_wait_dscnt 0x1
	v_fmac_f64_e32 v[140:141], v[114:115], v[110:111]
	s_wait_loadcnt 0x5
	s_delay_alu instid0(VALU_DEP_1) | instskip(SKIP_4) | instid1(VALU_DEP_1)
	v_fmac_f64_e32 v[140:141], v[116:117], v[112:113]
	scratch_load_b128 v[110:113], off, off offset:288
	s_wait_dscnt 0x0
	v_fmac_f64_e32 v[140:141], v[118:119], v[128:129]
	s_wait_loadcnt 0x5
	v_fmac_f64_e32 v[140:141], v[120:121], v[130:131]
	ds_load_2addr_b64 v[114:117], v2 offset0:77 offset1:78
	ds_load_2addr_b64 v[118:121], v2 offset0:79 offset1:80
	scratch_load_b128 v[128:131], off, off offset:304
	s_wait_dscnt 0x1
	v_fmac_f64_e32 v[140:141], v[122:123], v[114:115]
	s_wait_loadcnt 0x5
	s_delay_alu instid0(VALU_DEP_1) | instskip(SKIP_4) | instid1(VALU_DEP_1)
	v_fmac_f64_e32 v[140:141], v[124:125], v[116:117]
	scratch_load_b128 v[114:117], off, off offset:320
	s_wait_dscnt 0x0
	v_fmac_f64_e32 v[140:141], v[126:127], v[118:119]
	s_wait_loadcnt 0x5
	v_fmac_f64_e32 v[140:141], v[136:137], v[120:121]
	ds_load_2addr_b64 v[118:121], v2 offset0:81 offset1:82
	ds_load_2addr_b64 v[122:125], v2 offset0:83 offset1:84
	s_wait_dscnt 0x1
	v_fmac_f64_e32 v[140:141], v[138:139], v[118:119]
	s_wait_loadcnt 0x4
	s_delay_alu instid0(VALU_DEP_1)
	v_fmac_f64_e32 v[140:141], v[106:107], v[120:121]
	scratch_load_b128 v[118:121], off, off offset:336
	s_wait_dscnt 0x0
	v_fmac_f64_e32 v[140:141], v[108:109], v[122:123]
	scratch_load_b128 v[106:109], off, off offset:352
	s_wait_loadcnt 0x5
	v_fmac_f64_e32 v[140:141], v[132:133], v[124:125]
	ds_load_2addr_b64 v[122:125], v2 offset0:85 offset1:86
	ds_load_2addr_b64 v[136:139], v2 offset0:87 offset1:88
	s_wait_dscnt 0x1
	v_fmac_f64_e32 v[140:141], v[134:135], v[122:123]
	s_wait_loadcnt 0x4
	s_delay_alu instid0(VALU_DEP_1)
	v_fmac_f64_e32 v[140:141], v[110:111], v[124:125]
	scratch_load_b128 v[122:125], off, off offset:368
	s_wait_dscnt 0x0
	v_fmac_f64_e32 v[140:141], v[112:113], v[136:137]
	scratch_load_b128 v[110:113], off, off offset:384
	s_wait_loadcnt 0x5
	v_fmac_f64_e32 v[140:141], v[128:129], v[138:139]
	ds_load_2addr_b64 v[126:129], v2 offset0:89 offset1:90
	ds_load_2addr_b64 v[132:135], v2 offset0:91 offset1:92
	s_wait_dscnt 0x1
	v_fmac_f64_e32 v[140:141], v[130:131], v[126:127]
	s_wait_loadcnt 0x4
	s_delay_alu instid0(VALU_DEP_1) | instskip(SKIP_1) | instid1(VALU_DEP_1)
	v_fmac_f64_e32 v[140:141], v[114:115], v[128:129]
	s_wait_dscnt 0x0
	v_fmac_f64_e32 v[140:141], v[116:117], v[132:133]
	ds_load_2addr_b64 v[114:117], v2 offset0:93 offset1:94
	ds_load_2addr_b64 v[126:129], v2 offset0:95 offset1:96
	s_wait_loadcnt 0x3
	v_fmac_f64_e32 v[140:141], v[118:119], v[134:135]
	s_wait_dscnt 0x1
	s_delay_alu instid0(VALU_DEP_1) | instskip(SKIP_1) | instid1(VALU_DEP_1)
	v_fmac_f64_e32 v[140:141], v[120:121], v[114:115]
	s_wait_loadcnt 0x2
	v_fmac_f64_e32 v[140:141], v[106:107], v[116:117]
	s_wait_dscnt 0x0
	s_delay_alu instid0(VALU_DEP_1)
	v_fmac_f64_e32 v[140:141], v[108:109], v[126:127]
	ds_load_2addr_b64 v[106:109], v2 offset0:97 offset1:98
	ds_load_b64 v[114:115], v2 offset:792
	s_wait_loadcnt 0x1
	v_fmac_f64_e32 v[140:141], v[122:123], v[128:129]
	s_wait_dscnt 0x1
	s_delay_alu instid0(VALU_DEP_1) | instskip(SKIP_1) | instid1(VALU_DEP_1)
	v_fmac_f64_e32 v[140:141], v[124:125], v[106:107]
	s_wait_loadcnt 0x0
	v_fmac_f64_e32 v[140:141], v[110:111], v[108:109]
	s_wait_dscnt 0x0
	s_delay_alu instid0(VALU_DEP_1) | instskip(NEXT) | instid1(VALU_DEP_1)
	v_fmac_f64_e32 v[140:141], v[112:113], v[114:115]
	v_add_f64_e64 v[104:105], v[104:105], -v[140:141]
	scratch_store_b64 off, v[104:105], off offset:144
	s_wait_xcnt 0x0
	v_cmpx_lt_u32_e32 17, v0
	s_cbranch_execz .LBB49_275
; %bb.274:
	scratch_load_b64 v[104:105], off, off offset:136
	v_mov_b64_e32 v[106:107], 0
	scratch_store_b64 off, v[106:107], off offset:136
	s_wait_loadcnt 0x0
	ds_store_b64 v1, v[104:105]
.LBB49_275:
	s_wait_xcnt 0x0
	s_or_b32 exec_lo, exec_lo, s0
	s_wait_storecnt_dscnt 0x0
	s_barrier_signal -1
	s_barrier_wait -1
	s_clause 0x5
	scratch_load_b128 v[104:107], off, off offset:136
	scratch_load_b128 v[108:111], off, off offset:152
	;; [unrolled: 1-line block ×6, first 2 shown]
	ds_load_b128 v[128:131], v2 offset:544
	ds_load_b128 v[132:135], v2 offset:560
	scratch_load_b128 v[136:139], off, off offset:232
	s_mov_b32 s0, exec_lo
	s_wait_loadcnt_dscnt 0x601
	v_fma_f64 v[140:141], v[106:107], v[128:129], 0
	s_wait_loadcnt 0x5
	s_delay_alu instid0(VALU_DEP_1) | instskip(SKIP_4) | instid1(VALU_DEP_1)
	v_fmac_f64_e32 v[140:141], v[108:109], v[130:131]
	scratch_load_b128 v[106:109], off, off offset:248
	s_wait_dscnt 0x0
	v_fmac_f64_e32 v[140:141], v[110:111], v[132:133]
	s_wait_loadcnt 0x5
	v_fmac_f64_e32 v[140:141], v[112:113], v[134:135]
	ds_load_b128 v[110:113], v2 offset:576
	ds_load_b128 v[128:131], v2 offset:592
	scratch_load_b128 v[132:135], off, off offset:264
	s_wait_dscnt 0x1
	v_fmac_f64_e32 v[140:141], v[114:115], v[110:111]
	s_wait_loadcnt 0x5
	s_delay_alu instid0(VALU_DEP_1) | instskip(SKIP_4) | instid1(VALU_DEP_1)
	v_fmac_f64_e32 v[140:141], v[116:117], v[112:113]
	scratch_load_b128 v[110:113], off, off offset:280
	s_wait_dscnt 0x0
	v_fmac_f64_e32 v[140:141], v[118:119], v[128:129]
	s_wait_loadcnt 0x5
	v_fmac_f64_e32 v[140:141], v[120:121], v[130:131]
	ds_load_b128 v[114:117], v2 offset:608
	ds_load_b128 v[118:121], v2 offset:624
	scratch_load_b128 v[128:131], off, off offset:296
	s_wait_dscnt 0x1
	v_fmac_f64_e32 v[140:141], v[122:123], v[114:115]
	s_wait_loadcnt 0x5
	s_delay_alu instid0(VALU_DEP_1) | instskip(SKIP_4) | instid1(VALU_DEP_1)
	v_fmac_f64_e32 v[140:141], v[124:125], v[116:117]
	scratch_load_b128 v[114:117], off, off offset:312
	s_wait_dscnt 0x0
	v_fmac_f64_e32 v[140:141], v[126:127], v[118:119]
	s_wait_loadcnt 0x5
	v_fmac_f64_e32 v[140:141], v[136:137], v[120:121]
	ds_load_b128 v[118:121], v2 offset:640
	ds_load_b128 v[122:125], v2 offset:656
	s_wait_dscnt 0x1
	v_fmac_f64_e32 v[140:141], v[138:139], v[118:119]
	s_wait_loadcnt 0x4
	s_delay_alu instid0(VALU_DEP_1)
	v_fmac_f64_e32 v[140:141], v[106:107], v[120:121]
	scratch_load_b128 v[118:121], off, off offset:328
	s_wait_dscnt 0x0
	v_fmac_f64_e32 v[140:141], v[108:109], v[122:123]
	scratch_load_b128 v[106:109], off, off offset:344
	s_wait_loadcnt 0x5
	v_fmac_f64_e32 v[140:141], v[132:133], v[124:125]
	ds_load_b128 v[122:125], v2 offset:672
	ds_load_b128 v[136:139], v2 offset:688
	s_wait_dscnt 0x1
	v_fmac_f64_e32 v[140:141], v[134:135], v[122:123]
	s_wait_loadcnt 0x4
	s_delay_alu instid0(VALU_DEP_1)
	v_fmac_f64_e32 v[140:141], v[110:111], v[124:125]
	scratch_load_b128 v[122:125], off, off offset:360
	s_wait_dscnt 0x0
	v_fmac_f64_e32 v[140:141], v[112:113], v[136:137]
	scratch_load_b128 v[110:113], off, off offset:376
	s_wait_loadcnt 0x5
	v_fmac_f64_e32 v[140:141], v[128:129], v[138:139]
	ds_load_b128 v[126:129], v2 offset:704
	ds_load_b128 v[132:135], v2 offset:720
	s_wait_dscnt 0x1
	v_fmac_f64_e32 v[140:141], v[130:131], v[126:127]
	scratch_load_b64 v[130:131], off, off offset:392
	s_wait_loadcnt 0x5
	v_fmac_f64_e32 v[140:141], v[114:115], v[128:129]
	s_wait_dscnt 0x0
	s_delay_alu instid0(VALU_DEP_1)
	v_fmac_f64_e32 v[140:141], v[116:117], v[132:133]
	ds_load_b128 v[114:117], v2 offset:736
	ds_load_b128 v[126:129], v2 offset:752
	s_wait_loadcnt 0x4
	v_fmac_f64_e32 v[140:141], v[118:119], v[134:135]
	s_wait_dscnt 0x1
	s_delay_alu instid0(VALU_DEP_1) | instskip(SKIP_1) | instid1(VALU_DEP_1)
	v_fmac_f64_e32 v[140:141], v[120:121], v[114:115]
	s_wait_loadcnt 0x3
	v_fmac_f64_e32 v[140:141], v[106:107], v[116:117]
	s_wait_dscnt 0x0
	s_delay_alu instid0(VALU_DEP_1)
	v_fmac_f64_e32 v[140:141], v[108:109], v[126:127]
	ds_load_b128 v[106:109], v2 offset:768
	ds_load_b128 v[114:117], v2 offset:784
	s_wait_loadcnt 0x2
	v_fmac_f64_e32 v[140:141], v[122:123], v[128:129]
	s_wait_dscnt 0x1
	s_delay_alu instid0(VALU_DEP_1) | instskip(SKIP_1) | instid1(VALU_DEP_1)
	v_fmac_f64_e32 v[140:141], v[124:125], v[106:107]
	s_wait_loadcnt 0x1
	v_fmac_f64_e32 v[140:141], v[110:111], v[108:109]
	s_wait_dscnt 0x0
	s_delay_alu instid0(VALU_DEP_1) | instskip(SKIP_1) | instid1(VALU_DEP_1)
	v_fmac_f64_e32 v[140:141], v[112:113], v[114:115]
	s_wait_loadcnt 0x0
	v_fmac_f64_e32 v[140:141], v[130:131], v[116:117]
	s_delay_alu instid0(VALU_DEP_1)
	v_add_f64_e64 v[2:3], v[104:105], -v[140:141]
	scratch_store_b64 off, v[2:3], off offset:136
	s_wait_xcnt 0x0
	v_cmpx_lt_u32_e32 16, v0
	s_cbranch_execz .LBB49_277
; %bb.276:
	scratch_load_b64 v[2:3], off, off offset:128
	v_mov_b64_e32 v[104:105], 0
	scratch_store_b64 off, v[104:105], off offset:128
	s_wait_loadcnt 0x0
	ds_store_b64 v1, v[2:3]
.LBB49_277:
	s_wait_xcnt 0x0
	s_or_b32 exec_lo, exec_lo, s0
	s_wait_storecnt_dscnt 0x0
	s_barrier_signal -1
	s_barrier_wait -1
	s_clause 0x5
	scratch_load_b128 v[104:107], off, off offset:128
	scratch_load_b128 v[108:111], off, off offset:144
	scratch_load_b128 v[112:115], off, off offset:160
	scratch_load_b128 v[116:119], off, off offset:176
	scratch_load_b128 v[120:123], off, off offset:192
	scratch_load_b128 v[124:127], off, off offset:208
	v_mov_b32_e32 v2, 0
	ds_load_2addr_b64 v[128:131], v2 offset0:67 offset1:68
	ds_load_2addr_b64 v[132:135], v2 offset0:69 offset1:70
	scratch_load_b128 v[136:139], off, off offset:224
	s_mov_b32 s0, exec_lo
	s_wait_loadcnt_dscnt 0x601
	v_fma_f64 v[140:141], v[106:107], v[128:129], 0
	s_wait_loadcnt 0x5
	s_delay_alu instid0(VALU_DEP_1) | instskip(SKIP_4) | instid1(VALU_DEP_1)
	v_fmac_f64_e32 v[140:141], v[108:109], v[130:131]
	scratch_load_b128 v[106:109], off, off offset:240
	s_wait_dscnt 0x0
	v_fmac_f64_e32 v[140:141], v[110:111], v[132:133]
	s_wait_loadcnt 0x5
	v_fmac_f64_e32 v[140:141], v[112:113], v[134:135]
	ds_load_2addr_b64 v[110:113], v2 offset0:71 offset1:72
	ds_load_2addr_b64 v[128:131], v2 offset0:73 offset1:74
	scratch_load_b128 v[132:135], off, off offset:256
	s_wait_dscnt 0x1
	v_fmac_f64_e32 v[140:141], v[114:115], v[110:111]
	s_wait_loadcnt 0x5
	s_delay_alu instid0(VALU_DEP_1) | instskip(SKIP_4) | instid1(VALU_DEP_1)
	v_fmac_f64_e32 v[140:141], v[116:117], v[112:113]
	scratch_load_b128 v[110:113], off, off offset:272
	s_wait_dscnt 0x0
	v_fmac_f64_e32 v[140:141], v[118:119], v[128:129]
	s_wait_loadcnt 0x5
	v_fmac_f64_e32 v[140:141], v[120:121], v[130:131]
	ds_load_2addr_b64 v[114:117], v2 offset0:75 offset1:76
	ds_load_2addr_b64 v[118:121], v2 offset0:77 offset1:78
	scratch_load_b128 v[128:131], off, off offset:288
	s_wait_dscnt 0x1
	v_fmac_f64_e32 v[140:141], v[122:123], v[114:115]
	s_wait_loadcnt 0x5
	s_delay_alu instid0(VALU_DEP_1) | instskip(SKIP_4) | instid1(VALU_DEP_1)
	v_fmac_f64_e32 v[140:141], v[124:125], v[116:117]
	scratch_load_b128 v[114:117], off, off offset:304
	s_wait_dscnt 0x0
	v_fmac_f64_e32 v[140:141], v[126:127], v[118:119]
	s_wait_loadcnt 0x5
	v_fmac_f64_e32 v[140:141], v[136:137], v[120:121]
	ds_load_2addr_b64 v[118:121], v2 offset0:79 offset1:80
	ds_load_2addr_b64 v[122:125], v2 offset0:81 offset1:82
	s_wait_dscnt 0x1
	v_fmac_f64_e32 v[140:141], v[138:139], v[118:119]
	s_wait_loadcnt 0x4
	s_delay_alu instid0(VALU_DEP_1)
	v_fmac_f64_e32 v[140:141], v[106:107], v[120:121]
	scratch_load_b128 v[118:121], off, off offset:320
	s_wait_dscnt 0x0
	v_fmac_f64_e32 v[140:141], v[108:109], v[122:123]
	scratch_load_b128 v[106:109], off, off offset:336
	s_wait_loadcnt 0x5
	v_fmac_f64_e32 v[140:141], v[132:133], v[124:125]
	ds_load_2addr_b64 v[122:125], v2 offset0:83 offset1:84
	ds_load_2addr_b64 v[136:139], v2 offset0:85 offset1:86
	s_wait_dscnt 0x1
	v_fmac_f64_e32 v[140:141], v[134:135], v[122:123]
	s_wait_loadcnt 0x4
	s_delay_alu instid0(VALU_DEP_1)
	v_fmac_f64_e32 v[140:141], v[110:111], v[124:125]
	scratch_load_b128 v[122:125], off, off offset:352
	s_wait_dscnt 0x0
	v_fmac_f64_e32 v[140:141], v[112:113], v[136:137]
	scratch_load_b128 v[110:113], off, off offset:368
	s_wait_loadcnt 0x5
	v_fmac_f64_e32 v[140:141], v[128:129], v[138:139]
	ds_load_2addr_b64 v[126:129], v2 offset0:87 offset1:88
	ds_load_2addr_b64 v[132:135], v2 offset0:89 offset1:90
	s_wait_dscnt 0x1
	v_fmac_f64_e32 v[140:141], v[130:131], v[126:127]
	s_wait_loadcnt 0x4
	s_delay_alu instid0(VALU_DEP_1)
	v_fmac_f64_e32 v[140:141], v[114:115], v[128:129]
	scratch_load_b128 v[126:129], off, off offset:384
	s_wait_dscnt 0x0
	v_fmac_f64_e32 v[140:141], v[116:117], v[132:133]
	ds_load_2addr_b64 v[114:117], v2 offset0:91 offset1:92
	ds_load_2addr_b64 v[130:133], v2 offset0:93 offset1:94
	s_wait_loadcnt 0x4
	v_fmac_f64_e32 v[140:141], v[118:119], v[134:135]
	s_wait_dscnt 0x1
	s_delay_alu instid0(VALU_DEP_1) | instskip(SKIP_1) | instid1(VALU_DEP_1)
	v_fmac_f64_e32 v[140:141], v[120:121], v[114:115]
	s_wait_loadcnt 0x3
	v_fmac_f64_e32 v[140:141], v[106:107], v[116:117]
	s_wait_dscnt 0x0
	s_delay_alu instid0(VALU_DEP_1)
	v_fmac_f64_e32 v[140:141], v[108:109], v[130:131]
	ds_load_2addr_b64 v[106:109], v2 offset0:95 offset1:96
	ds_load_2addr_b64 v[114:117], v2 offset0:97 offset1:98
	s_wait_loadcnt 0x2
	v_fmac_f64_e32 v[140:141], v[122:123], v[132:133]
	s_wait_dscnt 0x1
	s_delay_alu instid0(VALU_DEP_1) | instskip(SKIP_4) | instid1(VALU_DEP_1)
	v_fmac_f64_e32 v[140:141], v[124:125], v[106:107]
	ds_load_b64 v[106:107], v2 offset:792
	s_wait_loadcnt 0x1
	v_fmac_f64_e32 v[140:141], v[110:111], v[108:109]
	s_wait_dscnt 0x1
	v_fmac_f64_e32 v[140:141], v[112:113], v[114:115]
	s_wait_loadcnt 0x0
	s_delay_alu instid0(VALU_DEP_1) | instskip(SKIP_1) | instid1(VALU_DEP_1)
	v_fmac_f64_e32 v[140:141], v[126:127], v[116:117]
	s_wait_dscnt 0x0
	v_fmac_f64_e32 v[140:141], v[128:129], v[106:107]
	s_delay_alu instid0(VALU_DEP_1)
	v_add_f64_e64 v[104:105], v[104:105], -v[140:141]
	scratch_store_b64 off, v[104:105], off offset:128
	s_wait_xcnt 0x0
	v_cmpx_lt_u32_e32 15, v0
	s_cbranch_execz .LBB49_279
; %bb.278:
	scratch_load_b64 v[104:105], off, off offset:120
	v_mov_b64_e32 v[106:107], 0
	scratch_store_b64 off, v[106:107], off offset:120
	s_wait_loadcnt 0x0
	ds_store_b64 v1, v[104:105]
.LBB49_279:
	s_wait_xcnt 0x0
	s_or_b32 exec_lo, exec_lo, s0
	s_wait_storecnt_dscnt 0x0
	s_barrier_signal -1
	s_barrier_wait -1
	s_clause 0x5
	scratch_load_b128 v[104:107], off, off offset:120
	scratch_load_b128 v[108:111], off, off offset:136
	;; [unrolled: 1-line block ×6, first 2 shown]
	ds_load_b128 v[128:131], v2 offset:528
	ds_load_b128 v[132:135], v2 offset:544
	scratch_load_b128 v[136:139], off, off offset:216
	s_mov_b32 s0, exec_lo
	s_wait_loadcnt_dscnt 0x601
	v_fma_f64 v[140:141], v[106:107], v[128:129], 0
	s_wait_loadcnt 0x5
	s_delay_alu instid0(VALU_DEP_1) | instskip(SKIP_4) | instid1(VALU_DEP_1)
	v_fmac_f64_e32 v[140:141], v[108:109], v[130:131]
	scratch_load_b128 v[106:109], off, off offset:232
	s_wait_dscnt 0x0
	v_fmac_f64_e32 v[140:141], v[110:111], v[132:133]
	s_wait_loadcnt 0x5
	v_fmac_f64_e32 v[140:141], v[112:113], v[134:135]
	ds_load_b128 v[110:113], v2 offset:560
	ds_load_b128 v[128:131], v2 offset:576
	scratch_load_b128 v[132:135], off, off offset:248
	s_wait_dscnt 0x1
	v_fmac_f64_e32 v[140:141], v[114:115], v[110:111]
	s_wait_loadcnt 0x5
	s_delay_alu instid0(VALU_DEP_1) | instskip(SKIP_4) | instid1(VALU_DEP_1)
	v_fmac_f64_e32 v[140:141], v[116:117], v[112:113]
	scratch_load_b128 v[110:113], off, off offset:264
	s_wait_dscnt 0x0
	v_fmac_f64_e32 v[140:141], v[118:119], v[128:129]
	s_wait_loadcnt 0x5
	v_fmac_f64_e32 v[140:141], v[120:121], v[130:131]
	ds_load_b128 v[114:117], v2 offset:592
	ds_load_b128 v[118:121], v2 offset:608
	scratch_load_b128 v[128:131], off, off offset:280
	s_wait_dscnt 0x1
	v_fmac_f64_e32 v[140:141], v[122:123], v[114:115]
	s_wait_loadcnt 0x5
	s_delay_alu instid0(VALU_DEP_1) | instskip(SKIP_4) | instid1(VALU_DEP_1)
	v_fmac_f64_e32 v[140:141], v[124:125], v[116:117]
	scratch_load_b128 v[114:117], off, off offset:296
	s_wait_dscnt 0x0
	v_fmac_f64_e32 v[140:141], v[126:127], v[118:119]
	s_wait_loadcnt 0x5
	v_fmac_f64_e32 v[140:141], v[136:137], v[120:121]
	ds_load_b128 v[118:121], v2 offset:624
	ds_load_b128 v[122:125], v2 offset:640
	s_wait_dscnt 0x1
	v_fmac_f64_e32 v[140:141], v[138:139], v[118:119]
	scratch_load_b128 v[136:139], off, off offset:312
	s_wait_loadcnt 0x5
	v_fmac_f64_e32 v[140:141], v[106:107], v[120:121]
	s_wait_dscnt 0x0
	s_delay_alu instid0(VALU_DEP_1)
	v_fmac_f64_e32 v[140:141], v[108:109], v[122:123]
	scratch_load_b128 v[106:109], off, off offset:328
	s_wait_loadcnt 0x5
	v_fmac_f64_e32 v[140:141], v[132:133], v[124:125]
	ds_load_b128 v[118:121], v2 offset:656
	ds_load_b128 v[122:125], v2 offset:672
	s_wait_dscnt 0x1
	v_fmac_f64_e32 v[140:141], v[134:135], v[118:119]
	s_wait_loadcnt 0x4
	s_delay_alu instid0(VALU_DEP_1)
	v_fmac_f64_e32 v[140:141], v[110:111], v[120:121]
	scratch_load_b128 v[118:121], off, off offset:344
	s_wait_dscnt 0x0
	v_fmac_f64_e32 v[140:141], v[112:113], v[122:123]
	scratch_load_b128 v[110:113], off, off offset:360
	s_wait_loadcnt 0x5
	v_fmac_f64_e32 v[140:141], v[128:129], v[124:125]
	ds_load_b128 v[122:125], v2 offset:688
	ds_load_b128 v[126:129], v2 offset:704
	s_wait_dscnt 0x1
	v_fmac_f64_e32 v[140:141], v[130:131], v[122:123]
	scratch_load_b64 v[130:131], off, off offset:392
	s_wait_loadcnt 0x5
	v_fmac_f64_e32 v[140:141], v[114:115], v[124:125]
	scratch_load_b128 v[122:125], off, off offset:376
	s_wait_dscnt 0x0
	v_fmac_f64_e32 v[140:141], v[116:117], v[126:127]
	s_wait_loadcnt 0x5
	s_delay_alu instid0(VALU_DEP_1)
	v_fmac_f64_e32 v[140:141], v[136:137], v[128:129]
	ds_load_b128 v[114:117], v2 offset:720
	ds_load_b128 v[126:129], v2 offset:736
	s_wait_dscnt 0x1
	v_fmac_f64_e32 v[140:141], v[138:139], v[114:115]
	s_wait_loadcnt 0x4
	s_delay_alu instid0(VALU_DEP_1) | instskip(SKIP_1) | instid1(VALU_DEP_1)
	v_fmac_f64_e32 v[140:141], v[106:107], v[116:117]
	s_wait_dscnt 0x0
	v_fmac_f64_e32 v[140:141], v[108:109], v[126:127]
	ds_load_b128 v[106:109], v2 offset:752
	ds_load_b128 v[114:117], v2 offset:768
	s_wait_loadcnt 0x3
	v_fmac_f64_e32 v[140:141], v[118:119], v[128:129]
	s_wait_dscnt 0x1
	s_delay_alu instid0(VALU_DEP_1) | instskip(SKIP_1) | instid1(VALU_DEP_1)
	v_fmac_f64_e32 v[140:141], v[120:121], v[106:107]
	s_wait_loadcnt 0x2
	v_fmac_f64_e32 v[140:141], v[110:111], v[108:109]
	ds_load_b128 v[106:109], v2 offset:784
	s_wait_dscnt 0x1
	v_fmac_f64_e32 v[140:141], v[112:113], v[114:115]
	s_wait_loadcnt 0x0
	s_delay_alu instid0(VALU_DEP_1) | instskip(SKIP_1) | instid1(VALU_DEP_1)
	v_fmac_f64_e32 v[140:141], v[122:123], v[116:117]
	s_wait_dscnt 0x0
	v_fmac_f64_e32 v[140:141], v[124:125], v[106:107]
	s_delay_alu instid0(VALU_DEP_1) | instskip(NEXT) | instid1(VALU_DEP_1)
	v_fmac_f64_e32 v[140:141], v[130:131], v[108:109]
	v_add_f64_e64 v[2:3], v[104:105], -v[140:141]
	scratch_store_b64 off, v[2:3], off offset:120
	s_wait_xcnt 0x0
	v_cmpx_lt_u32_e32 14, v0
	s_cbranch_execz .LBB49_281
; %bb.280:
	scratch_load_b64 v[2:3], off, off offset:112
	v_mov_b64_e32 v[104:105], 0
	scratch_store_b64 off, v[104:105], off offset:112
	s_wait_loadcnt 0x0
	ds_store_b64 v1, v[2:3]
.LBB49_281:
	s_wait_xcnt 0x0
	s_or_b32 exec_lo, exec_lo, s0
	s_wait_storecnt_dscnt 0x0
	s_barrier_signal -1
	s_barrier_wait -1
	s_clause 0x5
	scratch_load_b128 v[104:107], off, off offset:112
	scratch_load_b128 v[108:111], off, off offset:128
	;; [unrolled: 1-line block ×6, first 2 shown]
	v_mov_b32_e32 v2, 0
	ds_load_2addr_b64 v[128:131], v2 offset0:65 offset1:66
	ds_load_2addr_b64 v[132:135], v2 offset0:67 offset1:68
	scratch_load_b128 v[136:139], off, off offset:208
	s_mov_b32 s0, exec_lo
	s_wait_loadcnt_dscnt 0x601
	v_fma_f64 v[140:141], v[106:107], v[128:129], 0
	s_wait_loadcnt 0x5
	s_delay_alu instid0(VALU_DEP_1) | instskip(SKIP_4) | instid1(VALU_DEP_1)
	v_fmac_f64_e32 v[140:141], v[108:109], v[130:131]
	scratch_load_b128 v[106:109], off, off offset:224
	s_wait_dscnt 0x0
	v_fmac_f64_e32 v[140:141], v[110:111], v[132:133]
	s_wait_loadcnt 0x5
	v_fmac_f64_e32 v[140:141], v[112:113], v[134:135]
	ds_load_2addr_b64 v[110:113], v2 offset0:69 offset1:70
	ds_load_2addr_b64 v[128:131], v2 offset0:71 offset1:72
	scratch_load_b128 v[132:135], off, off offset:240
	s_wait_dscnt 0x1
	v_fmac_f64_e32 v[140:141], v[114:115], v[110:111]
	s_wait_loadcnt 0x5
	s_delay_alu instid0(VALU_DEP_1) | instskip(SKIP_4) | instid1(VALU_DEP_1)
	v_fmac_f64_e32 v[140:141], v[116:117], v[112:113]
	scratch_load_b128 v[110:113], off, off offset:256
	s_wait_dscnt 0x0
	v_fmac_f64_e32 v[140:141], v[118:119], v[128:129]
	s_wait_loadcnt 0x5
	v_fmac_f64_e32 v[140:141], v[120:121], v[130:131]
	ds_load_2addr_b64 v[114:117], v2 offset0:73 offset1:74
	ds_load_2addr_b64 v[118:121], v2 offset0:75 offset1:76
	scratch_load_b128 v[128:131], off, off offset:272
	s_wait_dscnt 0x1
	v_fmac_f64_e32 v[140:141], v[122:123], v[114:115]
	s_wait_loadcnt 0x5
	s_delay_alu instid0(VALU_DEP_1) | instskip(SKIP_4) | instid1(VALU_DEP_1)
	v_fmac_f64_e32 v[140:141], v[124:125], v[116:117]
	scratch_load_b128 v[114:117], off, off offset:288
	s_wait_dscnt 0x0
	v_fmac_f64_e32 v[140:141], v[126:127], v[118:119]
	s_wait_loadcnt 0x5
	v_fmac_f64_e32 v[140:141], v[136:137], v[120:121]
	ds_load_2addr_b64 v[118:121], v2 offset0:77 offset1:78
	ds_load_2addr_b64 v[122:125], v2 offset0:79 offset1:80
	s_wait_dscnt 0x1
	v_fmac_f64_e32 v[140:141], v[138:139], v[118:119]
	scratch_load_b128 v[136:139], off, off offset:304
	s_wait_loadcnt 0x5
	v_fmac_f64_e32 v[140:141], v[106:107], v[120:121]
	s_wait_dscnt 0x0
	s_delay_alu instid0(VALU_DEP_1)
	v_fmac_f64_e32 v[140:141], v[108:109], v[122:123]
	scratch_load_b128 v[106:109], off, off offset:320
	s_wait_loadcnt 0x5
	v_fmac_f64_e32 v[140:141], v[132:133], v[124:125]
	ds_load_2addr_b64 v[118:121], v2 offset0:81 offset1:82
	ds_load_2addr_b64 v[122:125], v2 offset0:83 offset1:84
	s_wait_dscnt 0x1
	v_fmac_f64_e32 v[140:141], v[134:135], v[118:119]
	s_wait_loadcnt 0x4
	s_delay_alu instid0(VALU_DEP_1)
	v_fmac_f64_e32 v[140:141], v[110:111], v[120:121]
	scratch_load_b128 v[118:121], off, off offset:336
	s_wait_dscnt 0x0
	v_fmac_f64_e32 v[140:141], v[112:113], v[122:123]
	scratch_load_b128 v[110:113], off, off offset:352
	s_wait_loadcnt 0x5
	v_fmac_f64_e32 v[140:141], v[128:129], v[124:125]
	ds_load_2addr_b64 v[122:125], v2 offset0:85 offset1:86
	ds_load_2addr_b64 v[126:129], v2 offset0:87 offset1:88
	s_wait_dscnt 0x1
	v_fmac_f64_e32 v[140:141], v[130:131], v[122:123]
	s_wait_loadcnt 0x4
	s_delay_alu instid0(VALU_DEP_1)
	v_fmac_f64_e32 v[140:141], v[114:115], v[124:125]
	scratch_load_b128 v[122:125], off, off offset:368
	s_wait_dscnt 0x0
	v_fmac_f64_e32 v[140:141], v[116:117], v[126:127]
	scratch_load_b128 v[114:117], off, off offset:384
	s_wait_loadcnt 0x5
	v_fmac_f64_e32 v[140:141], v[136:137], v[128:129]
	ds_load_2addr_b64 v[126:129], v2 offset0:89 offset1:90
	ds_load_2addr_b64 v[130:133], v2 offset0:91 offset1:92
	s_wait_dscnt 0x1
	v_fmac_f64_e32 v[140:141], v[138:139], v[126:127]
	s_wait_loadcnt 0x4
	s_delay_alu instid0(VALU_DEP_1) | instskip(SKIP_1) | instid1(VALU_DEP_1)
	v_fmac_f64_e32 v[140:141], v[106:107], v[128:129]
	s_wait_dscnt 0x0
	v_fmac_f64_e32 v[140:141], v[108:109], v[130:131]
	ds_load_2addr_b64 v[106:109], v2 offset0:93 offset1:94
	ds_load_2addr_b64 v[126:129], v2 offset0:95 offset1:96
	s_wait_loadcnt 0x3
	v_fmac_f64_e32 v[140:141], v[118:119], v[132:133]
	s_wait_dscnt 0x1
	s_delay_alu instid0(VALU_DEP_1) | instskip(SKIP_1) | instid1(VALU_DEP_1)
	v_fmac_f64_e32 v[140:141], v[120:121], v[106:107]
	s_wait_loadcnt 0x2
	v_fmac_f64_e32 v[140:141], v[110:111], v[108:109]
	ds_load_2addr_b64 v[106:109], v2 offset0:97 offset1:98
	ds_load_b64 v[110:111], v2 offset:792
	s_wait_dscnt 0x2
	v_fmac_f64_e32 v[140:141], v[112:113], v[126:127]
	s_wait_loadcnt 0x1
	s_delay_alu instid0(VALU_DEP_1) | instskip(SKIP_1) | instid1(VALU_DEP_1)
	v_fmac_f64_e32 v[140:141], v[122:123], v[128:129]
	s_wait_dscnt 0x1
	v_fmac_f64_e32 v[140:141], v[124:125], v[106:107]
	s_wait_loadcnt 0x0
	s_delay_alu instid0(VALU_DEP_1) | instskip(SKIP_1) | instid1(VALU_DEP_1)
	v_fmac_f64_e32 v[140:141], v[114:115], v[108:109]
	s_wait_dscnt 0x0
	v_fmac_f64_e32 v[140:141], v[116:117], v[110:111]
	s_delay_alu instid0(VALU_DEP_1)
	v_add_f64_e64 v[104:105], v[104:105], -v[140:141]
	scratch_store_b64 off, v[104:105], off offset:112
	s_wait_xcnt 0x0
	v_cmpx_lt_u32_e32 13, v0
	s_cbranch_execz .LBB49_283
; %bb.282:
	scratch_load_b64 v[104:105], off, off offset:104
	v_mov_b64_e32 v[106:107], 0
	scratch_store_b64 off, v[106:107], off offset:104
	s_wait_loadcnt 0x0
	ds_store_b64 v1, v[104:105]
.LBB49_283:
	s_wait_xcnt 0x0
	s_or_b32 exec_lo, exec_lo, s0
	s_wait_storecnt_dscnt 0x0
	s_barrier_signal -1
	s_barrier_wait -1
	s_clause 0x5
	scratch_load_b128 v[104:107], off, off offset:104
	scratch_load_b128 v[108:111], off, off offset:120
	;; [unrolled: 1-line block ×6, first 2 shown]
	ds_load_b128 v[128:131], v2 offset:512
	ds_load_b128 v[132:135], v2 offset:528
	scratch_load_b128 v[136:139], off, off offset:200
	s_mov_b32 s0, exec_lo
	s_wait_loadcnt_dscnt 0x601
	v_fma_f64 v[140:141], v[106:107], v[128:129], 0
	s_wait_loadcnt 0x5
	s_delay_alu instid0(VALU_DEP_1) | instskip(SKIP_4) | instid1(VALU_DEP_1)
	v_fmac_f64_e32 v[140:141], v[108:109], v[130:131]
	scratch_load_b128 v[106:109], off, off offset:216
	s_wait_dscnt 0x0
	v_fmac_f64_e32 v[140:141], v[110:111], v[132:133]
	s_wait_loadcnt 0x5
	v_fmac_f64_e32 v[140:141], v[112:113], v[134:135]
	ds_load_b128 v[110:113], v2 offset:544
	ds_load_b128 v[128:131], v2 offset:560
	scratch_load_b128 v[132:135], off, off offset:232
	s_wait_dscnt 0x1
	v_fmac_f64_e32 v[140:141], v[114:115], v[110:111]
	s_wait_loadcnt 0x5
	s_delay_alu instid0(VALU_DEP_1) | instskip(SKIP_4) | instid1(VALU_DEP_1)
	v_fmac_f64_e32 v[140:141], v[116:117], v[112:113]
	scratch_load_b128 v[110:113], off, off offset:248
	s_wait_dscnt 0x0
	v_fmac_f64_e32 v[140:141], v[118:119], v[128:129]
	s_wait_loadcnt 0x5
	v_fmac_f64_e32 v[140:141], v[120:121], v[130:131]
	ds_load_b128 v[114:117], v2 offset:576
	ds_load_b128 v[118:121], v2 offset:592
	scratch_load_b128 v[128:131], off, off offset:264
	s_wait_dscnt 0x1
	v_fmac_f64_e32 v[140:141], v[122:123], v[114:115]
	s_wait_loadcnt 0x5
	s_delay_alu instid0(VALU_DEP_1) | instskip(SKIP_4) | instid1(VALU_DEP_1)
	v_fmac_f64_e32 v[140:141], v[124:125], v[116:117]
	scratch_load_b128 v[114:117], off, off offset:280
	s_wait_dscnt 0x0
	v_fmac_f64_e32 v[140:141], v[126:127], v[118:119]
	s_wait_loadcnt 0x5
	v_fmac_f64_e32 v[140:141], v[136:137], v[120:121]
	ds_load_b128 v[118:121], v2 offset:608
	ds_load_b128 v[122:125], v2 offset:624
	s_wait_dscnt 0x1
	v_fmac_f64_e32 v[140:141], v[138:139], v[118:119]
	scratch_load_b128 v[136:139], off, off offset:296
	s_wait_loadcnt 0x5
	v_fmac_f64_e32 v[140:141], v[106:107], v[120:121]
	s_wait_dscnt 0x0
	s_delay_alu instid0(VALU_DEP_1)
	v_fmac_f64_e32 v[140:141], v[108:109], v[122:123]
	scratch_load_b128 v[106:109], off, off offset:312
	s_wait_loadcnt 0x5
	v_fmac_f64_e32 v[140:141], v[132:133], v[124:125]
	ds_load_b128 v[118:121], v2 offset:640
	ds_load_b128 v[122:125], v2 offset:656
	s_wait_dscnt 0x1
	v_fmac_f64_e32 v[140:141], v[134:135], v[118:119]
	s_wait_loadcnt 0x4
	s_delay_alu instid0(VALU_DEP_1)
	v_fmac_f64_e32 v[140:141], v[110:111], v[120:121]
	scratch_load_b128 v[118:121], off, off offset:328
	s_wait_dscnt 0x0
	v_fmac_f64_e32 v[140:141], v[112:113], v[122:123]
	scratch_load_b128 v[110:113], off, off offset:344
	s_wait_loadcnt 0x5
	v_fmac_f64_e32 v[140:141], v[128:129], v[124:125]
	ds_load_b128 v[122:125], v2 offset:672
	ds_load_b128 v[126:129], v2 offset:688
	s_wait_dscnt 0x1
	v_fmac_f64_e32 v[140:141], v[130:131], v[122:123]
	s_wait_loadcnt 0x4
	s_delay_alu instid0(VALU_DEP_1)
	v_fmac_f64_e32 v[140:141], v[114:115], v[124:125]
	scratch_load_b128 v[122:125], off, off offset:360
	s_wait_dscnt 0x0
	v_fmac_f64_e32 v[140:141], v[116:117], v[126:127]
	scratch_load_b128 v[114:117], off, off offset:376
	s_wait_loadcnt 0x5
	v_fmac_f64_e32 v[140:141], v[136:137], v[128:129]
	ds_load_b128 v[126:129], v2 offset:704
	ds_load_b128 v[130:133], v2 offset:720
	scratch_load_b64 v[134:135], off, off offset:392
	s_wait_dscnt 0x1
	v_fmac_f64_e32 v[140:141], v[138:139], v[126:127]
	s_wait_loadcnt 0x5
	s_delay_alu instid0(VALU_DEP_1) | instskip(SKIP_1) | instid1(VALU_DEP_1)
	v_fmac_f64_e32 v[140:141], v[106:107], v[128:129]
	s_wait_dscnt 0x0
	v_fmac_f64_e32 v[140:141], v[108:109], v[130:131]
	ds_load_b128 v[106:109], v2 offset:736
	ds_load_b128 v[126:129], v2 offset:752
	s_wait_loadcnt 0x4
	v_fmac_f64_e32 v[140:141], v[118:119], v[132:133]
	s_wait_dscnt 0x1
	s_delay_alu instid0(VALU_DEP_1) | instskip(SKIP_1) | instid1(VALU_DEP_1)
	v_fmac_f64_e32 v[140:141], v[120:121], v[106:107]
	s_wait_loadcnt 0x3
	v_fmac_f64_e32 v[140:141], v[110:111], v[108:109]
	s_wait_dscnt 0x0
	s_delay_alu instid0(VALU_DEP_1)
	v_fmac_f64_e32 v[140:141], v[112:113], v[126:127]
	ds_load_b128 v[106:109], v2 offset:768
	ds_load_b128 v[110:113], v2 offset:784
	s_wait_loadcnt 0x2
	v_fmac_f64_e32 v[140:141], v[122:123], v[128:129]
	s_wait_dscnt 0x1
	s_delay_alu instid0(VALU_DEP_1) | instskip(SKIP_1) | instid1(VALU_DEP_1)
	v_fmac_f64_e32 v[140:141], v[124:125], v[106:107]
	s_wait_loadcnt 0x1
	v_fmac_f64_e32 v[140:141], v[114:115], v[108:109]
	s_wait_dscnt 0x0
	s_delay_alu instid0(VALU_DEP_1) | instskip(SKIP_1) | instid1(VALU_DEP_1)
	v_fmac_f64_e32 v[140:141], v[116:117], v[110:111]
	s_wait_loadcnt 0x0
	v_fmac_f64_e32 v[140:141], v[134:135], v[112:113]
	s_delay_alu instid0(VALU_DEP_1)
	v_add_f64_e64 v[2:3], v[104:105], -v[140:141]
	scratch_store_b64 off, v[2:3], off offset:104
	s_wait_xcnt 0x0
	v_cmpx_lt_u32_e32 12, v0
	s_cbranch_execz .LBB49_285
; %bb.284:
	scratch_load_b64 v[2:3], off, off offset:96
	v_mov_b64_e32 v[104:105], 0
	scratch_store_b64 off, v[104:105], off offset:96
	s_wait_loadcnt 0x0
	ds_store_b64 v1, v[2:3]
.LBB49_285:
	s_wait_xcnt 0x0
	s_or_b32 exec_lo, exec_lo, s0
	s_wait_storecnt_dscnt 0x0
	s_barrier_signal -1
	s_barrier_wait -1
	s_clause 0x5
	scratch_load_b128 v[104:107], off, off offset:96
	scratch_load_b128 v[108:111], off, off offset:112
	;; [unrolled: 1-line block ×6, first 2 shown]
	v_mov_b32_e32 v2, 0
	ds_load_2addr_b64 v[128:131], v2 offset0:63 offset1:64
	ds_load_2addr_b64 v[132:135], v2 offset0:65 offset1:66
	scratch_load_b128 v[136:139], off, off offset:192
	s_mov_b32 s0, exec_lo
	s_wait_loadcnt_dscnt 0x601
	v_fma_f64 v[140:141], v[106:107], v[128:129], 0
	s_wait_loadcnt 0x5
	s_delay_alu instid0(VALU_DEP_1) | instskip(SKIP_4) | instid1(VALU_DEP_1)
	v_fmac_f64_e32 v[140:141], v[108:109], v[130:131]
	scratch_load_b128 v[106:109], off, off offset:208
	s_wait_dscnt 0x0
	v_fmac_f64_e32 v[140:141], v[110:111], v[132:133]
	s_wait_loadcnt 0x5
	v_fmac_f64_e32 v[140:141], v[112:113], v[134:135]
	ds_load_2addr_b64 v[110:113], v2 offset0:67 offset1:68
	ds_load_2addr_b64 v[128:131], v2 offset0:69 offset1:70
	scratch_load_b128 v[132:135], off, off offset:224
	s_wait_dscnt 0x1
	v_fmac_f64_e32 v[140:141], v[114:115], v[110:111]
	s_wait_loadcnt 0x5
	s_delay_alu instid0(VALU_DEP_1) | instskip(SKIP_4) | instid1(VALU_DEP_1)
	v_fmac_f64_e32 v[140:141], v[116:117], v[112:113]
	scratch_load_b128 v[110:113], off, off offset:240
	s_wait_dscnt 0x0
	v_fmac_f64_e32 v[140:141], v[118:119], v[128:129]
	s_wait_loadcnt 0x5
	v_fmac_f64_e32 v[140:141], v[120:121], v[130:131]
	ds_load_2addr_b64 v[114:117], v2 offset0:71 offset1:72
	ds_load_2addr_b64 v[118:121], v2 offset0:73 offset1:74
	scratch_load_b128 v[128:131], off, off offset:256
	s_wait_dscnt 0x1
	v_fmac_f64_e32 v[140:141], v[122:123], v[114:115]
	s_wait_loadcnt 0x5
	s_delay_alu instid0(VALU_DEP_1) | instskip(SKIP_4) | instid1(VALU_DEP_1)
	v_fmac_f64_e32 v[140:141], v[124:125], v[116:117]
	scratch_load_b128 v[114:117], off, off offset:272
	s_wait_dscnt 0x0
	v_fmac_f64_e32 v[140:141], v[126:127], v[118:119]
	s_wait_loadcnt 0x5
	v_fmac_f64_e32 v[140:141], v[136:137], v[120:121]
	ds_load_2addr_b64 v[118:121], v2 offset0:75 offset1:76
	ds_load_2addr_b64 v[122:125], v2 offset0:77 offset1:78
	s_wait_dscnt 0x1
	v_fmac_f64_e32 v[140:141], v[138:139], v[118:119]
	scratch_load_b128 v[136:139], off, off offset:288
	s_wait_loadcnt 0x5
	v_fmac_f64_e32 v[140:141], v[106:107], v[120:121]
	s_wait_dscnt 0x0
	s_delay_alu instid0(VALU_DEP_1)
	v_fmac_f64_e32 v[140:141], v[108:109], v[122:123]
	scratch_load_b128 v[106:109], off, off offset:304
	s_wait_loadcnt 0x5
	v_fmac_f64_e32 v[140:141], v[132:133], v[124:125]
	ds_load_2addr_b64 v[118:121], v2 offset0:79 offset1:80
	ds_load_2addr_b64 v[122:125], v2 offset0:81 offset1:82
	s_wait_dscnt 0x1
	v_fmac_f64_e32 v[140:141], v[134:135], v[118:119]
	s_wait_loadcnt 0x4
	s_delay_alu instid0(VALU_DEP_1)
	v_fmac_f64_e32 v[140:141], v[110:111], v[120:121]
	scratch_load_b128 v[118:121], off, off offset:320
	s_wait_dscnt 0x0
	v_fmac_f64_e32 v[140:141], v[112:113], v[122:123]
	scratch_load_b128 v[110:113], off, off offset:336
	s_wait_loadcnt 0x5
	v_fmac_f64_e32 v[140:141], v[128:129], v[124:125]
	ds_load_2addr_b64 v[122:125], v2 offset0:83 offset1:84
	ds_load_2addr_b64 v[126:129], v2 offset0:85 offset1:86
	s_wait_dscnt 0x1
	v_fmac_f64_e32 v[140:141], v[130:131], v[122:123]
	s_wait_loadcnt 0x4
	s_delay_alu instid0(VALU_DEP_1)
	v_fmac_f64_e32 v[140:141], v[114:115], v[124:125]
	scratch_load_b128 v[122:125], off, off offset:352
	s_wait_dscnt 0x0
	v_fmac_f64_e32 v[140:141], v[116:117], v[126:127]
	scratch_load_b128 v[114:117], off, off offset:368
	s_wait_loadcnt 0x5
	v_fmac_f64_e32 v[140:141], v[136:137], v[128:129]
	ds_load_2addr_b64 v[126:129], v2 offset0:87 offset1:88
	ds_load_2addr_b64 v[130:133], v2 offset0:89 offset1:90
	s_wait_dscnt 0x1
	v_fmac_f64_e32 v[140:141], v[138:139], v[126:127]
	s_wait_loadcnt 0x4
	s_delay_alu instid0(VALU_DEP_1) | instskip(SKIP_4) | instid1(VALU_DEP_1)
	v_fmac_f64_e32 v[140:141], v[106:107], v[128:129]
	scratch_load_b128 v[126:129], off, off offset:384
	s_wait_dscnt 0x0
	v_fmac_f64_e32 v[140:141], v[108:109], v[130:131]
	s_wait_loadcnt 0x4
	v_fmac_f64_e32 v[140:141], v[118:119], v[132:133]
	ds_load_2addr_b64 v[106:109], v2 offset0:91 offset1:92
	ds_load_2addr_b64 v[130:133], v2 offset0:93 offset1:94
	s_wait_dscnt 0x1
	v_fmac_f64_e32 v[140:141], v[120:121], v[106:107]
	s_wait_loadcnt 0x3
	s_delay_alu instid0(VALU_DEP_1) | instskip(SKIP_1) | instid1(VALU_DEP_1)
	v_fmac_f64_e32 v[140:141], v[110:111], v[108:109]
	s_wait_dscnt 0x0
	v_fmac_f64_e32 v[140:141], v[112:113], v[130:131]
	ds_load_2addr_b64 v[106:109], v2 offset0:95 offset1:96
	ds_load_2addr_b64 v[110:113], v2 offset0:97 offset1:98
	s_wait_loadcnt 0x2
	v_fmac_f64_e32 v[140:141], v[122:123], v[132:133]
	s_wait_dscnt 0x1
	s_delay_alu instid0(VALU_DEP_1) | instskip(SKIP_4) | instid1(VALU_DEP_1)
	v_fmac_f64_e32 v[140:141], v[124:125], v[106:107]
	ds_load_b64 v[106:107], v2 offset:792
	s_wait_loadcnt 0x1
	v_fmac_f64_e32 v[140:141], v[114:115], v[108:109]
	s_wait_dscnt 0x1
	v_fmac_f64_e32 v[140:141], v[116:117], v[110:111]
	s_wait_loadcnt 0x0
	s_delay_alu instid0(VALU_DEP_1) | instskip(SKIP_1) | instid1(VALU_DEP_1)
	v_fmac_f64_e32 v[140:141], v[126:127], v[112:113]
	s_wait_dscnt 0x0
	v_fmac_f64_e32 v[140:141], v[128:129], v[106:107]
	s_delay_alu instid0(VALU_DEP_1)
	v_add_f64_e64 v[104:105], v[104:105], -v[140:141]
	scratch_store_b64 off, v[104:105], off offset:96
	s_wait_xcnt 0x0
	v_cmpx_lt_u32_e32 11, v0
	s_cbranch_execz .LBB49_287
; %bb.286:
	scratch_load_b64 v[104:105], off, off offset:88
	v_mov_b64_e32 v[106:107], 0
	scratch_store_b64 off, v[106:107], off offset:88
	s_wait_loadcnt 0x0
	ds_store_b64 v1, v[104:105]
.LBB49_287:
	s_wait_xcnt 0x0
	s_or_b32 exec_lo, exec_lo, s0
	s_wait_storecnt_dscnt 0x0
	s_barrier_signal -1
	s_barrier_wait -1
	s_clause 0x5
	scratch_load_b128 v[104:107], off, off offset:88
	scratch_load_b128 v[108:111], off, off offset:104
	;; [unrolled: 1-line block ×6, first 2 shown]
	ds_load_b128 v[128:131], v2 offset:496
	ds_load_b128 v[132:135], v2 offset:512
	scratch_load_b128 v[136:139], off, off offset:184
	s_mov_b32 s0, exec_lo
	s_wait_loadcnt_dscnt 0x601
	v_fma_f64 v[140:141], v[106:107], v[128:129], 0
	s_wait_loadcnt 0x5
	s_delay_alu instid0(VALU_DEP_1) | instskip(SKIP_4) | instid1(VALU_DEP_1)
	v_fmac_f64_e32 v[140:141], v[108:109], v[130:131]
	scratch_load_b128 v[106:109], off, off offset:200
	s_wait_dscnt 0x0
	v_fmac_f64_e32 v[140:141], v[110:111], v[132:133]
	s_wait_loadcnt 0x5
	v_fmac_f64_e32 v[140:141], v[112:113], v[134:135]
	ds_load_b128 v[110:113], v2 offset:528
	ds_load_b128 v[128:131], v2 offset:544
	scratch_load_b128 v[132:135], off, off offset:216
	s_wait_dscnt 0x1
	v_fmac_f64_e32 v[140:141], v[114:115], v[110:111]
	s_wait_loadcnt 0x5
	s_delay_alu instid0(VALU_DEP_1) | instskip(SKIP_4) | instid1(VALU_DEP_1)
	v_fmac_f64_e32 v[140:141], v[116:117], v[112:113]
	scratch_load_b128 v[110:113], off, off offset:232
	s_wait_dscnt 0x0
	v_fmac_f64_e32 v[140:141], v[118:119], v[128:129]
	s_wait_loadcnt 0x5
	v_fmac_f64_e32 v[140:141], v[120:121], v[130:131]
	ds_load_b128 v[114:117], v2 offset:560
	ds_load_b128 v[118:121], v2 offset:576
	scratch_load_b128 v[128:131], off, off offset:248
	s_wait_dscnt 0x1
	v_fmac_f64_e32 v[140:141], v[122:123], v[114:115]
	s_wait_loadcnt 0x5
	s_delay_alu instid0(VALU_DEP_1) | instskip(SKIP_4) | instid1(VALU_DEP_1)
	v_fmac_f64_e32 v[140:141], v[124:125], v[116:117]
	scratch_load_b128 v[114:117], off, off offset:264
	s_wait_dscnt 0x0
	v_fmac_f64_e32 v[140:141], v[126:127], v[118:119]
	s_wait_loadcnt 0x5
	v_fmac_f64_e32 v[140:141], v[136:137], v[120:121]
	ds_load_b128 v[118:121], v2 offset:592
	ds_load_b128 v[122:125], v2 offset:608
	s_wait_dscnt 0x1
	v_fmac_f64_e32 v[140:141], v[138:139], v[118:119]
	scratch_load_b128 v[136:139], off, off offset:280
	s_wait_loadcnt 0x5
	v_fmac_f64_e32 v[140:141], v[106:107], v[120:121]
	s_wait_dscnt 0x0
	s_delay_alu instid0(VALU_DEP_1)
	v_fmac_f64_e32 v[140:141], v[108:109], v[122:123]
	scratch_load_b128 v[106:109], off, off offset:296
	s_wait_loadcnt 0x5
	v_fmac_f64_e32 v[140:141], v[132:133], v[124:125]
	ds_load_b128 v[118:121], v2 offset:624
	ds_load_b128 v[122:125], v2 offset:640
	s_wait_dscnt 0x1
	v_fmac_f64_e32 v[140:141], v[134:135], v[118:119]
	scratch_load_b128 v[132:135], off, off offset:312
	s_wait_loadcnt 0x5
	v_fmac_f64_e32 v[140:141], v[110:111], v[120:121]
	s_wait_dscnt 0x0
	s_delay_alu instid0(VALU_DEP_1)
	v_fmac_f64_e32 v[140:141], v[112:113], v[122:123]
	scratch_load_b128 v[110:113], off, off offset:328
	s_wait_loadcnt 0x5
	v_fmac_f64_e32 v[140:141], v[128:129], v[124:125]
	ds_load_b128 v[118:121], v2 offset:656
	ds_load_b128 v[122:125], v2 offset:672
	s_wait_dscnt 0x1
	v_fmac_f64_e32 v[140:141], v[130:131], v[118:119]
	s_wait_loadcnt 0x4
	s_delay_alu instid0(VALU_DEP_1)
	v_fmac_f64_e32 v[140:141], v[114:115], v[120:121]
	scratch_load_b128 v[118:121], off, off offset:344
	s_wait_dscnt 0x0
	v_fmac_f64_e32 v[140:141], v[116:117], v[122:123]
	scratch_load_b128 v[114:117], off, off offset:360
	s_wait_loadcnt 0x5
	v_fmac_f64_e32 v[140:141], v[136:137], v[124:125]
	ds_load_b128 v[122:125], v2 offset:688
	ds_load_b128 v[126:129], v2 offset:704
	scratch_load_b64 v[130:131], off, off offset:392
	s_wait_dscnt 0x1
	v_fmac_f64_e32 v[140:141], v[138:139], v[122:123]
	s_wait_loadcnt 0x5
	s_delay_alu instid0(VALU_DEP_1) | instskip(SKIP_4) | instid1(VALU_DEP_1)
	v_fmac_f64_e32 v[140:141], v[106:107], v[124:125]
	scratch_load_b128 v[122:125], off, off offset:376
	s_wait_dscnt 0x0
	v_fmac_f64_e32 v[140:141], v[108:109], v[126:127]
	s_wait_loadcnt 0x5
	v_fmac_f64_e32 v[140:141], v[132:133], v[128:129]
	ds_load_b128 v[106:109], v2 offset:720
	ds_load_b128 v[126:129], v2 offset:736
	s_wait_dscnt 0x1
	v_fmac_f64_e32 v[140:141], v[134:135], v[106:107]
	s_wait_loadcnt 0x4
	s_delay_alu instid0(VALU_DEP_1) | instskip(SKIP_1) | instid1(VALU_DEP_1)
	v_fmac_f64_e32 v[140:141], v[110:111], v[108:109]
	s_wait_dscnt 0x0
	v_fmac_f64_e32 v[140:141], v[112:113], v[126:127]
	ds_load_b128 v[106:109], v2 offset:752
	ds_load_b128 v[110:113], v2 offset:768
	s_wait_loadcnt 0x3
	v_fmac_f64_e32 v[140:141], v[118:119], v[128:129]
	s_wait_dscnt 0x1
	s_delay_alu instid0(VALU_DEP_1) | instskip(SKIP_1) | instid1(VALU_DEP_1)
	v_fmac_f64_e32 v[140:141], v[120:121], v[106:107]
	s_wait_loadcnt 0x2
	v_fmac_f64_e32 v[140:141], v[114:115], v[108:109]
	ds_load_b128 v[106:109], v2 offset:784
	s_wait_dscnt 0x1
	v_fmac_f64_e32 v[140:141], v[116:117], v[110:111]
	s_wait_loadcnt 0x0
	s_delay_alu instid0(VALU_DEP_1) | instskip(SKIP_1) | instid1(VALU_DEP_1)
	v_fmac_f64_e32 v[140:141], v[122:123], v[112:113]
	s_wait_dscnt 0x0
	v_fmac_f64_e32 v[140:141], v[124:125], v[106:107]
	s_delay_alu instid0(VALU_DEP_1) | instskip(NEXT) | instid1(VALU_DEP_1)
	v_fmac_f64_e32 v[140:141], v[130:131], v[108:109]
	v_add_f64_e64 v[2:3], v[104:105], -v[140:141]
	scratch_store_b64 off, v[2:3], off offset:88
	s_wait_xcnt 0x0
	v_cmpx_lt_u32_e32 10, v0
	s_cbranch_execz .LBB49_289
; %bb.288:
	scratch_load_b64 v[2:3], off, off offset:80
	v_mov_b64_e32 v[104:105], 0
	scratch_store_b64 off, v[104:105], off offset:80
	s_wait_loadcnt 0x0
	ds_store_b64 v1, v[2:3]
.LBB49_289:
	s_wait_xcnt 0x0
	s_or_b32 exec_lo, exec_lo, s0
	s_wait_storecnt_dscnt 0x0
	s_barrier_signal -1
	s_barrier_wait -1
	s_clause 0x5
	scratch_load_b128 v[104:107], off, off offset:80
	scratch_load_b128 v[108:111], off, off offset:96
	;; [unrolled: 1-line block ×6, first 2 shown]
	v_mov_b32_e32 v2, 0
	ds_load_2addr_b64 v[128:131], v2 offset0:61 offset1:62
	ds_load_2addr_b64 v[132:135], v2 offset0:63 offset1:64
	scratch_load_b128 v[136:139], off, off offset:176
	s_mov_b32 s0, exec_lo
	s_wait_loadcnt_dscnt 0x601
	v_fma_f64 v[140:141], v[106:107], v[128:129], 0
	s_wait_loadcnt 0x5
	s_delay_alu instid0(VALU_DEP_1) | instskip(SKIP_4) | instid1(VALU_DEP_1)
	v_fmac_f64_e32 v[140:141], v[108:109], v[130:131]
	scratch_load_b128 v[106:109], off, off offset:192
	s_wait_dscnt 0x0
	v_fmac_f64_e32 v[140:141], v[110:111], v[132:133]
	s_wait_loadcnt 0x5
	v_fmac_f64_e32 v[140:141], v[112:113], v[134:135]
	ds_load_2addr_b64 v[110:113], v2 offset0:65 offset1:66
	ds_load_2addr_b64 v[128:131], v2 offset0:67 offset1:68
	scratch_load_b128 v[132:135], off, off offset:208
	s_wait_dscnt 0x1
	v_fmac_f64_e32 v[140:141], v[114:115], v[110:111]
	s_wait_loadcnt 0x5
	s_delay_alu instid0(VALU_DEP_1) | instskip(SKIP_4) | instid1(VALU_DEP_1)
	v_fmac_f64_e32 v[140:141], v[116:117], v[112:113]
	scratch_load_b128 v[110:113], off, off offset:224
	s_wait_dscnt 0x0
	v_fmac_f64_e32 v[140:141], v[118:119], v[128:129]
	s_wait_loadcnt 0x5
	v_fmac_f64_e32 v[140:141], v[120:121], v[130:131]
	ds_load_2addr_b64 v[114:117], v2 offset0:69 offset1:70
	ds_load_2addr_b64 v[118:121], v2 offset0:71 offset1:72
	scratch_load_b128 v[128:131], off, off offset:240
	s_wait_dscnt 0x1
	v_fmac_f64_e32 v[140:141], v[122:123], v[114:115]
	s_wait_loadcnt 0x5
	s_delay_alu instid0(VALU_DEP_1) | instskip(SKIP_4) | instid1(VALU_DEP_1)
	v_fmac_f64_e32 v[140:141], v[124:125], v[116:117]
	scratch_load_b128 v[114:117], off, off offset:256
	s_wait_dscnt 0x0
	v_fmac_f64_e32 v[140:141], v[126:127], v[118:119]
	s_wait_loadcnt 0x5
	v_fmac_f64_e32 v[140:141], v[136:137], v[120:121]
	ds_load_2addr_b64 v[118:121], v2 offset0:73 offset1:74
	ds_load_2addr_b64 v[122:125], v2 offset0:75 offset1:76
	s_wait_dscnt 0x1
	v_fmac_f64_e32 v[140:141], v[138:139], v[118:119]
	scratch_load_b128 v[136:139], off, off offset:272
	s_wait_loadcnt 0x5
	v_fmac_f64_e32 v[140:141], v[106:107], v[120:121]
	s_wait_dscnt 0x0
	s_delay_alu instid0(VALU_DEP_1)
	v_fmac_f64_e32 v[140:141], v[108:109], v[122:123]
	scratch_load_b128 v[106:109], off, off offset:288
	s_wait_loadcnt 0x5
	v_fmac_f64_e32 v[140:141], v[132:133], v[124:125]
	ds_load_2addr_b64 v[118:121], v2 offset0:77 offset1:78
	ds_load_2addr_b64 v[122:125], v2 offset0:79 offset1:80
	s_wait_dscnt 0x1
	v_fmac_f64_e32 v[140:141], v[134:135], v[118:119]
	scratch_load_b128 v[132:135], off, off offset:304
	s_wait_loadcnt 0x5
	v_fmac_f64_e32 v[140:141], v[110:111], v[120:121]
	s_wait_dscnt 0x0
	s_delay_alu instid0(VALU_DEP_1)
	v_fmac_f64_e32 v[140:141], v[112:113], v[122:123]
	scratch_load_b128 v[110:113], off, off offset:320
	s_wait_loadcnt 0x5
	v_fmac_f64_e32 v[140:141], v[128:129], v[124:125]
	ds_load_2addr_b64 v[118:121], v2 offset0:81 offset1:82
	ds_load_2addr_b64 v[122:125], v2 offset0:83 offset1:84
	s_wait_dscnt 0x1
	v_fmac_f64_e32 v[140:141], v[130:131], v[118:119]
	s_wait_loadcnt 0x4
	s_delay_alu instid0(VALU_DEP_1)
	v_fmac_f64_e32 v[140:141], v[114:115], v[120:121]
	scratch_load_b128 v[118:121], off, off offset:336
	s_wait_dscnt 0x0
	v_fmac_f64_e32 v[140:141], v[116:117], v[122:123]
	scratch_load_b128 v[114:117], off, off offset:352
	s_wait_loadcnt 0x5
	v_fmac_f64_e32 v[140:141], v[136:137], v[124:125]
	ds_load_2addr_b64 v[122:125], v2 offset0:85 offset1:86
	ds_load_2addr_b64 v[126:129], v2 offset0:87 offset1:88
	s_wait_dscnt 0x1
	v_fmac_f64_e32 v[140:141], v[138:139], v[122:123]
	s_wait_loadcnt 0x4
	s_delay_alu instid0(VALU_DEP_1)
	v_fmac_f64_e32 v[140:141], v[106:107], v[124:125]
	scratch_load_b128 v[122:125], off, off offset:368
	s_wait_dscnt 0x0
	v_fmac_f64_e32 v[140:141], v[108:109], v[126:127]
	scratch_load_b128 v[106:109], off, off offset:384
	s_wait_loadcnt 0x5
	v_fmac_f64_e32 v[140:141], v[132:133], v[128:129]
	ds_load_2addr_b64 v[126:129], v2 offset0:89 offset1:90
	ds_load_2addr_b64 v[130:133], v2 offset0:91 offset1:92
	s_wait_dscnt 0x1
	v_fmac_f64_e32 v[140:141], v[134:135], v[126:127]
	s_wait_loadcnt 0x4
	s_delay_alu instid0(VALU_DEP_1) | instskip(SKIP_1) | instid1(VALU_DEP_1)
	v_fmac_f64_e32 v[140:141], v[110:111], v[128:129]
	s_wait_dscnt 0x0
	v_fmac_f64_e32 v[140:141], v[112:113], v[130:131]
	ds_load_2addr_b64 v[110:113], v2 offset0:93 offset1:94
	ds_load_2addr_b64 v[126:129], v2 offset0:95 offset1:96
	s_wait_loadcnt 0x3
	v_fmac_f64_e32 v[140:141], v[118:119], v[132:133]
	s_wait_dscnt 0x1
	s_delay_alu instid0(VALU_DEP_1) | instskip(SKIP_1) | instid1(VALU_DEP_1)
	v_fmac_f64_e32 v[140:141], v[120:121], v[110:111]
	s_wait_loadcnt 0x2
	v_fmac_f64_e32 v[140:141], v[114:115], v[112:113]
	ds_load_2addr_b64 v[110:113], v2 offset0:97 offset1:98
	ds_load_b64 v[114:115], v2 offset:792
	s_wait_dscnt 0x2
	v_fmac_f64_e32 v[140:141], v[116:117], v[126:127]
	s_wait_loadcnt 0x1
	s_delay_alu instid0(VALU_DEP_1) | instskip(SKIP_1) | instid1(VALU_DEP_1)
	v_fmac_f64_e32 v[140:141], v[122:123], v[128:129]
	s_wait_dscnt 0x1
	v_fmac_f64_e32 v[140:141], v[124:125], v[110:111]
	s_wait_loadcnt 0x0
	s_delay_alu instid0(VALU_DEP_1) | instskip(SKIP_1) | instid1(VALU_DEP_1)
	v_fmac_f64_e32 v[140:141], v[106:107], v[112:113]
	s_wait_dscnt 0x0
	v_fmac_f64_e32 v[140:141], v[108:109], v[114:115]
	s_delay_alu instid0(VALU_DEP_1)
	v_add_f64_e64 v[104:105], v[104:105], -v[140:141]
	scratch_store_b64 off, v[104:105], off offset:80
	s_wait_xcnt 0x0
	v_cmpx_lt_u32_e32 9, v0
	s_cbranch_execz .LBB49_291
; %bb.290:
	scratch_load_b64 v[104:105], off, off offset:72
	v_mov_b64_e32 v[106:107], 0
	scratch_store_b64 off, v[106:107], off offset:72
	s_wait_loadcnt 0x0
	ds_store_b64 v1, v[104:105]
.LBB49_291:
	s_wait_xcnt 0x0
	s_or_b32 exec_lo, exec_lo, s0
	s_wait_storecnt_dscnt 0x0
	s_barrier_signal -1
	s_barrier_wait -1
	s_clause 0x5
	scratch_load_b128 v[104:107], off, off offset:72
	scratch_load_b128 v[108:111], off, off offset:88
	;; [unrolled: 1-line block ×6, first 2 shown]
	ds_load_b128 v[128:131], v2 offset:480
	ds_load_b128 v[132:135], v2 offset:496
	scratch_load_b128 v[136:139], off, off offset:168
	s_mov_b32 s0, exec_lo
	s_wait_loadcnt_dscnt 0x601
	v_fma_f64 v[140:141], v[106:107], v[128:129], 0
	s_wait_loadcnt 0x5
	s_delay_alu instid0(VALU_DEP_1) | instskip(SKIP_4) | instid1(VALU_DEP_1)
	v_fmac_f64_e32 v[140:141], v[108:109], v[130:131]
	scratch_load_b128 v[106:109], off, off offset:184
	s_wait_dscnt 0x0
	v_fmac_f64_e32 v[140:141], v[110:111], v[132:133]
	s_wait_loadcnt 0x5
	v_fmac_f64_e32 v[140:141], v[112:113], v[134:135]
	ds_load_b128 v[110:113], v2 offset:512
	ds_load_b128 v[128:131], v2 offset:528
	scratch_load_b128 v[132:135], off, off offset:200
	s_wait_dscnt 0x1
	v_fmac_f64_e32 v[140:141], v[114:115], v[110:111]
	s_wait_loadcnt 0x5
	s_delay_alu instid0(VALU_DEP_1) | instskip(SKIP_4) | instid1(VALU_DEP_1)
	v_fmac_f64_e32 v[140:141], v[116:117], v[112:113]
	scratch_load_b128 v[110:113], off, off offset:216
	s_wait_dscnt 0x0
	v_fmac_f64_e32 v[140:141], v[118:119], v[128:129]
	s_wait_loadcnt 0x5
	v_fmac_f64_e32 v[140:141], v[120:121], v[130:131]
	ds_load_b128 v[114:117], v2 offset:544
	ds_load_b128 v[118:121], v2 offset:560
	scratch_load_b128 v[128:131], off, off offset:232
	s_wait_dscnt 0x1
	v_fmac_f64_e32 v[140:141], v[122:123], v[114:115]
	s_wait_loadcnt 0x5
	s_delay_alu instid0(VALU_DEP_1) | instskip(SKIP_4) | instid1(VALU_DEP_1)
	v_fmac_f64_e32 v[140:141], v[124:125], v[116:117]
	scratch_load_b128 v[114:117], off, off offset:248
	s_wait_dscnt 0x0
	v_fmac_f64_e32 v[140:141], v[126:127], v[118:119]
	s_wait_loadcnt 0x5
	v_fmac_f64_e32 v[140:141], v[136:137], v[120:121]
	ds_load_b128 v[118:121], v2 offset:576
	ds_load_b128 v[122:125], v2 offset:592
	s_wait_dscnt 0x1
	v_fmac_f64_e32 v[140:141], v[138:139], v[118:119]
	scratch_load_b128 v[136:139], off, off offset:264
	s_wait_loadcnt 0x5
	v_fmac_f64_e32 v[140:141], v[106:107], v[120:121]
	s_wait_dscnt 0x0
	s_delay_alu instid0(VALU_DEP_1)
	v_fmac_f64_e32 v[140:141], v[108:109], v[122:123]
	scratch_load_b128 v[106:109], off, off offset:280
	s_wait_loadcnt 0x5
	v_fmac_f64_e32 v[140:141], v[132:133], v[124:125]
	ds_load_b128 v[118:121], v2 offset:608
	ds_load_b128 v[122:125], v2 offset:624
	s_wait_dscnt 0x1
	v_fmac_f64_e32 v[140:141], v[134:135], v[118:119]
	scratch_load_b128 v[132:135], off, off offset:296
	s_wait_loadcnt 0x5
	v_fmac_f64_e32 v[140:141], v[110:111], v[120:121]
	s_wait_dscnt 0x0
	s_delay_alu instid0(VALU_DEP_1)
	v_fmac_f64_e32 v[140:141], v[112:113], v[122:123]
	scratch_load_b128 v[110:113], off, off offset:312
	s_wait_loadcnt 0x5
	v_fmac_f64_e32 v[140:141], v[128:129], v[124:125]
	ds_load_b128 v[118:121], v2 offset:640
	ds_load_b128 v[122:125], v2 offset:656
	s_wait_dscnt 0x1
	v_fmac_f64_e32 v[140:141], v[130:131], v[118:119]
	s_wait_loadcnt 0x4
	s_delay_alu instid0(VALU_DEP_1)
	v_fmac_f64_e32 v[140:141], v[114:115], v[120:121]
	scratch_load_b128 v[118:121], off, off offset:328
	s_wait_dscnt 0x0
	v_fmac_f64_e32 v[140:141], v[116:117], v[122:123]
	scratch_load_b128 v[114:117], off, off offset:344
	s_wait_loadcnt 0x5
	v_fmac_f64_e32 v[140:141], v[136:137], v[124:125]
	ds_load_b128 v[122:125], v2 offset:672
	ds_load_b128 v[126:129], v2 offset:688
	s_wait_dscnt 0x1
	v_fmac_f64_e32 v[140:141], v[138:139], v[122:123]
	s_wait_loadcnt 0x4
	s_delay_alu instid0(VALU_DEP_1)
	v_fmac_f64_e32 v[140:141], v[106:107], v[124:125]
	scratch_load_b128 v[122:125], off, off offset:360
	s_wait_dscnt 0x0
	v_fmac_f64_e32 v[140:141], v[108:109], v[126:127]
	scratch_load_b128 v[106:109], off, off offset:376
	s_wait_loadcnt 0x5
	v_fmac_f64_e32 v[140:141], v[132:133], v[128:129]
	ds_load_b128 v[126:129], v2 offset:704
	ds_load_b128 v[130:133], v2 offset:720
	s_wait_dscnt 0x1
	v_fmac_f64_e32 v[140:141], v[134:135], v[126:127]
	scratch_load_b64 v[134:135], off, off offset:392
	s_wait_loadcnt 0x5
	v_fmac_f64_e32 v[140:141], v[110:111], v[128:129]
	s_wait_dscnt 0x0
	s_delay_alu instid0(VALU_DEP_1)
	v_fmac_f64_e32 v[140:141], v[112:113], v[130:131]
	ds_load_b128 v[110:113], v2 offset:736
	ds_load_b128 v[126:129], v2 offset:752
	s_wait_loadcnt 0x4
	v_fmac_f64_e32 v[140:141], v[118:119], v[132:133]
	s_wait_dscnt 0x1
	s_delay_alu instid0(VALU_DEP_1) | instskip(SKIP_1) | instid1(VALU_DEP_1)
	v_fmac_f64_e32 v[140:141], v[120:121], v[110:111]
	s_wait_loadcnt 0x3
	v_fmac_f64_e32 v[140:141], v[114:115], v[112:113]
	s_wait_dscnt 0x0
	s_delay_alu instid0(VALU_DEP_1)
	v_fmac_f64_e32 v[140:141], v[116:117], v[126:127]
	ds_load_b128 v[110:113], v2 offset:768
	ds_load_b128 v[114:117], v2 offset:784
	s_wait_loadcnt 0x2
	v_fmac_f64_e32 v[140:141], v[122:123], v[128:129]
	s_wait_dscnt 0x1
	s_delay_alu instid0(VALU_DEP_1) | instskip(SKIP_1) | instid1(VALU_DEP_1)
	v_fmac_f64_e32 v[140:141], v[124:125], v[110:111]
	s_wait_loadcnt 0x1
	v_fmac_f64_e32 v[140:141], v[106:107], v[112:113]
	s_wait_dscnt 0x0
	s_delay_alu instid0(VALU_DEP_1) | instskip(SKIP_1) | instid1(VALU_DEP_1)
	v_fmac_f64_e32 v[140:141], v[108:109], v[114:115]
	s_wait_loadcnt 0x0
	v_fmac_f64_e32 v[140:141], v[134:135], v[116:117]
	s_delay_alu instid0(VALU_DEP_1)
	v_add_f64_e64 v[2:3], v[104:105], -v[140:141]
	scratch_store_b64 off, v[2:3], off offset:72
	s_wait_xcnt 0x0
	v_cmpx_lt_u32_e32 8, v0
	s_cbranch_execz .LBB49_293
; %bb.292:
	scratch_load_b64 v[2:3], off, off offset:64
	v_mov_b64_e32 v[104:105], 0
	scratch_store_b64 off, v[104:105], off offset:64
	s_wait_loadcnt 0x0
	ds_store_b64 v1, v[2:3]
.LBB49_293:
	s_wait_xcnt 0x0
	s_or_b32 exec_lo, exec_lo, s0
	s_wait_storecnt_dscnt 0x0
	s_barrier_signal -1
	s_barrier_wait -1
	s_clause 0x5
	scratch_load_b128 v[104:107], off, off offset:64
	scratch_load_b128 v[108:111], off, off offset:80
	scratch_load_b128 v[112:115], off, off offset:96
	scratch_load_b128 v[116:119], off, off offset:112
	scratch_load_b128 v[120:123], off, off offset:128
	scratch_load_b128 v[124:127], off, off offset:144
	v_mov_b32_e32 v2, 0
	ds_load_2addr_b64 v[128:131], v2 offset0:59 offset1:60
	ds_load_2addr_b64 v[132:135], v2 offset0:61 offset1:62
	scratch_load_b128 v[136:139], off, off offset:160
	s_mov_b32 s0, exec_lo
	s_wait_loadcnt_dscnt 0x601
	v_fma_f64 v[140:141], v[106:107], v[128:129], 0
	s_wait_loadcnt 0x5
	s_delay_alu instid0(VALU_DEP_1) | instskip(SKIP_4) | instid1(VALU_DEP_1)
	v_fmac_f64_e32 v[140:141], v[108:109], v[130:131]
	scratch_load_b128 v[106:109], off, off offset:176
	s_wait_dscnt 0x0
	v_fmac_f64_e32 v[140:141], v[110:111], v[132:133]
	s_wait_loadcnt 0x5
	v_fmac_f64_e32 v[140:141], v[112:113], v[134:135]
	ds_load_2addr_b64 v[110:113], v2 offset0:63 offset1:64
	ds_load_2addr_b64 v[128:131], v2 offset0:65 offset1:66
	scratch_load_b128 v[132:135], off, off offset:192
	s_wait_dscnt 0x1
	v_fmac_f64_e32 v[140:141], v[114:115], v[110:111]
	s_wait_loadcnt 0x5
	s_delay_alu instid0(VALU_DEP_1) | instskip(SKIP_4) | instid1(VALU_DEP_1)
	v_fmac_f64_e32 v[140:141], v[116:117], v[112:113]
	scratch_load_b128 v[110:113], off, off offset:208
	s_wait_dscnt 0x0
	v_fmac_f64_e32 v[140:141], v[118:119], v[128:129]
	s_wait_loadcnt 0x5
	v_fmac_f64_e32 v[140:141], v[120:121], v[130:131]
	ds_load_2addr_b64 v[114:117], v2 offset0:67 offset1:68
	ds_load_2addr_b64 v[118:121], v2 offset0:69 offset1:70
	scratch_load_b128 v[128:131], off, off offset:224
	s_wait_dscnt 0x1
	v_fmac_f64_e32 v[140:141], v[122:123], v[114:115]
	s_wait_loadcnt 0x5
	s_delay_alu instid0(VALU_DEP_1) | instskip(SKIP_4) | instid1(VALU_DEP_1)
	v_fmac_f64_e32 v[140:141], v[124:125], v[116:117]
	scratch_load_b128 v[114:117], off, off offset:240
	s_wait_dscnt 0x0
	v_fmac_f64_e32 v[140:141], v[126:127], v[118:119]
	s_wait_loadcnt 0x5
	v_fmac_f64_e32 v[140:141], v[136:137], v[120:121]
	ds_load_2addr_b64 v[118:121], v2 offset0:71 offset1:72
	ds_load_2addr_b64 v[122:125], v2 offset0:73 offset1:74
	s_wait_dscnt 0x1
	v_fmac_f64_e32 v[140:141], v[138:139], v[118:119]
	scratch_load_b128 v[136:139], off, off offset:256
	s_wait_loadcnt 0x5
	v_fmac_f64_e32 v[140:141], v[106:107], v[120:121]
	s_wait_dscnt 0x0
	s_delay_alu instid0(VALU_DEP_1)
	v_fmac_f64_e32 v[140:141], v[108:109], v[122:123]
	scratch_load_b128 v[106:109], off, off offset:272
	s_wait_loadcnt 0x5
	v_fmac_f64_e32 v[140:141], v[132:133], v[124:125]
	ds_load_2addr_b64 v[118:121], v2 offset0:75 offset1:76
	ds_load_2addr_b64 v[122:125], v2 offset0:77 offset1:78
	s_wait_dscnt 0x1
	v_fmac_f64_e32 v[140:141], v[134:135], v[118:119]
	scratch_load_b128 v[132:135], off, off offset:288
	s_wait_loadcnt 0x5
	v_fmac_f64_e32 v[140:141], v[110:111], v[120:121]
	s_wait_dscnt 0x0
	s_delay_alu instid0(VALU_DEP_1)
	v_fmac_f64_e32 v[140:141], v[112:113], v[122:123]
	scratch_load_b128 v[110:113], off, off offset:304
	s_wait_loadcnt 0x5
	v_fmac_f64_e32 v[140:141], v[128:129], v[124:125]
	ds_load_2addr_b64 v[118:121], v2 offset0:79 offset1:80
	ds_load_2addr_b64 v[122:125], v2 offset0:81 offset1:82
	s_wait_dscnt 0x1
	v_fmac_f64_e32 v[140:141], v[130:131], v[118:119]
	s_wait_loadcnt 0x4
	s_delay_alu instid0(VALU_DEP_1)
	v_fmac_f64_e32 v[140:141], v[114:115], v[120:121]
	scratch_load_b128 v[118:121], off, off offset:320
	s_wait_dscnt 0x0
	v_fmac_f64_e32 v[140:141], v[116:117], v[122:123]
	scratch_load_b128 v[114:117], off, off offset:336
	s_wait_loadcnt 0x5
	v_fmac_f64_e32 v[140:141], v[136:137], v[124:125]
	ds_load_2addr_b64 v[122:125], v2 offset0:83 offset1:84
	ds_load_2addr_b64 v[126:129], v2 offset0:85 offset1:86
	s_wait_dscnt 0x1
	v_fmac_f64_e32 v[140:141], v[138:139], v[122:123]
	s_wait_loadcnt 0x4
	s_delay_alu instid0(VALU_DEP_1)
	v_fmac_f64_e32 v[140:141], v[106:107], v[124:125]
	scratch_load_b128 v[122:125], off, off offset:352
	s_wait_dscnt 0x0
	v_fmac_f64_e32 v[140:141], v[108:109], v[126:127]
	scratch_load_b128 v[106:109], off, off offset:368
	s_wait_loadcnt 0x5
	v_fmac_f64_e32 v[140:141], v[132:133], v[128:129]
	ds_load_2addr_b64 v[126:129], v2 offset0:87 offset1:88
	ds_load_2addr_b64 v[130:133], v2 offset0:89 offset1:90
	s_wait_dscnt 0x1
	v_fmac_f64_e32 v[140:141], v[134:135], v[126:127]
	s_wait_loadcnt 0x4
	s_delay_alu instid0(VALU_DEP_1) | instskip(SKIP_4) | instid1(VALU_DEP_1)
	v_fmac_f64_e32 v[140:141], v[110:111], v[128:129]
	scratch_load_b128 v[126:129], off, off offset:384
	s_wait_dscnt 0x0
	v_fmac_f64_e32 v[140:141], v[112:113], v[130:131]
	s_wait_loadcnt 0x4
	v_fmac_f64_e32 v[140:141], v[118:119], v[132:133]
	ds_load_2addr_b64 v[110:113], v2 offset0:91 offset1:92
	ds_load_2addr_b64 v[130:133], v2 offset0:93 offset1:94
	s_wait_dscnt 0x1
	v_fmac_f64_e32 v[140:141], v[120:121], v[110:111]
	s_wait_loadcnt 0x3
	s_delay_alu instid0(VALU_DEP_1) | instskip(SKIP_1) | instid1(VALU_DEP_1)
	v_fmac_f64_e32 v[140:141], v[114:115], v[112:113]
	s_wait_dscnt 0x0
	v_fmac_f64_e32 v[140:141], v[116:117], v[130:131]
	ds_load_2addr_b64 v[110:113], v2 offset0:95 offset1:96
	ds_load_2addr_b64 v[114:117], v2 offset0:97 offset1:98
	s_wait_loadcnt 0x2
	v_fmac_f64_e32 v[140:141], v[122:123], v[132:133]
	s_wait_dscnt 0x1
	s_delay_alu instid0(VALU_DEP_1) | instskip(SKIP_1) | instid1(VALU_DEP_1)
	v_fmac_f64_e32 v[140:141], v[124:125], v[110:111]
	s_wait_loadcnt 0x1
	v_fmac_f64_e32 v[140:141], v[106:107], v[112:113]
	ds_load_b64 v[106:107], v2 offset:792
	s_wait_dscnt 0x1
	v_fmac_f64_e32 v[140:141], v[108:109], v[114:115]
	s_wait_loadcnt 0x0
	s_delay_alu instid0(VALU_DEP_1) | instskip(SKIP_1) | instid1(VALU_DEP_1)
	v_fmac_f64_e32 v[140:141], v[126:127], v[116:117]
	s_wait_dscnt 0x0
	v_fmac_f64_e32 v[140:141], v[128:129], v[106:107]
	s_delay_alu instid0(VALU_DEP_1)
	v_add_f64_e64 v[104:105], v[104:105], -v[140:141]
	scratch_store_b64 off, v[104:105], off offset:64
	s_wait_xcnt 0x0
	v_cmpx_lt_u32_e32 7, v0
	s_cbranch_execz .LBB49_295
; %bb.294:
	scratch_load_b64 v[104:105], off, off offset:56
	v_mov_b64_e32 v[106:107], 0
	scratch_store_b64 off, v[106:107], off offset:56
	s_wait_loadcnt 0x0
	ds_store_b64 v1, v[104:105]
.LBB49_295:
	s_wait_xcnt 0x0
	s_or_b32 exec_lo, exec_lo, s0
	s_wait_storecnt_dscnt 0x0
	s_barrier_signal -1
	s_barrier_wait -1
	s_clause 0x5
	scratch_load_b128 v[104:107], off, off offset:56
	scratch_load_b128 v[108:111], off, off offset:72
	;; [unrolled: 1-line block ×6, first 2 shown]
	ds_load_b128 v[128:131], v2 offset:464
	ds_load_b128 v[132:135], v2 offset:480
	scratch_load_b128 v[136:139], off, off offset:152
	s_mov_b32 s0, exec_lo
	s_wait_loadcnt_dscnt 0x601
	v_fma_f64 v[140:141], v[106:107], v[128:129], 0
	s_wait_loadcnt 0x5
	s_delay_alu instid0(VALU_DEP_1) | instskip(SKIP_4) | instid1(VALU_DEP_1)
	v_fmac_f64_e32 v[140:141], v[108:109], v[130:131]
	scratch_load_b128 v[106:109], off, off offset:168
	s_wait_dscnt 0x0
	v_fmac_f64_e32 v[140:141], v[110:111], v[132:133]
	s_wait_loadcnt 0x5
	v_fmac_f64_e32 v[140:141], v[112:113], v[134:135]
	ds_load_b128 v[110:113], v2 offset:496
	ds_load_b128 v[128:131], v2 offset:512
	scratch_load_b128 v[132:135], off, off offset:184
	s_wait_dscnt 0x1
	v_fmac_f64_e32 v[140:141], v[114:115], v[110:111]
	s_wait_loadcnt 0x5
	s_delay_alu instid0(VALU_DEP_1) | instskip(SKIP_4) | instid1(VALU_DEP_1)
	v_fmac_f64_e32 v[140:141], v[116:117], v[112:113]
	scratch_load_b128 v[110:113], off, off offset:200
	s_wait_dscnt 0x0
	v_fmac_f64_e32 v[140:141], v[118:119], v[128:129]
	s_wait_loadcnt 0x5
	v_fmac_f64_e32 v[140:141], v[120:121], v[130:131]
	ds_load_b128 v[114:117], v2 offset:528
	ds_load_b128 v[118:121], v2 offset:544
	scratch_load_b128 v[128:131], off, off offset:216
	s_wait_dscnt 0x1
	v_fmac_f64_e32 v[140:141], v[122:123], v[114:115]
	s_wait_loadcnt 0x5
	s_delay_alu instid0(VALU_DEP_1) | instskip(SKIP_4) | instid1(VALU_DEP_1)
	v_fmac_f64_e32 v[140:141], v[124:125], v[116:117]
	scratch_load_b128 v[114:117], off, off offset:232
	s_wait_dscnt 0x0
	v_fmac_f64_e32 v[140:141], v[126:127], v[118:119]
	s_wait_loadcnt 0x5
	v_fmac_f64_e32 v[140:141], v[136:137], v[120:121]
	ds_load_b128 v[118:121], v2 offset:560
	ds_load_b128 v[122:125], v2 offset:576
	s_wait_dscnt 0x1
	v_fmac_f64_e32 v[140:141], v[138:139], v[118:119]
	scratch_load_b128 v[136:139], off, off offset:248
	s_wait_loadcnt 0x5
	v_fmac_f64_e32 v[140:141], v[106:107], v[120:121]
	s_wait_dscnt 0x0
	s_delay_alu instid0(VALU_DEP_1)
	v_fmac_f64_e32 v[140:141], v[108:109], v[122:123]
	scratch_load_b128 v[106:109], off, off offset:264
	s_wait_loadcnt 0x5
	v_fmac_f64_e32 v[140:141], v[132:133], v[124:125]
	ds_load_b128 v[118:121], v2 offset:592
	ds_load_b128 v[122:125], v2 offset:608
	s_wait_dscnt 0x1
	v_fmac_f64_e32 v[140:141], v[134:135], v[118:119]
	scratch_load_b128 v[132:135], off, off offset:280
	s_wait_loadcnt 0x5
	v_fmac_f64_e32 v[140:141], v[110:111], v[120:121]
	s_wait_dscnt 0x0
	s_delay_alu instid0(VALU_DEP_1)
	v_fmac_f64_e32 v[140:141], v[112:113], v[122:123]
	scratch_load_b128 v[110:113], off, off offset:296
	s_wait_loadcnt 0x5
	v_fmac_f64_e32 v[140:141], v[128:129], v[124:125]
	ds_load_b128 v[118:121], v2 offset:624
	ds_load_b128 v[122:125], v2 offset:640
	scratch_load_b128 v[126:129], off, off offset:312
	s_wait_dscnt 0x1
	v_fmac_f64_e32 v[140:141], v[130:131], v[118:119]
	s_wait_loadcnt 0x5
	s_delay_alu instid0(VALU_DEP_1) | instskip(SKIP_1) | instid1(VALU_DEP_1)
	v_fmac_f64_e32 v[140:141], v[114:115], v[120:121]
	s_wait_dscnt 0x0
	v_fmac_f64_e32 v[140:141], v[116:117], v[122:123]
	scratch_load_b128 v[114:117], off, off offset:328
	s_wait_loadcnt 0x5
	v_fmac_f64_e32 v[140:141], v[136:137], v[124:125]
	ds_load_b128 v[118:121], v2 offset:656
	ds_load_b128 v[122:125], v2 offset:672
	s_wait_dscnt 0x1
	v_fmac_f64_e32 v[140:141], v[138:139], v[118:119]
	s_wait_loadcnt 0x4
	s_delay_alu instid0(VALU_DEP_1)
	v_fmac_f64_e32 v[140:141], v[106:107], v[120:121]
	scratch_load_b128 v[118:121], off, off offset:344
	s_wait_dscnt 0x0
	v_fmac_f64_e32 v[140:141], v[108:109], v[122:123]
	scratch_load_b128 v[106:109], off, off offset:360
	s_wait_loadcnt 0x5
	v_fmac_f64_e32 v[140:141], v[132:133], v[124:125]
	ds_load_b128 v[122:125], v2 offset:688
	ds_load_b128 v[130:133], v2 offset:704
	s_wait_dscnt 0x1
	v_fmac_f64_e32 v[140:141], v[134:135], v[122:123]
	s_wait_loadcnt 0x4
	s_delay_alu instid0(VALU_DEP_1) | instskip(SKIP_4) | instid1(VALU_DEP_1)
	v_fmac_f64_e32 v[140:141], v[110:111], v[124:125]
	scratch_load_b128 v[122:125], off, off offset:376
	s_wait_dscnt 0x0
	v_fmac_f64_e32 v[140:141], v[112:113], v[130:131]
	s_wait_loadcnt 0x4
	v_fmac_f64_e32 v[140:141], v[126:127], v[132:133]
	scratch_load_b64 v[126:127], off, off offset:392
	ds_load_b128 v[110:113], v2 offset:720
	ds_load_b128 v[130:133], v2 offset:736
	s_wait_dscnt 0x1
	v_fmac_f64_e32 v[140:141], v[128:129], v[110:111]
	s_wait_loadcnt 0x4
	s_delay_alu instid0(VALU_DEP_1) | instskip(SKIP_1) | instid1(VALU_DEP_1)
	v_fmac_f64_e32 v[140:141], v[114:115], v[112:113]
	s_wait_dscnt 0x0
	v_fmac_f64_e32 v[140:141], v[116:117], v[130:131]
	ds_load_b128 v[110:113], v2 offset:752
	ds_load_b128 v[114:117], v2 offset:768
	s_wait_loadcnt 0x3
	v_fmac_f64_e32 v[140:141], v[118:119], v[132:133]
	s_wait_dscnt 0x1
	s_delay_alu instid0(VALU_DEP_1) | instskip(SKIP_1) | instid1(VALU_DEP_1)
	v_fmac_f64_e32 v[140:141], v[120:121], v[110:111]
	s_wait_loadcnt 0x2
	v_fmac_f64_e32 v[140:141], v[106:107], v[112:113]
	s_wait_dscnt 0x0
	s_delay_alu instid0(VALU_DEP_1) | instskip(SKIP_4) | instid1(VALU_DEP_1)
	v_fmac_f64_e32 v[140:141], v[108:109], v[114:115]
	ds_load_b128 v[106:109], v2 offset:784
	s_wait_loadcnt 0x1
	v_fmac_f64_e32 v[140:141], v[122:123], v[116:117]
	s_wait_dscnt 0x0
	v_fmac_f64_e32 v[140:141], v[124:125], v[106:107]
	s_wait_loadcnt 0x0
	s_delay_alu instid0(VALU_DEP_1) | instskip(NEXT) | instid1(VALU_DEP_1)
	v_fmac_f64_e32 v[140:141], v[126:127], v[108:109]
	v_add_f64_e64 v[2:3], v[104:105], -v[140:141]
	scratch_store_b64 off, v[2:3], off offset:56
	s_wait_xcnt 0x0
	v_cmpx_lt_u32_e32 6, v0
	s_cbranch_execz .LBB49_297
; %bb.296:
	scratch_load_b64 v[2:3], off, off offset:48
	v_mov_b64_e32 v[104:105], 0
	scratch_store_b64 off, v[104:105], off offset:48
	s_wait_loadcnt 0x0
	ds_store_b64 v1, v[2:3]
.LBB49_297:
	s_wait_xcnt 0x0
	s_or_b32 exec_lo, exec_lo, s0
	s_wait_storecnt_dscnt 0x0
	s_barrier_signal -1
	s_barrier_wait -1
	s_clause 0x5
	scratch_load_b128 v[104:107], off, off offset:48
	scratch_load_b128 v[108:111], off, off offset:64
	;; [unrolled: 1-line block ×6, first 2 shown]
	v_mov_b32_e32 v2, 0
	ds_load_2addr_b64 v[128:131], v2 offset0:57 offset1:58
	ds_load_2addr_b64 v[132:135], v2 offset0:59 offset1:60
	scratch_load_b128 v[136:139], off, off offset:144
	s_mov_b32 s0, exec_lo
	s_wait_loadcnt_dscnt 0x601
	v_fma_f64 v[140:141], v[106:107], v[128:129], 0
	s_wait_loadcnt 0x5
	s_delay_alu instid0(VALU_DEP_1) | instskip(SKIP_4) | instid1(VALU_DEP_1)
	v_fmac_f64_e32 v[140:141], v[108:109], v[130:131]
	scratch_load_b128 v[106:109], off, off offset:160
	s_wait_dscnt 0x0
	v_fmac_f64_e32 v[140:141], v[110:111], v[132:133]
	s_wait_loadcnt 0x5
	v_fmac_f64_e32 v[140:141], v[112:113], v[134:135]
	ds_load_2addr_b64 v[110:113], v2 offset0:61 offset1:62
	ds_load_2addr_b64 v[128:131], v2 offset0:63 offset1:64
	scratch_load_b128 v[132:135], off, off offset:176
	s_wait_dscnt 0x1
	v_fmac_f64_e32 v[140:141], v[114:115], v[110:111]
	s_wait_loadcnt 0x5
	s_delay_alu instid0(VALU_DEP_1) | instskip(SKIP_4) | instid1(VALU_DEP_1)
	v_fmac_f64_e32 v[140:141], v[116:117], v[112:113]
	scratch_load_b128 v[110:113], off, off offset:192
	s_wait_dscnt 0x0
	v_fmac_f64_e32 v[140:141], v[118:119], v[128:129]
	s_wait_loadcnt 0x5
	v_fmac_f64_e32 v[140:141], v[120:121], v[130:131]
	ds_load_2addr_b64 v[114:117], v2 offset0:65 offset1:66
	ds_load_2addr_b64 v[118:121], v2 offset0:67 offset1:68
	scratch_load_b128 v[128:131], off, off offset:208
	s_wait_dscnt 0x1
	v_fmac_f64_e32 v[140:141], v[122:123], v[114:115]
	s_wait_loadcnt 0x5
	s_delay_alu instid0(VALU_DEP_1) | instskip(SKIP_4) | instid1(VALU_DEP_1)
	v_fmac_f64_e32 v[140:141], v[124:125], v[116:117]
	scratch_load_b128 v[114:117], off, off offset:224
	s_wait_dscnt 0x0
	v_fmac_f64_e32 v[140:141], v[126:127], v[118:119]
	s_wait_loadcnt 0x5
	v_fmac_f64_e32 v[140:141], v[136:137], v[120:121]
	ds_load_2addr_b64 v[118:121], v2 offset0:69 offset1:70
	ds_load_2addr_b64 v[122:125], v2 offset0:71 offset1:72
	s_wait_dscnt 0x1
	v_fmac_f64_e32 v[140:141], v[138:139], v[118:119]
	scratch_load_b128 v[136:139], off, off offset:240
	s_wait_loadcnt 0x5
	v_fmac_f64_e32 v[140:141], v[106:107], v[120:121]
	s_wait_dscnt 0x0
	s_delay_alu instid0(VALU_DEP_1)
	v_fmac_f64_e32 v[140:141], v[108:109], v[122:123]
	scratch_load_b128 v[106:109], off, off offset:256
	s_wait_loadcnt 0x5
	v_fmac_f64_e32 v[140:141], v[132:133], v[124:125]
	ds_load_2addr_b64 v[118:121], v2 offset0:73 offset1:74
	ds_load_2addr_b64 v[122:125], v2 offset0:75 offset1:76
	s_wait_dscnt 0x1
	v_fmac_f64_e32 v[140:141], v[134:135], v[118:119]
	scratch_load_b128 v[132:135], off, off offset:272
	s_wait_loadcnt 0x5
	v_fmac_f64_e32 v[140:141], v[110:111], v[120:121]
	s_wait_dscnt 0x0
	s_delay_alu instid0(VALU_DEP_1)
	v_fmac_f64_e32 v[140:141], v[112:113], v[122:123]
	scratch_load_b128 v[110:113], off, off offset:288
	s_wait_loadcnt 0x5
	v_fmac_f64_e32 v[140:141], v[128:129], v[124:125]
	ds_load_2addr_b64 v[118:121], v2 offset0:77 offset1:78
	ds_load_2addr_b64 v[122:125], v2 offset0:79 offset1:80
	scratch_load_b128 v[126:129], off, off offset:304
	s_wait_dscnt 0x1
	v_fmac_f64_e32 v[140:141], v[130:131], v[118:119]
	s_wait_loadcnt 0x5
	s_delay_alu instid0(VALU_DEP_1) | instskip(SKIP_1) | instid1(VALU_DEP_1)
	v_fmac_f64_e32 v[140:141], v[114:115], v[120:121]
	s_wait_dscnt 0x0
	v_fmac_f64_e32 v[140:141], v[116:117], v[122:123]
	scratch_load_b128 v[114:117], off, off offset:320
	s_wait_loadcnt 0x5
	v_fmac_f64_e32 v[140:141], v[136:137], v[124:125]
	ds_load_2addr_b64 v[118:121], v2 offset0:81 offset1:82
	ds_load_2addr_b64 v[122:125], v2 offset0:83 offset1:84
	s_wait_dscnt 0x1
	v_fmac_f64_e32 v[140:141], v[138:139], v[118:119]
	s_wait_loadcnt 0x4
	s_delay_alu instid0(VALU_DEP_1)
	v_fmac_f64_e32 v[140:141], v[106:107], v[120:121]
	scratch_load_b128 v[118:121], off, off offset:336
	s_wait_dscnt 0x0
	v_fmac_f64_e32 v[140:141], v[108:109], v[122:123]
	scratch_load_b128 v[106:109], off, off offset:352
	s_wait_loadcnt 0x5
	v_fmac_f64_e32 v[140:141], v[132:133], v[124:125]
	ds_load_2addr_b64 v[122:125], v2 offset0:85 offset1:86
	ds_load_2addr_b64 v[130:133], v2 offset0:87 offset1:88
	s_wait_dscnt 0x1
	v_fmac_f64_e32 v[140:141], v[134:135], v[122:123]
	s_wait_loadcnt 0x4
	s_delay_alu instid0(VALU_DEP_1)
	v_fmac_f64_e32 v[140:141], v[110:111], v[124:125]
	scratch_load_b128 v[122:125], off, off offset:368
	s_wait_dscnt 0x0
	v_fmac_f64_e32 v[140:141], v[112:113], v[130:131]
	scratch_load_b128 v[110:113], off, off offset:384
	s_wait_loadcnt 0x5
	v_fmac_f64_e32 v[140:141], v[126:127], v[132:133]
	ds_load_2addr_b64 v[130:133], v2 offset0:89 offset1:90
	ds_load_2addr_b64 v[134:137], v2 offset0:91 offset1:92
	s_wait_dscnt 0x1
	v_fmac_f64_e32 v[140:141], v[128:129], v[130:131]
	s_wait_loadcnt 0x4
	s_delay_alu instid0(VALU_DEP_1) | instskip(SKIP_1) | instid1(VALU_DEP_1)
	v_fmac_f64_e32 v[140:141], v[114:115], v[132:133]
	s_wait_dscnt 0x0
	v_fmac_f64_e32 v[140:141], v[116:117], v[134:135]
	ds_load_2addr_b64 v[114:117], v2 offset0:93 offset1:94
	ds_load_2addr_b64 v[126:129], v2 offset0:95 offset1:96
	s_wait_loadcnt 0x3
	v_fmac_f64_e32 v[140:141], v[118:119], v[136:137]
	s_wait_dscnt 0x1
	s_delay_alu instid0(VALU_DEP_1) | instskip(SKIP_1) | instid1(VALU_DEP_1)
	v_fmac_f64_e32 v[140:141], v[120:121], v[114:115]
	s_wait_loadcnt 0x2
	v_fmac_f64_e32 v[140:141], v[106:107], v[116:117]
	s_wait_dscnt 0x0
	s_delay_alu instid0(VALU_DEP_1)
	v_fmac_f64_e32 v[140:141], v[108:109], v[126:127]
	ds_load_2addr_b64 v[106:109], v2 offset0:97 offset1:98
	ds_load_b64 v[114:115], v2 offset:792
	s_wait_loadcnt 0x1
	v_fmac_f64_e32 v[140:141], v[122:123], v[128:129]
	s_wait_dscnt 0x1
	s_delay_alu instid0(VALU_DEP_1) | instskip(SKIP_1) | instid1(VALU_DEP_1)
	v_fmac_f64_e32 v[140:141], v[124:125], v[106:107]
	s_wait_loadcnt 0x0
	v_fmac_f64_e32 v[140:141], v[110:111], v[108:109]
	s_wait_dscnt 0x0
	s_delay_alu instid0(VALU_DEP_1) | instskip(NEXT) | instid1(VALU_DEP_1)
	v_fmac_f64_e32 v[140:141], v[112:113], v[114:115]
	v_add_f64_e64 v[104:105], v[104:105], -v[140:141]
	scratch_store_b64 off, v[104:105], off offset:48
	s_wait_xcnt 0x0
	v_cmpx_lt_u32_e32 5, v0
	s_cbranch_execz .LBB49_299
; %bb.298:
	scratch_load_b64 v[104:105], off, off offset:40
	v_mov_b64_e32 v[106:107], 0
	scratch_store_b64 off, v[106:107], off offset:40
	s_wait_loadcnt 0x0
	ds_store_b64 v1, v[104:105]
.LBB49_299:
	s_wait_xcnt 0x0
	s_or_b32 exec_lo, exec_lo, s0
	s_wait_storecnt_dscnt 0x0
	s_barrier_signal -1
	s_barrier_wait -1
	s_clause 0x5
	scratch_load_b128 v[104:107], off, off offset:40
	scratch_load_b128 v[108:111], off, off offset:56
	;; [unrolled: 1-line block ×6, first 2 shown]
	ds_load_b128 v[128:131], v2 offset:448
	ds_load_b128 v[132:135], v2 offset:464
	scratch_load_b128 v[136:139], off, off offset:136
	s_mov_b32 s0, exec_lo
	s_wait_loadcnt_dscnt 0x601
	v_fma_f64 v[140:141], v[106:107], v[128:129], 0
	s_wait_loadcnt 0x5
	s_delay_alu instid0(VALU_DEP_1) | instskip(SKIP_4) | instid1(VALU_DEP_1)
	v_fmac_f64_e32 v[140:141], v[108:109], v[130:131]
	scratch_load_b128 v[106:109], off, off offset:152
	s_wait_dscnt 0x0
	v_fmac_f64_e32 v[140:141], v[110:111], v[132:133]
	s_wait_loadcnt 0x5
	v_fmac_f64_e32 v[140:141], v[112:113], v[134:135]
	ds_load_b128 v[110:113], v2 offset:480
	ds_load_b128 v[128:131], v2 offset:496
	scratch_load_b128 v[132:135], off, off offset:168
	s_wait_dscnt 0x1
	v_fmac_f64_e32 v[140:141], v[114:115], v[110:111]
	s_wait_loadcnt 0x5
	s_delay_alu instid0(VALU_DEP_1) | instskip(SKIP_4) | instid1(VALU_DEP_1)
	v_fmac_f64_e32 v[140:141], v[116:117], v[112:113]
	scratch_load_b128 v[110:113], off, off offset:184
	s_wait_dscnt 0x0
	v_fmac_f64_e32 v[140:141], v[118:119], v[128:129]
	s_wait_loadcnt 0x5
	v_fmac_f64_e32 v[140:141], v[120:121], v[130:131]
	ds_load_b128 v[114:117], v2 offset:512
	ds_load_b128 v[118:121], v2 offset:528
	scratch_load_b128 v[128:131], off, off offset:200
	s_wait_dscnt 0x1
	v_fmac_f64_e32 v[140:141], v[122:123], v[114:115]
	s_wait_loadcnt 0x5
	s_delay_alu instid0(VALU_DEP_1) | instskip(SKIP_4) | instid1(VALU_DEP_1)
	v_fmac_f64_e32 v[140:141], v[124:125], v[116:117]
	scratch_load_b128 v[114:117], off, off offset:216
	s_wait_dscnt 0x0
	v_fmac_f64_e32 v[140:141], v[126:127], v[118:119]
	s_wait_loadcnt 0x5
	v_fmac_f64_e32 v[140:141], v[136:137], v[120:121]
	ds_load_b128 v[118:121], v2 offset:544
	ds_load_b128 v[122:125], v2 offset:560
	s_wait_dscnt 0x1
	v_fmac_f64_e32 v[140:141], v[138:139], v[118:119]
	scratch_load_b128 v[136:139], off, off offset:232
	s_wait_loadcnt 0x5
	v_fmac_f64_e32 v[140:141], v[106:107], v[120:121]
	s_wait_dscnt 0x0
	s_delay_alu instid0(VALU_DEP_1)
	v_fmac_f64_e32 v[140:141], v[108:109], v[122:123]
	scratch_load_b128 v[106:109], off, off offset:248
	s_wait_loadcnt 0x5
	v_fmac_f64_e32 v[140:141], v[132:133], v[124:125]
	ds_load_b128 v[118:121], v2 offset:576
	ds_load_b128 v[122:125], v2 offset:592
	s_wait_dscnt 0x1
	v_fmac_f64_e32 v[140:141], v[134:135], v[118:119]
	scratch_load_b128 v[132:135], off, off offset:264
	s_wait_loadcnt 0x5
	v_fmac_f64_e32 v[140:141], v[110:111], v[120:121]
	s_wait_dscnt 0x0
	s_delay_alu instid0(VALU_DEP_1)
	v_fmac_f64_e32 v[140:141], v[112:113], v[122:123]
	scratch_load_b128 v[110:113], off, off offset:280
	s_wait_loadcnt 0x5
	v_fmac_f64_e32 v[140:141], v[128:129], v[124:125]
	ds_load_b128 v[118:121], v2 offset:608
	ds_load_b128 v[122:125], v2 offset:624
	scratch_load_b128 v[126:129], off, off offset:296
	s_wait_dscnt 0x1
	v_fmac_f64_e32 v[140:141], v[130:131], v[118:119]
	s_wait_loadcnt 0x5
	s_delay_alu instid0(VALU_DEP_1) | instskip(SKIP_1) | instid1(VALU_DEP_1)
	v_fmac_f64_e32 v[140:141], v[114:115], v[120:121]
	s_wait_dscnt 0x0
	v_fmac_f64_e32 v[140:141], v[116:117], v[122:123]
	scratch_load_b128 v[114:117], off, off offset:312
	s_wait_loadcnt 0x5
	v_fmac_f64_e32 v[140:141], v[136:137], v[124:125]
	ds_load_b128 v[118:121], v2 offset:640
	ds_load_b128 v[122:125], v2 offset:656
	s_wait_dscnt 0x1
	v_fmac_f64_e32 v[140:141], v[138:139], v[118:119]
	s_wait_loadcnt 0x4
	s_delay_alu instid0(VALU_DEP_1)
	v_fmac_f64_e32 v[140:141], v[106:107], v[120:121]
	scratch_load_b128 v[118:121], off, off offset:328
	s_wait_dscnt 0x0
	v_fmac_f64_e32 v[140:141], v[108:109], v[122:123]
	scratch_load_b128 v[106:109], off, off offset:344
	s_wait_loadcnt 0x5
	v_fmac_f64_e32 v[140:141], v[132:133], v[124:125]
	ds_load_b128 v[122:125], v2 offset:672
	ds_load_b128 v[130:133], v2 offset:688
	s_wait_dscnt 0x1
	v_fmac_f64_e32 v[140:141], v[134:135], v[122:123]
	s_wait_loadcnt 0x4
	s_delay_alu instid0(VALU_DEP_1)
	v_fmac_f64_e32 v[140:141], v[110:111], v[124:125]
	scratch_load_b128 v[122:125], off, off offset:360
	s_wait_dscnt 0x0
	v_fmac_f64_e32 v[140:141], v[112:113], v[130:131]
	scratch_load_b128 v[110:113], off, off offset:376
	s_wait_loadcnt 0x5
	v_fmac_f64_e32 v[140:141], v[126:127], v[132:133]
	ds_load_b128 v[130:133], v2 offset:704
	ds_load_b128 v[134:137], v2 offset:720
	s_wait_dscnt 0x1
	v_fmac_f64_e32 v[140:141], v[128:129], v[130:131]
	scratch_load_b64 v[130:131], off, off offset:392
	s_wait_loadcnt 0x5
	v_fmac_f64_e32 v[140:141], v[114:115], v[132:133]
	s_wait_dscnt 0x0
	s_delay_alu instid0(VALU_DEP_1)
	v_fmac_f64_e32 v[140:141], v[116:117], v[134:135]
	ds_load_b128 v[114:117], v2 offset:736
	ds_load_b128 v[126:129], v2 offset:752
	s_wait_loadcnt 0x4
	v_fmac_f64_e32 v[140:141], v[118:119], v[136:137]
	s_wait_dscnt 0x1
	s_delay_alu instid0(VALU_DEP_1) | instskip(SKIP_1) | instid1(VALU_DEP_1)
	v_fmac_f64_e32 v[140:141], v[120:121], v[114:115]
	s_wait_loadcnt 0x3
	v_fmac_f64_e32 v[140:141], v[106:107], v[116:117]
	s_wait_dscnt 0x0
	s_delay_alu instid0(VALU_DEP_1)
	v_fmac_f64_e32 v[140:141], v[108:109], v[126:127]
	ds_load_b128 v[106:109], v2 offset:768
	ds_load_b128 v[114:117], v2 offset:784
	s_wait_loadcnt 0x2
	v_fmac_f64_e32 v[140:141], v[122:123], v[128:129]
	s_wait_dscnt 0x1
	s_delay_alu instid0(VALU_DEP_1) | instskip(SKIP_1) | instid1(VALU_DEP_1)
	v_fmac_f64_e32 v[140:141], v[124:125], v[106:107]
	s_wait_loadcnt 0x1
	v_fmac_f64_e32 v[140:141], v[110:111], v[108:109]
	s_wait_dscnt 0x0
	s_delay_alu instid0(VALU_DEP_1) | instskip(SKIP_1) | instid1(VALU_DEP_1)
	v_fmac_f64_e32 v[140:141], v[112:113], v[114:115]
	s_wait_loadcnt 0x0
	v_fmac_f64_e32 v[140:141], v[130:131], v[116:117]
	s_delay_alu instid0(VALU_DEP_1)
	v_add_f64_e64 v[2:3], v[104:105], -v[140:141]
	scratch_store_b64 off, v[2:3], off offset:40
	s_wait_xcnt 0x0
	v_cmpx_lt_u32_e32 4, v0
	s_cbranch_execz .LBB49_301
; %bb.300:
	scratch_load_b64 v[2:3], off, off offset:32
	v_mov_b64_e32 v[104:105], 0
	scratch_store_b64 off, v[104:105], off offset:32
	s_wait_loadcnt 0x0
	ds_store_b64 v1, v[2:3]
.LBB49_301:
	s_wait_xcnt 0x0
	s_or_b32 exec_lo, exec_lo, s0
	s_wait_storecnt_dscnt 0x0
	s_barrier_signal -1
	s_barrier_wait -1
	s_clause 0x5
	scratch_load_b128 v[104:107], off, off offset:32
	scratch_load_b128 v[108:111], off, off offset:48
	;; [unrolled: 1-line block ×6, first 2 shown]
	v_mov_b32_e32 v2, 0
	ds_load_2addr_b64 v[128:131], v2 offset0:55 offset1:56
	ds_load_2addr_b64 v[132:135], v2 offset0:57 offset1:58
	scratch_load_b128 v[136:139], off, off offset:128
	s_mov_b32 s0, exec_lo
	s_wait_loadcnt_dscnt 0x601
	v_fma_f64 v[140:141], v[106:107], v[128:129], 0
	s_wait_loadcnt 0x5
	s_delay_alu instid0(VALU_DEP_1) | instskip(SKIP_4) | instid1(VALU_DEP_1)
	v_fmac_f64_e32 v[140:141], v[108:109], v[130:131]
	scratch_load_b128 v[106:109], off, off offset:144
	s_wait_dscnt 0x0
	v_fmac_f64_e32 v[140:141], v[110:111], v[132:133]
	s_wait_loadcnt 0x5
	v_fmac_f64_e32 v[140:141], v[112:113], v[134:135]
	ds_load_2addr_b64 v[110:113], v2 offset0:59 offset1:60
	ds_load_2addr_b64 v[128:131], v2 offset0:61 offset1:62
	scratch_load_b128 v[132:135], off, off offset:160
	s_wait_dscnt 0x1
	v_fmac_f64_e32 v[140:141], v[114:115], v[110:111]
	s_wait_loadcnt 0x5
	s_delay_alu instid0(VALU_DEP_1) | instskip(SKIP_4) | instid1(VALU_DEP_1)
	v_fmac_f64_e32 v[140:141], v[116:117], v[112:113]
	scratch_load_b128 v[110:113], off, off offset:176
	s_wait_dscnt 0x0
	v_fmac_f64_e32 v[140:141], v[118:119], v[128:129]
	s_wait_loadcnt 0x5
	v_fmac_f64_e32 v[140:141], v[120:121], v[130:131]
	ds_load_2addr_b64 v[114:117], v2 offset0:63 offset1:64
	ds_load_2addr_b64 v[118:121], v2 offset0:65 offset1:66
	scratch_load_b128 v[128:131], off, off offset:192
	s_wait_dscnt 0x1
	v_fmac_f64_e32 v[140:141], v[122:123], v[114:115]
	s_wait_loadcnt 0x5
	s_delay_alu instid0(VALU_DEP_1) | instskip(SKIP_4) | instid1(VALU_DEP_1)
	v_fmac_f64_e32 v[140:141], v[124:125], v[116:117]
	scratch_load_b128 v[114:117], off, off offset:208
	s_wait_dscnt 0x0
	v_fmac_f64_e32 v[140:141], v[126:127], v[118:119]
	s_wait_loadcnt 0x5
	v_fmac_f64_e32 v[140:141], v[136:137], v[120:121]
	ds_load_2addr_b64 v[118:121], v2 offset0:67 offset1:68
	ds_load_2addr_b64 v[122:125], v2 offset0:69 offset1:70
	s_wait_dscnt 0x1
	v_fmac_f64_e32 v[140:141], v[138:139], v[118:119]
	scratch_load_b128 v[136:139], off, off offset:224
	s_wait_loadcnt 0x5
	v_fmac_f64_e32 v[140:141], v[106:107], v[120:121]
	s_wait_dscnt 0x0
	s_delay_alu instid0(VALU_DEP_1)
	v_fmac_f64_e32 v[140:141], v[108:109], v[122:123]
	scratch_load_b128 v[106:109], off, off offset:240
	s_wait_loadcnt 0x5
	v_fmac_f64_e32 v[140:141], v[132:133], v[124:125]
	ds_load_2addr_b64 v[118:121], v2 offset0:71 offset1:72
	ds_load_2addr_b64 v[122:125], v2 offset0:73 offset1:74
	s_wait_dscnt 0x1
	v_fmac_f64_e32 v[140:141], v[134:135], v[118:119]
	scratch_load_b128 v[132:135], off, off offset:256
	s_wait_loadcnt 0x5
	v_fmac_f64_e32 v[140:141], v[110:111], v[120:121]
	s_wait_dscnt 0x0
	s_delay_alu instid0(VALU_DEP_1)
	v_fmac_f64_e32 v[140:141], v[112:113], v[122:123]
	scratch_load_b128 v[110:113], off, off offset:272
	s_wait_loadcnt 0x5
	v_fmac_f64_e32 v[140:141], v[128:129], v[124:125]
	ds_load_2addr_b64 v[118:121], v2 offset0:75 offset1:76
	ds_load_2addr_b64 v[122:125], v2 offset0:77 offset1:78
	scratch_load_b128 v[126:129], off, off offset:288
	s_wait_dscnt 0x1
	v_fmac_f64_e32 v[140:141], v[130:131], v[118:119]
	s_wait_loadcnt 0x5
	s_delay_alu instid0(VALU_DEP_1) | instskip(SKIP_1) | instid1(VALU_DEP_1)
	v_fmac_f64_e32 v[140:141], v[114:115], v[120:121]
	s_wait_dscnt 0x0
	v_fmac_f64_e32 v[140:141], v[116:117], v[122:123]
	scratch_load_b128 v[114:117], off, off offset:304
	s_wait_loadcnt 0x5
	v_fmac_f64_e32 v[140:141], v[136:137], v[124:125]
	ds_load_2addr_b64 v[118:121], v2 offset0:79 offset1:80
	ds_load_2addr_b64 v[122:125], v2 offset0:81 offset1:82
	s_wait_dscnt 0x1
	v_fmac_f64_e32 v[140:141], v[138:139], v[118:119]
	s_wait_loadcnt 0x4
	s_delay_alu instid0(VALU_DEP_1)
	v_fmac_f64_e32 v[140:141], v[106:107], v[120:121]
	scratch_load_b128 v[118:121], off, off offset:320
	s_wait_dscnt 0x0
	v_fmac_f64_e32 v[140:141], v[108:109], v[122:123]
	scratch_load_b128 v[106:109], off, off offset:336
	s_wait_loadcnt 0x5
	v_fmac_f64_e32 v[140:141], v[132:133], v[124:125]
	ds_load_2addr_b64 v[122:125], v2 offset0:83 offset1:84
	ds_load_2addr_b64 v[130:133], v2 offset0:85 offset1:86
	s_wait_dscnt 0x1
	v_fmac_f64_e32 v[140:141], v[134:135], v[122:123]
	s_wait_loadcnt 0x4
	s_delay_alu instid0(VALU_DEP_1)
	v_fmac_f64_e32 v[140:141], v[110:111], v[124:125]
	scratch_load_b128 v[122:125], off, off offset:352
	s_wait_dscnt 0x0
	v_fmac_f64_e32 v[140:141], v[112:113], v[130:131]
	scratch_load_b128 v[110:113], off, off offset:368
	s_wait_loadcnt 0x5
	v_fmac_f64_e32 v[140:141], v[126:127], v[132:133]
	ds_load_2addr_b64 v[130:133], v2 offset0:87 offset1:88
	ds_load_2addr_b64 v[134:137], v2 offset0:89 offset1:90
	s_wait_dscnt 0x1
	v_fmac_f64_e32 v[140:141], v[128:129], v[130:131]
	scratch_load_b128 v[126:129], off, off offset:384
	s_wait_loadcnt 0x5
	v_fmac_f64_e32 v[140:141], v[114:115], v[132:133]
	s_wait_dscnt 0x0
	s_delay_alu instid0(VALU_DEP_1)
	v_fmac_f64_e32 v[140:141], v[116:117], v[134:135]
	ds_load_2addr_b64 v[114:117], v2 offset0:91 offset1:92
	ds_load_2addr_b64 v[130:133], v2 offset0:93 offset1:94
	s_wait_loadcnt 0x4
	v_fmac_f64_e32 v[140:141], v[118:119], v[136:137]
	s_wait_dscnt 0x1
	s_delay_alu instid0(VALU_DEP_1) | instskip(SKIP_1) | instid1(VALU_DEP_1)
	v_fmac_f64_e32 v[140:141], v[120:121], v[114:115]
	s_wait_loadcnt 0x3
	v_fmac_f64_e32 v[140:141], v[106:107], v[116:117]
	s_wait_dscnt 0x0
	s_delay_alu instid0(VALU_DEP_1)
	v_fmac_f64_e32 v[140:141], v[108:109], v[130:131]
	ds_load_2addr_b64 v[106:109], v2 offset0:95 offset1:96
	ds_load_2addr_b64 v[114:117], v2 offset0:97 offset1:98
	s_wait_loadcnt 0x2
	v_fmac_f64_e32 v[140:141], v[122:123], v[132:133]
	s_wait_dscnt 0x1
	s_delay_alu instid0(VALU_DEP_1) | instskip(SKIP_4) | instid1(VALU_DEP_1)
	v_fmac_f64_e32 v[140:141], v[124:125], v[106:107]
	ds_load_b64 v[106:107], v2 offset:792
	s_wait_loadcnt 0x1
	v_fmac_f64_e32 v[140:141], v[110:111], v[108:109]
	s_wait_dscnt 0x1
	v_fmac_f64_e32 v[140:141], v[112:113], v[114:115]
	s_wait_loadcnt 0x0
	s_delay_alu instid0(VALU_DEP_1) | instskip(SKIP_1) | instid1(VALU_DEP_1)
	v_fmac_f64_e32 v[140:141], v[126:127], v[116:117]
	s_wait_dscnt 0x0
	v_fmac_f64_e32 v[140:141], v[128:129], v[106:107]
	s_delay_alu instid0(VALU_DEP_1)
	v_add_f64_e64 v[104:105], v[104:105], -v[140:141]
	scratch_store_b64 off, v[104:105], off offset:32
	s_wait_xcnt 0x0
	v_cmpx_lt_u32_e32 3, v0
	s_cbranch_execz .LBB49_303
; %bb.302:
	scratch_load_b64 v[104:105], off, off offset:24
	v_mov_b64_e32 v[106:107], 0
	scratch_store_b64 off, v[106:107], off offset:24
	s_wait_loadcnt 0x0
	ds_store_b64 v1, v[104:105]
.LBB49_303:
	s_wait_xcnt 0x0
	s_or_b32 exec_lo, exec_lo, s0
	s_wait_storecnt_dscnt 0x0
	s_barrier_signal -1
	s_barrier_wait -1
	s_clause 0x5
	scratch_load_b128 v[104:107], off, off offset:24
	scratch_load_b128 v[108:111], off, off offset:40
	;; [unrolled: 1-line block ×6, first 2 shown]
	ds_load_b128 v[128:131], v2 offset:432
	ds_load_b128 v[132:135], v2 offset:448
	scratch_load_b128 v[136:139], off, off offset:120
	s_mov_b32 s0, exec_lo
	s_wait_loadcnt_dscnt 0x601
	v_fma_f64 v[140:141], v[106:107], v[128:129], 0
	s_wait_loadcnt 0x5
	s_delay_alu instid0(VALU_DEP_1) | instskip(SKIP_4) | instid1(VALU_DEP_1)
	v_fmac_f64_e32 v[140:141], v[108:109], v[130:131]
	scratch_load_b128 v[106:109], off, off offset:136
	s_wait_dscnt 0x0
	v_fmac_f64_e32 v[140:141], v[110:111], v[132:133]
	s_wait_loadcnt 0x5
	v_fmac_f64_e32 v[140:141], v[112:113], v[134:135]
	ds_load_b128 v[110:113], v2 offset:464
	ds_load_b128 v[128:131], v2 offset:480
	scratch_load_b128 v[132:135], off, off offset:152
	s_wait_dscnt 0x1
	v_fmac_f64_e32 v[140:141], v[114:115], v[110:111]
	s_wait_loadcnt 0x5
	s_delay_alu instid0(VALU_DEP_1) | instskip(SKIP_4) | instid1(VALU_DEP_1)
	v_fmac_f64_e32 v[140:141], v[116:117], v[112:113]
	scratch_load_b128 v[110:113], off, off offset:168
	s_wait_dscnt 0x0
	v_fmac_f64_e32 v[140:141], v[118:119], v[128:129]
	s_wait_loadcnt 0x5
	v_fmac_f64_e32 v[140:141], v[120:121], v[130:131]
	ds_load_b128 v[114:117], v2 offset:496
	ds_load_b128 v[118:121], v2 offset:512
	scratch_load_b128 v[128:131], off, off offset:184
	s_wait_dscnt 0x1
	v_fmac_f64_e32 v[140:141], v[122:123], v[114:115]
	s_wait_loadcnt 0x5
	s_delay_alu instid0(VALU_DEP_1) | instskip(SKIP_4) | instid1(VALU_DEP_1)
	v_fmac_f64_e32 v[140:141], v[124:125], v[116:117]
	scratch_load_b128 v[114:117], off, off offset:200
	s_wait_dscnt 0x0
	v_fmac_f64_e32 v[140:141], v[126:127], v[118:119]
	s_wait_loadcnt 0x5
	v_fmac_f64_e32 v[140:141], v[136:137], v[120:121]
	ds_load_b128 v[118:121], v2 offset:528
	ds_load_b128 v[122:125], v2 offset:544
	s_wait_dscnt 0x1
	v_fmac_f64_e32 v[140:141], v[138:139], v[118:119]
	scratch_load_b128 v[136:139], off, off offset:216
	s_wait_loadcnt 0x5
	v_fmac_f64_e32 v[140:141], v[106:107], v[120:121]
	s_wait_dscnt 0x0
	s_delay_alu instid0(VALU_DEP_1)
	v_fmac_f64_e32 v[140:141], v[108:109], v[122:123]
	scratch_load_b128 v[106:109], off, off offset:232
	s_wait_loadcnt 0x5
	v_fmac_f64_e32 v[140:141], v[132:133], v[124:125]
	ds_load_b128 v[118:121], v2 offset:560
	ds_load_b128 v[122:125], v2 offset:576
	s_wait_dscnt 0x1
	v_fmac_f64_e32 v[140:141], v[134:135], v[118:119]
	scratch_load_b128 v[132:135], off, off offset:248
	s_wait_loadcnt 0x5
	v_fmac_f64_e32 v[140:141], v[110:111], v[120:121]
	s_wait_dscnt 0x0
	s_delay_alu instid0(VALU_DEP_1)
	v_fmac_f64_e32 v[140:141], v[112:113], v[122:123]
	scratch_load_b128 v[110:113], off, off offset:264
	s_wait_loadcnt 0x5
	v_fmac_f64_e32 v[140:141], v[128:129], v[124:125]
	ds_load_b128 v[118:121], v2 offset:592
	ds_load_b128 v[122:125], v2 offset:608
	scratch_load_b128 v[126:129], off, off offset:280
	s_wait_dscnt 0x1
	v_fmac_f64_e32 v[140:141], v[130:131], v[118:119]
	s_wait_loadcnt 0x5
	s_delay_alu instid0(VALU_DEP_1) | instskip(SKIP_1) | instid1(VALU_DEP_1)
	v_fmac_f64_e32 v[140:141], v[114:115], v[120:121]
	s_wait_dscnt 0x0
	v_fmac_f64_e32 v[140:141], v[116:117], v[122:123]
	scratch_load_b128 v[114:117], off, off offset:296
	s_wait_loadcnt 0x5
	v_fmac_f64_e32 v[140:141], v[136:137], v[124:125]
	ds_load_b128 v[118:121], v2 offset:624
	ds_load_b128 v[122:125], v2 offset:640
	s_wait_dscnt 0x1
	v_fmac_f64_e32 v[140:141], v[138:139], v[118:119]
	scratch_load_b128 v[136:139], off, off offset:312
	s_wait_loadcnt 0x5
	v_fmac_f64_e32 v[140:141], v[106:107], v[120:121]
	s_wait_dscnt 0x0
	s_delay_alu instid0(VALU_DEP_1)
	v_fmac_f64_e32 v[140:141], v[108:109], v[122:123]
	scratch_load_b128 v[106:109], off, off offset:328
	s_wait_loadcnt 0x5
	v_fmac_f64_e32 v[140:141], v[132:133], v[124:125]
	ds_load_b128 v[118:121], v2 offset:656
	ds_load_b128 v[122:125], v2 offset:672
	s_wait_dscnt 0x1
	v_fmac_f64_e32 v[140:141], v[134:135], v[118:119]
	s_wait_loadcnt 0x4
	s_delay_alu instid0(VALU_DEP_1)
	v_fmac_f64_e32 v[140:141], v[110:111], v[120:121]
	scratch_load_b128 v[118:121], off, off offset:344
	s_wait_dscnt 0x0
	v_fmac_f64_e32 v[140:141], v[112:113], v[122:123]
	scratch_load_b128 v[110:113], off, off offset:360
	s_wait_loadcnt 0x5
	v_fmac_f64_e32 v[140:141], v[126:127], v[124:125]
	ds_load_b128 v[122:125], v2 offset:688
	ds_load_b128 v[130:133], v2 offset:704
	s_wait_dscnt 0x1
	v_fmac_f64_e32 v[140:141], v[128:129], v[122:123]
	s_wait_loadcnt 0x4
	s_delay_alu instid0(VALU_DEP_1)
	v_fmac_f64_e32 v[140:141], v[114:115], v[124:125]
	scratch_load_b128 v[122:125], off, off offset:376
	s_wait_dscnt 0x0
	v_fmac_f64_e32 v[140:141], v[116:117], v[130:131]
	scratch_load_b64 v[130:131], off, off offset:392
	ds_load_b128 v[114:117], v2 offset:720
	ds_load_b128 v[126:129], v2 offset:736
	s_wait_loadcnt 0x5
	v_fmac_f64_e32 v[140:141], v[136:137], v[132:133]
	s_wait_dscnt 0x1
	s_delay_alu instid0(VALU_DEP_1) | instskip(SKIP_1) | instid1(VALU_DEP_1)
	v_fmac_f64_e32 v[140:141], v[138:139], v[114:115]
	s_wait_loadcnt 0x4
	v_fmac_f64_e32 v[140:141], v[106:107], v[116:117]
	s_wait_dscnt 0x0
	s_delay_alu instid0(VALU_DEP_1)
	v_fmac_f64_e32 v[140:141], v[108:109], v[126:127]
	ds_load_b128 v[106:109], v2 offset:752
	ds_load_b128 v[114:117], v2 offset:768
	s_wait_loadcnt 0x3
	v_fmac_f64_e32 v[140:141], v[118:119], v[128:129]
	s_wait_dscnt 0x1
	s_delay_alu instid0(VALU_DEP_1) | instskip(SKIP_1) | instid1(VALU_DEP_1)
	v_fmac_f64_e32 v[140:141], v[120:121], v[106:107]
	s_wait_loadcnt 0x2
	v_fmac_f64_e32 v[140:141], v[110:111], v[108:109]
	ds_load_b128 v[106:109], v2 offset:784
	s_wait_dscnt 0x1
	v_fmac_f64_e32 v[140:141], v[112:113], v[114:115]
	s_wait_loadcnt 0x1
	s_delay_alu instid0(VALU_DEP_1) | instskip(SKIP_1) | instid1(VALU_DEP_1)
	v_fmac_f64_e32 v[140:141], v[122:123], v[116:117]
	s_wait_dscnt 0x0
	v_fmac_f64_e32 v[140:141], v[124:125], v[106:107]
	s_wait_loadcnt 0x0
	s_delay_alu instid0(VALU_DEP_1) | instskip(NEXT) | instid1(VALU_DEP_1)
	v_fmac_f64_e32 v[140:141], v[130:131], v[108:109]
	v_add_f64_e64 v[2:3], v[104:105], -v[140:141]
	scratch_store_b64 off, v[2:3], off offset:24
	s_wait_xcnt 0x0
	v_cmpx_lt_u32_e32 2, v0
	s_cbranch_execz .LBB49_305
; %bb.304:
	scratch_load_b64 v[2:3], off, off offset:16
	v_mov_b64_e32 v[104:105], 0
	scratch_store_b64 off, v[104:105], off offset:16
	s_wait_loadcnt 0x0
	ds_store_b64 v1, v[2:3]
.LBB49_305:
	s_wait_xcnt 0x0
	s_or_b32 exec_lo, exec_lo, s0
	s_wait_storecnt_dscnt 0x0
	s_barrier_signal -1
	s_barrier_wait -1
	s_clause 0x5
	scratch_load_b128 v[104:107], off, off offset:16
	scratch_load_b128 v[108:111], off, off offset:32
	;; [unrolled: 1-line block ×6, first 2 shown]
	v_mov_b32_e32 v2, 0
	ds_load_2addr_b64 v[128:131], v2 offset0:53 offset1:54
	ds_load_2addr_b64 v[132:135], v2 offset0:55 offset1:56
	scratch_load_b128 v[136:139], off, off offset:112
	s_mov_b32 s0, exec_lo
	s_wait_loadcnt_dscnt 0x601
	v_fma_f64 v[140:141], v[106:107], v[128:129], 0
	s_wait_loadcnt 0x5
	s_delay_alu instid0(VALU_DEP_1) | instskip(SKIP_4) | instid1(VALU_DEP_1)
	v_fmac_f64_e32 v[140:141], v[108:109], v[130:131]
	scratch_load_b128 v[106:109], off, off offset:128
	s_wait_dscnt 0x0
	v_fmac_f64_e32 v[140:141], v[110:111], v[132:133]
	s_wait_loadcnt 0x5
	v_fmac_f64_e32 v[140:141], v[112:113], v[134:135]
	ds_load_2addr_b64 v[110:113], v2 offset0:57 offset1:58
	ds_load_2addr_b64 v[128:131], v2 offset0:59 offset1:60
	scratch_load_b128 v[132:135], off, off offset:144
	s_wait_dscnt 0x1
	v_fmac_f64_e32 v[140:141], v[114:115], v[110:111]
	s_wait_loadcnt 0x5
	s_delay_alu instid0(VALU_DEP_1) | instskip(SKIP_4) | instid1(VALU_DEP_1)
	v_fmac_f64_e32 v[140:141], v[116:117], v[112:113]
	scratch_load_b128 v[110:113], off, off offset:160
	s_wait_dscnt 0x0
	v_fmac_f64_e32 v[140:141], v[118:119], v[128:129]
	s_wait_loadcnt 0x5
	v_fmac_f64_e32 v[140:141], v[120:121], v[130:131]
	ds_load_2addr_b64 v[114:117], v2 offset0:61 offset1:62
	ds_load_2addr_b64 v[118:121], v2 offset0:63 offset1:64
	scratch_load_b128 v[128:131], off, off offset:176
	s_wait_dscnt 0x1
	v_fmac_f64_e32 v[140:141], v[122:123], v[114:115]
	s_wait_loadcnt 0x5
	s_delay_alu instid0(VALU_DEP_1) | instskip(SKIP_4) | instid1(VALU_DEP_1)
	v_fmac_f64_e32 v[140:141], v[124:125], v[116:117]
	scratch_load_b128 v[114:117], off, off offset:192
	s_wait_dscnt 0x0
	v_fmac_f64_e32 v[140:141], v[126:127], v[118:119]
	s_wait_loadcnt 0x5
	v_fmac_f64_e32 v[140:141], v[136:137], v[120:121]
	ds_load_2addr_b64 v[118:121], v2 offset0:65 offset1:66
	ds_load_2addr_b64 v[122:125], v2 offset0:67 offset1:68
	s_wait_dscnt 0x1
	v_fmac_f64_e32 v[140:141], v[138:139], v[118:119]
	scratch_load_b128 v[136:139], off, off offset:208
	s_wait_loadcnt 0x5
	v_fmac_f64_e32 v[140:141], v[106:107], v[120:121]
	s_wait_dscnt 0x0
	s_delay_alu instid0(VALU_DEP_1)
	v_fmac_f64_e32 v[140:141], v[108:109], v[122:123]
	scratch_load_b128 v[106:109], off, off offset:224
	s_wait_loadcnt 0x5
	v_fmac_f64_e32 v[140:141], v[132:133], v[124:125]
	ds_load_2addr_b64 v[118:121], v2 offset0:69 offset1:70
	ds_load_2addr_b64 v[122:125], v2 offset0:71 offset1:72
	s_wait_dscnt 0x1
	v_fmac_f64_e32 v[140:141], v[134:135], v[118:119]
	scratch_load_b128 v[132:135], off, off offset:240
	s_wait_loadcnt 0x5
	v_fmac_f64_e32 v[140:141], v[110:111], v[120:121]
	s_wait_dscnt 0x0
	s_delay_alu instid0(VALU_DEP_1)
	v_fmac_f64_e32 v[140:141], v[112:113], v[122:123]
	scratch_load_b128 v[110:113], off, off offset:256
	s_wait_loadcnt 0x5
	v_fmac_f64_e32 v[140:141], v[128:129], v[124:125]
	ds_load_2addr_b64 v[118:121], v2 offset0:73 offset1:74
	ds_load_2addr_b64 v[122:125], v2 offset0:75 offset1:76
	scratch_load_b128 v[126:129], off, off offset:272
	s_wait_dscnt 0x1
	v_fmac_f64_e32 v[140:141], v[130:131], v[118:119]
	s_wait_loadcnt 0x5
	s_delay_alu instid0(VALU_DEP_1) | instskip(SKIP_1) | instid1(VALU_DEP_1)
	v_fmac_f64_e32 v[140:141], v[114:115], v[120:121]
	s_wait_dscnt 0x0
	v_fmac_f64_e32 v[140:141], v[116:117], v[122:123]
	scratch_load_b128 v[114:117], off, off offset:288
	s_wait_loadcnt 0x5
	v_fmac_f64_e32 v[140:141], v[136:137], v[124:125]
	ds_load_2addr_b64 v[118:121], v2 offset0:77 offset1:78
	ds_load_2addr_b64 v[122:125], v2 offset0:79 offset1:80
	s_wait_dscnt 0x1
	v_fmac_f64_e32 v[140:141], v[138:139], v[118:119]
	scratch_load_b128 v[136:139], off, off offset:304
	s_wait_loadcnt 0x5
	v_fmac_f64_e32 v[140:141], v[106:107], v[120:121]
	s_wait_dscnt 0x0
	s_delay_alu instid0(VALU_DEP_1)
	v_fmac_f64_e32 v[140:141], v[108:109], v[122:123]
	scratch_load_b128 v[106:109], off, off offset:320
	s_wait_loadcnt 0x5
	v_fmac_f64_e32 v[140:141], v[132:133], v[124:125]
	ds_load_2addr_b64 v[118:121], v2 offset0:81 offset1:82
	ds_load_2addr_b64 v[122:125], v2 offset0:83 offset1:84
	s_wait_dscnt 0x1
	v_fmac_f64_e32 v[140:141], v[134:135], v[118:119]
	s_wait_loadcnt 0x4
	s_delay_alu instid0(VALU_DEP_1)
	v_fmac_f64_e32 v[140:141], v[110:111], v[120:121]
	scratch_load_b128 v[118:121], off, off offset:336
	s_wait_dscnt 0x0
	v_fmac_f64_e32 v[140:141], v[112:113], v[122:123]
	scratch_load_b128 v[110:113], off, off offset:352
	s_wait_loadcnt 0x5
	v_fmac_f64_e32 v[140:141], v[126:127], v[124:125]
	ds_load_2addr_b64 v[122:125], v2 offset0:85 offset1:86
	ds_load_2addr_b64 v[130:133], v2 offset0:87 offset1:88
	s_wait_dscnt 0x1
	v_fmac_f64_e32 v[140:141], v[128:129], v[122:123]
	s_wait_loadcnt 0x4
	s_delay_alu instid0(VALU_DEP_1)
	v_fmac_f64_e32 v[140:141], v[114:115], v[124:125]
	scratch_load_b128 v[122:125], off, off offset:368
	s_wait_dscnt 0x0
	v_fmac_f64_e32 v[140:141], v[116:117], v[130:131]
	scratch_load_b128 v[114:117], off, off offset:384
	s_wait_loadcnt 0x5
	v_fmac_f64_e32 v[140:141], v[136:137], v[132:133]
	ds_load_2addr_b64 v[126:129], v2 offset0:89 offset1:90
	ds_load_2addr_b64 v[130:133], v2 offset0:91 offset1:92
	s_wait_dscnt 0x1
	v_fmac_f64_e32 v[140:141], v[138:139], v[126:127]
	s_wait_loadcnt 0x4
	s_delay_alu instid0(VALU_DEP_1) | instskip(SKIP_1) | instid1(VALU_DEP_1)
	v_fmac_f64_e32 v[140:141], v[106:107], v[128:129]
	s_wait_dscnt 0x0
	v_fmac_f64_e32 v[140:141], v[108:109], v[130:131]
	ds_load_2addr_b64 v[106:109], v2 offset0:93 offset1:94
	ds_load_2addr_b64 v[126:129], v2 offset0:95 offset1:96
	s_wait_loadcnt 0x3
	v_fmac_f64_e32 v[140:141], v[118:119], v[132:133]
	s_wait_dscnt 0x1
	s_delay_alu instid0(VALU_DEP_1) | instskip(SKIP_1) | instid1(VALU_DEP_1)
	v_fmac_f64_e32 v[140:141], v[120:121], v[106:107]
	s_wait_loadcnt 0x2
	v_fmac_f64_e32 v[140:141], v[110:111], v[108:109]
	ds_load_2addr_b64 v[106:109], v2 offset0:97 offset1:98
	ds_load_b64 v[110:111], v2 offset:792
	s_wait_dscnt 0x2
	v_fmac_f64_e32 v[140:141], v[112:113], v[126:127]
	s_wait_loadcnt 0x1
	s_delay_alu instid0(VALU_DEP_1) | instskip(SKIP_1) | instid1(VALU_DEP_1)
	v_fmac_f64_e32 v[140:141], v[122:123], v[128:129]
	s_wait_dscnt 0x1
	v_fmac_f64_e32 v[140:141], v[124:125], v[106:107]
	s_wait_loadcnt 0x0
	s_delay_alu instid0(VALU_DEP_1) | instskip(SKIP_1) | instid1(VALU_DEP_1)
	v_fmac_f64_e32 v[140:141], v[114:115], v[108:109]
	s_wait_dscnt 0x0
	v_fmac_f64_e32 v[140:141], v[116:117], v[110:111]
	s_delay_alu instid0(VALU_DEP_1)
	v_add_f64_e64 v[104:105], v[104:105], -v[140:141]
	scratch_store_b64 off, v[104:105], off offset:16
	s_wait_xcnt 0x0
	v_cmpx_lt_u32_e32 1, v0
	s_cbranch_execz .LBB49_307
; %bb.306:
	scratch_load_b64 v[104:105], off, off offset:8
	v_mov_b64_e32 v[106:107], 0
	scratch_store_b64 off, v[106:107], off offset:8
	s_wait_loadcnt 0x0
	ds_store_b64 v1, v[104:105]
.LBB49_307:
	s_wait_xcnt 0x0
	s_or_b32 exec_lo, exec_lo, s0
	s_wait_storecnt_dscnt 0x0
	s_barrier_signal -1
	s_barrier_wait -1
	s_clause 0x5
	scratch_load_b128 v[104:107], off, off offset:8
	scratch_load_b128 v[108:111], off, off offset:24
	;; [unrolled: 1-line block ×6, first 2 shown]
	ds_load_b128 v[128:131], v2 offset:416
	ds_load_b128 v[132:135], v2 offset:432
	scratch_load_b128 v[136:139], off, off offset:104
	v_dual_ashrrev_i32 v9, 31, v8 :: v_dual_ashrrev_i32 v11, 31, v10
	v_dual_ashrrev_i32 v13, 31, v12 :: v_dual_ashrrev_i32 v15, 31, v14
	v_dual_ashrrev_i32 v17, 31, v16 :: v_dual_ashrrev_i32 v19, 31, v18
	v_dual_ashrrev_i32 v21, 31, v20 :: v_dual_ashrrev_i32 v23, 31, v22
	v_dual_ashrrev_i32 v25, 31, v24 :: v_dual_ashrrev_i32 v27, 31, v26
	v_dual_ashrrev_i32 v29, 31, v28 :: v_dual_ashrrev_i32 v31, 31, v30
	v_dual_ashrrev_i32 v33, 31, v32 :: v_dual_ashrrev_i32 v35, 31, v34
	v_dual_ashrrev_i32 v37, 31, v36 :: v_dual_ashrrev_i32 v39, 31, v38
	v_dual_ashrrev_i32 v41, 31, v40 :: v_dual_ashrrev_i32 v43, 31, v42
	v_dual_ashrrev_i32 v45, 31, v44 :: v_dual_ashrrev_i32 v47, 31, v46
	v_dual_ashrrev_i32 v49, 31, v48 :: v_dual_ashrrev_i32 v51, 31, v50
	v_dual_ashrrev_i32 v53, 31, v52 :: v_dual_ashrrev_i32 v59, 31, v58
	v_dual_ashrrev_i32 v57, 31, v56 :: v_dual_ashrrev_i32 v63, 31, v62
	v_dual_ashrrev_i32 v61, 31, v60 :: v_dual_ashrrev_i32 v67, 31, v66
	v_dual_ashrrev_i32 v65, 31, v64 :: v_dual_ashrrev_i32 v71, 31, v70
	v_dual_ashrrev_i32 v69, 31, v68 :: v_dual_ashrrev_i32 v75, 31, v74
	v_dual_ashrrev_i32 v73, 31, v72 :: v_dual_ashrrev_i32 v79, 31, v78
	v_dual_ashrrev_i32 v77, 31, v76 :: v_dual_ashrrev_i32 v83, 31, v82
	v_dual_ashrrev_i32 v81, 31, v80 :: v_dual_ashrrev_i32 v87, 31, v86
	v_dual_ashrrev_i32 v85, 31, v84 :: v_dual_ashrrev_i32 v91, 31, v90
	v_dual_ashrrev_i32 v89, 31, v88 :: v_dual_ashrrev_i32 v95, 31, v94
	v_dual_ashrrev_i32 v93, 31, v92 :: v_dual_ashrrev_i32 v99, 31, v98
	v_dual_ashrrev_i32 v97, 31, v96 :: v_dual_ashrrev_i32 v103, 31, v102
	v_ashrrev_i32_e32 v101, 31, v100
	s_mov_b32 s0, exec_lo
	v_ashrrev_i32_e32 v55, 31, v54
	s_wait_loadcnt_dscnt 0x601
	v_fma_f64 v[140:141], v[106:107], v[128:129], 0
	s_wait_loadcnt 0x5
	s_delay_alu instid0(VALU_DEP_1) | instskip(SKIP_4) | instid1(VALU_DEP_1)
	v_fmac_f64_e32 v[140:141], v[108:109], v[130:131]
	scratch_load_b128 v[106:109], off, off offset:120
	s_wait_dscnt 0x0
	v_fmac_f64_e32 v[140:141], v[110:111], v[132:133]
	s_wait_loadcnt 0x5
	v_fmac_f64_e32 v[140:141], v[112:113], v[134:135]
	ds_load_b128 v[110:113], v2 offset:448
	ds_load_b128 v[128:131], v2 offset:464
	scratch_load_b128 v[132:135], off, off offset:136
	s_wait_dscnt 0x1
	v_fmac_f64_e32 v[140:141], v[114:115], v[110:111]
	s_wait_loadcnt 0x5
	s_delay_alu instid0(VALU_DEP_1) | instskip(SKIP_4) | instid1(VALU_DEP_1)
	v_fmac_f64_e32 v[140:141], v[116:117], v[112:113]
	scratch_load_b128 v[110:113], off, off offset:152
	s_wait_dscnt 0x0
	v_fmac_f64_e32 v[140:141], v[118:119], v[128:129]
	s_wait_loadcnt 0x5
	v_fmac_f64_e32 v[140:141], v[120:121], v[130:131]
	ds_load_b128 v[114:117], v2 offset:480
	ds_load_b128 v[118:121], v2 offset:496
	scratch_load_b128 v[128:131], off, off offset:168
	s_wait_dscnt 0x1
	v_fmac_f64_e32 v[140:141], v[122:123], v[114:115]
	s_wait_loadcnt 0x5
	s_delay_alu instid0(VALU_DEP_1) | instskip(SKIP_4) | instid1(VALU_DEP_1)
	v_fmac_f64_e32 v[140:141], v[124:125], v[116:117]
	scratch_load_b128 v[114:117], off, off offset:184
	s_wait_dscnt 0x0
	v_fmac_f64_e32 v[140:141], v[126:127], v[118:119]
	s_wait_loadcnt 0x5
	v_fmac_f64_e32 v[140:141], v[136:137], v[120:121]
	ds_load_b128 v[118:121], v2 offset:512
	ds_load_b128 v[122:125], v2 offset:528
	s_wait_dscnt 0x1
	v_fmac_f64_e32 v[140:141], v[138:139], v[118:119]
	scratch_load_b128 v[136:139], off, off offset:200
	s_wait_loadcnt 0x5
	v_fmac_f64_e32 v[140:141], v[106:107], v[120:121]
	s_wait_dscnt 0x0
	s_delay_alu instid0(VALU_DEP_1)
	v_fmac_f64_e32 v[140:141], v[108:109], v[122:123]
	scratch_load_b128 v[106:109], off, off offset:216
	s_wait_loadcnt 0x5
	v_fmac_f64_e32 v[140:141], v[132:133], v[124:125]
	ds_load_b128 v[118:121], v2 offset:544
	ds_load_b128 v[122:125], v2 offset:560
	s_wait_dscnt 0x1
	v_fmac_f64_e32 v[140:141], v[134:135], v[118:119]
	scratch_load_b128 v[132:135], off, off offset:232
	s_wait_loadcnt 0x5
	v_fmac_f64_e32 v[140:141], v[110:111], v[120:121]
	s_wait_dscnt 0x0
	s_delay_alu instid0(VALU_DEP_1)
	v_fmac_f64_e32 v[140:141], v[112:113], v[122:123]
	scratch_load_b128 v[110:113], off, off offset:248
	s_wait_loadcnt 0x5
	v_fmac_f64_e32 v[140:141], v[128:129], v[124:125]
	ds_load_b128 v[118:121], v2 offset:576
	ds_load_b128 v[122:125], v2 offset:592
	scratch_load_b128 v[126:129], off, off offset:264
	s_wait_dscnt 0x1
	v_fmac_f64_e32 v[140:141], v[130:131], v[118:119]
	s_wait_loadcnt 0x5
	s_delay_alu instid0(VALU_DEP_1) | instskip(SKIP_1) | instid1(VALU_DEP_1)
	v_fmac_f64_e32 v[140:141], v[114:115], v[120:121]
	s_wait_dscnt 0x0
	v_fmac_f64_e32 v[140:141], v[116:117], v[122:123]
	scratch_load_b128 v[114:117], off, off offset:280
	s_wait_loadcnt 0x5
	v_fmac_f64_e32 v[140:141], v[136:137], v[124:125]
	ds_load_b128 v[118:121], v2 offset:608
	ds_load_b128 v[122:125], v2 offset:624
	s_wait_dscnt 0x1
	v_fmac_f64_e32 v[140:141], v[138:139], v[118:119]
	scratch_load_b128 v[136:139], off, off offset:296
	s_wait_loadcnt 0x5
	v_fmac_f64_e32 v[140:141], v[106:107], v[120:121]
	s_wait_dscnt 0x0
	s_delay_alu instid0(VALU_DEP_1)
	v_fmac_f64_e32 v[140:141], v[108:109], v[122:123]
	scratch_load_b128 v[106:109], off, off offset:312
	s_wait_loadcnt 0x5
	v_fmac_f64_e32 v[140:141], v[132:133], v[124:125]
	ds_load_b128 v[118:121], v2 offset:640
	ds_load_b128 v[122:125], v2 offset:656
	s_wait_dscnt 0x1
	v_fmac_f64_e32 v[140:141], v[134:135], v[118:119]
	s_wait_loadcnt 0x4
	s_delay_alu instid0(VALU_DEP_1)
	v_fmac_f64_e32 v[140:141], v[110:111], v[120:121]
	scratch_load_b128 v[118:121], off, off offset:328
	s_wait_dscnt 0x0
	v_fmac_f64_e32 v[140:141], v[112:113], v[122:123]
	scratch_load_b128 v[110:113], off, off offset:344
	s_wait_loadcnt 0x5
	v_fmac_f64_e32 v[140:141], v[126:127], v[124:125]
	ds_load_b128 v[122:125], v2 offset:672
	ds_load_b128 v[130:133], v2 offset:688
	s_wait_dscnt 0x1
	v_fmac_f64_e32 v[140:141], v[128:129], v[122:123]
	s_wait_loadcnt 0x4
	s_delay_alu instid0(VALU_DEP_1)
	v_fmac_f64_e32 v[140:141], v[114:115], v[124:125]
	scratch_load_b128 v[122:125], off, off offset:360
	s_wait_dscnt 0x0
	v_fmac_f64_e32 v[140:141], v[116:117], v[130:131]
	scratch_load_b128 v[114:117], off, off offset:376
	s_wait_loadcnt 0x5
	v_fmac_f64_e32 v[140:141], v[136:137], v[132:133]
	ds_load_b128 v[126:129], v2 offset:704
	ds_load_b128 v[130:133], v2 offset:720
	scratch_load_b64 v[134:135], off, off offset:392
	s_wait_dscnt 0x1
	v_fmac_f64_e32 v[140:141], v[138:139], v[126:127]
	s_wait_loadcnt 0x5
	s_delay_alu instid0(VALU_DEP_1) | instskip(SKIP_1) | instid1(VALU_DEP_1)
	v_fmac_f64_e32 v[140:141], v[106:107], v[128:129]
	s_wait_dscnt 0x0
	v_fmac_f64_e32 v[140:141], v[108:109], v[130:131]
	ds_load_b128 v[106:109], v2 offset:736
	ds_load_b128 v[126:129], v2 offset:752
	s_wait_loadcnt 0x4
	v_fmac_f64_e32 v[140:141], v[118:119], v[132:133]
	s_wait_dscnt 0x1
	s_delay_alu instid0(VALU_DEP_1) | instskip(SKIP_1) | instid1(VALU_DEP_1)
	v_fmac_f64_e32 v[140:141], v[120:121], v[106:107]
	s_wait_loadcnt 0x3
	v_fmac_f64_e32 v[140:141], v[110:111], v[108:109]
	s_wait_dscnt 0x0
	s_delay_alu instid0(VALU_DEP_1)
	v_fmac_f64_e32 v[140:141], v[112:113], v[126:127]
	ds_load_b128 v[106:109], v2 offset:768
	ds_load_b128 v[110:113], v2 offset:784
	s_wait_loadcnt 0x2
	v_fmac_f64_e32 v[140:141], v[122:123], v[128:129]
	s_wait_dscnt 0x1
	s_delay_alu instid0(VALU_DEP_1) | instskip(SKIP_1) | instid1(VALU_DEP_1)
	v_fmac_f64_e32 v[140:141], v[124:125], v[106:107]
	s_wait_loadcnt 0x1
	v_fmac_f64_e32 v[140:141], v[114:115], v[108:109]
	s_wait_dscnt 0x0
	s_delay_alu instid0(VALU_DEP_1) | instskip(SKIP_1) | instid1(VALU_DEP_1)
	v_fmac_f64_e32 v[140:141], v[116:117], v[110:111]
	s_wait_loadcnt 0x0
	v_fmac_f64_e32 v[140:141], v[134:135], v[112:113]
	s_delay_alu instid0(VALU_DEP_1)
	v_add_f64_e64 v[2:3], v[104:105], -v[140:141]
	scratch_store_b64 off, v[2:3], off offset:8
	s_wait_xcnt 0x0
	v_cmpx_ne_u32_e32 0, v0
	s_cbranch_execz .LBB49_309
; %bb.308:
	scratch_load_b64 v[2:3], off, off
	v_mov_b64_e32 v[104:105], 0
	scratch_store_b64 off, v[104:105], off
	s_wait_loadcnt 0x0
	ds_store_b64 v1, v[2:3]
.LBB49_309:
	s_wait_xcnt 0x0
	s_or_b32 exec_lo, exec_lo, s0
	s_wait_storecnt_dscnt 0x0
	s_barrier_signal -1
	s_barrier_wait -1
	s_clause 0x5
	scratch_load_b128 v[106:109], off, off
	scratch_load_b128 v[0:3], off, off offset:16
	scratch_load_b128 v[110:113], off, off offset:32
	;; [unrolled: 1-line block ×5, first 2 shown]
	v_mov_b32_e32 v104, 0
	scratch_load_b128 v[130:133], off, off offset:96
	s_and_b32 vcc_lo, exec_lo, s18
	ds_load_2addr_b64 v[126:129], v104 offset0:51 offset1:52
	s_wait_loadcnt_dscnt 0x600
	v_fma_f64 v[136:137], v[108:109], v[126:127], 0
	s_wait_loadcnt 0x5
	s_delay_alu instid0(VALU_DEP_1)
	v_fmac_f64_e32 v[136:137], v[0:1], v[128:129]
	ds_load_2addr_b64 v[126:129], v104 offset0:53 offset1:54
	s_wait_dscnt 0x0
	v_fmac_f64_e32 v[136:137], v[2:3], v[126:127]
	scratch_load_b128 v[0:3], off, off offset:112
	s_wait_loadcnt 0x5
	v_fmac_f64_e32 v[136:137], v[110:111], v[128:129]
	ds_load_2addr_b64 v[108:111], v104 offset0:55 offset1:56
	scratch_load_b128 v[126:129], off, off offset:128
	s_wait_dscnt 0x0
	v_fmac_f64_e32 v[136:137], v[112:113], v[108:109]
	s_wait_loadcnt 0x5
	s_delay_alu instid0(VALU_DEP_1)
	v_fmac_f64_e32 v[136:137], v[114:115], v[110:111]
	ds_load_2addr_b64 v[108:111], v104 offset0:57 offset1:58
	scratch_load_b128 v[112:115], off, off offset:144
	s_wait_dscnt 0x0
	v_fmac_f64_e32 v[136:137], v[116:117], v[108:109]
	s_wait_loadcnt 0x5
	s_delay_alu instid0(VALU_DEP_1)
	;; [unrolled: 7-line block ×4, first 2 shown]
	v_fmac_f64_e32 v[136:137], v[130:131], v[110:111]
	ds_load_2addr_b64 v[108:111], v104 offset0:63 offset1:64
	s_wait_dscnt 0x0
	v_fmac_f64_e32 v[136:137], v[132:133], v[108:109]
	scratch_load_b128 v[130:133], off, off offset:192
	s_wait_loadcnt 0x5
	v_fmac_f64_e32 v[136:137], v[0:1], v[110:111]
	ds_load_2addr_b64 v[108:111], v104 offset0:65 offset1:66
	s_wait_dscnt 0x0
	v_fmac_f64_e32 v[136:137], v[2:3], v[108:109]
	scratch_load_b128 v[0:3], off, off offset:208
	s_wait_loadcnt 0x5
	v_fmac_f64_e32 v[136:137], v[126:127], v[110:111]
	ds_load_2addr_b64 v[108:111], v104 offset0:67 offset1:68
	scratch_load_b128 v[124:127], off, off offset:224
	s_wait_dscnt 0x0
	v_fmac_f64_e32 v[136:137], v[128:129], v[108:109]
	s_wait_loadcnt 0x5
	s_delay_alu instid0(VALU_DEP_1)
	v_fmac_f64_e32 v[136:137], v[112:113], v[110:111]
	ds_load_2addr_b64 v[108:111], v104 offset0:69 offset1:70
	s_wait_dscnt 0x0
	v_fmac_f64_e32 v[136:137], v[114:115], v[108:109]
	scratch_load_b128 v[112:115], off, off offset:240
	s_wait_loadcnt 0x5
	v_fmac_f64_e32 v[136:137], v[116:117], v[110:111]
	ds_load_2addr_b64 v[108:111], v104 offset0:71 offset1:72
	s_wait_dscnt 0x0
	v_fmac_f64_e32 v[136:137], v[118:119], v[108:109]
	scratch_load_b128 v[116:119], off, off offset:256
	s_wait_loadcnt 0x5
	;; [unrolled: 6-line block ×3, first 2 shown]
	v_fmac_f64_e32 v[136:137], v[130:131], v[110:111]
	ds_load_2addr_b64 v[108:111], v104 offset0:75 offset1:76
	scratch_load_b128 v[128:131], off, off offset:288
	s_wait_dscnt 0x0
	v_fmac_f64_e32 v[136:137], v[132:133], v[108:109]
	scratch_load_b128 v[132:135], off, off offset:304
	s_wait_loadcnt 0x6
	v_fmac_f64_e32 v[136:137], v[0:1], v[110:111]
	ds_load_2addr_b64 v[108:111], v104 offset0:77 offset1:78
	s_wait_dscnt 0x0
	v_fmac_f64_e32 v[136:137], v[2:3], v[108:109]
	ds_load_2addr_b64 v[0:3], v104 offset0:79 offset1:80
	s_wait_loadcnt 0x5
	v_fmac_f64_e32 v[136:137], v[124:125], v[110:111]
	scratch_load_b128 v[108:111], off, off offset:320
	s_wait_dscnt 0x0
	v_fmac_f64_e32 v[136:137], v[126:127], v[0:1]
	ds_load_2addr_b64 v[124:127], v104 offset0:87 offset1:88
	s_wait_loadcnt 0x5
	v_fmac_f64_e32 v[136:137], v[112:113], v[2:3]
	ds_load_2addr_b64 v[0:3], v104 offset0:81 offset1:82
	s_wait_dscnt 0x0
	v_fmac_f64_e32 v[136:137], v[114:115], v[0:1]
	scratch_load_b128 v[112:115], off, off offset:336
	s_wait_loadcnt 0x5
	v_fmac_f64_e32 v[136:137], v[116:117], v[2:3]
	ds_load_2addr_b64 v[0:3], v104 offset0:83 offset1:84
	s_wait_dscnt 0x0
	v_fmac_f64_e32 v[136:137], v[118:119], v[0:1]
	scratch_load_b128 v[116:119], off, off offset:352
	;; [unrolled: 6-line block ×3, first 2 shown]
	s_wait_loadcnt 0x5
	v_fmac_f64_e32 v[136:137], v[128:129], v[2:3]
	scratch_load_b128 v[0:3], off, off offset:384
	v_fmac_f64_e32 v[136:137], v[130:131], v[124:125]
	s_wait_loadcnt 0x5
	s_delay_alu instid0(VALU_DEP_1) | instskip(SKIP_4) | instid1(VALU_DEP_1)
	v_fmac_f64_e32 v[136:137], v[132:133], v[126:127]
	ds_load_2addr_b64 v[124:127], v104 offset0:89 offset1:90
	s_wait_dscnt 0x0
	v_fmac_f64_e32 v[136:137], v[134:135], v[124:125]
	s_wait_loadcnt 0x4
	v_fmac_f64_e32 v[136:137], v[108:109], v[126:127]
	ds_load_2addr_b64 v[124:127], v104 offset0:91 offset1:92
	s_wait_dscnt 0x0
	v_fmac_f64_e32 v[136:137], v[110:111], v[124:125]
	ds_load_2addr_b64 v[108:111], v104 offset0:93 offset1:94
	s_wait_loadcnt 0x3
	v_fmac_f64_e32 v[136:137], v[112:113], v[126:127]
	s_wait_dscnt 0x0
	s_delay_alu instid0(VALU_DEP_1) | instskip(SKIP_1) | instid1(VALU_DEP_1)
	v_fmac_f64_e32 v[136:137], v[114:115], v[108:109]
	s_wait_loadcnt 0x2
	v_fmac_f64_e32 v[136:137], v[116:117], v[110:111]
	ds_load_2addr_b64 v[108:111], v104 offset0:95 offset1:96
	s_wait_dscnt 0x0
	v_fmac_f64_e32 v[136:137], v[118:119], v[108:109]
	s_wait_loadcnt 0x1
	s_delay_alu instid0(VALU_DEP_1)
	v_fmac_f64_e32 v[136:137], v[120:121], v[110:111]
	ds_load_2addr_b64 v[108:111], v104 offset0:97 offset1:98
	s_wait_dscnt 0x0
	v_fmac_f64_e32 v[136:137], v[122:123], v[108:109]
	ds_load_b64 v[108:109], v104 offset:792
	s_wait_loadcnt 0x0
	v_fmac_f64_e32 v[136:137], v[0:1], v[110:111]
	s_wait_dscnt 0x0
	s_delay_alu instid0(VALU_DEP_1) | instskip(NEXT) | instid1(VALU_DEP_1)
	v_fmac_f64_e32 v[136:137], v[2:3], v[108:109]
	v_add_f64_e64 v[126:127], v[106:107], -v[136:137]
	scratch_store_b64 off, v[126:127], off
	s_cbranch_vccz .LBB49_408
; %bb.310:
	global_load_b32 v2, v104, s[2:3] offset:192
	s_wait_loadcnt 0x0
	v_cmp_ne_u32_e32 vcc_lo, 49, v2
	s_cbranch_vccz .LBB49_312
; %bb.311:
	v_lshlrev_b32_e32 v2, 3, v2
	s_wait_xcnt 0x0
	s_delay_alu instid0(VALU_DEP_1)
	v_mov_b32_e32 v104, v2
	scratch_load_b64 v[2:3], v104, off offset:-8
	s_wait_loadcnt 0x0
	scratch_store_b64 off, v[2:3], off offset:384
	scratch_store_b64 v104, v[0:1], off offset:-8
.LBB49_312:
	s_wait_xcnt 0x0
	v_mov_b32_e32 v0, 0
	global_load_b32 v1, v0, s[2:3] offset:188
	s_wait_loadcnt 0x0
	v_cmp_eq_u32_e32 vcc_lo, 48, v1
	s_cbranch_vccnz .LBB49_314
; %bb.313:
	v_lshlrev_b32_e32 v1, 3, v1
	scratch_load_b64 v[2:3], v1, off offset:-8
	scratch_load_b64 v[104:105], off, off offset:376
	s_wait_loadcnt 0x1
	scratch_store_b64 off, v[2:3], off offset:376
	s_wait_loadcnt 0x0
	scratch_store_b64 v1, v[104:105], off offset:-8
.LBB49_314:
	global_load_b32 v0, v0, s[2:3] offset:184
	s_wait_loadcnt 0x0
	v_cmp_eq_u32_e32 vcc_lo, 47, v0
	s_cbranch_vccnz .LBB49_316
; %bb.315:
	s_wait_xcnt 0x0
	v_lshlrev_b32_e32 v0, 3, v0
	s_delay_alu instid0(VALU_DEP_1)
	v_mov_b32_e32 v104, v0
	scratch_load_b64 v[0:1], v104, off offset:-8
	scratch_load_b64 v[2:3], off, off offset:368
	s_wait_loadcnt 0x1
	scratch_store_b64 off, v[0:1], off offset:368
	s_wait_loadcnt 0x0
	scratch_store_b64 v104, v[2:3], off offset:-8
.LBB49_316:
	s_wait_xcnt 0x0
	v_mov_b32_e32 v0, 0
	global_load_b32 v1, v0, s[2:3] offset:180
	s_wait_loadcnt 0x0
	v_cmp_eq_u32_e32 vcc_lo, 46, v1
	s_cbranch_vccnz .LBB49_318
; %bb.317:
	v_lshlrev_b32_e32 v1, 3, v1
	scratch_load_b64 v[2:3], v1, off offset:-8
	scratch_load_b64 v[104:105], off, off offset:360
	s_wait_loadcnt 0x1
	scratch_store_b64 off, v[2:3], off offset:360
	s_wait_loadcnt 0x0
	scratch_store_b64 v1, v[104:105], off offset:-8
.LBB49_318:
	global_load_b32 v0, v0, s[2:3] offset:176
	s_wait_loadcnt 0x0
	v_cmp_eq_u32_e32 vcc_lo, 45, v0
	s_cbranch_vccnz .LBB49_320
; %bb.319:
	s_wait_xcnt 0x0
	v_lshlrev_b32_e32 v0, 3, v0
	s_delay_alu instid0(VALU_DEP_1)
	v_mov_b32_e32 v104, v0
	scratch_load_b64 v[0:1], v104, off offset:-8
	scratch_load_b64 v[2:3], off, off offset:352
	s_wait_loadcnt 0x1
	scratch_store_b64 off, v[0:1], off offset:352
	s_wait_loadcnt 0x0
	scratch_store_b64 v104, v[2:3], off offset:-8
.LBB49_320:
	;; [unrolled: 31-line block ×23, first 2 shown]
	s_wait_xcnt 0x0
	v_mov_b32_e32 v0, 0
	global_load_b32 v1, v0, s[2:3] offset:4
	s_wait_loadcnt 0x0
	v_cmp_eq_u32_e32 vcc_lo, 2, v1
	s_cbranch_vccnz .LBB49_406
; %bb.405:
	v_lshlrev_b32_e32 v1, 3, v1
	scratch_load_b64 v[2:3], v1, off offset:-8
	scratch_load_b64 v[104:105], off, off offset:8
	s_wait_loadcnt 0x1
	scratch_store_b64 off, v[2:3], off offset:8
	s_wait_loadcnt 0x0
	scratch_store_b64 v1, v[104:105], off offset:-8
.LBB49_406:
	global_load_b32 v0, v0, s[2:3]
	scratch_load_b64 v[126:127], off, off
	s_wait_loadcnt 0x1
	v_cmp_eq_u32_e32 vcc_lo, 1, v0
	s_cbranch_vccnz .LBB49_408
; %bb.407:
	s_wait_xcnt 0x1
	v_lshlrev_b32_e32 v0, 3, v0
	s_delay_alu instid0(VALU_DEP_1)
	v_mov_b32_e32 v2, v0
	scratch_load_b64 v[0:1], v2, off offset:-8
	s_wait_loadcnt 0x0
	scratch_store_b64 off, v[0:1], off
	scratch_store_b64 v2, v[126:127], off offset:-8
	scratch_load_b64 v[126:127], off, off
.LBB49_408:
	v_lshl_add_u64 v[130:131], v[8:9], 3, s[4:5]
	v_lshl_add_u64 v[128:129], v[10:11], 3, s[4:5]
	;; [unrolled: 1-line block ×12, first 2 shown]
	s_wait_xcnt 0x1
	v_lshl_add_u64 v[0:1], v[34:35], 3, s[4:5]
	v_lshl_add_u64 v[2:3], v[36:37], 3, s[4:5]
	;; [unrolled: 1-line block ×32, first 2 shown]
	s_clause 0x8
	scratch_load_b128 v[74:77], off, off offset:8
	scratch_load_b128 v[78:81], off, off offset:24
	;; [unrolled: 1-line block ×9, first 2 shown]
	v_lshl_add_u64 v[124:125], v[12:13], 3, s[4:5]
	s_wait_loadcnt 0x9
	global_store_b64 v[4:5], v[126:127], off
	v_lshl_add_u64 v[12:13], v[42:43], 3, s[4:5]
	v_lshl_add_u64 v[42:43], v[72:73], 3, s[4:5]
	;; [unrolled: 1-line block ×3, first 2 shown]
	scratch_load_b128 v[140:143], off, off offset:152
	s_wait_loadcnt 0x9
	s_clause 0x1
	global_store_b64 v[6:7], v[74:75], off
	global_store_b64 v[130:131], v[76:77], off
	s_wait_loadcnt 0x8
	s_clause 0x1
	global_store_b64 v[128:129], v[78:79], off
	global_store_b64 v[124:125], v[80:81], off
	;; [unrolled: 4-line block ×7, first 2 shown]
	s_clause 0xe
	scratch_load_b128 v[4:7], off, off offset:168
	scratch_load_b128 v[74:77], off, off offset:184
	scratch_load_b128 v[126:129], off, off offset:200
	scratch_load_b128 v[78:81], off, off offset:216
	scratch_load_b128 v[122:125], off, off offset:232
	scratch_load_b128 v[82:85], off, off offset:248
	scratch_load_b128 v[118:121], off, off offset:264
	scratch_load_b128 v[86:89], off, off offset:280
	scratch_load_b128 v[114:117], off, off offset:296
	scratch_load_b128 v[90:93], off, off offset:312
	scratch_load_b128 v[110:113], off, off offset:328
	scratch_load_b128 v[94:97], off, off offset:344
	scratch_load_b128 v[106:109], off, off offset:360
	scratch_load_b128 v[98:101], off, off offset:376
	scratch_load_b64 v[102:103], off, off offset:392
	s_wait_loadcnt 0x11
	s_clause 0x1
	global_store_b64 v[0:1], v[132:133], off
	global_store_b64 v[2:3], v[134:135], off
	s_wait_loadcnt 0x10
	s_clause 0x1
	global_store_b64 v[8:9], v[136:137], off
	global_store_b64 v[10:11], v[138:139], off
	;; [unrolled: 4-line block ×17, first 2 shown]
	s_wait_loadcnt 0x0
	global_store_b64 v[72:73], v[102:103], off
	s_sendmsg sendmsg(MSG_DEALLOC_VGPRS)
	s_endpgm
	.section	.rodata,"a",@progbits
	.p2align	6, 0x0
	.amdhsa_kernel _ZN9rocsolver6v33100L18getri_kernel_smallILi50EdPdEEvT1_iilPiilS4_bb
		.amdhsa_group_segment_fixed_size 808
		.amdhsa_private_segment_fixed_size 416
		.amdhsa_kernarg_size 60
		.amdhsa_user_sgpr_count 2
		.amdhsa_user_sgpr_dispatch_ptr 0
		.amdhsa_user_sgpr_queue_ptr 0
		.amdhsa_user_sgpr_kernarg_segment_ptr 1
		.amdhsa_user_sgpr_dispatch_id 0
		.amdhsa_user_sgpr_kernarg_preload_length 0
		.amdhsa_user_sgpr_kernarg_preload_offset 0
		.amdhsa_user_sgpr_private_segment_size 0
		.amdhsa_wavefront_size32 1
		.amdhsa_uses_dynamic_stack 0
		.amdhsa_enable_private_segment 1
		.amdhsa_system_sgpr_workgroup_id_x 1
		.amdhsa_system_sgpr_workgroup_id_y 0
		.amdhsa_system_sgpr_workgroup_id_z 0
		.amdhsa_system_sgpr_workgroup_info 0
		.amdhsa_system_vgpr_workitem_id 0
		.amdhsa_next_free_vgpr 144
		.amdhsa_next_free_sgpr 19
		.amdhsa_named_barrier_count 0
		.amdhsa_reserve_vcc 1
		.amdhsa_float_round_mode_32 0
		.amdhsa_float_round_mode_16_64 0
		.amdhsa_float_denorm_mode_32 3
		.amdhsa_float_denorm_mode_16_64 3
		.amdhsa_fp16_overflow 0
		.amdhsa_memory_ordered 1
		.amdhsa_forward_progress 1
		.amdhsa_inst_pref_size 255
		.amdhsa_round_robin_scheduling 0
		.amdhsa_exception_fp_ieee_invalid_op 0
		.amdhsa_exception_fp_denorm_src 0
		.amdhsa_exception_fp_ieee_div_zero 0
		.amdhsa_exception_fp_ieee_overflow 0
		.amdhsa_exception_fp_ieee_underflow 0
		.amdhsa_exception_fp_ieee_inexact 0
		.amdhsa_exception_int_div_zero 0
	.end_amdhsa_kernel
	.section	.text._ZN9rocsolver6v33100L18getri_kernel_smallILi50EdPdEEvT1_iilPiilS4_bb,"axG",@progbits,_ZN9rocsolver6v33100L18getri_kernel_smallILi50EdPdEEvT1_iilPiilS4_bb,comdat
.Lfunc_end49:
	.size	_ZN9rocsolver6v33100L18getri_kernel_smallILi50EdPdEEvT1_iilPiilS4_bb, .Lfunc_end49-_ZN9rocsolver6v33100L18getri_kernel_smallILi50EdPdEEvT1_iilPiilS4_bb
                                        ; -- End function
	.set _ZN9rocsolver6v33100L18getri_kernel_smallILi50EdPdEEvT1_iilPiilS4_bb.num_vgpr, 144
	.set _ZN9rocsolver6v33100L18getri_kernel_smallILi50EdPdEEvT1_iilPiilS4_bb.num_agpr, 0
	.set _ZN9rocsolver6v33100L18getri_kernel_smallILi50EdPdEEvT1_iilPiilS4_bb.numbered_sgpr, 19
	.set _ZN9rocsolver6v33100L18getri_kernel_smallILi50EdPdEEvT1_iilPiilS4_bb.num_named_barrier, 0
	.set _ZN9rocsolver6v33100L18getri_kernel_smallILi50EdPdEEvT1_iilPiilS4_bb.private_seg_size, 416
	.set _ZN9rocsolver6v33100L18getri_kernel_smallILi50EdPdEEvT1_iilPiilS4_bb.uses_vcc, 1
	.set _ZN9rocsolver6v33100L18getri_kernel_smallILi50EdPdEEvT1_iilPiilS4_bb.uses_flat_scratch, 1
	.set _ZN9rocsolver6v33100L18getri_kernel_smallILi50EdPdEEvT1_iilPiilS4_bb.has_dyn_sized_stack, 0
	.set _ZN9rocsolver6v33100L18getri_kernel_smallILi50EdPdEEvT1_iilPiilS4_bb.has_recursion, 0
	.set _ZN9rocsolver6v33100L18getri_kernel_smallILi50EdPdEEvT1_iilPiilS4_bb.has_indirect_call, 0
	.section	.AMDGPU.csdata,"",@progbits
; Kernel info:
; codeLenInByte = 47612
; TotalNumSgprs: 21
; NumVgprs: 144
; ScratchSize: 416
; MemoryBound: 0
; FloatMode: 240
; IeeeMode: 1
; LDSByteSize: 808 bytes/workgroup (compile time only)
; SGPRBlocks: 0
; VGPRBlocks: 8
; NumSGPRsForWavesPerEU: 21
; NumVGPRsForWavesPerEU: 144
; NamedBarCnt: 0
; Occupancy: 7
; WaveLimiterHint : 1
; COMPUTE_PGM_RSRC2:SCRATCH_EN: 1
; COMPUTE_PGM_RSRC2:USER_SGPR: 2
; COMPUTE_PGM_RSRC2:TRAP_HANDLER: 0
; COMPUTE_PGM_RSRC2:TGID_X_EN: 1
; COMPUTE_PGM_RSRC2:TGID_Y_EN: 0
; COMPUTE_PGM_RSRC2:TGID_Z_EN: 0
; COMPUTE_PGM_RSRC2:TIDIG_COMP_CNT: 0
	.section	.text._ZN9rocsolver6v33100L18getri_kernel_smallILi51EdPdEEvT1_iilPiilS4_bb,"axG",@progbits,_ZN9rocsolver6v33100L18getri_kernel_smallILi51EdPdEEvT1_iilPiilS4_bb,comdat
	.globl	_ZN9rocsolver6v33100L18getri_kernel_smallILi51EdPdEEvT1_iilPiilS4_bb ; -- Begin function _ZN9rocsolver6v33100L18getri_kernel_smallILi51EdPdEEvT1_iilPiilS4_bb
	.p2align	8
	.type	_ZN9rocsolver6v33100L18getri_kernel_smallILi51EdPdEEvT1_iilPiilS4_bb,@function
_ZN9rocsolver6v33100L18getri_kernel_smallILi51EdPdEEvT1_iilPiilS4_bb: ; @_ZN9rocsolver6v33100L18getri_kernel_smallILi51EdPdEEvT1_iilPiilS4_bb
; %bb.0:
	s_mov_b32 s2, exec_lo
	v_cmpx_gt_u32_e32 51, v0
	s_cbranch_execz .LBB50_214
; %bb.1:
	s_clause 0x2
	s_load_b32 s2, s[0:1], 0x38
	s_load_b128 s[12:15], s[0:1], 0x10
	s_load_b128 s[4:7], s[0:1], 0x28
	s_getreg_b32 s9, hwreg(HW_REG_IB_STS2, 6, 4)
	s_wait_kmcnt 0x0
	s_bitcmp1_b32 s2, 8
	s_cselect_b32 s18, -1, 0
	s_bfe_u32 s3, ttmp6, 0x4000c
	s_and_b32 s8, ttmp6, 15
	s_add_co_i32 s3, s3, 1
	s_delay_alu instid0(SALU_CYCLE_1) | instskip(NEXT) | instid1(SALU_CYCLE_1)
	s_mul_i32 s3, ttmp9, s3
	s_add_co_i32 s8, s8, s3
	s_cmp_eq_u32 s9, 0
	s_cselect_b32 s16, ttmp9, s8
	s_bfe_u32 s2, s2, 0x10008
	s_ashr_i32 s17, s16, 31
	s_cmp_eq_u32 s2, 0
                                        ; implicit-def: $sgpr2_sgpr3
	s_cbranch_scc1 .LBB50_3
; %bb.2:
	s_load_b32 s2, s[0:1], 0x20
	s_mul_u64 s[4:5], s[4:5], s[16:17]
	s_delay_alu instid0(SALU_CYCLE_1) | instskip(NEXT) | instid1(SALU_CYCLE_1)
	s_lshl_b64 s[4:5], s[4:5], 2
	s_add_nc_u64 s[4:5], s[14:15], s[4:5]
	s_wait_kmcnt 0x0
	s_ashr_i32 s3, s2, 31
	s_delay_alu instid0(SALU_CYCLE_1) | instskip(NEXT) | instid1(SALU_CYCLE_1)
	s_lshl_b64 s[2:3], s[2:3], 2
	s_add_nc_u64 s[2:3], s[4:5], s[2:3]
.LBB50_3:
	s_clause 0x1
	s_load_b128 s[8:11], s[0:1], 0x0
	s_load_b32 s14, s[0:1], 0x38
	s_wait_xcnt 0x0
	s_mul_u64 s[0:1], s[12:13], s[16:17]
	v_mov_b32_e32 v3, 0
	s_lshl_b64 s[0:1], s[0:1], 3
	v_lshlrev_b32_e32 v2, 3, v0
	s_wait_kmcnt 0x0
	v_add3_u32 v8, s11, s11, v0
	s_ashr_i32 s5, s10, 31
	s_mov_b32 s4, s10
	s_add_nc_u64 s[0:1], s[8:9], s[0:1]
	s_lshl_b64 s[4:5], s[4:5], 3
	v_add_nc_u32_e32 v10, s11, v8
	s_add_nc_u64 s[4:5], s[0:1], s[4:5]
	s_ashr_i32 s1, s11, 31
	s_mov_b32 s0, s11
	s_bitcmp0_b32 s14, 0
	v_add_nc_u32_e32 v12, s11, v10
	v_add_nc_u64_e32 v[6:7], s[4:5], v[2:3]
	s_delay_alu instid0(VALU_DEP_2) | instskip(NEXT) | instid1(VALU_DEP_2)
	v_add_nc_u32_e32 v14, s11, v12
	v_lshl_add_u64 v[4:5], s[0:1], 3, v[6:7]
	s_mov_b32 s1, -1
	s_delay_alu instid0(VALU_DEP_2)
	v_add_nc_u32_e32 v16, s11, v14
	s_clause 0x3
	global_load_b64 v[72:73], v0, s[4:5] scale_offset
	global_load_b64 v[74:75], v[4:5], off
	global_load_b64 v[76:77], v8, s[4:5] scale_offset
	global_load_b64 v[78:79], v10, s[4:5] scale_offset
	v_add_nc_u32_e32 v18, s11, v16
	s_delay_alu instid0(VALU_DEP_1)
	v_add_nc_u32_e32 v20, s11, v18
	s_clause 0x3
	global_load_b64 v[80:81], v12, s[4:5] scale_offset
	global_load_b64 v[82:83], v14, s[4:5] scale_offset
	;; [unrolled: 1-line block ×4, first 2 shown]
	v_add_nc_u32_e32 v22, s11, v20
	s_clause 0x1
	global_load_b64 v[88:89], v20, s[4:5] scale_offset
	global_load_b64 v[90:91], v22, s[4:5] scale_offset
	v_add_nc_u32_e32 v24, s11, v22
	s_delay_alu instid0(VALU_DEP_1) | instskip(NEXT) | instid1(VALU_DEP_1)
	v_add_nc_u32_e32 v26, s11, v24
	v_add_nc_u32_e32 v28, s11, v26
	s_delay_alu instid0(VALU_DEP_1) | instskip(NEXT) | instid1(VALU_DEP_1)
	v_add_nc_u32_e32 v30, s11, v28
	v_add_nc_u32_e32 v32, s11, v30
	s_clause 0x1
	global_load_b64 v[92:93], v24, s[4:5] scale_offset
	global_load_b64 v[94:95], v26, s[4:5] scale_offset
	v_add_nc_u32_e32 v34, s11, v32
	s_delay_alu instid0(VALU_DEP_1) | instskip(SKIP_4) | instid1(VALU_DEP_1)
	v_add_nc_u32_e32 v36, s11, v34
	s_clause 0x1
	global_load_b64 v[96:97], v28, s[4:5] scale_offset
	global_load_b64 v[98:99], v30, s[4:5] scale_offset
	v_add_nc_u32_e32 v38, s11, v36
	v_add_nc_u32_e32 v40, s11, v38
	s_delay_alu instid0(VALU_DEP_1) | instskip(NEXT) | instid1(VALU_DEP_1)
	v_add_nc_u32_e32 v42, s11, v40
	v_add_nc_u32_e32 v44, s11, v42
	s_clause 0x3
	global_load_b64 v[100:101], v32, s[4:5] scale_offset
	global_load_b64 v[102:103], v34, s[4:5] scale_offset
	;; [unrolled: 1-line block ×4, first 2 shown]
	v_add_nc_u32_e32 v46, s11, v44
	s_delay_alu instid0(VALU_DEP_1)
	v_add_nc_u32_e32 v48, s11, v46
	s_clause 0x3
	global_load_b64 v[108:109], v40, s[4:5] scale_offset
	global_load_b64 v[110:111], v42, s[4:5] scale_offset
	global_load_b64 v[112:113], v44, s[4:5] scale_offset
	global_load_b64 v[114:115], v46, s[4:5] scale_offset
	v_add_nc_u32_e32 v50, s11, v48
	s_delay_alu instid0(VALU_DEP_1) | instskip(NEXT) | instid1(VALU_DEP_1)
	v_add_nc_u32_e32 v52, s11, v50
	v_add_nc_u32_e32 v54, s11, v52
	s_delay_alu instid0(VALU_DEP_1) | instskip(NEXT) | instid1(VALU_DEP_1)
	v_add_nc_u32_e32 v56, s11, v54
	v_add_nc_u32_e32 v58, s11, v56
	s_delay_alu instid0(VALU_DEP_1)
	v_add_nc_u32_e32 v60, s11, v58
	s_clause 0x3
	global_load_b64 v[116:117], v48, s[4:5] scale_offset
	global_load_b64 v[118:119], v50, s[4:5] scale_offset
	;; [unrolled: 1-line block ×4, first 2 shown]
	v_add_nc_u32_e32 v62, s11, v60
	s_delay_alu instid0(VALU_DEP_1) | instskip(NEXT) | instid1(VALU_DEP_1)
	v_add_nc_u32_e32 v64, s11, v62
	v_add_nc_u32_e32 v66, s11, v64
	s_delay_alu instid0(VALU_DEP_1)
	v_add_nc_u32_e32 v68, s11, v66
	s_clause 0x3
	global_load_b64 v[124:125], v56, s[4:5] scale_offset
	global_load_b64 v[126:127], v58, s[4:5] scale_offset
	;; [unrolled: 1-line block ×4, first 2 shown]
	v_add_nc_u32_e32 v70, s11, v68
	s_clause 0x3
	global_load_b64 v[132:133], v64, s[4:5] scale_offset
	global_load_b64 v[134:135], v66, s[4:5] scale_offset
	;; [unrolled: 1-line block ×4, first 2 shown]
	s_wait_loadcnt 0x20
	scratch_store_b128 off, v[72:75], off
	s_wait_loadcnt 0x1e
	scratch_store_b128 off, v[76:79], off offset:16
	s_wait_xcnt 0x1
	v_add_nc_u32_e32 v72, s11, v70
	s_delay_alu instid0(VALU_DEP_1)
	v_add_nc_u32_e32 v74, s11, v72
	s_wait_loadcnt 0x1c
	scratch_store_b128 off, v[80:83], off offset:32
	s_wait_loadcnt 0x1a
	scratch_store_b128 off, v[84:87], off offset:48
	s_wait_xcnt 0x2
	v_add_nc_u32_e32 v76, s11, v74
	s_wait_loadcnt 0x18
	scratch_store_b128 off, v[88:91], off offset:64
	v_add_nc_u32_e32 v78, s11, v76
	s_wait_xcnt 0x2
	s_delay_alu instid0(VALU_DEP_1) | instskip(NEXT) | instid1(VALU_DEP_1)
	v_add_nc_u32_e32 v80, s11, v78
	v_add_nc_u32_e32 v82, s11, v80
	s_wait_xcnt 0x1
	s_delay_alu instid0(VALU_DEP_1) | instskip(NEXT) | instid1(VALU_DEP_1)
	v_add_nc_u32_e32 v84, s11, v82
	v_add_nc_u32_e32 v86, s11, v84
	s_wait_loadcnt 0x16
	scratch_store_b128 off, v[92:95], off offset:80
	s_wait_xcnt 0x1
	v_add_nc_u32_e32 v88, s11, v86
	s_delay_alu instid0(VALU_DEP_1)
	v_add_nc_u32_e32 v90, s11, v88
	s_wait_loadcnt 0x14
	scratch_store_b128 off, v[96:99], off offset:96
	s_wait_loadcnt 0x12
	scratch_store_b128 off, v[100:103], off offset:112
	;; [unrolled: 2-line block ×3, first 2 shown]
	s_clause 0x3
	global_load_b64 v[140:141], v72, s[4:5] scale_offset
	global_load_b64 v[142:143], v74, s[4:5] scale_offset
	;; [unrolled: 1-line block ×4, first 2 shown]
	s_wait_xcnt 0x7
	v_add_nc_u32_e32 v92, s11, v90
	s_delay_alu instid0(VALU_DEP_1)
	v_add_nc_u32_e32 v94, s11, v92
	s_wait_loadcnt 0x12
	scratch_store_b128 off, v[108:111], off offset:144
	s_wait_loadcnt 0x10
	scratch_store_b128 off, v[112:115], off offset:160
	;; [unrolled: 2-line block ×3, first 2 shown]
	s_wait_xcnt 0x9
	v_add_nc_u32_e32 v96, s11, v94
	s_clause 0x3
	global_load_b64 v[106:107], v80, s[4:5] scale_offset
	global_load_b64 v[108:109], v82, s[4:5] scale_offset
	;; [unrolled: 1-line block ×4, first 2 shown]
	s_wait_loadcnt 0x10
	scratch_store_b128 off, v[120:123], off offset:192
	s_wait_loadcnt 0xe
	scratch_store_b128 off, v[124:127], off offset:208
	v_add_nc_u32_e32 v98, s11, v96
	s_clause 0x3
	global_load_b64 v[114:115], v88, s[4:5] scale_offset
	global_load_b64 v[116:117], v90, s[4:5] scale_offset
	;; [unrolled: 1-line block ×4, first 2 shown]
	s_wait_loadcnt 0x10
	scratch_store_b128 off, v[128:131], off offset:224
	s_wait_loadcnt 0xe
	scratch_store_b128 off, v[132:135], off offset:240
	v_add_nc_u32_e32 v100, s11, v98
	s_delay_alu instid0(VALU_DEP_1) | instskip(NEXT) | instid1(VALU_DEP_1)
	v_add_nc_u32_e32 v102, s11, v100
	v_add_nc_u32_e32 v104, s11, v102
	s_clause 0x1
	global_load_b64 v[122:123], v96, s[4:5] scale_offset
	global_load_b64 v[124:125], v98, s[4:5] scale_offset
	s_wait_loadcnt 0xe
	scratch_store_b128 off, v[136:139], off offset:256
	s_clause 0x2
	global_load_b64 v[126:127], v100, s[4:5] scale_offset
	global_load_b64 v[128:129], v102, s[4:5] scale_offset
	;; [unrolled: 1-line block ×3, first 2 shown]
	s_wait_loadcnt 0xf
	scratch_store_b128 off, v[140:143], off offset:272
	s_wait_loadcnt 0xd
	scratch_store_b128 off, v[144:147], off offset:288
	;; [unrolled: 2-line block ×8, first 2 shown]
	s_wait_loadcnt 0x0
	scratch_store_b64 off, v[130:131], off offset:400
	s_cbranch_scc1 .LBB50_212
; %bb.4:
	v_cmp_eq_u32_e64 s0, 0, v0
	s_wait_xcnt 0x0
	s_and_saveexec_b32 s1, s0
; %bb.5:
	v_mov_b32_e32 v1, 0
	ds_store_b32 v1, v1 offset:408
; %bb.6:
	s_or_b32 exec_lo, exec_lo, s1
	s_wait_storecnt_dscnt 0x0
	s_barrier_signal -1
	s_barrier_wait -1
	scratch_load_b64 v[106:107], v0, off scale_offset
	s_mov_b32 s8, exec_lo
	s_wait_loadcnt 0x0
	v_cmpx_eq_f64_e32 0, v[106:107]
	s_cbranch_execz .LBB50_10
; %bb.7:
	v_mov_b32_e32 v1, 0
	s_mov_b32 s9, 0
	ds_load_b32 v3, v1 offset:408
	s_wait_dscnt 0x0
	v_readfirstlane_b32 s1, v3
	v_add_nc_u32_e32 v3, 1, v0
	s_cmp_eq_u32 s1, 0
	s_delay_alu instid0(VALU_DEP_1) | instskip(SKIP_1) | instid1(SALU_CYCLE_1)
	v_cmp_gt_i32_e32 vcc_lo, s1, v3
	s_cselect_b32 s10, -1, 0
	s_or_b32 s10, s10, vcc_lo
	s_delay_alu instid0(SALU_CYCLE_1)
	s_and_b32 exec_lo, exec_lo, s10
	s_cbranch_execz .LBB50_10
; %bb.8:
	v_mov_b32_e32 v9, s1
.LBB50_9:                               ; =>This Inner Loop Header: Depth=1
	ds_cmpstore_rtn_b32 v9, v1, v3, v9 offset:408
	s_wait_dscnt 0x0
	v_cmp_ne_u32_e32 vcc_lo, 0, v9
	v_cmp_le_i32_e64 s1, v9, v3
	s_and_b32 s1, vcc_lo, s1
	s_delay_alu instid0(SALU_CYCLE_1) | instskip(NEXT) | instid1(SALU_CYCLE_1)
	s_and_b32 s1, exec_lo, s1
	s_or_b32 s9, s1, s9
	s_delay_alu instid0(SALU_CYCLE_1)
	s_and_not1_b32 exec_lo, exec_lo, s9
	s_cbranch_execnz .LBB50_9
.LBB50_10:
	s_or_b32 exec_lo, exec_lo, s8
	v_mov_b32_e32 v1, 0
	s_barrier_signal -1
	s_barrier_wait -1
	ds_load_b32 v3, v1 offset:408
	s_and_saveexec_b32 s1, s0
	s_cbranch_execz .LBB50_12
; %bb.11:
	s_lshl_b64 s[8:9], s[16:17], 2
	s_delay_alu instid0(SALU_CYCLE_1)
	s_add_nc_u64 s[8:9], s[6:7], s[8:9]
	s_wait_dscnt 0x0
	global_store_b32 v1, v3, s[8:9]
.LBB50_12:
	s_wait_xcnt 0x0
	s_or_b32 exec_lo, exec_lo, s1
	s_wait_dscnt 0x0
	v_cmp_ne_u32_e32 vcc_lo, 0, v3
	s_mov_b32 s1, 0
	s_cbranch_vccnz .LBB50_212
; %bb.13:
	v_lshl_add_u32 v3, v0, 3, 0
	v_add_nc_u32_e32 v1, 0x1a0, v2
	scratch_load_b64 v[106:107], v3, off
	s_wait_loadcnt 0x0
	v_div_scale_f64 v[108:109], null, v[106:107], v[106:107], 1.0
	v_div_scale_f64 v[114:115], vcc_lo, 1.0, v[106:107], 1.0
	s_delay_alu instid0(VALU_DEP_2) | instskip(SKIP_1) | instid1(TRANS32_DEP_1)
	v_rcp_f64_e32 v[110:111], v[108:109]
	v_nop
	v_fma_f64 v[112:113], -v[108:109], v[110:111], 1.0
	s_delay_alu instid0(VALU_DEP_1) | instskip(NEXT) | instid1(VALU_DEP_1)
	v_fmac_f64_e32 v[110:111], v[110:111], v[112:113]
	v_fma_f64 v[112:113], -v[108:109], v[110:111], 1.0
	s_delay_alu instid0(VALU_DEP_1) | instskip(NEXT) | instid1(VALU_DEP_1)
	v_fmac_f64_e32 v[110:111], v[110:111], v[112:113]
	v_mul_f64_e32 v[112:113], v[114:115], v[110:111]
	s_delay_alu instid0(VALU_DEP_1) | instskip(NEXT) | instid1(VALU_DEP_1)
	v_fma_f64 v[108:109], -v[108:109], v[112:113], v[114:115]
	v_div_fmas_f64 v[108:109], v[108:109], v[110:111], v[112:113]
	s_delay_alu instid0(VALU_DEP_1)
	v_div_fixup_f64 v[106:107], v[108:109], v[106:107], 1.0
	scratch_store_b64 v3, v[106:107], off
	scratch_load_b64 v[108:109], off, off offset:8
	s_wait_xcnt 0x1
	v_xor_b32_e32 v107, 0x80000000, v107
	s_wait_loadcnt 0x0
	ds_store_2addr_b64 v2, v[106:107], v[108:109] offset1:52
	s_wait_storecnt_dscnt 0x0
	s_barrier_signal -1
	s_barrier_wait -1
	s_wait_xcnt 0x0
	s_and_saveexec_b32 s1, s0
	s_cbranch_execz .LBB50_15
; %bb.14:
	scratch_load_b64 v[106:107], v3, off
	ds_load_b64 v[108:109], v1
	s_wait_loadcnt_dscnt 0x0
	v_fma_f64 v[106:107], v[106:107], v[108:109], 0
	v_mov_b32_e32 v9, 0
	ds_load_b64 v[110:111], v9 offset:8
	s_wait_dscnt 0x0
	v_mul_f64_e32 v[106:107], v[106:107], v[110:111]
	scratch_store_b64 off, v[106:107], off offset:8
.LBB50_15:
	s_wait_xcnt 0x0
	s_or_b32 exec_lo, exec_lo, s1
	s_wait_storecnt 0x0
	s_barrier_signal -1
	s_barrier_wait -1
	scratch_load_b64 v[106:107], off, off offset:16
	s_mov_b32 s1, exec_lo
	s_wait_loadcnt 0x0
	ds_store_b64 v1, v[106:107]
	s_wait_dscnt 0x0
	s_barrier_signal -1
	s_barrier_wait -1
	v_cmpx_gt_u32_e32 2, v0
	s_cbranch_execz .LBB50_19
; %bb.16:
	scratch_load_b64 v[106:107], v3, off
	ds_load_b64 v[108:109], v1
	s_wait_loadcnt_dscnt 0x0
	v_fma_f64 v[106:107], v[106:107], v[108:109], 0
	s_and_saveexec_b32 s8, s0
	s_cbranch_execz .LBB50_18
; %bb.17:
	scratch_load_b64 v[108:109], off, off offset:8
	v_mov_b32_e32 v3, 0
	ds_load_b64 v[110:111], v3 offset:424
	s_wait_loadcnt_dscnt 0x0
	v_fmac_f64_e32 v[106:107], v[108:109], v[110:111]
.LBB50_18:
	s_or_b32 exec_lo, exec_lo, s8
	v_mov_b32_e32 v3, 0
	ds_load_b64 v[108:109], v3 offset:16
	s_wait_dscnt 0x0
	v_mul_f64_e32 v[106:107], v[106:107], v[108:109]
	scratch_store_b64 off, v[106:107], off offset:16
.LBB50_19:
	s_wait_xcnt 0x0
	s_or_b32 exec_lo, exec_lo, s1
	s_wait_storecnt 0x0
	s_barrier_signal -1
	s_barrier_wait -1
	scratch_load_b64 v[106:107], off, off offset:24
	v_add_nc_u32_e32 v3, -1, v0
	s_mov_b32 s0, exec_lo
	s_wait_loadcnt 0x0
	ds_store_b64 v1, v[106:107]
	s_wait_dscnt 0x0
	s_barrier_signal -1
	s_barrier_wait -1
	v_cmpx_gt_u32_e32 3, v0
	s_cbranch_execz .LBB50_23
; %bb.20:
	v_mov_b64_e32 v[106:107], 0
	v_dual_add_nc_u32 v9, -1, v0 :: v_dual_mov_b32 v13, v2
	v_add_nc_u32_e32 v11, 0x1a0, v2
	s_mov_b32 s1, 0
.LBB50_21:                              ; =>This Inner Loop Header: Depth=1
	scratch_load_b64 v[108:109], v13, off
	ds_load_b64 v[110:111], v11
	v_dual_add_nc_u32 v9, 1, v9 :: v_dual_add_nc_u32 v11, 8, v11
	s_wait_xcnt 0x0
	v_add_nc_u32_e32 v13, 8, v13
	s_delay_alu instid0(VALU_DEP_2)
	v_cmp_lt_u32_e32 vcc_lo, 1, v9
	s_or_b32 s1, vcc_lo, s1
	s_wait_loadcnt_dscnt 0x0
	v_fmac_f64_e32 v[106:107], v[108:109], v[110:111]
	s_and_not1_b32 exec_lo, exec_lo, s1
	s_cbranch_execnz .LBB50_21
; %bb.22:
	s_or_b32 exec_lo, exec_lo, s1
	v_mov_b32_e32 v9, 0
	ds_load_b64 v[108:109], v9 offset:24
	s_wait_dscnt 0x0
	v_mul_f64_e32 v[106:107], v[106:107], v[108:109]
	scratch_store_b64 off, v[106:107], off offset:24
.LBB50_23:
	s_wait_xcnt 0x0
	s_or_b32 exec_lo, exec_lo, s0
	s_wait_storecnt 0x0
	s_barrier_signal -1
	s_barrier_wait -1
	scratch_load_b64 v[106:107], off, off offset:32
	s_mov_b32 s0, exec_lo
	s_wait_loadcnt 0x0
	ds_store_b64 v1, v[106:107]
	s_wait_dscnt 0x0
	s_barrier_signal -1
	s_barrier_wait -1
	v_cmpx_gt_u32_e32 4, v0
	s_cbranch_execz .LBB50_27
; %bb.24:
	v_mov_b64_e32 v[106:107], 0
	v_dual_add_nc_u32 v9, -1, v0 :: v_dual_mov_b32 v13, v2
	v_add_nc_u32_e32 v11, 0x1a0, v2
	s_mov_b32 s1, 0
.LBB50_25:                              ; =>This Inner Loop Header: Depth=1
	scratch_load_b64 v[108:109], v13, off
	ds_load_b64 v[110:111], v11
	v_dual_add_nc_u32 v9, 1, v9 :: v_dual_add_nc_u32 v11, 8, v11
	s_wait_xcnt 0x0
	v_add_nc_u32_e32 v13, 8, v13
	s_delay_alu instid0(VALU_DEP_2)
	v_cmp_lt_u32_e32 vcc_lo, 2, v9
	s_or_b32 s1, vcc_lo, s1
	s_wait_loadcnt_dscnt 0x0
	v_fmac_f64_e32 v[106:107], v[108:109], v[110:111]
	s_and_not1_b32 exec_lo, exec_lo, s1
	s_cbranch_execnz .LBB50_25
; %bb.26:
	s_or_b32 exec_lo, exec_lo, s1
	v_mov_b32_e32 v9, 0
	ds_load_b64 v[108:109], v9 offset:32
	s_wait_dscnt 0x0
	v_mul_f64_e32 v[106:107], v[106:107], v[108:109]
	scratch_store_b64 off, v[106:107], off offset:32
.LBB50_27:
	s_wait_xcnt 0x0
	s_or_b32 exec_lo, exec_lo, s0
	s_wait_storecnt 0x0
	s_barrier_signal -1
	s_barrier_wait -1
	scratch_load_b64 v[106:107], off, off offset:40
	;; [unrolled: 40-line block ×20, first 2 shown]
	s_mov_b32 s0, exec_lo
	s_wait_loadcnt 0x0
	ds_store_b64 v1, v[106:107]
	s_wait_dscnt 0x0
	s_barrier_signal -1
	s_barrier_wait -1
	v_cmpx_gt_u32_e32 23, v0
	s_cbranch_execz .LBB50_103
; %bb.100:
	v_mov_b64_e32 v[106:107], 0
	v_dual_add_nc_u32 v9, -1, v0 :: v_dual_mov_b32 v13, v2
	v_add_nc_u32_e32 v11, 0x1a0, v2
	s_mov_b32 s1, 0
.LBB50_101:                             ; =>This Inner Loop Header: Depth=1
	scratch_load_b64 v[108:109], v13, off
	ds_load_b64 v[110:111], v11
	v_dual_add_nc_u32 v9, 1, v9 :: v_dual_add_nc_u32 v11, 8, v11
	s_wait_xcnt 0x0
	v_add_nc_u32_e32 v13, 8, v13
	s_delay_alu instid0(VALU_DEP_2)
	v_cmp_lt_u32_e32 vcc_lo, 21, v9
	s_or_b32 s1, vcc_lo, s1
	s_wait_loadcnt_dscnt 0x0
	v_fmac_f64_e32 v[106:107], v[108:109], v[110:111]
	s_and_not1_b32 exec_lo, exec_lo, s1
	s_cbranch_execnz .LBB50_101
; %bb.102:
	s_or_b32 exec_lo, exec_lo, s1
	v_mov_b32_e32 v9, 0
	ds_load_b64 v[108:109], v9 offset:184
	s_wait_dscnt 0x0
	v_mul_f64_e32 v[106:107], v[106:107], v[108:109]
	scratch_store_b64 off, v[106:107], off offset:184
.LBB50_103:
	s_wait_xcnt 0x0
	s_or_b32 exec_lo, exec_lo, s0
	s_wait_storecnt 0x0
	s_barrier_signal -1
	s_barrier_wait -1
	scratch_load_b64 v[106:107], off, off offset:192
	s_mov_b32 s0, exec_lo
	s_wait_loadcnt 0x0
	ds_store_b64 v1, v[106:107]
	s_wait_dscnt 0x0
	s_barrier_signal -1
	s_barrier_wait -1
	v_cmpx_gt_u32_e32 24, v0
	s_cbranch_execz .LBB50_107
; %bb.104:
	v_mov_b64_e32 v[106:107], 0
	v_dual_add_nc_u32 v9, -1, v0 :: v_dual_mov_b32 v13, v2
	v_add_nc_u32_e32 v11, 0x1a0, v2
	s_mov_b32 s1, 0
.LBB50_105:                             ; =>This Inner Loop Header: Depth=1
	scratch_load_b64 v[108:109], v13, off
	ds_load_b64 v[110:111], v11
	v_dual_add_nc_u32 v9, 1, v9 :: v_dual_add_nc_u32 v11, 8, v11
	s_wait_xcnt 0x0
	v_add_nc_u32_e32 v13, 8, v13
	s_delay_alu instid0(VALU_DEP_2)
	v_cmp_lt_u32_e32 vcc_lo, 22, v9
	s_or_b32 s1, vcc_lo, s1
	s_wait_loadcnt_dscnt 0x0
	v_fmac_f64_e32 v[106:107], v[108:109], v[110:111]
	s_and_not1_b32 exec_lo, exec_lo, s1
	s_cbranch_execnz .LBB50_105
; %bb.106:
	s_or_b32 exec_lo, exec_lo, s1
	v_mov_b32_e32 v9, 0
	ds_load_b64 v[108:109], v9 offset:192
	s_wait_dscnt 0x0
	v_mul_f64_e32 v[106:107], v[106:107], v[108:109]
	scratch_store_b64 off, v[106:107], off offset:192
.LBB50_107:
	s_wait_xcnt 0x0
	s_or_b32 exec_lo, exec_lo, s0
	s_wait_storecnt 0x0
	s_barrier_signal -1
	s_barrier_wait -1
	scratch_load_b64 v[106:107], off, off offset:200
	;; [unrolled: 40-line block ×27, first 2 shown]
	s_mov_b32 s0, exec_lo
	s_wait_loadcnt 0x0
	ds_store_b64 v1, v[106:107]
	s_wait_dscnt 0x0
	s_barrier_signal -1
	s_barrier_wait -1
	v_cmpx_ne_u32_e32 50, v0
	s_cbranch_execz .LBB50_211
; %bb.208:
	v_mov_b64_e32 v[106:107], 0
	s_mov_b32 s1, 0
.LBB50_209:                             ; =>This Inner Loop Header: Depth=1
	scratch_load_b64 v[108:109], v2, off
	ds_load_b64 v[110:111], v1
	v_dual_add_nc_u32 v3, 1, v3 :: v_dual_add_nc_u32 v1, 8, v1
	s_wait_xcnt 0x0
	v_add_nc_u32_e32 v2, 8, v2
	s_delay_alu instid0(VALU_DEP_2)
	v_cmp_lt_u32_e32 vcc_lo, 48, v3
	s_or_b32 s1, vcc_lo, s1
	s_wait_loadcnt_dscnt 0x0
	v_fmac_f64_e32 v[106:107], v[108:109], v[110:111]
	s_and_not1_b32 exec_lo, exec_lo, s1
	s_cbranch_execnz .LBB50_209
; %bb.210:
	s_or_b32 exec_lo, exec_lo, s1
	v_mov_b32_e32 v1, 0
	ds_load_b64 v[2:3], v1 offset:400
	s_wait_dscnt 0x0
	v_mul_f64_e32 v[2:3], v[106:107], v[2:3]
	scratch_store_b64 off, v[2:3], off offset:400
.LBB50_211:
	s_wait_xcnt 0x0
	s_or_b32 exec_lo, exec_lo, s0
	s_mov_b32 s1, -1
	s_wait_storecnt 0x0
	s_barrier_signal -1
	s_barrier_wait -1
.LBB50_212:
	s_and_b32 vcc_lo, exec_lo, s1
	s_cbranch_vccz .LBB50_214
; %bb.213:
	v_mov_b32_e32 v1, 0
	s_lshl_b64 s[0:1], s[16:17], 2
	s_delay_alu instid0(SALU_CYCLE_1)
	s_add_nc_u64 s[0:1], s[6:7], s[0:1]
	global_load_b32 v1, v1, s[0:1]
	s_wait_loadcnt 0x0
	v_cmp_ne_u32_e32 vcc_lo, 0, v1
	s_cbranch_vccz .LBB50_215
.LBB50_214:
	s_sendmsg sendmsg(MSG_DEALLOC_VGPRS)
	s_endpgm
.LBB50_215:
	s_wait_xcnt 0x0
	v_lshl_add_u32 v1, v0, 3, 0x1a0
	s_mov_b32 s0, exec_lo
	v_cmpx_eq_u32_e32 50, v0
	s_cbranch_execz .LBB50_217
; %bb.216:
	scratch_load_b64 v[2:3], off, off offset:392
	v_mov_b64_e32 v[106:107], 0
	scratch_store_b64 off, v[106:107], off offset:392
	s_wait_loadcnt 0x0
	ds_store_b64 v1, v[2:3]
.LBB50_217:
	s_wait_xcnt 0x0
	s_or_b32 exec_lo, exec_lo, s0
	s_wait_storecnt_dscnt 0x0
	s_barrier_signal -1
	s_barrier_wait -1
	scratch_load_b128 v[106:109], off, off offset:392
	v_mov_b32_e32 v2, 0
	s_mov_b32 s0, exec_lo
	ds_load_b64 v[110:111], v2 offset:816
	s_wait_loadcnt_dscnt 0x0
	v_fma_f64 v[108:109], v[108:109], v[110:111], 0
	s_delay_alu instid0(VALU_DEP_1)
	v_add_f64_e64 v[106:107], v[106:107], -v[108:109]
	scratch_store_b64 off, v[106:107], off offset:392
	s_wait_xcnt 0x0
	v_cmpx_lt_u32_e32 48, v0
	s_cbranch_execz .LBB50_219
; %bb.218:
	scratch_load_b64 v[106:107], off, off offset:384
	v_mov_b64_e32 v[108:109], 0
	scratch_store_b64 off, v[108:109], off offset:384
	s_wait_loadcnt 0x0
	ds_store_b64 v1, v[106:107]
.LBB50_219:
	s_wait_xcnt 0x0
	s_or_b32 exec_lo, exec_lo, s0
	s_wait_storecnt_dscnt 0x0
	s_barrier_signal -1
	s_barrier_wait -1
	s_clause 0x1
	scratch_load_b128 v[106:109], off, off offset:384
	scratch_load_b64 v[114:115], off, off offset:400
	ds_load_2addr_b64 v[110:113], v2 offset0:101 offset1:102
	s_mov_b32 s0, exec_lo
	s_wait_loadcnt_dscnt 0x100
	v_fma_f64 v[2:3], v[108:109], v[110:111], 0
	s_wait_loadcnt 0x0
	s_delay_alu instid0(VALU_DEP_1) | instskip(NEXT) | instid1(VALU_DEP_1)
	v_fmac_f64_e32 v[2:3], v[114:115], v[112:113]
	v_add_f64_e64 v[2:3], v[106:107], -v[2:3]
	scratch_store_b64 off, v[2:3], off offset:384
	s_wait_xcnt 0x0
	v_cmpx_lt_u32_e32 47, v0
	s_cbranch_execz .LBB50_221
; %bb.220:
	scratch_load_b64 v[2:3], off, off offset:376
	v_mov_b64_e32 v[106:107], 0
	scratch_store_b64 off, v[106:107], off offset:376
	s_wait_loadcnt 0x0
	ds_store_b64 v1, v[2:3]
.LBB50_221:
	s_wait_xcnt 0x0
	s_or_b32 exec_lo, exec_lo, s0
	s_wait_storecnt_dscnt 0x0
	s_barrier_signal -1
	s_barrier_wait -1
	s_clause 0x1
	scratch_load_b128 v[106:109], off, off offset:376
	scratch_load_b128 v[110:113], off, off offset:392
	v_mov_b32_e32 v2, 0
	ds_load_b128 v[114:117], v2 offset:800
	ds_load_b64 v[118:119], v2 offset:816
	s_mov_b32 s0, exec_lo
	s_wait_loadcnt_dscnt 0x101
	v_fma_f64 v[108:109], v[108:109], v[114:115], 0
	s_wait_loadcnt 0x0
	s_delay_alu instid0(VALU_DEP_1) | instskip(SKIP_1) | instid1(VALU_DEP_1)
	v_fmac_f64_e32 v[108:109], v[110:111], v[116:117]
	s_wait_dscnt 0x0
	v_fmac_f64_e32 v[108:109], v[112:113], v[118:119]
	s_delay_alu instid0(VALU_DEP_1)
	v_add_f64_e64 v[106:107], v[106:107], -v[108:109]
	scratch_store_b64 off, v[106:107], off offset:376
	s_wait_xcnt 0x0
	v_cmpx_lt_u32_e32 46, v0
	s_cbranch_execz .LBB50_223
; %bb.222:
	scratch_load_b64 v[106:107], off, off offset:368
	v_mov_b64_e32 v[108:109], 0
	scratch_store_b64 off, v[108:109], off offset:368
	s_wait_loadcnt 0x0
	ds_store_b64 v1, v[106:107]
.LBB50_223:
	s_wait_xcnt 0x0
	s_or_b32 exec_lo, exec_lo, s0
	s_wait_storecnt_dscnt 0x0
	s_barrier_signal -1
	s_barrier_wait -1
	s_clause 0x2
	scratch_load_b128 v[106:109], off, off offset:368
	scratch_load_b128 v[110:113], off, off offset:384
	scratch_load_b64 v[122:123], off, off offset:400
	ds_load_2addr_b64 v[114:117], v2 offset0:99 offset1:100
	ds_load_2addr_b64 v[118:121], v2 offset0:101 offset1:102
	s_mov_b32 s0, exec_lo
	s_wait_loadcnt_dscnt 0x201
	v_fma_f64 v[2:3], v[108:109], v[114:115], 0
	s_wait_loadcnt 0x1
	s_delay_alu instid0(VALU_DEP_1) | instskip(SKIP_1) | instid1(VALU_DEP_1)
	v_fmac_f64_e32 v[2:3], v[110:111], v[116:117]
	s_wait_dscnt 0x0
	v_fmac_f64_e32 v[2:3], v[112:113], v[118:119]
	s_wait_loadcnt 0x0
	s_delay_alu instid0(VALU_DEP_1) | instskip(NEXT) | instid1(VALU_DEP_1)
	v_fmac_f64_e32 v[2:3], v[122:123], v[120:121]
	v_add_f64_e64 v[2:3], v[106:107], -v[2:3]
	scratch_store_b64 off, v[2:3], off offset:368
	s_wait_xcnt 0x0
	v_cmpx_lt_u32_e32 45, v0
	s_cbranch_execz .LBB50_225
; %bb.224:
	scratch_load_b64 v[2:3], off, off offset:360
	v_mov_b64_e32 v[106:107], 0
	scratch_store_b64 off, v[106:107], off offset:360
	s_wait_loadcnt 0x0
	ds_store_b64 v1, v[2:3]
.LBB50_225:
	s_wait_xcnt 0x0
	s_or_b32 exec_lo, exec_lo, s0
	s_wait_storecnt_dscnt 0x0
	s_barrier_signal -1
	s_barrier_wait -1
	s_clause 0x2
	scratch_load_b128 v[106:109], off, off offset:360
	scratch_load_b128 v[110:113], off, off offset:376
	;; [unrolled: 1-line block ×3, first 2 shown]
	v_mov_b32_e32 v2, 0
	ds_load_b128 v[118:121], v2 offset:784
	ds_load_b128 v[122:125], v2 offset:800
	s_mov_b32 s0, exec_lo
	s_wait_loadcnt_dscnt 0x201
	v_fma_f64 v[108:109], v[108:109], v[118:119], 0
	s_wait_loadcnt 0x1
	s_delay_alu instid0(VALU_DEP_1) | instskip(SKIP_4) | instid1(VALU_DEP_1)
	v_fmac_f64_e32 v[108:109], v[110:111], v[120:121]
	ds_load_b64 v[110:111], v2 offset:816
	s_wait_dscnt 0x1
	v_fmac_f64_e32 v[108:109], v[112:113], v[122:123]
	s_wait_loadcnt 0x0
	v_fmac_f64_e32 v[108:109], v[114:115], v[124:125]
	s_wait_dscnt 0x0
	s_delay_alu instid0(VALU_DEP_1) | instskip(NEXT) | instid1(VALU_DEP_1)
	v_fmac_f64_e32 v[108:109], v[116:117], v[110:111]
	v_add_f64_e64 v[106:107], v[106:107], -v[108:109]
	scratch_store_b64 off, v[106:107], off offset:360
	s_wait_xcnt 0x0
	v_cmpx_lt_u32_e32 44, v0
	s_cbranch_execz .LBB50_227
; %bb.226:
	scratch_load_b64 v[106:107], off, off offset:352
	v_mov_b64_e32 v[108:109], 0
	scratch_store_b64 off, v[108:109], off offset:352
	s_wait_loadcnt 0x0
	ds_store_b64 v1, v[106:107]
.LBB50_227:
	s_wait_xcnt 0x0
	s_or_b32 exec_lo, exec_lo, s0
	s_wait_storecnt_dscnt 0x0
	s_barrier_signal -1
	s_barrier_wait -1
	s_clause 0x3
	scratch_load_b128 v[106:109], off, off offset:352
	scratch_load_b128 v[110:113], off, off offset:368
	;; [unrolled: 1-line block ×3, first 2 shown]
	scratch_load_b64 v[126:127], off, off offset:400
	ds_load_2addr_b64 v[118:121], v2 offset0:97 offset1:98
	ds_load_2addr_b64 v[122:125], v2 offset0:99 offset1:100
	s_mov_b32 s0, exec_lo
	s_wait_loadcnt_dscnt 0x301
	v_fma_f64 v[118:119], v[108:109], v[118:119], 0
	s_wait_loadcnt 0x2
	s_delay_alu instid0(VALU_DEP_1) | instskip(SKIP_4) | instid1(VALU_DEP_1)
	v_fmac_f64_e32 v[118:119], v[110:111], v[120:121]
	ds_load_2addr_b64 v[108:111], v2 offset0:101 offset1:102
	s_wait_dscnt 0x1
	v_fmac_f64_e32 v[118:119], v[112:113], v[122:123]
	s_wait_loadcnt 0x1
	v_fmac_f64_e32 v[118:119], v[114:115], v[124:125]
	s_wait_dscnt 0x0
	s_delay_alu instid0(VALU_DEP_1) | instskip(SKIP_1) | instid1(VALU_DEP_1)
	v_fmac_f64_e32 v[118:119], v[116:117], v[108:109]
	s_wait_loadcnt 0x0
	v_fmac_f64_e32 v[118:119], v[126:127], v[110:111]
	s_delay_alu instid0(VALU_DEP_1)
	v_add_f64_e64 v[2:3], v[106:107], -v[118:119]
	scratch_store_b64 off, v[2:3], off offset:352
	s_wait_xcnt 0x0
	v_cmpx_lt_u32_e32 43, v0
	s_cbranch_execz .LBB50_229
; %bb.228:
	scratch_load_b64 v[2:3], off, off offset:344
	v_mov_b64_e32 v[106:107], 0
	scratch_store_b64 off, v[106:107], off offset:344
	s_wait_loadcnt 0x0
	ds_store_b64 v1, v[2:3]
.LBB50_229:
	s_wait_xcnt 0x0
	s_or_b32 exec_lo, exec_lo, s0
	s_wait_storecnt_dscnt 0x0
	s_barrier_signal -1
	s_barrier_wait -1
	s_clause 0x3
	scratch_load_b128 v[106:109], off, off offset:344
	scratch_load_b128 v[110:113], off, off offset:360
	;; [unrolled: 1-line block ×4, first 2 shown]
	v_mov_b32_e32 v2, 0
	ds_load_b128 v[122:125], v2 offset:768
	ds_load_b128 v[126:129], v2 offset:784
	s_mov_b32 s0, exec_lo
	s_wait_loadcnt_dscnt 0x301
	v_fma_f64 v[122:123], v[108:109], v[122:123], 0
	s_wait_loadcnt 0x2
	s_delay_alu instid0(VALU_DEP_1) | instskip(SKIP_1) | instid1(VALU_DEP_1)
	v_fmac_f64_e32 v[122:123], v[110:111], v[124:125]
	s_wait_dscnt 0x0
	v_fmac_f64_e32 v[122:123], v[112:113], v[126:127]
	ds_load_b128 v[108:111], v2 offset:800
	ds_load_b64 v[112:113], v2 offset:816
	s_wait_loadcnt 0x1
	v_fmac_f64_e32 v[122:123], v[114:115], v[128:129]
	s_wait_dscnt 0x1
	s_delay_alu instid0(VALU_DEP_1) | instskip(SKIP_1) | instid1(VALU_DEP_1)
	v_fmac_f64_e32 v[122:123], v[116:117], v[108:109]
	s_wait_loadcnt 0x0
	v_fmac_f64_e32 v[122:123], v[118:119], v[110:111]
	s_wait_dscnt 0x0
	s_delay_alu instid0(VALU_DEP_1) | instskip(NEXT) | instid1(VALU_DEP_1)
	v_fmac_f64_e32 v[122:123], v[120:121], v[112:113]
	v_add_f64_e64 v[106:107], v[106:107], -v[122:123]
	scratch_store_b64 off, v[106:107], off offset:344
	s_wait_xcnt 0x0
	v_cmpx_lt_u32_e32 42, v0
	s_cbranch_execz .LBB50_231
; %bb.230:
	scratch_load_b64 v[106:107], off, off offset:336
	v_mov_b64_e32 v[108:109], 0
	scratch_store_b64 off, v[108:109], off offset:336
	s_wait_loadcnt 0x0
	ds_store_b64 v1, v[106:107]
.LBB50_231:
	s_wait_xcnt 0x0
	s_or_b32 exec_lo, exec_lo, s0
	s_wait_storecnt_dscnt 0x0
	s_barrier_signal -1
	s_barrier_wait -1
	s_clause 0x4
	scratch_load_b128 v[106:109], off, off offset:336
	scratch_load_b128 v[110:113], off, off offset:352
	;; [unrolled: 1-line block ×4, first 2 shown]
	scratch_load_b64 v[130:131], off, off offset:400
	ds_load_2addr_b64 v[122:125], v2 offset0:95 offset1:96
	ds_load_2addr_b64 v[126:129], v2 offset0:97 offset1:98
	s_mov_b32 s0, exec_lo
	s_wait_loadcnt_dscnt 0x401
	v_fma_f64 v[122:123], v[108:109], v[122:123], 0
	s_wait_loadcnt 0x3
	s_delay_alu instid0(VALU_DEP_1) | instskip(SKIP_1) | instid1(VALU_DEP_1)
	v_fmac_f64_e32 v[122:123], v[110:111], v[124:125]
	s_wait_dscnt 0x0
	v_fmac_f64_e32 v[122:123], v[112:113], v[126:127]
	s_wait_loadcnt 0x2
	s_delay_alu instid0(VALU_DEP_1)
	v_fmac_f64_e32 v[122:123], v[114:115], v[128:129]
	ds_load_2addr_b64 v[108:111], v2 offset0:99 offset1:100
	ds_load_2addr_b64 v[112:115], v2 offset0:101 offset1:102
	s_wait_dscnt 0x1
	v_fmac_f64_e32 v[122:123], v[116:117], v[108:109]
	s_wait_loadcnt 0x1
	s_delay_alu instid0(VALU_DEP_1) | instskip(SKIP_1) | instid1(VALU_DEP_1)
	v_fmac_f64_e32 v[122:123], v[118:119], v[110:111]
	s_wait_dscnt 0x0
	v_fmac_f64_e32 v[122:123], v[120:121], v[112:113]
	s_wait_loadcnt 0x0
	s_delay_alu instid0(VALU_DEP_1) | instskip(NEXT) | instid1(VALU_DEP_1)
	v_fmac_f64_e32 v[122:123], v[130:131], v[114:115]
	v_add_f64_e64 v[2:3], v[106:107], -v[122:123]
	scratch_store_b64 off, v[2:3], off offset:336
	s_wait_xcnt 0x0
	v_cmpx_lt_u32_e32 41, v0
	s_cbranch_execz .LBB50_233
; %bb.232:
	scratch_load_b64 v[2:3], off, off offset:328
	v_mov_b64_e32 v[106:107], 0
	scratch_store_b64 off, v[106:107], off offset:328
	s_wait_loadcnt 0x0
	ds_store_b64 v1, v[2:3]
.LBB50_233:
	s_wait_xcnt 0x0
	s_or_b32 exec_lo, exec_lo, s0
	s_wait_storecnt_dscnt 0x0
	s_barrier_signal -1
	s_barrier_wait -1
	s_clause 0x4
	scratch_load_b128 v[106:109], off, off offset:328
	scratch_load_b128 v[110:113], off, off offset:344
	;; [unrolled: 1-line block ×5, first 2 shown]
	v_mov_b32_e32 v2, 0
	ds_load_b128 v[126:129], v2 offset:752
	ds_load_b128 v[130:133], v2 offset:768
	s_mov_b32 s0, exec_lo
	s_wait_loadcnt_dscnt 0x401
	v_fma_f64 v[126:127], v[108:109], v[126:127], 0
	s_wait_loadcnt 0x3
	s_delay_alu instid0(VALU_DEP_1) | instskip(SKIP_1) | instid1(VALU_DEP_1)
	v_fmac_f64_e32 v[126:127], v[110:111], v[128:129]
	s_wait_dscnt 0x0
	v_fmac_f64_e32 v[126:127], v[112:113], v[130:131]
	s_wait_loadcnt 0x2
	s_delay_alu instid0(VALU_DEP_1)
	v_fmac_f64_e32 v[126:127], v[114:115], v[132:133]
	ds_load_b128 v[108:111], v2 offset:784
	ds_load_b128 v[112:115], v2 offset:800
	s_wait_dscnt 0x1
	v_fmac_f64_e32 v[126:127], v[116:117], v[108:109]
	ds_load_b64 v[108:109], v2 offset:816
	s_wait_loadcnt 0x1
	v_fmac_f64_e32 v[126:127], v[118:119], v[110:111]
	s_wait_dscnt 0x1
	s_delay_alu instid0(VALU_DEP_1) | instskip(SKIP_1) | instid1(VALU_DEP_1)
	v_fmac_f64_e32 v[126:127], v[120:121], v[112:113]
	s_wait_loadcnt 0x0
	v_fmac_f64_e32 v[126:127], v[122:123], v[114:115]
	s_wait_dscnt 0x0
	s_delay_alu instid0(VALU_DEP_1) | instskip(NEXT) | instid1(VALU_DEP_1)
	v_fmac_f64_e32 v[126:127], v[124:125], v[108:109]
	v_add_f64_e64 v[106:107], v[106:107], -v[126:127]
	scratch_store_b64 off, v[106:107], off offset:328
	s_wait_xcnt 0x0
	v_cmpx_lt_u32_e32 40, v0
	s_cbranch_execz .LBB50_235
; %bb.234:
	scratch_load_b64 v[106:107], off, off offset:320
	v_mov_b64_e32 v[108:109], 0
	scratch_store_b64 off, v[108:109], off offset:320
	s_wait_loadcnt 0x0
	ds_store_b64 v1, v[106:107]
.LBB50_235:
	s_wait_xcnt 0x0
	s_or_b32 exec_lo, exec_lo, s0
	s_wait_storecnt_dscnt 0x0
	s_barrier_signal -1
	s_barrier_wait -1
	s_clause 0x5
	scratch_load_b128 v[106:109], off, off offset:320
	scratch_load_b128 v[110:113], off, off offset:336
	;; [unrolled: 1-line block ×5, first 2 shown]
	scratch_load_b64 v[134:135], off, off offset:400
	ds_load_2addr_b64 v[126:129], v2 offset0:93 offset1:94
	ds_load_2addr_b64 v[130:133], v2 offset0:95 offset1:96
	s_mov_b32 s0, exec_lo
	s_wait_loadcnt_dscnt 0x501
	v_fma_f64 v[126:127], v[108:109], v[126:127], 0
	s_wait_loadcnt 0x4
	s_delay_alu instid0(VALU_DEP_1) | instskip(SKIP_1) | instid1(VALU_DEP_1)
	v_fmac_f64_e32 v[126:127], v[110:111], v[128:129]
	s_wait_dscnt 0x0
	v_fmac_f64_e32 v[126:127], v[112:113], v[130:131]
	s_wait_loadcnt 0x3
	s_delay_alu instid0(VALU_DEP_1)
	v_fmac_f64_e32 v[126:127], v[114:115], v[132:133]
	ds_load_2addr_b64 v[108:111], v2 offset0:97 offset1:98
	ds_load_2addr_b64 v[112:115], v2 offset0:99 offset1:100
	s_wait_dscnt 0x1
	v_fmac_f64_e32 v[126:127], v[116:117], v[108:109]
	s_wait_loadcnt 0x2
	s_delay_alu instid0(VALU_DEP_1) | instskip(SKIP_4) | instid1(VALU_DEP_1)
	v_fmac_f64_e32 v[126:127], v[118:119], v[110:111]
	ds_load_2addr_b64 v[108:111], v2 offset0:101 offset1:102
	s_wait_dscnt 0x1
	v_fmac_f64_e32 v[126:127], v[120:121], v[112:113]
	s_wait_loadcnt 0x1
	v_fmac_f64_e32 v[126:127], v[122:123], v[114:115]
	s_wait_dscnt 0x0
	s_delay_alu instid0(VALU_DEP_1) | instskip(SKIP_1) | instid1(VALU_DEP_1)
	v_fmac_f64_e32 v[126:127], v[124:125], v[108:109]
	s_wait_loadcnt 0x0
	v_fmac_f64_e32 v[126:127], v[134:135], v[110:111]
	s_delay_alu instid0(VALU_DEP_1)
	v_add_f64_e64 v[2:3], v[106:107], -v[126:127]
	scratch_store_b64 off, v[2:3], off offset:320
	s_wait_xcnt 0x0
	v_cmpx_lt_u32_e32 39, v0
	s_cbranch_execz .LBB50_237
; %bb.236:
	scratch_load_b64 v[2:3], off, off offset:312
	v_mov_b64_e32 v[106:107], 0
	scratch_store_b64 off, v[106:107], off offset:312
	s_wait_loadcnt 0x0
	ds_store_b64 v1, v[2:3]
.LBB50_237:
	s_wait_xcnt 0x0
	s_or_b32 exec_lo, exec_lo, s0
	s_wait_storecnt_dscnt 0x0
	s_barrier_signal -1
	s_barrier_wait -1
	s_clause 0x5
	scratch_load_b128 v[106:109], off, off offset:312
	scratch_load_b128 v[110:113], off, off offset:328
	;; [unrolled: 1-line block ×6, first 2 shown]
	v_mov_b32_e32 v2, 0
	ds_load_b128 v[130:133], v2 offset:736
	ds_load_b128 v[134:137], v2 offset:752
	s_mov_b32 s0, exec_lo
	s_wait_loadcnt_dscnt 0x501
	v_fma_f64 v[130:131], v[108:109], v[130:131], 0
	s_wait_loadcnt 0x4
	s_delay_alu instid0(VALU_DEP_1) | instskip(SKIP_1) | instid1(VALU_DEP_1)
	v_fmac_f64_e32 v[130:131], v[110:111], v[132:133]
	s_wait_dscnt 0x0
	v_fmac_f64_e32 v[130:131], v[112:113], v[134:135]
	s_wait_loadcnt 0x3
	s_delay_alu instid0(VALU_DEP_1)
	v_fmac_f64_e32 v[130:131], v[114:115], v[136:137]
	ds_load_b128 v[108:111], v2 offset:768
	ds_load_b128 v[112:115], v2 offset:784
	s_wait_dscnt 0x1
	v_fmac_f64_e32 v[130:131], v[116:117], v[108:109]
	s_wait_loadcnt 0x2
	s_delay_alu instid0(VALU_DEP_1) | instskip(SKIP_1) | instid1(VALU_DEP_1)
	v_fmac_f64_e32 v[130:131], v[118:119], v[110:111]
	s_wait_dscnt 0x0
	v_fmac_f64_e32 v[130:131], v[120:121], v[112:113]
	ds_load_b128 v[108:111], v2 offset:800
	ds_load_b64 v[112:113], v2 offset:816
	s_wait_loadcnt 0x1
	v_fmac_f64_e32 v[130:131], v[122:123], v[114:115]
	s_wait_dscnt 0x1
	s_delay_alu instid0(VALU_DEP_1) | instskip(SKIP_1) | instid1(VALU_DEP_1)
	v_fmac_f64_e32 v[130:131], v[124:125], v[108:109]
	s_wait_loadcnt 0x0
	v_fmac_f64_e32 v[130:131], v[126:127], v[110:111]
	s_wait_dscnt 0x0
	s_delay_alu instid0(VALU_DEP_1) | instskip(NEXT) | instid1(VALU_DEP_1)
	v_fmac_f64_e32 v[130:131], v[128:129], v[112:113]
	v_add_f64_e64 v[106:107], v[106:107], -v[130:131]
	scratch_store_b64 off, v[106:107], off offset:312
	s_wait_xcnt 0x0
	v_cmpx_lt_u32_e32 38, v0
	s_cbranch_execz .LBB50_239
; %bb.238:
	scratch_load_b64 v[106:107], off, off offset:304
	v_mov_b64_e32 v[108:109], 0
	scratch_store_b64 off, v[108:109], off offset:304
	s_wait_loadcnt 0x0
	ds_store_b64 v1, v[106:107]
.LBB50_239:
	s_wait_xcnt 0x0
	s_or_b32 exec_lo, exec_lo, s0
	s_wait_storecnt_dscnt 0x0
	s_barrier_signal -1
	s_barrier_wait -1
	s_clause 0x5
	scratch_load_b128 v[106:109], off, off offset:304
	scratch_load_b128 v[110:113], off, off offset:320
	;; [unrolled: 1-line block ×6, first 2 shown]
	ds_load_2addr_b64 v[130:133], v2 offset0:91 offset1:92
	ds_load_2addr_b64 v[134:137], v2 offset0:93 offset1:94
	s_mov_b32 s0, exec_lo
	s_wait_loadcnt_dscnt 0x501
	v_fma_f64 v[130:131], v[108:109], v[130:131], 0
	s_wait_loadcnt 0x4
	s_delay_alu instid0(VALU_DEP_1) | instskip(SKIP_4) | instid1(VALU_DEP_1)
	v_fmac_f64_e32 v[130:131], v[110:111], v[132:133]
	scratch_load_b64 v[132:133], off, off offset:400
	s_wait_dscnt 0x0
	v_fmac_f64_e32 v[130:131], v[112:113], v[134:135]
	s_wait_loadcnt 0x4
	v_fmac_f64_e32 v[130:131], v[114:115], v[136:137]
	ds_load_2addr_b64 v[108:111], v2 offset0:95 offset1:96
	ds_load_2addr_b64 v[112:115], v2 offset0:97 offset1:98
	s_wait_dscnt 0x1
	v_fmac_f64_e32 v[130:131], v[116:117], v[108:109]
	s_wait_loadcnt 0x3
	s_delay_alu instid0(VALU_DEP_1) | instskip(SKIP_1) | instid1(VALU_DEP_1)
	v_fmac_f64_e32 v[130:131], v[118:119], v[110:111]
	s_wait_dscnt 0x0
	v_fmac_f64_e32 v[130:131], v[120:121], v[112:113]
	s_wait_loadcnt 0x2
	s_delay_alu instid0(VALU_DEP_1)
	v_fmac_f64_e32 v[130:131], v[122:123], v[114:115]
	ds_load_2addr_b64 v[108:111], v2 offset0:99 offset1:100
	ds_load_2addr_b64 v[112:115], v2 offset0:101 offset1:102
	s_wait_dscnt 0x1
	v_fmac_f64_e32 v[130:131], v[124:125], v[108:109]
	s_wait_loadcnt 0x1
	s_delay_alu instid0(VALU_DEP_1) | instskip(SKIP_1) | instid1(VALU_DEP_1)
	v_fmac_f64_e32 v[130:131], v[126:127], v[110:111]
	s_wait_dscnt 0x0
	v_fmac_f64_e32 v[130:131], v[128:129], v[112:113]
	s_wait_loadcnt 0x0
	s_delay_alu instid0(VALU_DEP_1) | instskip(NEXT) | instid1(VALU_DEP_1)
	v_fmac_f64_e32 v[130:131], v[132:133], v[114:115]
	v_add_f64_e64 v[2:3], v[106:107], -v[130:131]
	scratch_store_b64 off, v[2:3], off offset:304
	s_wait_xcnt 0x0
	v_cmpx_lt_u32_e32 37, v0
	s_cbranch_execz .LBB50_241
; %bb.240:
	scratch_load_b64 v[2:3], off, off offset:296
	v_mov_b64_e32 v[106:107], 0
	scratch_store_b64 off, v[106:107], off offset:296
	s_wait_loadcnt 0x0
	ds_store_b64 v1, v[2:3]
.LBB50_241:
	s_wait_xcnt 0x0
	s_or_b32 exec_lo, exec_lo, s0
	s_wait_storecnt_dscnt 0x0
	s_barrier_signal -1
	s_barrier_wait -1
	s_clause 0x5
	scratch_load_b128 v[106:109], off, off offset:296
	scratch_load_b128 v[110:113], off, off offset:312
	;; [unrolled: 1-line block ×6, first 2 shown]
	v_mov_b32_e32 v2, 0
	ds_load_b128 v[130:133], v2 offset:720
	ds_load_b128 v[134:137], v2 offset:736
	s_mov_b32 s0, exec_lo
	s_wait_loadcnt_dscnt 0x501
	v_fma_f64 v[138:139], v[108:109], v[130:131], 0
	s_wait_loadcnt 0x4
	s_delay_alu instid0(VALU_DEP_1) | instskip(SKIP_4) | instid1(VALU_DEP_1)
	v_fmac_f64_e32 v[138:139], v[110:111], v[132:133]
	scratch_load_b128 v[108:111], off, off offset:392
	s_wait_dscnt 0x0
	v_fmac_f64_e32 v[138:139], v[112:113], v[134:135]
	s_wait_loadcnt 0x4
	v_fmac_f64_e32 v[138:139], v[114:115], v[136:137]
	ds_load_b128 v[112:115], v2 offset:752
	ds_load_b128 v[130:133], v2 offset:768
	s_wait_dscnt 0x1
	v_fmac_f64_e32 v[138:139], v[116:117], v[112:113]
	s_wait_loadcnt 0x3
	s_delay_alu instid0(VALU_DEP_1)
	v_fmac_f64_e32 v[138:139], v[118:119], v[114:115]
	ds_load_b128 v[112:115], v2 offset:784
	ds_load_b128 v[116:119], v2 offset:800
	s_wait_dscnt 0x2
	v_fmac_f64_e32 v[138:139], v[120:121], v[130:131]
	s_wait_loadcnt 0x2
	s_delay_alu instid0(VALU_DEP_1) | instskip(SKIP_1) | instid1(VALU_DEP_1)
	v_fmac_f64_e32 v[138:139], v[122:123], v[132:133]
	s_wait_dscnt 0x1
	v_fmac_f64_e32 v[138:139], v[124:125], v[112:113]
	s_wait_loadcnt 0x1
	s_delay_alu instid0(VALU_DEP_1) | instskip(SKIP_1) | instid1(VALU_DEP_1)
	v_fmac_f64_e32 v[138:139], v[126:127], v[114:115]
	s_wait_dscnt 0x0
	v_fmac_f64_e32 v[138:139], v[128:129], v[116:117]
	s_wait_loadcnt 0x0
	s_delay_alu instid0(VALU_DEP_1) | instskip(SKIP_3) | instid1(VALU_DEP_1)
	v_fmac_f64_e32 v[138:139], v[108:109], v[118:119]
	ds_load_b64 v[108:109], v2 offset:816
	s_wait_dscnt 0x0
	v_fmac_f64_e32 v[138:139], v[110:111], v[108:109]
	v_add_f64_e64 v[106:107], v[106:107], -v[138:139]
	scratch_store_b64 off, v[106:107], off offset:296
	s_wait_xcnt 0x0
	v_cmpx_lt_u32_e32 36, v0
	s_cbranch_execz .LBB50_243
; %bb.242:
	scratch_load_b64 v[106:107], off, off offset:288
	v_mov_b64_e32 v[108:109], 0
	scratch_store_b64 off, v[108:109], off offset:288
	s_wait_loadcnt 0x0
	ds_store_b64 v1, v[106:107]
.LBB50_243:
	s_wait_xcnt 0x0
	s_or_b32 exec_lo, exec_lo, s0
	s_wait_storecnt_dscnt 0x0
	s_barrier_signal -1
	s_barrier_wait -1
	s_clause 0x5
	scratch_load_b128 v[106:109], off, off offset:288
	scratch_load_b128 v[110:113], off, off offset:304
	;; [unrolled: 1-line block ×6, first 2 shown]
	ds_load_2addr_b64 v[130:133], v2 offset0:89 offset1:90
	ds_load_2addr_b64 v[134:137], v2 offset0:91 offset1:92
	s_mov_b32 s0, exec_lo
	s_wait_loadcnt_dscnt 0x501
	v_fma_f64 v[138:139], v[108:109], v[130:131], 0
	s_wait_loadcnt 0x4
	s_delay_alu instid0(VALU_DEP_1)
	v_fmac_f64_e32 v[138:139], v[110:111], v[132:133]
	scratch_load_b128 v[108:111], off, off offset:384
	s_wait_dscnt 0x0
	v_fmac_f64_e32 v[138:139], v[112:113], v[134:135]
	scratch_load_b64 v[134:135], off, off offset:400
	s_wait_loadcnt 0x5
	v_fmac_f64_e32 v[138:139], v[114:115], v[136:137]
	ds_load_2addr_b64 v[112:115], v2 offset0:93 offset1:94
	ds_load_2addr_b64 v[130:133], v2 offset0:95 offset1:96
	s_wait_dscnt 0x1
	v_fmac_f64_e32 v[138:139], v[116:117], v[112:113]
	s_wait_loadcnt 0x4
	s_delay_alu instid0(VALU_DEP_1)
	v_fmac_f64_e32 v[138:139], v[118:119], v[114:115]
	ds_load_2addr_b64 v[112:115], v2 offset0:97 offset1:98
	ds_load_2addr_b64 v[116:119], v2 offset0:99 offset1:100
	s_wait_dscnt 0x2
	v_fmac_f64_e32 v[138:139], v[120:121], v[130:131]
	s_wait_loadcnt 0x3
	s_delay_alu instid0(VALU_DEP_1) | instskip(SKIP_1) | instid1(VALU_DEP_1)
	v_fmac_f64_e32 v[138:139], v[122:123], v[132:133]
	s_wait_dscnt 0x1
	v_fmac_f64_e32 v[138:139], v[124:125], v[112:113]
	s_wait_loadcnt 0x2
	s_delay_alu instid0(VALU_DEP_1) | instskip(SKIP_4) | instid1(VALU_DEP_1)
	v_fmac_f64_e32 v[138:139], v[126:127], v[114:115]
	ds_load_2addr_b64 v[112:115], v2 offset0:101 offset1:102
	s_wait_dscnt 0x1
	v_fmac_f64_e32 v[138:139], v[128:129], v[116:117]
	s_wait_loadcnt 0x1
	v_fmac_f64_e32 v[138:139], v[108:109], v[118:119]
	s_wait_dscnt 0x0
	s_delay_alu instid0(VALU_DEP_1) | instskip(SKIP_1) | instid1(VALU_DEP_1)
	v_fmac_f64_e32 v[138:139], v[110:111], v[112:113]
	s_wait_loadcnt 0x0
	v_fmac_f64_e32 v[138:139], v[134:135], v[114:115]
	s_delay_alu instid0(VALU_DEP_1)
	v_add_f64_e64 v[2:3], v[106:107], -v[138:139]
	scratch_store_b64 off, v[2:3], off offset:288
	s_wait_xcnt 0x0
	v_cmpx_lt_u32_e32 35, v0
	s_cbranch_execz .LBB50_245
; %bb.244:
	scratch_load_b64 v[2:3], off, off offset:280
	v_mov_b64_e32 v[106:107], 0
	scratch_store_b64 off, v[106:107], off offset:280
	s_wait_loadcnt 0x0
	ds_store_b64 v1, v[2:3]
.LBB50_245:
	s_wait_xcnt 0x0
	s_or_b32 exec_lo, exec_lo, s0
	s_wait_storecnt_dscnt 0x0
	s_barrier_signal -1
	s_barrier_wait -1
	s_clause 0x5
	scratch_load_b128 v[106:109], off, off offset:280
	scratch_load_b128 v[110:113], off, off offset:296
	;; [unrolled: 1-line block ×6, first 2 shown]
	v_mov_b32_e32 v2, 0
	ds_load_b128 v[130:133], v2 offset:704
	ds_load_b128 v[134:137], v2 offset:720
	s_mov_b32 s0, exec_lo
	s_wait_loadcnt_dscnt 0x501
	v_fma_f64 v[138:139], v[108:109], v[130:131], 0
	s_wait_loadcnt 0x4
	s_delay_alu instid0(VALU_DEP_1) | instskip(SKIP_4) | instid1(VALU_DEP_1)
	v_fmac_f64_e32 v[138:139], v[110:111], v[132:133]
	scratch_load_b128 v[108:111], off, off offset:376
	s_wait_dscnt 0x0
	v_fmac_f64_e32 v[138:139], v[112:113], v[134:135]
	s_wait_loadcnt 0x4
	v_fmac_f64_e32 v[138:139], v[114:115], v[136:137]
	scratch_load_b128 v[112:115], off, off offset:392
	ds_load_b128 v[130:133], v2 offset:736
	ds_load_b128 v[134:137], v2 offset:752
	s_wait_dscnt 0x1
	v_fmac_f64_e32 v[138:139], v[116:117], v[130:131]
	s_wait_loadcnt 0x4
	s_delay_alu instid0(VALU_DEP_1) | instskip(SKIP_1) | instid1(VALU_DEP_1)
	v_fmac_f64_e32 v[138:139], v[118:119], v[132:133]
	s_wait_dscnt 0x0
	v_fmac_f64_e32 v[138:139], v[120:121], v[134:135]
	s_wait_loadcnt 0x3
	s_delay_alu instid0(VALU_DEP_1)
	v_fmac_f64_e32 v[138:139], v[122:123], v[136:137]
	ds_load_b128 v[116:119], v2 offset:768
	ds_load_b128 v[120:123], v2 offset:784
	s_wait_dscnt 0x1
	v_fmac_f64_e32 v[138:139], v[124:125], v[116:117]
	s_wait_loadcnt 0x2
	s_delay_alu instid0(VALU_DEP_1) | instskip(SKIP_1) | instid1(VALU_DEP_1)
	v_fmac_f64_e32 v[138:139], v[126:127], v[118:119]
	s_wait_dscnt 0x0
	v_fmac_f64_e32 v[138:139], v[128:129], v[120:121]
	s_wait_loadcnt 0x1
	s_delay_alu instid0(VALU_DEP_1)
	v_fmac_f64_e32 v[138:139], v[108:109], v[122:123]
	ds_load_b128 v[116:119], v2 offset:800
	ds_load_b64 v[108:109], v2 offset:816
	s_wait_dscnt 0x1
	v_fmac_f64_e32 v[138:139], v[110:111], v[116:117]
	s_wait_loadcnt 0x0
	s_delay_alu instid0(VALU_DEP_1) | instskip(SKIP_1) | instid1(VALU_DEP_1)
	v_fmac_f64_e32 v[138:139], v[112:113], v[118:119]
	s_wait_dscnt 0x0
	v_fmac_f64_e32 v[138:139], v[114:115], v[108:109]
	s_delay_alu instid0(VALU_DEP_1)
	v_add_f64_e64 v[106:107], v[106:107], -v[138:139]
	scratch_store_b64 off, v[106:107], off offset:280
	s_wait_xcnt 0x0
	v_cmpx_lt_u32_e32 34, v0
	s_cbranch_execz .LBB50_247
; %bb.246:
	scratch_load_b64 v[106:107], off, off offset:272
	v_mov_b64_e32 v[108:109], 0
	scratch_store_b64 off, v[108:109], off offset:272
	s_wait_loadcnt 0x0
	ds_store_b64 v1, v[106:107]
.LBB50_247:
	s_wait_xcnt 0x0
	s_or_b32 exec_lo, exec_lo, s0
	s_wait_storecnt_dscnt 0x0
	s_barrier_signal -1
	s_barrier_wait -1
	s_clause 0x5
	scratch_load_b128 v[106:109], off, off offset:272
	scratch_load_b128 v[110:113], off, off offset:288
	;; [unrolled: 1-line block ×6, first 2 shown]
	ds_load_2addr_b64 v[130:133], v2 offset0:87 offset1:88
	ds_load_2addr_b64 v[134:137], v2 offset0:89 offset1:90
	s_mov_b32 s0, exec_lo
	s_wait_loadcnt_dscnt 0x501
	v_fma_f64 v[138:139], v[108:109], v[130:131], 0
	s_wait_loadcnt 0x4
	s_delay_alu instid0(VALU_DEP_1) | instskip(SKIP_4) | instid1(VALU_DEP_1)
	v_fmac_f64_e32 v[138:139], v[110:111], v[132:133]
	scratch_load_b128 v[108:111], off, off offset:368
	s_wait_dscnt 0x0
	v_fmac_f64_e32 v[138:139], v[112:113], v[134:135]
	s_wait_loadcnt 0x4
	v_fmac_f64_e32 v[138:139], v[114:115], v[136:137]
	scratch_load_b128 v[112:115], off, off offset:384
	ds_load_2addr_b64 v[130:133], v2 offset0:91 offset1:92
	ds_load_2addr_b64 v[134:137], v2 offset0:93 offset1:94
	s_wait_dscnt 0x1
	v_fmac_f64_e32 v[138:139], v[116:117], v[130:131]
	scratch_load_b64 v[130:131], off, off offset:400
	s_wait_loadcnt 0x5
	v_fmac_f64_e32 v[138:139], v[118:119], v[132:133]
	s_wait_dscnt 0x0
	s_delay_alu instid0(VALU_DEP_1) | instskip(SKIP_1) | instid1(VALU_DEP_1)
	v_fmac_f64_e32 v[138:139], v[120:121], v[134:135]
	s_wait_loadcnt 0x4
	v_fmac_f64_e32 v[138:139], v[122:123], v[136:137]
	ds_load_2addr_b64 v[116:119], v2 offset0:95 offset1:96
	ds_load_2addr_b64 v[120:123], v2 offset0:97 offset1:98
	s_wait_dscnt 0x1
	v_fmac_f64_e32 v[138:139], v[124:125], v[116:117]
	s_wait_loadcnt 0x3
	s_delay_alu instid0(VALU_DEP_1) | instskip(SKIP_1) | instid1(VALU_DEP_1)
	v_fmac_f64_e32 v[138:139], v[126:127], v[118:119]
	s_wait_dscnt 0x0
	v_fmac_f64_e32 v[138:139], v[128:129], v[120:121]
	s_wait_loadcnt 0x2
	s_delay_alu instid0(VALU_DEP_1)
	v_fmac_f64_e32 v[138:139], v[108:109], v[122:123]
	ds_load_2addr_b64 v[116:119], v2 offset0:99 offset1:100
	ds_load_2addr_b64 v[120:123], v2 offset0:101 offset1:102
	s_wait_dscnt 0x1
	v_fmac_f64_e32 v[138:139], v[110:111], v[116:117]
	s_wait_loadcnt 0x1
	s_delay_alu instid0(VALU_DEP_1) | instskip(SKIP_1) | instid1(VALU_DEP_1)
	v_fmac_f64_e32 v[138:139], v[112:113], v[118:119]
	s_wait_dscnt 0x0
	v_fmac_f64_e32 v[138:139], v[114:115], v[120:121]
	s_wait_loadcnt 0x0
	s_delay_alu instid0(VALU_DEP_1) | instskip(NEXT) | instid1(VALU_DEP_1)
	v_fmac_f64_e32 v[138:139], v[130:131], v[122:123]
	v_add_f64_e64 v[2:3], v[106:107], -v[138:139]
	scratch_store_b64 off, v[2:3], off offset:272
	s_wait_xcnt 0x0
	v_cmpx_lt_u32_e32 33, v0
	s_cbranch_execz .LBB50_249
; %bb.248:
	scratch_load_b64 v[2:3], off, off offset:264
	v_mov_b64_e32 v[106:107], 0
	scratch_store_b64 off, v[106:107], off offset:264
	s_wait_loadcnt 0x0
	ds_store_b64 v1, v[2:3]
.LBB50_249:
	s_wait_xcnt 0x0
	s_or_b32 exec_lo, exec_lo, s0
	s_wait_storecnt_dscnt 0x0
	s_barrier_signal -1
	s_barrier_wait -1
	s_clause 0x5
	scratch_load_b128 v[106:109], off, off offset:264
	scratch_load_b128 v[110:113], off, off offset:280
	;; [unrolled: 1-line block ×6, first 2 shown]
	v_mov_b32_e32 v2, 0
	ds_load_b128 v[130:133], v2 offset:688
	ds_load_b128 v[134:137], v2 offset:704
	s_mov_b32 s0, exec_lo
	s_wait_loadcnt_dscnt 0x501
	v_fma_f64 v[138:139], v[108:109], v[130:131], 0
	s_wait_loadcnt 0x4
	s_delay_alu instid0(VALU_DEP_1) | instskip(SKIP_4) | instid1(VALU_DEP_1)
	v_fmac_f64_e32 v[138:139], v[110:111], v[132:133]
	scratch_load_b128 v[108:111], off, off offset:360
	s_wait_dscnt 0x0
	v_fmac_f64_e32 v[138:139], v[112:113], v[134:135]
	s_wait_loadcnt 0x4
	v_fmac_f64_e32 v[138:139], v[114:115], v[136:137]
	scratch_load_b128 v[112:115], off, off offset:376
	ds_load_b128 v[130:133], v2 offset:720
	ds_load_b128 v[134:137], v2 offset:736
	s_wait_dscnt 0x1
	v_fmac_f64_e32 v[138:139], v[116:117], v[130:131]
	s_wait_loadcnt 0x4
	s_delay_alu instid0(VALU_DEP_1) | instskip(SKIP_4) | instid1(VALU_DEP_1)
	v_fmac_f64_e32 v[138:139], v[118:119], v[132:133]
	scratch_load_b128 v[116:119], off, off offset:392
	s_wait_dscnt 0x0
	v_fmac_f64_e32 v[138:139], v[120:121], v[134:135]
	s_wait_loadcnt 0x4
	v_fmac_f64_e32 v[138:139], v[122:123], v[136:137]
	ds_load_b128 v[120:123], v2 offset:752
	ds_load_b128 v[130:133], v2 offset:768
	s_wait_dscnt 0x1
	v_fmac_f64_e32 v[138:139], v[124:125], v[120:121]
	s_wait_loadcnt 0x3
	s_delay_alu instid0(VALU_DEP_1)
	v_fmac_f64_e32 v[138:139], v[126:127], v[122:123]
	ds_load_b128 v[120:123], v2 offset:784
	ds_load_b128 v[124:127], v2 offset:800
	s_wait_dscnt 0x2
	v_fmac_f64_e32 v[138:139], v[128:129], v[130:131]
	s_wait_loadcnt 0x2
	s_delay_alu instid0(VALU_DEP_1) | instskip(SKIP_4) | instid1(VALU_DEP_1)
	v_fmac_f64_e32 v[138:139], v[108:109], v[132:133]
	ds_load_b64 v[108:109], v2 offset:816
	s_wait_dscnt 0x2
	v_fmac_f64_e32 v[138:139], v[110:111], v[120:121]
	s_wait_loadcnt 0x1
	v_fmac_f64_e32 v[138:139], v[112:113], v[122:123]
	s_wait_dscnt 0x1
	s_delay_alu instid0(VALU_DEP_1) | instskip(SKIP_1) | instid1(VALU_DEP_1)
	v_fmac_f64_e32 v[138:139], v[114:115], v[124:125]
	s_wait_loadcnt 0x0
	v_fmac_f64_e32 v[138:139], v[116:117], v[126:127]
	s_wait_dscnt 0x0
	s_delay_alu instid0(VALU_DEP_1) | instskip(NEXT) | instid1(VALU_DEP_1)
	v_fmac_f64_e32 v[138:139], v[118:119], v[108:109]
	v_add_f64_e64 v[106:107], v[106:107], -v[138:139]
	scratch_store_b64 off, v[106:107], off offset:264
	s_wait_xcnt 0x0
	v_cmpx_lt_u32_e32 32, v0
	s_cbranch_execz .LBB50_251
; %bb.250:
	scratch_load_b64 v[106:107], off, off offset:256
	v_mov_b64_e32 v[108:109], 0
	scratch_store_b64 off, v[108:109], off offset:256
	s_wait_loadcnt 0x0
	ds_store_b64 v1, v[106:107]
.LBB50_251:
	s_wait_xcnt 0x0
	s_or_b32 exec_lo, exec_lo, s0
	s_wait_storecnt_dscnt 0x0
	s_barrier_signal -1
	s_barrier_wait -1
	s_clause 0x5
	scratch_load_b128 v[106:109], off, off offset:256
	scratch_load_b128 v[110:113], off, off offset:272
	;; [unrolled: 1-line block ×6, first 2 shown]
	ds_load_2addr_b64 v[130:133], v2 offset0:85 offset1:86
	ds_load_2addr_b64 v[134:137], v2 offset0:87 offset1:88
	s_mov_b32 s0, exec_lo
	s_wait_loadcnt_dscnt 0x501
	v_fma_f64 v[138:139], v[108:109], v[130:131], 0
	s_wait_loadcnt 0x4
	s_delay_alu instid0(VALU_DEP_1) | instskip(SKIP_4) | instid1(VALU_DEP_1)
	v_fmac_f64_e32 v[138:139], v[110:111], v[132:133]
	scratch_load_b128 v[108:111], off, off offset:352
	s_wait_dscnt 0x0
	v_fmac_f64_e32 v[138:139], v[112:113], v[134:135]
	s_wait_loadcnt 0x4
	v_fmac_f64_e32 v[138:139], v[114:115], v[136:137]
	scratch_load_b128 v[112:115], off, off offset:368
	ds_load_2addr_b64 v[130:133], v2 offset0:89 offset1:90
	ds_load_2addr_b64 v[134:137], v2 offset0:91 offset1:92
	s_wait_dscnt 0x1
	v_fmac_f64_e32 v[138:139], v[116:117], v[130:131]
	s_wait_loadcnt 0x4
	s_delay_alu instid0(VALU_DEP_1)
	v_fmac_f64_e32 v[138:139], v[118:119], v[132:133]
	scratch_load_b128 v[116:119], off, off offset:384
	s_wait_dscnt 0x0
	v_fmac_f64_e32 v[138:139], v[120:121], v[134:135]
	scratch_load_b64 v[134:135], off, off offset:400
	s_wait_loadcnt 0x5
	v_fmac_f64_e32 v[138:139], v[122:123], v[136:137]
	ds_load_2addr_b64 v[120:123], v2 offset0:93 offset1:94
	ds_load_2addr_b64 v[130:133], v2 offset0:95 offset1:96
	s_wait_dscnt 0x1
	v_fmac_f64_e32 v[138:139], v[124:125], v[120:121]
	s_wait_loadcnt 0x4
	s_delay_alu instid0(VALU_DEP_1)
	v_fmac_f64_e32 v[138:139], v[126:127], v[122:123]
	ds_load_2addr_b64 v[120:123], v2 offset0:97 offset1:98
	ds_load_2addr_b64 v[124:127], v2 offset0:99 offset1:100
	s_wait_dscnt 0x2
	v_fmac_f64_e32 v[138:139], v[128:129], v[130:131]
	s_wait_loadcnt 0x3
	s_delay_alu instid0(VALU_DEP_1) | instskip(SKIP_1) | instid1(VALU_DEP_1)
	v_fmac_f64_e32 v[138:139], v[108:109], v[132:133]
	s_wait_dscnt 0x1
	v_fmac_f64_e32 v[138:139], v[110:111], v[120:121]
	ds_load_2addr_b64 v[108:111], v2 offset0:101 offset1:102
	s_wait_loadcnt 0x2
	v_fmac_f64_e32 v[138:139], v[112:113], v[122:123]
	s_wait_dscnt 0x1
	s_delay_alu instid0(VALU_DEP_1) | instskip(SKIP_1) | instid1(VALU_DEP_1)
	v_fmac_f64_e32 v[138:139], v[114:115], v[124:125]
	s_wait_loadcnt 0x1
	v_fmac_f64_e32 v[138:139], v[116:117], v[126:127]
	s_wait_dscnt 0x0
	s_delay_alu instid0(VALU_DEP_1) | instskip(SKIP_1) | instid1(VALU_DEP_1)
	v_fmac_f64_e32 v[138:139], v[118:119], v[108:109]
	s_wait_loadcnt 0x0
	v_fmac_f64_e32 v[138:139], v[134:135], v[110:111]
	s_delay_alu instid0(VALU_DEP_1)
	v_add_f64_e64 v[2:3], v[106:107], -v[138:139]
	scratch_store_b64 off, v[2:3], off offset:256
	s_wait_xcnt 0x0
	v_cmpx_lt_u32_e32 31, v0
	s_cbranch_execz .LBB50_253
; %bb.252:
	scratch_load_b64 v[2:3], off, off offset:248
	v_mov_b64_e32 v[106:107], 0
	scratch_store_b64 off, v[106:107], off offset:248
	s_wait_loadcnt 0x0
	ds_store_b64 v1, v[2:3]
.LBB50_253:
	s_wait_xcnt 0x0
	s_or_b32 exec_lo, exec_lo, s0
	s_wait_storecnt_dscnt 0x0
	s_barrier_signal -1
	s_barrier_wait -1
	s_clause 0x5
	scratch_load_b128 v[106:109], off, off offset:248
	scratch_load_b128 v[110:113], off, off offset:264
	;; [unrolled: 1-line block ×6, first 2 shown]
	v_mov_b32_e32 v2, 0
	ds_load_b128 v[130:133], v2 offset:672
	ds_load_b128 v[134:137], v2 offset:688
	s_mov_b32 s0, exec_lo
	s_wait_loadcnt_dscnt 0x501
	v_fma_f64 v[138:139], v[108:109], v[130:131], 0
	s_wait_loadcnt 0x4
	s_delay_alu instid0(VALU_DEP_1) | instskip(SKIP_4) | instid1(VALU_DEP_1)
	v_fmac_f64_e32 v[138:139], v[110:111], v[132:133]
	scratch_load_b128 v[108:111], off, off offset:344
	s_wait_dscnt 0x0
	v_fmac_f64_e32 v[138:139], v[112:113], v[134:135]
	s_wait_loadcnt 0x4
	v_fmac_f64_e32 v[138:139], v[114:115], v[136:137]
	scratch_load_b128 v[112:115], off, off offset:360
	ds_load_b128 v[130:133], v2 offset:704
	ds_load_b128 v[134:137], v2 offset:720
	s_wait_dscnt 0x1
	v_fmac_f64_e32 v[138:139], v[116:117], v[130:131]
	s_wait_loadcnt 0x4
	s_delay_alu instid0(VALU_DEP_1) | instskip(SKIP_4) | instid1(VALU_DEP_1)
	v_fmac_f64_e32 v[138:139], v[118:119], v[132:133]
	scratch_load_b128 v[116:119], off, off offset:376
	s_wait_dscnt 0x0
	v_fmac_f64_e32 v[138:139], v[120:121], v[134:135]
	s_wait_loadcnt 0x4
	v_fmac_f64_e32 v[138:139], v[122:123], v[136:137]
	scratch_load_b128 v[120:123], off, off offset:392
	ds_load_b128 v[130:133], v2 offset:736
	ds_load_b128 v[134:137], v2 offset:752
	s_wait_dscnt 0x1
	v_fmac_f64_e32 v[138:139], v[124:125], v[130:131]
	s_wait_loadcnt 0x4
	s_delay_alu instid0(VALU_DEP_1) | instskip(SKIP_1) | instid1(VALU_DEP_1)
	v_fmac_f64_e32 v[138:139], v[126:127], v[132:133]
	s_wait_dscnt 0x0
	v_fmac_f64_e32 v[138:139], v[128:129], v[134:135]
	ds_load_b128 v[124:127], v2 offset:768
	ds_load_b128 v[128:131], v2 offset:784
	s_wait_loadcnt 0x3
	v_fmac_f64_e32 v[138:139], v[108:109], v[136:137]
	s_wait_dscnt 0x1
	s_delay_alu instid0(VALU_DEP_1) | instskip(SKIP_1) | instid1(VALU_DEP_1)
	v_fmac_f64_e32 v[138:139], v[110:111], v[124:125]
	s_wait_loadcnt 0x2
	v_fmac_f64_e32 v[138:139], v[112:113], v[126:127]
	ds_load_b128 v[108:111], v2 offset:800
	ds_load_b64 v[112:113], v2 offset:816
	s_wait_dscnt 0x2
	v_fmac_f64_e32 v[138:139], v[114:115], v[128:129]
	s_wait_loadcnt 0x1
	s_delay_alu instid0(VALU_DEP_1) | instskip(SKIP_1) | instid1(VALU_DEP_1)
	v_fmac_f64_e32 v[138:139], v[116:117], v[130:131]
	s_wait_dscnt 0x1
	v_fmac_f64_e32 v[138:139], v[118:119], v[108:109]
	s_wait_loadcnt 0x0
	s_delay_alu instid0(VALU_DEP_1) | instskip(SKIP_1) | instid1(VALU_DEP_1)
	v_fmac_f64_e32 v[138:139], v[120:121], v[110:111]
	s_wait_dscnt 0x0
	v_fmac_f64_e32 v[138:139], v[122:123], v[112:113]
	s_delay_alu instid0(VALU_DEP_1)
	v_add_f64_e64 v[106:107], v[106:107], -v[138:139]
	scratch_store_b64 off, v[106:107], off offset:248
	s_wait_xcnt 0x0
	v_cmpx_lt_u32_e32 30, v0
	s_cbranch_execz .LBB50_255
; %bb.254:
	scratch_load_b64 v[106:107], off, off offset:240
	v_mov_b64_e32 v[108:109], 0
	scratch_store_b64 off, v[108:109], off offset:240
	s_wait_loadcnt 0x0
	ds_store_b64 v1, v[106:107]
.LBB50_255:
	s_wait_xcnt 0x0
	s_or_b32 exec_lo, exec_lo, s0
	s_wait_storecnt_dscnt 0x0
	s_barrier_signal -1
	s_barrier_wait -1
	s_clause 0x5
	scratch_load_b128 v[106:109], off, off offset:240
	scratch_load_b128 v[110:113], off, off offset:256
	;; [unrolled: 1-line block ×6, first 2 shown]
	ds_load_2addr_b64 v[130:133], v2 offset0:83 offset1:84
	ds_load_2addr_b64 v[134:137], v2 offset0:85 offset1:86
	s_mov_b32 s0, exec_lo
	s_wait_loadcnt_dscnt 0x501
	v_fma_f64 v[138:139], v[108:109], v[130:131], 0
	s_wait_loadcnt 0x4
	s_delay_alu instid0(VALU_DEP_1) | instskip(SKIP_4) | instid1(VALU_DEP_1)
	v_fmac_f64_e32 v[138:139], v[110:111], v[132:133]
	scratch_load_b128 v[108:111], off, off offset:336
	s_wait_dscnt 0x0
	v_fmac_f64_e32 v[138:139], v[112:113], v[134:135]
	s_wait_loadcnt 0x4
	v_fmac_f64_e32 v[138:139], v[114:115], v[136:137]
	scratch_load_b128 v[112:115], off, off offset:352
	ds_load_2addr_b64 v[130:133], v2 offset0:87 offset1:88
	ds_load_2addr_b64 v[134:137], v2 offset0:89 offset1:90
	s_wait_dscnt 0x1
	v_fmac_f64_e32 v[138:139], v[116:117], v[130:131]
	s_wait_loadcnt 0x4
	s_delay_alu instid0(VALU_DEP_1) | instskip(SKIP_4) | instid1(VALU_DEP_1)
	v_fmac_f64_e32 v[138:139], v[118:119], v[132:133]
	scratch_load_b128 v[116:119], off, off offset:368
	s_wait_dscnt 0x0
	v_fmac_f64_e32 v[138:139], v[120:121], v[134:135]
	s_wait_loadcnt 0x4
	v_fmac_f64_e32 v[138:139], v[122:123], v[136:137]
	scratch_load_b128 v[120:123], off, off offset:384
	ds_load_2addr_b64 v[130:133], v2 offset0:91 offset1:92
	ds_load_2addr_b64 v[134:137], v2 offset0:93 offset1:94
	s_wait_dscnt 0x1
	v_fmac_f64_e32 v[138:139], v[124:125], v[130:131]
	s_wait_loadcnt 0x4
	s_delay_alu instid0(VALU_DEP_1)
	v_fmac_f64_e32 v[138:139], v[126:127], v[132:133]
	scratch_load_b64 v[132:133], off, off offset:400
	s_wait_dscnt 0x0
	v_fmac_f64_e32 v[138:139], v[128:129], v[134:135]
	ds_load_2addr_b64 v[124:127], v2 offset0:95 offset1:96
	ds_load_2addr_b64 v[128:131], v2 offset0:97 offset1:98
	s_wait_loadcnt 0x4
	v_fmac_f64_e32 v[138:139], v[108:109], v[136:137]
	s_wait_dscnt 0x1
	s_delay_alu instid0(VALU_DEP_1) | instskip(SKIP_1) | instid1(VALU_DEP_1)
	v_fmac_f64_e32 v[138:139], v[110:111], v[124:125]
	s_wait_loadcnt 0x3
	v_fmac_f64_e32 v[138:139], v[112:113], v[126:127]
	s_wait_dscnt 0x0
	s_delay_alu instid0(VALU_DEP_1)
	v_fmac_f64_e32 v[138:139], v[114:115], v[128:129]
	ds_load_2addr_b64 v[108:111], v2 offset0:99 offset1:100
	ds_load_2addr_b64 v[112:115], v2 offset0:101 offset1:102
	s_wait_loadcnt 0x2
	v_fmac_f64_e32 v[138:139], v[116:117], v[130:131]
	s_wait_dscnt 0x1
	s_delay_alu instid0(VALU_DEP_1) | instskip(SKIP_1) | instid1(VALU_DEP_1)
	v_fmac_f64_e32 v[138:139], v[118:119], v[108:109]
	s_wait_loadcnt 0x1
	v_fmac_f64_e32 v[138:139], v[120:121], v[110:111]
	s_wait_dscnt 0x0
	s_delay_alu instid0(VALU_DEP_1) | instskip(SKIP_1) | instid1(VALU_DEP_1)
	v_fmac_f64_e32 v[138:139], v[122:123], v[112:113]
	s_wait_loadcnt 0x0
	v_fmac_f64_e32 v[138:139], v[132:133], v[114:115]
	s_delay_alu instid0(VALU_DEP_1)
	v_add_f64_e64 v[2:3], v[106:107], -v[138:139]
	scratch_store_b64 off, v[2:3], off offset:240
	s_wait_xcnt 0x0
	v_cmpx_lt_u32_e32 29, v0
	s_cbranch_execz .LBB50_257
; %bb.256:
	scratch_load_b64 v[2:3], off, off offset:232
	v_mov_b64_e32 v[106:107], 0
	scratch_store_b64 off, v[106:107], off offset:232
	s_wait_loadcnt 0x0
	ds_store_b64 v1, v[2:3]
.LBB50_257:
	s_wait_xcnt 0x0
	s_or_b32 exec_lo, exec_lo, s0
	s_wait_storecnt_dscnt 0x0
	s_barrier_signal -1
	s_barrier_wait -1
	s_clause 0x5
	scratch_load_b128 v[106:109], off, off offset:232
	scratch_load_b128 v[110:113], off, off offset:248
	;; [unrolled: 1-line block ×6, first 2 shown]
	v_mov_b32_e32 v2, 0
	ds_load_b128 v[130:133], v2 offset:656
	ds_load_b128 v[134:137], v2 offset:672
	s_mov_b32 s0, exec_lo
	s_wait_loadcnt_dscnt 0x501
	v_fma_f64 v[138:139], v[108:109], v[130:131], 0
	s_wait_loadcnt 0x4
	s_delay_alu instid0(VALU_DEP_1) | instskip(SKIP_4) | instid1(VALU_DEP_1)
	v_fmac_f64_e32 v[138:139], v[110:111], v[132:133]
	scratch_load_b128 v[108:111], off, off offset:328
	s_wait_dscnt 0x0
	v_fmac_f64_e32 v[138:139], v[112:113], v[134:135]
	s_wait_loadcnt 0x4
	v_fmac_f64_e32 v[138:139], v[114:115], v[136:137]
	scratch_load_b128 v[112:115], off, off offset:344
	ds_load_b128 v[130:133], v2 offset:688
	ds_load_b128 v[134:137], v2 offset:704
	s_wait_dscnt 0x1
	v_fmac_f64_e32 v[138:139], v[116:117], v[130:131]
	s_wait_loadcnt 0x4
	s_delay_alu instid0(VALU_DEP_1) | instskip(SKIP_4) | instid1(VALU_DEP_1)
	v_fmac_f64_e32 v[138:139], v[118:119], v[132:133]
	scratch_load_b128 v[116:119], off, off offset:360
	s_wait_dscnt 0x0
	v_fmac_f64_e32 v[138:139], v[120:121], v[134:135]
	s_wait_loadcnt 0x4
	v_fmac_f64_e32 v[138:139], v[122:123], v[136:137]
	scratch_load_b128 v[120:123], off, off offset:376
	ds_load_b128 v[130:133], v2 offset:720
	ds_load_b128 v[134:137], v2 offset:736
	s_wait_dscnt 0x1
	v_fmac_f64_e32 v[138:139], v[124:125], v[130:131]
	s_wait_loadcnt 0x4
	s_delay_alu instid0(VALU_DEP_1)
	v_fmac_f64_e32 v[138:139], v[126:127], v[132:133]
	scratch_load_b128 v[124:127], off, off offset:392
	s_wait_dscnt 0x0
	v_fmac_f64_e32 v[138:139], v[128:129], v[134:135]
	ds_load_b128 v[128:131], v2 offset:752
	ds_load_b128 v[132:135], v2 offset:768
	s_wait_loadcnt 0x4
	v_fmac_f64_e32 v[138:139], v[108:109], v[136:137]
	s_wait_dscnt 0x1
	s_delay_alu instid0(VALU_DEP_1) | instskip(SKIP_1) | instid1(VALU_DEP_1)
	v_fmac_f64_e32 v[138:139], v[110:111], v[128:129]
	s_wait_loadcnt 0x3
	v_fmac_f64_e32 v[138:139], v[112:113], v[130:131]
	s_wait_dscnt 0x0
	s_delay_alu instid0(VALU_DEP_1)
	v_fmac_f64_e32 v[138:139], v[114:115], v[132:133]
	ds_load_b128 v[108:111], v2 offset:784
	ds_load_b128 v[112:115], v2 offset:800
	s_wait_loadcnt 0x2
	v_fmac_f64_e32 v[138:139], v[116:117], v[134:135]
	s_wait_dscnt 0x1
	s_delay_alu instid0(VALU_DEP_1) | instskip(SKIP_4) | instid1(VALU_DEP_1)
	v_fmac_f64_e32 v[138:139], v[118:119], v[108:109]
	ds_load_b64 v[108:109], v2 offset:816
	s_wait_loadcnt 0x1
	v_fmac_f64_e32 v[138:139], v[120:121], v[110:111]
	s_wait_dscnt 0x1
	v_fmac_f64_e32 v[138:139], v[122:123], v[112:113]
	s_wait_loadcnt 0x0
	s_delay_alu instid0(VALU_DEP_1) | instskip(SKIP_1) | instid1(VALU_DEP_1)
	v_fmac_f64_e32 v[138:139], v[124:125], v[114:115]
	s_wait_dscnt 0x0
	v_fmac_f64_e32 v[138:139], v[126:127], v[108:109]
	s_delay_alu instid0(VALU_DEP_1)
	v_add_f64_e64 v[106:107], v[106:107], -v[138:139]
	scratch_store_b64 off, v[106:107], off offset:232
	s_wait_xcnt 0x0
	v_cmpx_lt_u32_e32 28, v0
	s_cbranch_execz .LBB50_259
; %bb.258:
	scratch_load_b64 v[106:107], off, off offset:224
	v_mov_b64_e32 v[108:109], 0
	scratch_store_b64 off, v[108:109], off offset:224
	s_wait_loadcnt 0x0
	ds_store_b64 v1, v[106:107]
.LBB50_259:
	s_wait_xcnt 0x0
	s_or_b32 exec_lo, exec_lo, s0
	s_wait_storecnt_dscnt 0x0
	s_barrier_signal -1
	s_barrier_wait -1
	s_clause 0x5
	scratch_load_b128 v[106:109], off, off offset:224
	scratch_load_b128 v[110:113], off, off offset:240
	;; [unrolled: 1-line block ×6, first 2 shown]
	ds_load_2addr_b64 v[130:133], v2 offset0:81 offset1:82
	ds_load_2addr_b64 v[134:137], v2 offset0:83 offset1:84
	scratch_load_b128 v[138:141], off, off offset:320
	s_mov_b32 s0, exec_lo
	s_wait_loadcnt_dscnt 0x601
	v_fma_f64 v[142:143], v[108:109], v[130:131], 0
	s_wait_loadcnt 0x5
	s_delay_alu instid0(VALU_DEP_1) | instskip(SKIP_4) | instid1(VALU_DEP_1)
	v_fmac_f64_e32 v[142:143], v[110:111], v[132:133]
	scratch_load_b128 v[108:111], off, off offset:336
	s_wait_dscnt 0x0
	v_fmac_f64_e32 v[142:143], v[112:113], v[134:135]
	s_wait_loadcnt 0x5
	v_fmac_f64_e32 v[142:143], v[114:115], v[136:137]
	ds_load_2addr_b64 v[112:115], v2 offset0:85 offset1:86
	ds_load_2addr_b64 v[130:133], v2 offset0:87 offset1:88
	s_wait_dscnt 0x1
	v_fmac_f64_e32 v[142:143], v[116:117], v[112:113]
	s_wait_loadcnt 0x4
	s_delay_alu instid0(VALU_DEP_1)
	v_fmac_f64_e32 v[142:143], v[118:119], v[114:115]
	s_clause 0x1
	scratch_load_b128 v[112:115], off, off offset:352
	scratch_load_b128 v[116:119], off, off offset:368
	s_wait_dscnt 0x0
	v_fmac_f64_e32 v[142:143], v[120:121], v[130:131]
	s_wait_loadcnt 0x5
	s_delay_alu instid0(VALU_DEP_1)
	v_fmac_f64_e32 v[142:143], v[122:123], v[132:133]
	ds_load_2addr_b64 v[120:123], v2 offset0:89 offset1:90
	ds_load_2addr_b64 v[130:133], v2 offset0:91 offset1:92
	s_wait_dscnt 0x1
	v_fmac_f64_e32 v[142:143], v[124:125], v[120:121]
	s_wait_loadcnt 0x4
	s_delay_alu instid0(VALU_DEP_1) | instskip(SKIP_4) | instid1(VALU_DEP_1)
	v_fmac_f64_e32 v[142:143], v[126:127], v[122:123]
	scratch_load_b128 v[120:123], off, off offset:384
	s_wait_dscnt 0x0
	v_fmac_f64_e32 v[142:143], v[128:129], v[130:131]
	s_wait_loadcnt 0x4
	v_fmac_f64_e32 v[142:143], v[138:139], v[132:133]
	scratch_load_b64 v[132:133], off, off offset:400
	ds_load_2addr_b64 v[124:127], v2 offset0:93 offset1:94
	ds_load_2addr_b64 v[128:131], v2 offset0:95 offset1:96
	s_wait_dscnt 0x1
	v_fmac_f64_e32 v[142:143], v[140:141], v[124:125]
	s_wait_loadcnt 0x4
	s_delay_alu instid0(VALU_DEP_1) | instskip(SKIP_1) | instid1(VALU_DEP_1)
	v_fmac_f64_e32 v[142:143], v[108:109], v[126:127]
	s_wait_dscnt 0x0
	v_fmac_f64_e32 v[142:143], v[110:111], v[128:129]
	ds_load_2addr_b64 v[108:111], v2 offset0:97 offset1:98
	ds_load_2addr_b64 v[124:127], v2 offset0:99 offset1:100
	s_wait_loadcnt 0x3
	v_fmac_f64_e32 v[142:143], v[112:113], v[130:131]
	s_wait_dscnt 0x1
	s_delay_alu instid0(VALU_DEP_1) | instskip(SKIP_1) | instid1(VALU_DEP_1)
	v_fmac_f64_e32 v[142:143], v[114:115], v[108:109]
	s_wait_loadcnt 0x2
	v_fmac_f64_e32 v[142:143], v[116:117], v[110:111]
	ds_load_2addr_b64 v[108:111], v2 offset0:101 offset1:102
	s_wait_dscnt 0x1
	v_fmac_f64_e32 v[142:143], v[118:119], v[124:125]
	s_wait_loadcnt 0x1
	s_delay_alu instid0(VALU_DEP_1) | instskip(SKIP_1) | instid1(VALU_DEP_1)
	v_fmac_f64_e32 v[142:143], v[120:121], v[126:127]
	s_wait_dscnt 0x0
	v_fmac_f64_e32 v[142:143], v[122:123], v[108:109]
	s_wait_loadcnt 0x0
	s_delay_alu instid0(VALU_DEP_1) | instskip(NEXT) | instid1(VALU_DEP_1)
	v_fmac_f64_e32 v[142:143], v[132:133], v[110:111]
	v_add_f64_e64 v[2:3], v[106:107], -v[142:143]
	scratch_store_b64 off, v[2:3], off offset:224
	s_wait_xcnt 0x0
	v_cmpx_lt_u32_e32 27, v0
	s_cbranch_execz .LBB50_261
; %bb.260:
	scratch_load_b64 v[2:3], off, off offset:216
	v_mov_b64_e32 v[106:107], 0
	scratch_store_b64 off, v[106:107], off offset:216
	s_wait_loadcnt 0x0
	ds_store_b64 v1, v[2:3]
.LBB50_261:
	s_wait_xcnt 0x0
	s_or_b32 exec_lo, exec_lo, s0
	s_wait_storecnt_dscnt 0x0
	s_barrier_signal -1
	s_barrier_wait -1
	s_clause 0x5
	scratch_load_b128 v[106:109], off, off offset:216
	scratch_load_b128 v[110:113], off, off offset:232
	;; [unrolled: 1-line block ×6, first 2 shown]
	v_mov_b32_e32 v2, 0
	ds_load_b128 v[130:133], v2 offset:640
	ds_load_b128 v[134:137], v2 offset:656
	scratch_load_b128 v[138:141], off, off offset:312
	s_mov_b32 s0, exec_lo
	s_wait_loadcnt_dscnt 0x601
	v_fma_f64 v[142:143], v[108:109], v[130:131], 0
	s_wait_loadcnt 0x5
	s_delay_alu instid0(VALU_DEP_1) | instskip(SKIP_4) | instid1(VALU_DEP_1)
	v_fmac_f64_e32 v[142:143], v[110:111], v[132:133]
	scratch_load_b128 v[108:111], off, off offset:328
	s_wait_dscnt 0x0
	v_fmac_f64_e32 v[142:143], v[112:113], v[134:135]
	s_wait_loadcnt 0x5
	v_fmac_f64_e32 v[142:143], v[114:115], v[136:137]
	ds_load_b128 v[112:115], v2 offset:672
	ds_load_b128 v[130:133], v2 offset:688
	s_wait_dscnt 0x1
	v_fmac_f64_e32 v[142:143], v[116:117], v[112:113]
	s_wait_loadcnt 0x4
	s_delay_alu instid0(VALU_DEP_1)
	v_fmac_f64_e32 v[142:143], v[118:119], v[114:115]
	s_clause 0x1
	scratch_load_b128 v[112:115], off, off offset:344
	scratch_load_b128 v[116:119], off, off offset:360
	s_wait_dscnt 0x0
	v_fmac_f64_e32 v[142:143], v[120:121], v[130:131]
	s_wait_loadcnt 0x5
	s_delay_alu instid0(VALU_DEP_1)
	v_fmac_f64_e32 v[142:143], v[122:123], v[132:133]
	ds_load_b128 v[120:123], v2 offset:704
	ds_load_b128 v[130:133], v2 offset:720
	s_wait_dscnt 0x1
	v_fmac_f64_e32 v[142:143], v[124:125], v[120:121]
	s_wait_loadcnt 0x4
	s_delay_alu instid0(VALU_DEP_1)
	v_fmac_f64_e32 v[142:143], v[126:127], v[122:123]
	s_clause 0x1
	scratch_load_b128 v[120:123], off, off offset:376
	scratch_load_b128 v[124:127], off, off offset:392
	s_wait_dscnt 0x0
	v_fmac_f64_e32 v[142:143], v[128:129], v[130:131]
	s_wait_loadcnt 0x5
	s_delay_alu instid0(VALU_DEP_1)
	v_fmac_f64_e32 v[142:143], v[138:139], v[132:133]
	ds_load_b128 v[128:131], v2 offset:736
	ds_load_b128 v[132:135], v2 offset:752
	s_wait_dscnt 0x1
	v_fmac_f64_e32 v[142:143], v[140:141], v[128:129]
	s_wait_loadcnt 0x4
	s_delay_alu instid0(VALU_DEP_1) | instskip(SKIP_1) | instid1(VALU_DEP_1)
	v_fmac_f64_e32 v[142:143], v[108:109], v[130:131]
	s_wait_dscnt 0x0
	v_fmac_f64_e32 v[142:143], v[110:111], v[132:133]
	ds_load_b128 v[108:111], v2 offset:768
	ds_load_b128 v[128:131], v2 offset:784
	s_wait_loadcnt 0x3
	v_fmac_f64_e32 v[142:143], v[112:113], v[134:135]
	s_wait_dscnt 0x1
	s_delay_alu instid0(VALU_DEP_1) | instskip(SKIP_1) | instid1(VALU_DEP_1)
	v_fmac_f64_e32 v[142:143], v[114:115], v[108:109]
	s_wait_loadcnt 0x2
	v_fmac_f64_e32 v[142:143], v[116:117], v[110:111]
	ds_load_b128 v[108:111], v2 offset:800
	ds_load_b64 v[112:113], v2 offset:816
	s_wait_dscnt 0x2
	v_fmac_f64_e32 v[142:143], v[118:119], v[128:129]
	s_wait_loadcnt 0x1
	s_delay_alu instid0(VALU_DEP_1) | instskip(SKIP_1) | instid1(VALU_DEP_1)
	v_fmac_f64_e32 v[142:143], v[120:121], v[130:131]
	s_wait_dscnt 0x1
	v_fmac_f64_e32 v[142:143], v[122:123], v[108:109]
	s_wait_loadcnt 0x0
	s_delay_alu instid0(VALU_DEP_1) | instskip(SKIP_1) | instid1(VALU_DEP_1)
	v_fmac_f64_e32 v[142:143], v[124:125], v[110:111]
	s_wait_dscnt 0x0
	v_fmac_f64_e32 v[142:143], v[126:127], v[112:113]
	s_delay_alu instid0(VALU_DEP_1)
	v_add_f64_e64 v[106:107], v[106:107], -v[142:143]
	scratch_store_b64 off, v[106:107], off offset:216
	s_wait_xcnt 0x0
	v_cmpx_lt_u32_e32 26, v0
	s_cbranch_execz .LBB50_263
; %bb.262:
	scratch_load_b64 v[106:107], off, off offset:208
	v_mov_b64_e32 v[108:109], 0
	scratch_store_b64 off, v[108:109], off offset:208
	s_wait_loadcnt 0x0
	ds_store_b64 v1, v[106:107]
.LBB50_263:
	s_wait_xcnt 0x0
	s_or_b32 exec_lo, exec_lo, s0
	s_wait_storecnt_dscnt 0x0
	s_barrier_signal -1
	s_barrier_wait -1
	s_clause 0x5
	scratch_load_b128 v[106:109], off, off offset:208
	scratch_load_b128 v[110:113], off, off offset:224
	;; [unrolled: 1-line block ×6, first 2 shown]
	ds_load_2addr_b64 v[130:133], v2 offset0:79 offset1:80
	ds_load_2addr_b64 v[134:137], v2 offset0:81 offset1:82
	scratch_load_b128 v[138:141], off, off offset:304
	s_mov_b32 s0, exec_lo
	s_wait_loadcnt_dscnt 0x601
	v_fma_f64 v[142:143], v[108:109], v[130:131], 0
	s_wait_loadcnt 0x5
	s_delay_alu instid0(VALU_DEP_1) | instskip(SKIP_4) | instid1(VALU_DEP_1)
	v_fmac_f64_e32 v[142:143], v[110:111], v[132:133]
	scratch_load_b128 v[108:111], off, off offset:320
	s_wait_dscnt 0x0
	v_fmac_f64_e32 v[142:143], v[112:113], v[134:135]
	s_wait_loadcnt 0x5
	v_fmac_f64_e32 v[142:143], v[114:115], v[136:137]
	ds_load_2addr_b64 v[112:115], v2 offset0:83 offset1:84
	ds_load_2addr_b64 v[130:133], v2 offset0:85 offset1:86
	s_wait_dscnt 0x1
	v_fmac_f64_e32 v[142:143], v[116:117], v[112:113]
	s_wait_loadcnt 0x4
	s_delay_alu instid0(VALU_DEP_1)
	v_fmac_f64_e32 v[142:143], v[118:119], v[114:115]
	s_clause 0x1
	scratch_load_b128 v[112:115], off, off offset:336
	scratch_load_b128 v[116:119], off, off offset:352
	s_wait_dscnt 0x0
	v_fmac_f64_e32 v[142:143], v[120:121], v[130:131]
	s_wait_loadcnt 0x5
	s_delay_alu instid0(VALU_DEP_1)
	v_fmac_f64_e32 v[142:143], v[122:123], v[132:133]
	ds_load_2addr_b64 v[120:123], v2 offset0:87 offset1:88
	ds_load_2addr_b64 v[130:133], v2 offset0:89 offset1:90
	s_wait_dscnt 0x1
	v_fmac_f64_e32 v[142:143], v[124:125], v[120:121]
	s_wait_loadcnt 0x4
	s_delay_alu instid0(VALU_DEP_1)
	v_fmac_f64_e32 v[142:143], v[126:127], v[122:123]
	s_clause 0x1
	scratch_load_b128 v[120:123], off, off offset:368
	scratch_load_b128 v[124:127], off, off offset:384
	s_wait_dscnt 0x0
	v_fmac_f64_e32 v[142:143], v[128:129], v[130:131]
	s_wait_loadcnt 0x5
	s_delay_alu instid0(VALU_DEP_1)
	v_fmac_f64_e32 v[142:143], v[138:139], v[132:133]
	ds_load_2addr_b64 v[128:131], v2 offset0:91 offset1:92
	ds_load_2addr_b64 v[132:135], v2 offset0:93 offset1:94
	scratch_load_b64 v[136:137], off, off offset:400
	s_wait_dscnt 0x1
	v_fmac_f64_e32 v[142:143], v[140:141], v[128:129]
	s_wait_loadcnt 0x5
	s_delay_alu instid0(VALU_DEP_1) | instskip(SKIP_1) | instid1(VALU_DEP_1)
	v_fmac_f64_e32 v[142:143], v[108:109], v[130:131]
	s_wait_dscnt 0x0
	v_fmac_f64_e32 v[142:143], v[110:111], v[132:133]
	ds_load_2addr_b64 v[108:111], v2 offset0:95 offset1:96
	ds_load_2addr_b64 v[128:131], v2 offset0:97 offset1:98
	s_wait_loadcnt 0x4
	v_fmac_f64_e32 v[142:143], v[112:113], v[134:135]
	s_wait_dscnt 0x1
	s_delay_alu instid0(VALU_DEP_1) | instskip(SKIP_1) | instid1(VALU_DEP_1)
	v_fmac_f64_e32 v[142:143], v[114:115], v[108:109]
	s_wait_loadcnt 0x3
	v_fmac_f64_e32 v[142:143], v[116:117], v[110:111]
	ds_load_2addr_b64 v[108:111], v2 offset0:99 offset1:100
	ds_load_2addr_b64 v[112:115], v2 offset0:101 offset1:102
	s_wait_dscnt 0x2
	v_fmac_f64_e32 v[142:143], v[118:119], v[128:129]
	s_wait_loadcnt 0x2
	s_delay_alu instid0(VALU_DEP_1) | instskip(SKIP_1) | instid1(VALU_DEP_1)
	v_fmac_f64_e32 v[142:143], v[120:121], v[130:131]
	s_wait_dscnt 0x1
	v_fmac_f64_e32 v[142:143], v[122:123], v[108:109]
	s_wait_loadcnt 0x1
	s_delay_alu instid0(VALU_DEP_1) | instskip(SKIP_1) | instid1(VALU_DEP_1)
	v_fmac_f64_e32 v[142:143], v[124:125], v[110:111]
	s_wait_dscnt 0x0
	v_fmac_f64_e32 v[142:143], v[126:127], v[112:113]
	s_wait_loadcnt 0x0
	s_delay_alu instid0(VALU_DEP_1) | instskip(NEXT) | instid1(VALU_DEP_1)
	v_fmac_f64_e32 v[142:143], v[136:137], v[114:115]
	v_add_f64_e64 v[2:3], v[106:107], -v[142:143]
	scratch_store_b64 off, v[2:3], off offset:208
	s_wait_xcnt 0x0
	v_cmpx_lt_u32_e32 25, v0
	s_cbranch_execz .LBB50_265
; %bb.264:
	scratch_load_b64 v[2:3], off, off offset:200
	v_mov_b64_e32 v[106:107], 0
	scratch_store_b64 off, v[106:107], off offset:200
	s_wait_loadcnt 0x0
	ds_store_b64 v1, v[2:3]
.LBB50_265:
	s_wait_xcnt 0x0
	s_or_b32 exec_lo, exec_lo, s0
	s_wait_storecnt_dscnt 0x0
	s_barrier_signal -1
	s_barrier_wait -1
	s_clause 0x5
	scratch_load_b128 v[106:109], off, off offset:200
	scratch_load_b128 v[110:113], off, off offset:216
	;; [unrolled: 1-line block ×6, first 2 shown]
	v_mov_b32_e32 v2, 0
	ds_load_b128 v[130:133], v2 offset:624
	ds_load_b128 v[134:137], v2 offset:640
	scratch_load_b128 v[138:141], off, off offset:296
	s_mov_b32 s0, exec_lo
	s_wait_loadcnt_dscnt 0x601
	v_fma_f64 v[142:143], v[108:109], v[130:131], 0
	s_wait_loadcnt 0x5
	s_delay_alu instid0(VALU_DEP_1) | instskip(SKIP_4) | instid1(VALU_DEP_1)
	v_fmac_f64_e32 v[142:143], v[110:111], v[132:133]
	scratch_load_b128 v[108:111], off, off offset:312
	s_wait_dscnt 0x0
	v_fmac_f64_e32 v[142:143], v[112:113], v[134:135]
	s_wait_loadcnt 0x5
	v_fmac_f64_e32 v[142:143], v[114:115], v[136:137]
	ds_load_b128 v[112:115], v2 offset:656
	ds_load_b128 v[130:133], v2 offset:672
	s_wait_dscnt 0x1
	v_fmac_f64_e32 v[142:143], v[116:117], v[112:113]
	s_wait_loadcnt 0x4
	s_delay_alu instid0(VALU_DEP_1)
	v_fmac_f64_e32 v[142:143], v[118:119], v[114:115]
	s_clause 0x1
	scratch_load_b128 v[112:115], off, off offset:328
	scratch_load_b128 v[116:119], off, off offset:344
	s_wait_dscnt 0x0
	v_fmac_f64_e32 v[142:143], v[120:121], v[130:131]
	s_wait_loadcnt 0x5
	s_delay_alu instid0(VALU_DEP_1)
	v_fmac_f64_e32 v[142:143], v[122:123], v[132:133]
	ds_load_b128 v[120:123], v2 offset:688
	ds_load_b128 v[130:133], v2 offset:704
	s_wait_dscnt 0x1
	v_fmac_f64_e32 v[142:143], v[124:125], v[120:121]
	s_wait_loadcnt 0x4
	s_delay_alu instid0(VALU_DEP_1)
	v_fmac_f64_e32 v[142:143], v[126:127], v[122:123]
	s_clause 0x1
	scratch_load_b128 v[120:123], off, off offset:360
	scratch_load_b128 v[124:127], off, off offset:376
	s_wait_dscnt 0x0
	v_fmac_f64_e32 v[142:143], v[128:129], v[130:131]
	s_wait_loadcnt 0x5
	s_delay_alu instid0(VALU_DEP_1)
	v_fmac_f64_e32 v[142:143], v[138:139], v[132:133]
	ds_load_b128 v[128:131], v2 offset:720
	ds_load_b128 v[132:135], v2 offset:736
	s_wait_dscnt 0x1
	v_fmac_f64_e32 v[142:143], v[140:141], v[128:129]
	s_wait_loadcnt 0x4
	s_delay_alu instid0(VALU_DEP_1) | instskip(SKIP_4) | instid1(VALU_DEP_1)
	v_fmac_f64_e32 v[142:143], v[108:109], v[130:131]
	scratch_load_b128 v[128:131], off, off offset:392
	s_wait_dscnt 0x0
	v_fmac_f64_e32 v[142:143], v[110:111], v[132:133]
	s_wait_loadcnt 0x4
	v_fmac_f64_e32 v[142:143], v[112:113], v[134:135]
	ds_load_b128 v[108:111], v2 offset:752
	ds_load_b128 v[132:135], v2 offset:768
	s_wait_dscnt 0x1
	v_fmac_f64_e32 v[142:143], v[114:115], v[108:109]
	s_wait_loadcnt 0x3
	s_delay_alu instid0(VALU_DEP_1)
	v_fmac_f64_e32 v[142:143], v[116:117], v[110:111]
	ds_load_b128 v[108:111], v2 offset:784
	ds_load_b128 v[112:115], v2 offset:800
	s_wait_dscnt 0x2
	v_fmac_f64_e32 v[142:143], v[118:119], v[132:133]
	s_wait_loadcnt 0x2
	s_delay_alu instid0(VALU_DEP_1) | instskip(SKIP_1) | instid1(VALU_DEP_1)
	v_fmac_f64_e32 v[142:143], v[120:121], v[134:135]
	s_wait_dscnt 0x1
	v_fmac_f64_e32 v[142:143], v[122:123], v[108:109]
	ds_load_b64 v[108:109], v2 offset:816
	s_wait_loadcnt 0x1
	v_fmac_f64_e32 v[142:143], v[124:125], v[110:111]
	s_wait_dscnt 0x1
	s_delay_alu instid0(VALU_DEP_1) | instskip(SKIP_1) | instid1(VALU_DEP_1)
	v_fmac_f64_e32 v[142:143], v[126:127], v[112:113]
	s_wait_loadcnt 0x0
	v_fmac_f64_e32 v[142:143], v[128:129], v[114:115]
	s_wait_dscnt 0x0
	s_delay_alu instid0(VALU_DEP_1) | instskip(NEXT) | instid1(VALU_DEP_1)
	v_fmac_f64_e32 v[142:143], v[130:131], v[108:109]
	v_add_f64_e64 v[106:107], v[106:107], -v[142:143]
	scratch_store_b64 off, v[106:107], off offset:200
	s_wait_xcnt 0x0
	v_cmpx_lt_u32_e32 24, v0
	s_cbranch_execz .LBB50_267
; %bb.266:
	scratch_load_b64 v[106:107], off, off offset:192
	v_mov_b64_e32 v[108:109], 0
	scratch_store_b64 off, v[108:109], off offset:192
	s_wait_loadcnt 0x0
	ds_store_b64 v1, v[106:107]
.LBB50_267:
	s_wait_xcnt 0x0
	s_or_b32 exec_lo, exec_lo, s0
	s_wait_storecnt_dscnt 0x0
	s_barrier_signal -1
	s_barrier_wait -1
	s_clause 0x5
	scratch_load_b128 v[106:109], off, off offset:192
	scratch_load_b128 v[110:113], off, off offset:208
	;; [unrolled: 1-line block ×6, first 2 shown]
	ds_load_2addr_b64 v[130:133], v2 offset0:77 offset1:78
	ds_load_2addr_b64 v[134:137], v2 offset0:79 offset1:80
	scratch_load_b128 v[138:141], off, off offset:288
	s_mov_b32 s0, exec_lo
	s_wait_loadcnt_dscnt 0x601
	v_fma_f64 v[142:143], v[108:109], v[130:131], 0
	s_wait_loadcnt 0x5
	s_delay_alu instid0(VALU_DEP_1) | instskip(SKIP_4) | instid1(VALU_DEP_1)
	v_fmac_f64_e32 v[142:143], v[110:111], v[132:133]
	scratch_load_b128 v[108:111], off, off offset:304
	s_wait_dscnt 0x0
	v_fmac_f64_e32 v[142:143], v[112:113], v[134:135]
	s_wait_loadcnt 0x5
	v_fmac_f64_e32 v[142:143], v[114:115], v[136:137]
	ds_load_2addr_b64 v[112:115], v2 offset0:81 offset1:82
	ds_load_2addr_b64 v[130:133], v2 offset0:83 offset1:84
	scratch_load_b128 v[134:137], off, off offset:320
	s_wait_dscnt 0x1
	v_fmac_f64_e32 v[142:143], v[116:117], v[112:113]
	s_wait_loadcnt 0x5
	s_delay_alu instid0(VALU_DEP_1) | instskip(SKIP_4) | instid1(VALU_DEP_1)
	v_fmac_f64_e32 v[142:143], v[118:119], v[114:115]
	scratch_load_b128 v[112:115], off, off offset:336
	s_wait_dscnt 0x0
	v_fmac_f64_e32 v[142:143], v[120:121], v[130:131]
	s_wait_loadcnt 0x5
	v_fmac_f64_e32 v[142:143], v[122:123], v[132:133]
	ds_load_2addr_b64 v[116:119], v2 offset0:85 offset1:86
	ds_load_2addr_b64 v[120:123], v2 offset0:87 offset1:88
	s_wait_dscnt 0x1
	v_fmac_f64_e32 v[142:143], v[124:125], v[116:117]
	s_wait_loadcnt 0x4
	s_delay_alu instid0(VALU_DEP_1) | instskip(SKIP_4) | instid1(VALU_DEP_1)
	v_fmac_f64_e32 v[142:143], v[126:127], v[118:119]
	scratch_load_b128 v[116:119], off, off offset:352
	s_wait_dscnt 0x0
	v_fmac_f64_e32 v[142:143], v[128:129], v[120:121]
	s_wait_loadcnt 0x4
	v_fmac_f64_e32 v[142:143], v[138:139], v[122:123]
	scratch_load_b128 v[120:123], off, off offset:368
	ds_load_2addr_b64 v[124:127], v2 offset0:89 offset1:90
	ds_load_2addr_b64 v[128:131], v2 offset0:91 offset1:92
	scratch_load_b64 v[132:133], off, off offset:400
	s_wait_dscnt 0x1
	v_fmac_f64_e32 v[142:143], v[140:141], v[124:125]
	s_wait_loadcnt 0x5
	s_delay_alu instid0(VALU_DEP_1) | instskip(SKIP_4) | instid1(VALU_DEP_1)
	v_fmac_f64_e32 v[142:143], v[108:109], v[126:127]
	scratch_load_b128 v[124:127], off, off offset:384
	s_wait_dscnt 0x0
	v_fmac_f64_e32 v[142:143], v[110:111], v[128:129]
	s_wait_loadcnt 0x5
	v_fmac_f64_e32 v[142:143], v[134:135], v[130:131]
	ds_load_2addr_b64 v[108:111], v2 offset0:93 offset1:94
	ds_load_2addr_b64 v[128:131], v2 offset0:95 offset1:96
	s_wait_dscnt 0x1
	v_fmac_f64_e32 v[142:143], v[136:137], v[108:109]
	s_wait_loadcnt 0x4
	s_delay_alu instid0(VALU_DEP_1) | instskip(SKIP_1) | instid1(VALU_DEP_1)
	v_fmac_f64_e32 v[142:143], v[112:113], v[110:111]
	s_wait_dscnt 0x0
	v_fmac_f64_e32 v[142:143], v[114:115], v[128:129]
	ds_load_2addr_b64 v[108:111], v2 offset0:97 offset1:98
	ds_load_2addr_b64 v[112:115], v2 offset0:99 offset1:100
	s_wait_loadcnt 0x3
	v_fmac_f64_e32 v[142:143], v[116:117], v[130:131]
	s_wait_dscnt 0x1
	s_delay_alu instid0(VALU_DEP_1) | instskip(SKIP_1) | instid1(VALU_DEP_1)
	v_fmac_f64_e32 v[142:143], v[118:119], v[108:109]
	s_wait_loadcnt 0x2
	v_fmac_f64_e32 v[142:143], v[120:121], v[110:111]
	ds_load_2addr_b64 v[108:111], v2 offset0:101 offset1:102
	s_wait_dscnt 0x1
	v_fmac_f64_e32 v[142:143], v[122:123], v[112:113]
	s_wait_loadcnt 0x0
	s_delay_alu instid0(VALU_DEP_1) | instskip(SKIP_1) | instid1(VALU_DEP_1)
	v_fmac_f64_e32 v[142:143], v[124:125], v[114:115]
	s_wait_dscnt 0x0
	v_fmac_f64_e32 v[142:143], v[126:127], v[108:109]
	s_delay_alu instid0(VALU_DEP_1) | instskip(NEXT) | instid1(VALU_DEP_1)
	v_fmac_f64_e32 v[142:143], v[132:133], v[110:111]
	v_add_f64_e64 v[2:3], v[106:107], -v[142:143]
	scratch_store_b64 off, v[2:3], off offset:192
	s_wait_xcnt 0x0
	v_cmpx_lt_u32_e32 23, v0
	s_cbranch_execz .LBB50_269
; %bb.268:
	scratch_load_b64 v[2:3], off, off offset:184
	v_mov_b64_e32 v[106:107], 0
	scratch_store_b64 off, v[106:107], off offset:184
	s_wait_loadcnt 0x0
	ds_store_b64 v1, v[2:3]
.LBB50_269:
	s_wait_xcnt 0x0
	s_or_b32 exec_lo, exec_lo, s0
	s_wait_storecnt_dscnt 0x0
	s_barrier_signal -1
	s_barrier_wait -1
	s_clause 0x5
	scratch_load_b128 v[106:109], off, off offset:184
	scratch_load_b128 v[110:113], off, off offset:200
	;; [unrolled: 1-line block ×6, first 2 shown]
	v_mov_b32_e32 v2, 0
	ds_load_b128 v[130:133], v2 offset:608
	ds_load_b128 v[134:137], v2 offset:624
	scratch_load_b128 v[138:141], off, off offset:280
	s_mov_b32 s0, exec_lo
	s_wait_loadcnt_dscnt 0x601
	v_fma_f64 v[142:143], v[108:109], v[130:131], 0
	s_wait_loadcnt 0x5
	s_delay_alu instid0(VALU_DEP_1) | instskip(SKIP_4) | instid1(VALU_DEP_1)
	v_fmac_f64_e32 v[142:143], v[110:111], v[132:133]
	scratch_load_b128 v[108:111], off, off offset:296
	s_wait_dscnt 0x0
	v_fmac_f64_e32 v[142:143], v[112:113], v[134:135]
	s_wait_loadcnt 0x5
	v_fmac_f64_e32 v[142:143], v[114:115], v[136:137]
	ds_load_b128 v[112:115], v2 offset:640
	ds_load_b128 v[130:133], v2 offset:656
	scratch_load_b128 v[134:137], off, off offset:312
	s_wait_dscnt 0x1
	v_fmac_f64_e32 v[142:143], v[116:117], v[112:113]
	s_wait_loadcnt 0x5
	s_delay_alu instid0(VALU_DEP_1) | instskip(SKIP_4) | instid1(VALU_DEP_1)
	v_fmac_f64_e32 v[142:143], v[118:119], v[114:115]
	scratch_load_b128 v[112:115], off, off offset:328
	s_wait_dscnt 0x0
	v_fmac_f64_e32 v[142:143], v[120:121], v[130:131]
	s_wait_loadcnt 0x5
	v_fmac_f64_e32 v[142:143], v[122:123], v[132:133]
	ds_load_b128 v[116:119], v2 offset:672
	ds_load_b128 v[120:123], v2 offset:688
	s_wait_dscnt 0x1
	v_fmac_f64_e32 v[142:143], v[124:125], v[116:117]
	s_wait_loadcnt 0x4
	s_delay_alu instid0(VALU_DEP_1) | instskip(SKIP_4) | instid1(VALU_DEP_1)
	v_fmac_f64_e32 v[142:143], v[126:127], v[118:119]
	scratch_load_b128 v[116:119], off, off offset:344
	s_wait_dscnt 0x0
	v_fmac_f64_e32 v[142:143], v[128:129], v[120:121]
	s_wait_loadcnt 0x4
	v_fmac_f64_e32 v[142:143], v[138:139], v[122:123]
	scratch_load_b128 v[120:123], off, off offset:360
	ds_load_b128 v[124:127], v2 offset:704
	ds_load_b128 v[128:131], v2 offset:720
	s_wait_dscnt 0x1
	v_fmac_f64_e32 v[142:143], v[140:141], v[124:125]
	s_wait_loadcnt 0x4
	s_delay_alu instid0(VALU_DEP_1)
	v_fmac_f64_e32 v[142:143], v[108:109], v[126:127]
	scratch_load_b128 v[124:127], off, off offset:376
	s_wait_dscnt 0x0
	v_fmac_f64_e32 v[142:143], v[110:111], v[128:129]
	scratch_load_b128 v[108:111], off, off offset:392
	s_wait_loadcnt 0x5
	v_fmac_f64_e32 v[142:143], v[134:135], v[130:131]
	ds_load_b128 v[128:131], v2 offset:736
	ds_load_b128 v[132:135], v2 offset:752
	s_wait_dscnt 0x1
	v_fmac_f64_e32 v[142:143], v[136:137], v[128:129]
	s_wait_loadcnt 0x4
	s_delay_alu instid0(VALU_DEP_1) | instskip(SKIP_1) | instid1(VALU_DEP_1)
	v_fmac_f64_e32 v[142:143], v[112:113], v[130:131]
	s_wait_dscnt 0x0
	v_fmac_f64_e32 v[142:143], v[114:115], v[132:133]
	ds_load_b128 v[112:115], v2 offset:768
	ds_load_b128 v[128:131], v2 offset:784
	s_wait_loadcnt 0x3
	v_fmac_f64_e32 v[142:143], v[116:117], v[134:135]
	s_wait_dscnt 0x1
	s_delay_alu instid0(VALU_DEP_1) | instskip(SKIP_1) | instid1(VALU_DEP_1)
	v_fmac_f64_e32 v[142:143], v[118:119], v[112:113]
	s_wait_loadcnt 0x2
	v_fmac_f64_e32 v[142:143], v[120:121], v[114:115]
	ds_load_b128 v[112:115], v2 offset:800
	ds_load_b64 v[116:117], v2 offset:816
	s_wait_dscnt 0x2
	v_fmac_f64_e32 v[142:143], v[122:123], v[128:129]
	s_wait_loadcnt 0x1
	s_delay_alu instid0(VALU_DEP_1) | instskip(SKIP_1) | instid1(VALU_DEP_1)
	v_fmac_f64_e32 v[142:143], v[124:125], v[130:131]
	s_wait_dscnt 0x1
	v_fmac_f64_e32 v[142:143], v[126:127], v[112:113]
	s_wait_loadcnt 0x0
	s_delay_alu instid0(VALU_DEP_1) | instskip(SKIP_1) | instid1(VALU_DEP_1)
	v_fmac_f64_e32 v[142:143], v[108:109], v[114:115]
	s_wait_dscnt 0x0
	v_fmac_f64_e32 v[142:143], v[110:111], v[116:117]
	s_delay_alu instid0(VALU_DEP_1)
	v_add_f64_e64 v[106:107], v[106:107], -v[142:143]
	scratch_store_b64 off, v[106:107], off offset:184
	s_wait_xcnt 0x0
	v_cmpx_lt_u32_e32 22, v0
	s_cbranch_execz .LBB50_271
; %bb.270:
	scratch_load_b64 v[106:107], off, off offset:176
	v_mov_b64_e32 v[108:109], 0
	scratch_store_b64 off, v[108:109], off offset:176
	s_wait_loadcnt 0x0
	ds_store_b64 v1, v[106:107]
.LBB50_271:
	s_wait_xcnt 0x0
	s_or_b32 exec_lo, exec_lo, s0
	s_wait_storecnt_dscnt 0x0
	s_barrier_signal -1
	s_barrier_wait -1
	s_clause 0x5
	scratch_load_b128 v[106:109], off, off offset:176
	scratch_load_b128 v[110:113], off, off offset:192
	;; [unrolled: 1-line block ×6, first 2 shown]
	ds_load_2addr_b64 v[130:133], v2 offset0:75 offset1:76
	ds_load_2addr_b64 v[134:137], v2 offset0:77 offset1:78
	scratch_load_b128 v[138:141], off, off offset:272
	s_mov_b32 s0, exec_lo
	s_wait_loadcnt_dscnt 0x601
	v_fma_f64 v[142:143], v[108:109], v[130:131], 0
	s_wait_loadcnt 0x5
	s_delay_alu instid0(VALU_DEP_1) | instskip(SKIP_4) | instid1(VALU_DEP_1)
	v_fmac_f64_e32 v[142:143], v[110:111], v[132:133]
	scratch_load_b128 v[108:111], off, off offset:288
	s_wait_dscnt 0x0
	v_fmac_f64_e32 v[142:143], v[112:113], v[134:135]
	s_wait_loadcnt 0x5
	v_fmac_f64_e32 v[142:143], v[114:115], v[136:137]
	ds_load_2addr_b64 v[112:115], v2 offset0:79 offset1:80
	ds_load_2addr_b64 v[130:133], v2 offset0:81 offset1:82
	scratch_load_b128 v[134:137], off, off offset:304
	s_wait_dscnt 0x1
	v_fmac_f64_e32 v[142:143], v[116:117], v[112:113]
	s_wait_loadcnt 0x5
	s_delay_alu instid0(VALU_DEP_1) | instskip(SKIP_4) | instid1(VALU_DEP_1)
	v_fmac_f64_e32 v[142:143], v[118:119], v[114:115]
	scratch_load_b128 v[112:115], off, off offset:320
	s_wait_dscnt 0x0
	v_fmac_f64_e32 v[142:143], v[120:121], v[130:131]
	s_wait_loadcnt 0x5
	v_fmac_f64_e32 v[142:143], v[122:123], v[132:133]
	ds_load_2addr_b64 v[116:119], v2 offset0:83 offset1:84
	ds_load_2addr_b64 v[120:123], v2 offset0:85 offset1:86
	s_wait_dscnt 0x1
	v_fmac_f64_e32 v[142:143], v[124:125], v[116:117]
	s_wait_loadcnt 0x4
	s_delay_alu instid0(VALU_DEP_1) | instskip(SKIP_4) | instid1(VALU_DEP_1)
	v_fmac_f64_e32 v[142:143], v[126:127], v[118:119]
	scratch_load_b128 v[116:119], off, off offset:336
	s_wait_dscnt 0x0
	v_fmac_f64_e32 v[142:143], v[128:129], v[120:121]
	s_wait_loadcnt 0x4
	v_fmac_f64_e32 v[142:143], v[138:139], v[122:123]
	scratch_load_b128 v[120:123], off, off offset:352
	ds_load_2addr_b64 v[124:127], v2 offset0:87 offset1:88
	ds_load_2addr_b64 v[128:131], v2 offset0:89 offset1:90
	s_wait_dscnt 0x1
	v_fmac_f64_e32 v[142:143], v[140:141], v[124:125]
	s_wait_loadcnt 0x4
	s_delay_alu instid0(VALU_DEP_1)
	v_fmac_f64_e32 v[142:143], v[108:109], v[126:127]
	scratch_load_b128 v[124:127], off, off offset:368
	s_wait_dscnt 0x0
	v_fmac_f64_e32 v[142:143], v[110:111], v[128:129]
	scratch_load_b128 v[108:111], off, off offset:384
	s_wait_loadcnt 0x5
	v_fmac_f64_e32 v[142:143], v[134:135], v[130:131]
	ds_load_2addr_b64 v[128:131], v2 offset0:91 offset1:92
	ds_load_2addr_b64 v[132:135], v2 offset0:93 offset1:94
	s_wait_dscnt 0x1
	v_fmac_f64_e32 v[142:143], v[136:137], v[128:129]
	scratch_load_b64 v[136:137], off, off offset:400
	s_wait_loadcnt 0x5
	v_fmac_f64_e32 v[142:143], v[112:113], v[130:131]
	s_wait_dscnt 0x0
	s_delay_alu instid0(VALU_DEP_1)
	v_fmac_f64_e32 v[142:143], v[114:115], v[132:133]
	ds_load_2addr_b64 v[112:115], v2 offset0:95 offset1:96
	ds_load_2addr_b64 v[128:131], v2 offset0:97 offset1:98
	s_wait_loadcnt 0x4
	v_fmac_f64_e32 v[142:143], v[116:117], v[134:135]
	s_wait_dscnt 0x1
	s_delay_alu instid0(VALU_DEP_1) | instskip(SKIP_1) | instid1(VALU_DEP_1)
	v_fmac_f64_e32 v[142:143], v[118:119], v[112:113]
	s_wait_loadcnt 0x3
	v_fmac_f64_e32 v[142:143], v[120:121], v[114:115]
	ds_load_2addr_b64 v[112:115], v2 offset0:99 offset1:100
	ds_load_2addr_b64 v[116:119], v2 offset0:101 offset1:102
	s_wait_dscnt 0x2
	v_fmac_f64_e32 v[142:143], v[122:123], v[128:129]
	s_wait_loadcnt 0x2
	s_delay_alu instid0(VALU_DEP_1) | instskip(SKIP_1) | instid1(VALU_DEP_1)
	v_fmac_f64_e32 v[142:143], v[124:125], v[130:131]
	s_wait_dscnt 0x1
	v_fmac_f64_e32 v[142:143], v[126:127], v[112:113]
	s_wait_loadcnt 0x1
	s_delay_alu instid0(VALU_DEP_1) | instskip(SKIP_1) | instid1(VALU_DEP_1)
	v_fmac_f64_e32 v[142:143], v[108:109], v[114:115]
	s_wait_dscnt 0x0
	v_fmac_f64_e32 v[142:143], v[110:111], v[116:117]
	s_wait_loadcnt 0x0
	s_delay_alu instid0(VALU_DEP_1) | instskip(NEXT) | instid1(VALU_DEP_1)
	v_fmac_f64_e32 v[142:143], v[136:137], v[118:119]
	v_add_f64_e64 v[2:3], v[106:107], -v[142:143]
	scratch_store_b64 off, v[2:3], off offset:176
	s_wait_xcnt 0x0
	v_cmpx_lt_u32_e32 21, v0
	s_cbranch_execz .LBB50_273
; %bb.272:
	scratch_load_b64 v[2:3], off, off offset:168
	v_mov_b64_e32 v[106:107], 0
	scratch_store_b64 off, v[106:107], off offset:168
	s_wait_loadcnt 0x0
	ds_store_b64 v1, v[2:3]
.LBB50_273:
	s_wait_xcnt 0x0
	s_or_b32 exec_lo, exec_lo, s0
	s_wait_storecnt_dscnt 0x0
	s_barrier_signal -1
	s_barrier_wait -1
	s_clause 0x5
	scratch_load_b128 v[106:109], off, off offset:168
	scratch_load_b128 v[110:113], off, off offset:184
	;; [unrolled: 1-line block ×6, first 2 shown]
	v_mov_b32_e32 v2, 0
	ds_load_b128 v[130:133], v2 offset:592
	ds_load_b128 v[134:137], v2 offset:608
	scratch_load_b128 v[138:141], off, off offset:264
	s_mov_b32 s0, exec_lo
	s_wait_loadcnt_dscnt 0x601
	v_fma_f64 v[142:143], v[108:109], v[130:131], 0
	s_wait_loadcnt 0x5
	s_delay_alu instid0(VALU_DEP_1) | instskip(SKIP_4) | instid1(VALU_DEP_1)
	v_fmac_f64_e32 v[142:143], v[110:111], v[132:133]
	scratch_load_b128 v[108:111], off, off offset:280
	s_wait_dscnt 0x0
	v_fmac_f64_e32 v[142:143], v[112:113], v[134:135]
	s_wait_loadcnt 0x5
	v_fmac_f64_e32 v[142:143], v[114:115], v[136:137]
	ds_load_b128 v[112:115], v2 offset:624
	ds_load_b128 v[130:133], v2 offset:640
	scratch_load_b128 v[134:137], off, off offset:296
	s_wait_dscnt 0x1
	v_fmac_f64_e32 v[142:143], v[116:117], v[112:113]
	s_wait_loadcnt 0x5
	s_delay_alu instid0(VALU_DEP_1) | instskip(SKIP_4) | instid1(VALU_DEP_1)
	v_fmac_f64_e32 v[142:143], v[118:119], v[114:115]
	scratch_load_b128 v[112:115], off, off offset:312
	s_wait_dscnt 0x0
	v_fmac_f64_e32 v[142:143], v[120:121], v[130:131]
	s_wait_loadcnt 0x5
	v_fmac_f64_e32 v[142:143], v[122:123], v[132:133]
	ds_load_b128 v[116:119], v2 offset:656
	ds_load_b128 v[120:123], v2 offset:672
	s_wait_dscnt 0x1
	v_fmac_f64_e32 v[142:143], v[124:125], v[116:117]
	s_wait_loadcnt 0x4
	s_delay_alu instid0(VALU_DEP_1) | instskip(SKIP_4) | instid1(VALU_DEP_1)
	v_fmac_f64_e32 v[142:143], v[126:127], v[118:119]
	scratch_load_b128 v[116:119], off, off offset:328
	s_wait_dscnt 0x0
	v_fmac_f64_e32 v[142:143], v[128:129], v[120:121]
	s_wait_loadcnt 0x4
	v_fmac_f64_e32 v[142:143], v[138:139], v[122:123]
	scratch_load_b128 v[120:123], off, off offset:344
	ds_load_b128 v[124:127], v2 offset:688
	ds_load_b128 v[128:131], v2 offset:704
	s_wait_dscnt 0x1
	v_fmac_f64_e32 v[142:143], v[140:141], v[124:125]
	s_wait_loadcnt 0x4
	s_delay_alu instid0(VALU_DEP_1)
	v_fmac_f64_e32 v[142:143], v[108:109], v[126:127]
	scratch_load_b128 v[124:127], off, off offset:360
	s_wait_dscnt 0x0
	v_fmac_f64_e32 v[142:143], v[110:111], v[128:129]
	scratch_load_b128 v[108:111], off, off offset:376
	s_wait_loadcnt 0x5
	v_fmac_f64_e32 v[142:143], v[134:135], v[130:131]
	ds_load_b128 v[128:131], v2 offset:720
	ds_load_b128 v[132:135], v2 offset:736
	s_wait_dscnt 0x1
	v_fmac_f64_e32 v[142:143], v[136:137], v[128:129]
	s_wait_loadcnt 0x4
	s_delay_alu instid0(VALU_DEP_1) | instskip(SKIP_4) | instid1(VALU_DEP_1)
	v_fmac_f64_e32 v[142:143], v[112:113], v[130:131]
	scratch_load_b128 v[128:131], off, off offset:392
	s_wait_dscnt 0x0
	v_fmac_f64_e32 v[142:143], v[114:115], v[132:133]
	s_wait_loadcnt 0x4
	v_fmac_f64_e32 v[142:143], v[116:117], v[134:135]
	ds_load_b128 v[112:115], v2 offset:752
	ds_load_b128 v[132:135], v2 offset:768
	s_wait_dscnt 0x1
	v_fmac_f64_e32 v[142:143], v[118:119], v[112:113]
	s_wait_loadcnt 0x3
	s_delay_alu instid0(VALU_DEP_1)
	v_fmac_f64_e32 v[142:143], v[120:121], v[114:115]
	ds_load_b128 v[112:115], v2 offset:784
	ds_load_b128 v[116:119], v2 offset:800
	s_wait_dscnt 0x2
	v_fmac_f64_e32 v[142:143], v[122:123], v[132:133]
	s_wait_loadcnt 0x2
	s_delay_alu instid0(VALU_DEP_1) | instskip(SKIP_1) | instid1(VALU_DEP_1)
	v_fmac_f64_e32 v[142:143], v[124:125], v[134:135]
	s_wait_dscnt 0x1
	v_fmac_f64_e32 v[142:143], v[126:127], v[112:113]
	s_wait_loadcnt 0x1
	s_delay_alu instid0(VALU_DEP_1) | instskip(SKIP_4) | instid1(VALU_DEP_1)
	v_fmac_f64_e32 v[142:143], v[108:109], v[114:115]
	ds_load_b64 v[108:109], v2 offset:816
	s_wait_dscnt 0x1
	v_fmac_f64_e32 v[142:143], v[110:111], v[116:117]
	s_wait_loadcnt 0x0
	v_fmac_f64_e32 v[142:143], v[128:129], v[118:119]
	s_wait_dscnt 0x0
	s_delay_alu instid0(VALU_DEP_1) | instskip(NEXT) | instid1(VALU_DEP_1)
	v_fmac_f64_e32 v[142:143], v[130:131], v[108:109]
	v_add_f64_e64 v[106:107], v[106:107], -v[142:143]
	scratch_store_b64 off, v[106:107], off offset:168
	s_wait_xcnt 0x0
	v_cmpx_lt_u32_e32 20, v0
	s_cbranch_execz .LBB50_275
; %bb.274:
	scratch_load_b64 v[106:107], off, off offset:160
	v_mov_b64_e32 v[108:109], 0
	scratch_store_b64 off, v[108:109], off offset:160
	s_wait_loadcnt 0x0
	ds_store_b64 v1, v[106:107]
.LBB50_275:
	s_wait_xcnt 0x0
	s_or_b32 exec_lo, exec_lo, s0
	s_wait_storecnt_dscnt 0x0
	s_barrier_signal -1
	s_barrier_wait -1
	s_clause 0x5
	scratch_load_b128 v[106:109], off, off offset:160
	scratch_load_b128 v[110:113], off, off offset:176
	;; [unrolled: 1-line block ×6, first 2 shown]
	ds_load_2addr_b64 v[130:133], v2 offset0:73 offset1:74
	ds_load_2addr_b64 v[134:137], v2 offset0:75 offset1:76
	scratch_load_b128 v[138:141], off, off offset:256
	s_mov_b32 s0, exec_lo
	s_wait_loadcnt_dscnt 0x601
	v_fma_f64 v[142:143], v[108:109], v[130:131], 0
	s_wait_loadcnt 0x5
	s_delay_alu instid0(VALU_DEP_1) | instskip(SKIP_4) | instid1(VALU_DEP_1)
	v_fmac_f64_e32 v[142:143], v[110:111], v[132:133]
	scratch_load_b128 v[108:111], off, off offset:272
	s_wait_dscnt 0x0
	v_fmac_f64_e32 v[142:143], v[112:113], v[134:135]
	s_wait_loadcnt 0x5
	v_fmac_f64_e32 v[142:143], v[114:115], v[136:137]
	ds_load_2addr_b64 v[112:115], v2 offset0:77 offset1:78
	ds_load_2addr_b64 v[130:133], v2 offset0:79 offset1:80
	scratch_load_b128 v[134:137], off, off offset:288
	s_wait_dscnt 0x1
	v_fmac_f64_e32 v[142:143], v[116:117], v[112:113]
	s_wait_loadcnt 0x5
	s_delay_alu instid0(VALU_DEP_1) | instskip(SKIP_4) | instid1(VALU_DEP_1)
	v_fmac_f64_e32 v[142:143], v[118:119], v[114:115]
	scratch_load_b128 v[112:115], off, off offset:304
	s_wait_dscnt 0x0
	v_fmac_f64_e32 v[142:143], v[120:121], v[130:131]
	s_wait_loadcnt 0x5
	v_fmac_f64_e32 v[142:143], v[122:123], v[132:133]
	ds_load_2addr_b64 v[116:119], v2 offset0:81 offset1:82
	ds_load_2addr_b64 v[120:123], v2 offset0:83 offset1:84
	scratch_load_b128 v[130:133], off, off offset:320
	s_wait_dscnt 0x1
	v_fmac_f64_e32 v[142:143], v[124:125], v[116:117]
	s_wait_loadcnt 0x5
	s_delay_alu instid0(VALU_DEP_1) | instskip(SKIP_4) | instid1(VALU_DEP_1)
	v_fmac_f64_e32 v[142:143], v[126:127], v[118:119]
	scratch_load_b128 v[116:119], off, off offset:336
	s_wait_dscnt 0x0
	v_fmac_f64_e32 v[142:143], v[128:129], v[120:121]
	s_wait_loadcnt 0x5
	v_fmac_f64_e32 v[142:143], v[138:139], v[122:123]
	ds_load_2addr_b64 v[120:123], v2 offset0:85 offset1:86
	ds_load_2addr_b64 v[124:127], v2 offset0:87 offset1:88
	s_wait_dscnt 0x1
	v_fmac_f64_e32 v[142:143], v[140:141], v[120:121]
	s_wait_loadcnt 0x4
	s_delay_alu instid0(VALU_DEP_1)
	v_fmac_f64_e32 v[142:143], v[108:109], v[122:123]
	scratch_load_b128 v[120:123], off, off offset:352
	s_wait_dscnt 0x0
	v_fmac_f64_e32 v[142:143], v[110:111], v[124:125]
	scratch_load_b128 v[108:111], off, off offset:368
	s_wait_loadcnt 0x5
	v_fmac_f64_e32 v[142:143], v[134:135], v[126:127]
	ds_load_2addr_b64 v[124:127], v2 offset0:89 offset1:90
	ds_load_2addr_b64 v[138:141], v2 offset0:91 offset1:92
	scratch_load_b64 v[134:135], off, off offset:400
	s_wait_dscnt 0x1
	v_fmac_f64_e32 v[142:143], v[136:137], v[124:125]
	s_wait_loadcnt 0x5
	s_delay_alu instid0(VALU_DEP_1) | instskip(SKIP_4) | instid1(VALU_DEP_1)
	v_fmac_f64_e32 v[142:143], v[112:113], v[126:127]
	scratch_load_b128 v[124:127], off, off offset:384
	s_wait_dscnt 0x0
	v_fmac_f64_e32 v[142:143], v[114:115], v[138:139]
	s_wait_loadcnt 0x5
	v_fmac_f64_e32 v[142:143], v[130:131], v[140:141]
	ds_load_2addr_b64 v[112:115], v2 offset0:93 offset1:94
	ds_load_2addr_b64 v[128:131], v2 offset0:95 offset1:96
	s_wait_dscnt 0x1
	v_fmac_f64_e32 v[142:143], v[132:133], v[112:113]
	s_wait_loadcnt 0x4
	s_delay_alu instid0(VALU_DEP_1) | instskip(SKIP_1) | instid1(VALU_DEP_1)
	v_fmac_f64_e32 v[142:143], v[116:117], v[114:115]
	s_wait_dscnt 0x0
	v_fmac_f64_e32 v[142:143], v[118:119], v[128:129]
	ds_load_2addr_b64 v[112:115], v2 offset0:97 offset1:98
	ds_load_2addr_b64 v[116:119], v2 offset0:99 offset1:100
	s_wait_loadcnt 0x3
	v_fmac_f64_e32 v[142:143], v[120:121], v[130:131]
	s_wait_dscnt 0x1
	s_delay_alu instid0(VALU_DEP_1) | instskip(SKIP_1) | instid1(VALU_DEP_1)
	v_fmac_f64_e32 v[142:143], v[122:123], v[112:113]
	s_wait_loadcnt 0x2
	v_fmac_f64_e32 v[142:143], v[108:109], v[114:115]
	s_wait_dscnt 0x0
	s_delay_alu instid0(VALU_DEP_1) | instskip(SKIP_4) | instid1(VALU_DEP_1)
	v_fmac_f64_e32 v[142:143], v[110:111], v[116:117]
	ds_load_2addr_b64 v[108:111], v2 offset0:101 offset1:102
	s_wait_loadcnt 0x0
	v_fmac_f64_e32 v[142:143], v[124:125], v[118:119]
	s_wait_dscnt 0x0
	v_fmac_f64_e32 v[142:143], v[126:127], v[108:109]
	s_delay_alu instid0(VALU_DEP_1) | instskip(NEXT) | instid1(VALU_DEP_1)
	v_fmac_f64_e32 v[142:143], v[134:135], v[110:111]
	v_add_f64_e64 v[2:3], v[106:107], -v[142:143]
	scratch_store_b64 off, v[2:3], off offset:160
	s_wait_xcnt 0x0
	v_cmpx_lt_u32_e32 19, v0
	s_cbranch_execz .LBB50_277
; %bb.276:
	scratch_load_b64 v[2:3], off, off offset:152
	v_mov_b64_e32 v[106:107], 0
	scratch_store_b64 off, v[106:107], off offset:152
	s_wait_loadcnt 0x0
	ds_store_b64 v1, v[2:3]
.LBB50_277:
	s_wait_xcnt 0x0
	s_or_b32 exec_lo, exec_lo, s0
	s_wait_storecnt_dscnt 0x0
	s_barrier_signal -1
	s_barrier_wait -1
	s_clause 0x5
	scratch_load_b128 v[106:109], off, off offset:152
	scratch_load_b128 v[110:113], off, off offset:168
	;; [unrolled: 1-line block ×6, first 2 shown]
	v_mov_b32_e32 v2, 0
	ds_load_b128 v[130:133], v2 offset:576
	ds_load_b128 v[134:137], v2 offset:592
	scratch_load_b128 v[138:141], off, off offset:248
	s_mov_b32 s0, exec_lo
	s_wait_loadcnt_dscnt 0x601
	v_fma_f64 v[142:143], v[108:109], v[130:131], 0
	s_wait_loadcnt 0x5
	s_delay_alu instid0(VALU_DEP_1) | instskip(SKIP_4) | instid1(VALU_DEP_1)
	v_fmac_f64_e32 v[142:143], v[110:111], v[132:133]
	scratch_load_b128 v[108:111], off, off offset:264
	s_wait_dscnt 0x0
	v_fmac_f64_e32 v[142:143], v[112:113], v[134:135]
	s_wait_loadcnt 0x5
	v_fmac_f64_e32 v[142:143], v[114:115], v[136:137]
	ds_load_b128 v[112:115], v2 offset:608
	ds_load_b128 v[130:133], v2 offset:624
	scratch_load_b128 v[134:137], off, off offset:280
	s_wait_dscnt 0x1
	v_fmac_f64_e32 v[142:143], v[116:117], v[112:113]
	s_wait_loadcnt 0x5
	s_delay_alu instid0(VALU_DEP_1) | instskip(SKIP_4) | instid1(VALU_DEP_1)
	v_fmac_f64_e32 v[142:143], v[118:119], v[114:115]
	scratch_load_b128 v[112:115], off, off offset:296
	s_wait_dscnt 0x0
	v_fmac_f64_e32 v[142:143], v[120:121], v[130:131]
	s_wait_loadcnt 0x5
	v_fmac_f64_e32 v[142:143], v[122:123], v[132:133]
	ds_load_b128 v[116:119], v2 offset:640
	ds_load_b128 v[120:123], v2 offset:656
	scratch_load_b128 v[130:133], off, off offset:312
	s_wait_dscnt 0x1
	v_fmac_f64_e32 v[142:143], v[124:125], v[116:117]
	s_wait_loadcnt 0x5
	s_delay_alu instid0(VALU_DEP_1) | instskip(SKIP_4) | instid1(VALU_DEP_1)
	v_fmac_f64_e32 v[142:143], v[126:127], v[118:119]
	scratch_load_b128 v[116:119], off, off offset:328
	s_wait_dscnt 0x0
	v_fmac_f64_e32 v[142:143], v[128:129], v[120:121]
	s_wait_loadcnt 0x5
	v_fmac_f64_e32 v[142:143], v[138:139], v[122:123]
	ds_load_b128 v[120:123], v2 offset:672
	ds_load_b128 v[124:127], v2 offset:688
	s_wait_dscnt 0x1
	v_fmac_f64_e32 v[142:143], v[140:141], v[120:121]
	s_wait_loadcnt 0x4
	s_delay_alu instid0(VALU_DEP_1)
	v_fmac_f64_e32 v[142:143], v[108:109], v[122:123]
	scratch_load_b128 v[120:123], off, off offset:344
	s_wait_dscnt 0x0
	v_fmac_f64_e32 v[142:143], v[110:111], v[124:125]
	scratch_load_b128 v[108:111], off, off offset:360
	s_wait_loadcnt 0x5
	v_fmac_f64_e32 v[142:143], v[134:135], v[126:127]
	ds_load_b128 v[124:127], v2 offset:704
	ds_load_b128 v[138:141], v2 offset:720
	s_wait_dscnt 0x1
	v_fmac_f64_e32 v[142:143], v[136:137], v[124:125]
	s_wait_loadcnt 0x4
	s_delay_alu instid0(VALU_DEP_1)
	v_fmac_f64_e32 v[142:143], v[112:113], v[126:127]
	scratch_load_b128 v[124:127], off, off offset:376
	s_wait_dscnt 0x0
	v_fmac_f64_e32 v[142:143], v[114:115], v[138:139]
	scratch_load_b128 v[112:115], off, off offset:392
	s_wait_loadcnt 0x5
	v_fmac_f64_e32 v[142:143], v[130:131], v[140:141]
	ds_load_b128 v[128:131], v2 offset:736
	ds_load_b128 v[134:137], v2 offset:752
	s_wait_dscnt 0x1
	v_fmac_f64_e32 v[142:143], v[132:133], v[128:129]
	s_wait_loadcnt 0x4
	s_delay_alu instid0(VALU_DEP_1) | instskip(SKIP_1) | instid1(VALU_DEP_1)
	v_fmac_f64_e32 v[142:143], v[116:117], v[130:131]
	s_wait_dscnt 0x0
	v_fmac_f64_e32 v[142:143], v[118:119], v[134:135]
	ds_load_b128 v[116:119], v2 offset:768
	ds_load_b128 v[128:131], v2 offset:784
	s_wait_loadcnt 0x3
	v_fmac_f64_e32 v[142:143], v[120:121], v[136:137]
	s_wait_dscnt 0x1
	s_delay_alu instid0(VALU_DEP_1) | instskip(SKIP_1) | instid1(VALU_DEP_1)
	v_fmac_f64_e32 v[142:143], v[122:123], v[116:117]
	s_wait_loadcnt 0x2
	v_fmac_f64_e32 v[142:143], v[108:109], v[118:119]
	s_wait_dscnt 0x0
	s_delay_alu instid0(VALU_DEP_1)
	v_fmac_f64_e32 v[142:143], v[110:111], v[128:129]
	ds_load_b128 v[108:111], v2 offset:800
	ds_load_b64 v[116:117], v2 offset:816
	s_wait_loadcnt 0x1
	v_fmac_f64_e32 v[142:143], v[124:125], v[130:131]
	s_wait_dscnt 0x1
	s_delay_alu instid0(VALU_DEP_1) | instskip(SKIP_1) | instid1(VALU_DEP_1)
	v_fmac_f64_e32 v[142:143], v[126:127], v[108:109]
	s_wait_loadcnt 0x0
	v_fmac_f64_e32 v[142:143], v[112:113], v[110:111]
	s_wait_dscnt 0x0
	s_delay_alu instid0(VALU_DEP_1) | instskip(NEXT) | instid1(VALU_DEP_1)
	v_fmac_f64_e32 v[142:143], v[114:115], v[116:117]
	v_add_f64_e64 v[106:107], v[106:107], -v[142:143]
	scratch_store_b64 off, v[106:107], off offset:152
	s_wait_xcnt 0x0
	v_cmpx_lt_u32_e32 18, v0
	s_cbranch_execz .LBB50_279
; %bb.278:
	scratch_load_b64 v[106:107], off, off offset:144
	v_mov_b64_e32 v[108:109], 0
	scratch_store_b64 off, v[108:109], off offset:144
	s_wait_loadcnt 0x0
	ds_store_b64 v1, v[106:107]
.LBB50_279:
	s_wait_xcnt 0x0
	s_or_b32 exec_lo, exec_lo, s0
	s_wait_storecnt_dscnt 0x0
	s_barrier_signal -1
	s_barrier_wait -1
	s_clause 0x5
	scratch_load_b128 v[106:109], off, off offset:144
	scratch_load_b128 v[110:113], off, off offset:160
	;; [unrolled: 1-line block ×6, first 2 shown]
	ds_load_2addr_b64 v[130:133], v2 offset0:71 offset1:72
	ds_load_2addr_b64 v[134:137], v2 offset0:73 offset1:74
	scratch_load_b128 v[138:141], off, off offset:240
	s_mov_b32 s0, exec_lo
	s_wait_loadcnt_dscnt 0x601
	v_fma_f64 v[142:143], v[108:109], v[130:131], 0
	s_wait_loadcnt 0x5
	s_delay_alu instid0(VALU_DEP_1) | instskip(SKIP_4) | instid1(VALU_DEP_1)
	v_fmac_f64_e32 v[142:143], v[110:111], v[132:133]
	scratch_load_b128 v[108:111], off, off offset:256
	s_wait_dscnt 0x0
	v_fmac_f64_e32 v[142:143], v[112:113], v[134:135]
	s_wait_loadcnt 0x5
	v_fmac_f64_e32 v[142:143], v[114:115], v[136:137]
	ds_load_2addr_b64 v[112:115], v2 offset0:75 offset1:76
	ds_load_2addr_b64 v[130:133], v2 offset0:77 offset1:78
	scratch_load_b128 v[134:137], off, off offset:272
	s_wait_dscnt 0x1
	v_fmac_f64_e32 v[142:143], v[116:117], v[112:113]
	s_wait_loadcnt 0x5
	s_delay_alu instid0(VALU_DEP_1) | instskip(SKIP_4) | instid1(VALU_DEP_1)
	v_fmac_f64_e32 v[142:143], v[118:119], v[114:115]
	scratch_load_b128 v[112:115], off, off offset:288
	s_wait_dscnt 0x0
	v_fmac_f64_e32 v[142:143], v[120:121], v[130:131]
	s_wait_loadcnt 0x5
	v_fmac_f64_e32 v[142:143], v[122:123], v[132:133]
	ds_load_2addr_b64 v[116:119], v2 offset0:79 offset1:80
	ds_load_2addr_b64 v[120:123], v2 offset0:81 offset1:82
	scratch_load_b128 v[130:133], off, off offset:304
	s_wait_dscnt 0x1
	v_fmac_f64_e32 v[142:143], v[124:125], v[116:117]
	s_wait_loadcnt 0x5
	s_delay_alu instid0(VALU_DEP_1) | instskip(SKIP_4) | instid1(VALU_DEP_1)
	v_fmac_f64_e32 v[142:143], v[126:127], v[118:119]
	scratch_load_b128 v[116:119], off, off offset:320
	s_wait_dscnt 0x0
	v_fmac_f64_e32 v[142:143], v[128:129], v[120:121]
	s_wait_loadcnt 0x5
	v_fmac_f64_e32 v[142:143], v[138:139], v[122:123]
	ds_load_2addr_b64 v[120:123], v2 offset0:83 offset1:84
	ds_load_2addr_b64 v[124:127], v2 offset0:85 offset1:86
	s_wait_dscnt 0x1
	v_fmac_f64_e32 v[142:143], v[140:141], v[120:121]
	s_wait_loadcnt 0x4
	s_delay_alu instid0(VALU_DEP_1)
	v_fmac_f64_e32 v[142:143], v[108:109], v[122:123]
	scratch_load_b128 v[120:123], off, off offset:336
	s_wait_dscnt 0x0
	v_fmac_f64_e32 v[142:143], v[110:111], v[124:125]
	scratch_load_b128 v[108:111], off, off offset:352
	s_wait_loadcnt 0x5
	v_fmac_f64_e32 v[142:143], v[134:135], v[126:127]
	ds_load_2addr_b64 v[124:127], v2 offset0:87 offset1:88
	ds_load_2addr_b64 v[138:141], v2 offset0:89 offset1:90
	s_wait_dscnt 0x1
	v_fmac_f64_e32 v[142:143], v[136:137], v[124:125]
	s_wait_loadcnt 0x4
	s_delay_alu instid0(VALU_DEP_1)
	v_fmac_f64_e32 v[142:143], v[112:113], v[126:127]
	scratch_load_b128 v[124:127], off, off offset:368
	s_wait_dscnt 0x0
	v_fmac_f64_e32 v[142:143], v[114:115], v[138:139]
	scratch_load_b128 v[112:115], off, off offset:384
	s_wait_loadcnt 0x5
	v_fmac_f64_e32 v[142:143], v[130:131], v[140:141]
	ds_load_2addr_b64 v[128:131], v2 offset0:91 offset1:92
	ds_load_2addr_b64 v[134:137], v2 offset0:93 offset1:94
	s_wait_dscnt 0x1
	v_fmac_f64_e32 v[142:143], v[132:133], v[128:129]
	scratch_load_b64 v[132:133], off, off offset:400
	s_wait_loadcnt 0x5
	v_fmac_f64_e32 v[142:143], v[116:117], v[130:131]
	s_wait_dscnt 0x0
	s_delay_alu instid0(VALU_DEP_1)
	v_fmac_f64_e32 v[142:143], v[118:119], v[134:135]
	ds_load_2addr_b64 v[116:119], v2 offset0:95 offset1:96
	ds_load_2addr_b64 v[128:131], v2 offset0:97 offset1:98
	s_wait_loadcnt 0x4
	v_fmac_f64_e32 v[142:143], v[120:121], v[136:137]
	s_wait_dscnt 0x1
	s_delay_alu instid0(VALU_DEP_1) | instskip(SKIP_1) | instid1(VALU_DEP_1)
	v_fmac_f64_e32 v[142:143], v[122:123], v[116:117]
	s_wait_loadcnt 0x3
	v_fmac_f64_e32 v[142:143], v[108:109], v[118:119]
	s_wait_dscnt 0x0
	s_delay_alu instid0(VALU_DEP_1)
	v_fmac_f64_e32 v[142:143], v[110:111], v[128:129]
	ds_load_2addr_b64 v[108:111], v2 offset0:99 offset1:100
	ds_load_2addr_b64 v[116:119], v2 offset0:101 offset1:102
	s_wait_loadcnt 0x2
	v_fmac_f64_e32 v[142:143], v[124:125], v[130:131]
	s_wait_dscnt 0x1
	s_delay_alu instid0(VALU_DEP_1) | instskip(SKIP_1) | instid1(VALU_DEP_1)
	v_fmac_f64_e32 v[142:143], v[126:127], v[108:109]
	s_wait_loadcnt 0x1
	v_fmac_f64_e32 v[142:143], v[112:113], v[110:111]
	s_wait_dscnt 0x0
	s_delay_alu instid0(VALU_DEP_1) | instskip(SKIP_1) | instid1(VALU_DEP_1)
	v_fmac_f64_e32 v[142:143], v[114:115], v[116:117]
	s_wait_loadcnt 0x0
	v_fmac_f64_e32 v[142:143], v[132:133], v[118:119]
	s_delay_alu instid0(VALU_DEP_1)
	v_add_f64_e64 v[2:3], v[106:107], -v[142:143]
	scratch_store_b64 off, v[2:3], off offset:144
	s_wait_xcnt 0x0
	v_cmpx_lt_u32_e32 17, v0
	s_cbranch_execz .LBB50_281
; %bb.280:
	scratch_load_b64 v[2:3], off, off offset:136
	v_mov_b64_e32 v[106:107], 0
	scratch_store_b64 off, v[106:107], off offset:136
	s_wait_loadcnt 0x0
	ds_store_b64 v1, v[2:3]
.LBB50_281:
	s_wait_xcnt 0x0
	s_or_b32 exec_lo, exec_lo, s0
	s_wait_storecnt_dscnt 0x0
	s_barrier_signal -1
	s_barrier_wait -1
	s_clause 0x5
	scratch_load_b128 v[106:109], off, off offset:136
	scratch_load_b128 v[110:113], off, off offset:152
	;; [unrolled: 1-line block ×6, first 2 shown]
	v_mov_b32_e32 v2, 0
	ds_load_b128 v[130:133], v2 offset:560
	ds_load_b128 v[134:137], v2 offset:576
	scratch_load_b128 v[138:141], off, off offset:232
	s_mov_b32 s0, exec_lo
	s_wait_loadcnt_dscnt 0x601
	v_fma_f64 v[142:143], v[108:109], v[130:131], 0
	s_wait_loadcnt 0x5
	s_delay_alu instid0(VALU_DEP_1) | instskip(SKIP_4) | instid1(VALU_DEP_1)
	v_fmac_f64_e32 v[142:143], v[110:111], v[132:133]
	scratch_load_b128 v[108:111], off, off offset:248
	s_wait_dscnt 0x0
	v_fmac_f64_e32 v[142:143], v[112:113], v[134:135]
	s_wait_loadcnt 0x5
	v_fmac_f64_e32 v[142:143], v[114:115], v[136:137]
	ds_load_b128 v[112:115], v2 offset:592
	ds_load_b128 v[130:133], v2 offset:608
	scratch_load_b128 v[134:137], off, off offset:264
	s_wait_dscnt 0x1
	v_fmac_f64_e32 v[142:143], v[116:117], v[112:113]
	s_wait_loadcnt 0x5
	s_delay_alu instid0(VALU_DEP_1) | instskip(SKIP_4) | instid1(VALU_DEP_1)
	v_fmac_f64_e32 v[142:143], v[118:119], v[114:115]
	scratch_load_b128 v[112:115], off, off offset:280
	s_wait_dscnt 0x0
	v_fmac_f64_e32 v[142:143], v[120:121], v[130:131]
	s_wait_loadcnt 0x5
	v_fmac_f64_e32 v[142:143], v[122:123], v[132:133]
	ds_load_b128 v[116:119], v2 offset:624
	ds_load_b128 v[120:123], v2 offset:640
	scratch_load_b128 v[130:133], off, off offset:296
	s_wait_dscnt 0x1
	v_fmac_f64_e32 v[142:143], v[124:125], v[116:117]
	s_wait_loadcnt 0x5
	s_delay_alu instid0(VALU_DEP_1) | instskip(SKIP_4) | instid1(VALU_DEP_1)
	v_fmac_f64_e32 v[142:143], v[126:127], v[118:119]
	scratch_load_b128 v[116:119], off, off offset:312
	s_wait_dscnt 0x0
	v_fmac_f64_e32 v[142:143], v[128:129], v[120:121]
	s_wait_loadcnt 0x5
	v_fmac_f64_e32 v[142:143], v[138:139], v[122:123]
	ds_load_b128 v[120:123], v2 offset:656
	ds_load_b128 v[124:127], v2 offset:672
	s_wait_dscnt 0x1
	v_fmac_f64_e32 v[142:143], v[140:141], v[120:121]
	s_wait_loadcnt 0x4
	s_delay_alu instid0(VALU_DEP_1)
	v_fmac_f64_e32 v[142:143], v[108:109], v[122:123]
	scratch_load_b128 v[120:123], off, off offset:328
	s_wait_dscnt 0x0
	v_fmac_f64_e32 v[142:143], v[110:111], v[124:125]
	scratch_load_b128 v[108:111], off, off offset:344
	s_wait_loadcnt 0x5
	v_fmac_f64_e32 v[142:143], v[134:135], v[126:127]
	ds_load_b128 v[124:127], v2 offset:688
	ds_load_b128 v[138:141], v2 offset:704
	s_wait_dscnt 0x1
	v_fmac_f64_e32 v[142:143], v[136:137], v[124:125]
	s_wait_loadcnt 0x4
	s_delay_alu instid0(VALU_DEP_1)
	v_fmac_f64_e32 v[142:143], v[112:113], v[126:127]
	scratch_load_b128 v[124:127], off, off offset:360
	s_wait_dscnt 0x0
	v_fmac_f64_e32 v[142:143], v[114:115], v[138:139]
	scratch_load_b128 v[112:115], off, off offset:376
	s_wait_loadcnt 0x5
	v_fmac_f64_e32 v[142:143], v[130:131], v[140:141]
	ds_load_b128 v[128:131], v2 offset:720
	ds_load_b128 v[134:137], v2 offset:736
	s_wait_dscnt 0x1
	v_fmac_f64_e32 v[142:143], v[132:133], v[128:129]
	s_wait_loadcnt 0x4
	s_delay_alu instid0(VALU_DEP_1)
	v_fmac_f64_e32 v[142:143], v[116:117], v[130:131]
	scratch_load_b128 v[128:131], off, off offset:392
	s_wait_dscnt 0x0
	v_fmac_f64_e32 v[142:143], v[118:119], v[134:135]
	ds_load_b128 v[116:119], v2 offset:752
	ds_load_b128 v[132:135], v2 offset:768
	s_wait_loadcnt 0x4
	v_fmac_f64_e32 v[142:143], v[120:121], v[136:137]
	s_wait_dscnt 0x1
	s_delay_alu instid0(VALU_DEP_1) | instskip(SKIP_1) | instid1(VALU_DEP_1)
	v_fmac_f64_e32 v[142:143], v[122:123], v[116:117]
	s_wait_loadcnt 0x3
	v_fmac_f64_e32 v[142:143], v[108:109], v[118:119]
	s_wait_dscnt 0x0
	s_delay_alu instid0(VALU_DEP_1)
	v_fmac_f64_e32 v[142:143], v[110:111], v[132:133]
	ds_load_b128 v[108:111], v2 offset:784
	ds_load_b128 v[116:119], v2 offset:800
	s_wait_loadcnt 0x2
	v_fmac_f64_e32 v[142:143], v[124:125], v[134:135]
	s_wait_dscnt 0x1
	s_delay_alu instid0(VALU_DEP_1) | instskip(SKIP_4) | instid1(VALU_DEP_1)
	v_fmac_f64_e32 v[142:143], v[126:127], v[108:109]
	ds_load_b64 v[108:109], v2 offset:816
	s_wait_loadcnt 0x1
	v_fmac_f64_e32 v[142:143], v[112:113], v[110:111]
	s_wait_dscnt 0x1
	v_fmac_f64_e32 v[142:143], v[114:115], v[116:117]
	s_wait_loadcnt 0x0
	s_delay_alu instid0(VALU_DEP_1) | instskip(SKIP_1) | instid1(VALU_DEP_1)
	v_fmac_f64_e32 v[142:143], v[128:129], v[118:119]
	s_wait_dscnt 0x0
	v_fmac_f64_e32 v[142:143], v[130:131], v[108:109]
	s_delay_alu instid0(VALU_DEP_1)
	v_add_f64_e64 v[106:107], v[106:107], -v[142:143]
	scratch_store_b64 off, v[106:107], off offset:136
	s_wait_xcnt 0x0
	v_cmpx_lt_u32_e32 16, v0
	s_cbranch_execz .LBB50_283
; %bb.282:
	scratch_load_b64 v[106:107], off, off offset:128
	v_mov_b64_e32 v[108:109], 0
	scratch_store_b64 off, v[108:109], off offset:128
	s_wait_loadcnt 0x0
	ds_store_b64 v1, v[106:107]
.LBB50_283:
	s_wait_xcnt 0x0
	s_or_b32 exec_lo, exec_lo, s0
	s_wait_storecnt_dscnt 0x0
	s_barrier_signal -1
	s_barrier_wait -1
	s_clause 0x5
	scratch_load_b128 v[106:109], off, off offset:128
	scratch_load_b128 v[110:113], off, off offset:144
	;; [unrolled: 1-line block ×6, first 2 shown]
	ds_load_2addr_b64 v[130:133], v2 offset0:69 offset1:70
	ds_load_2addr_b64 v[134:137], v2 offset0:71 offset1:72
	scratch_load_b128 v[138:141], off, off offset:224
	s_mov_b32 s0, exec_lo
	s_wait_loadcnt_dscnt 0x601
	v_fma_f64 v[142:143], v[108:109], v[130:131], 0
	s_wait_loadcnt 0x5
	s_delay_alu instid0(VALU_DEP_1) | instskip(SKIP_4) | instid1(VALU_DEP_1)
	v_fmac_f64_e32 v[142:143], v[110:111], v[132:133]
	scratch_load_b128 v[108:111], off, off offset:240
	s_wait_dscnt 0x0
	v_fmac_f64_e32 v[142:143], v[112:113], v[134:135]
	s_wait_loadcnt 0x5
	v_fmac_f64_e32 v[142:143], v[114:115], v[136:137]
	ds_load_2addr_b64 v[112:115], v2 offset0:73 offset1:74
	ds_load_2addr_b64 v[130:133], v2 offset0:75 offset1:76
	scratch_load_b128 v[134:137], off, off offset:256
	s_wait_dscnt 0x1
	v_fmac_f64_e32 v[142:143], v[116:117], v[112:113]
	s_wait_loadcnt 0x5
	s_delay_alu instid0(VALU_DEP_1) | instskip(SKIP_4) | instid1(VALU_DEP_1)
	v_fmac_f64_e32 v[142:143], v[118:119], v[114:115]
	scratch_load_b128 v[112:115], off, off offset:272
	s_wait_dscnt 0x0
	v_fmac_f64_e32 v[142:143], v[120:121], v[130:131]
	s_wait_loadcnt 0x5
	v_fmac_f64_e32 v[142:143], v[122:123], v[132:133]
	ds_load_2addr_b64 v[116:119], v2 offset0:77 offset1:78
	ds_load_2addr_b64 v[120:123], v2 offset0:79 offset1:80
	scratch_load_b128 v[130:133], off, off offset:288
	s_wait_dscnt 0x1
	v_fmac_f64_e32 v[142:143], v[124:125], v[116:117]
	s_wait_loadcnt 0x5
	s_delay_alu instid0(VALU_DEP_1) | instskip(SKIP_4) | instid1(VALU_DEP_1)
	v_fmac_f64_e32 v[142:143], v[126:127], v[118:119]
	scratch_load_b128 v[116:119], off, off offset:304
	s_wait_dscnt 0x0
	v_fmac_f64_e32 v[142:143], v[128:129], v[120:121]
	s_wait_loadcnt 0x5
	v_fmac_f64_e32 v[142:143], v[138:139], v[122:123]
	ds_load_2addr_b64 v[120:123], v2 offset0:81 offset1:82
	ds_load_2addr_b64 v[124:127], v2 offset0:83 offset1:84
	s_wait_dscnt 0x1
	v_fmac_f64_e32 v[142:143], v[140:141], v[120:121]
	scratch_load_b128 v[138:141], off, off offset:320
	s_wait_loadcnt 0x5
	v_fmac_f64_e32 v[142:143], v[108:109], v[122:123]
	s_wait_dscnt 0x0
	s_delay_alu instid0(VALU_DEP_1)
	v_fmac_f64_e32 v[142:143], v[110:111], v[124:125]
	scratch_load_b128 v[108:111], off, off offset:336
	s_wait_loadcnt 0x5
	v_fmac_f64_e32 v[142:143], v[134:135], v[126:127]
	ds_load_2addr_b64 v[120:123], v2 offset0:85 offset1:86
	ds_load_2addr_b64 v[124:127], v2 offset0:87 offset1:88
	s_wait_dscnt 0x1
	v_fmac_f64_e32 v[142:143], v[136:137], v[120:121]
	s_wait_loadcnt 0x4
	s_delay_alu instid0(VALU_DEP_1)
	v_fmac_f64_e32 v[142:143], v[112:113], v[122:123]
	scratch_load_b128 v[120:123], off, off offset:352
	s_wait_dscnt 0x0
	v_fmac_f64_e32 v[142:143], v[114:115], v[124:125]
	scratch_load_b128 v[112:115], off, off offset:368
	s_wait_loadcnt 0x5
	v_fmac_f64_e32 v[142:143], v[130:131], v[126:127]
	ds_load_2addr_b64 v[124:127], v2 offset0:89 offset1:90
	ds_load_2addr_b64 v[128:131], v2 offset0:91 offset1:92
	s_wait_dscnt 0x1
	v_fmac_f64_e32 v[142:143], v[132:133], v[124:125]
	scratch_load_b64 v[132:133], off, off offset:400
	s_wait_loadcnt 0x5
	v_fmac_f64_e32 v[142:143], v[116:117], v[126:127]
	scratch_load_b128 v[124:127], off, off offset:384
	s_wait_dscnt 0x0
	v_fmac_f64_e32 v[142:143], v[118:119], v[128:129]
	s_wait_loadcnt 0x5
	s_delay_alu instid0(VALU_DEP_1)
	v_fmac_f64_e32 v[142:143], v[138:139], v[130:131]
	ds_load_2addr_b64 v[116:119], v2 offset0:93 offset1:94
	ds_load_2addr_b64 v[128:131], v2 offset0:95 offset1:96
	s_wait_dscnt 0x1
	v_fmac_f64_e32 v[142:143], v[140:141], v[116:117]
	s_wait_loadcnt 0x4
	s_delay_alu instid0(VALU_DEP_1) | instskip(SKIP_1) | instid1(VALU_DEP_1)
	v_fmac_f64_e32 v[142:143], v[108:109], v[118:119]
	s_wait_dscnt 0x0
	v_fmac_f64_e32 v[142:143], v[110:111], v[128:129]
	ds_load_2addr_b64 v[108:111], v2 offset0:97 offset1:98
	ds_load_2addr_b64 v[116:119], v2 offset0:99 offset1:100
	s_wait_loadcnt 0x3
	v_fmac_f64_e32 v[142:143], v[120:121], v[130:131]
	s_wait_dscnt 0x1
	s_delay_alu instid0(VALU_DEP_1) | instskip(SKIP_1) | instid1(VALU_DEP_1)
	v_fmac_f64_e32 v[142:143], v[122:123], v[108:109]
	s_wait_loadcnt 0x2
	v_fmac_f64_e32 v[142:143], v[112:113], v[110:111]
	ds_load_2addr_b64 v[108:111], v2 offset0:101 offset1:102
	s_wait_dscnt 0x1
	v_fmac_f64_e32 v[142:143], v[114:115], v[116:117]
	s_wait_loadcnt 0x0
	s_delay_alu instid0(VALU_DEP_1) | instskip(SKIP_1) | instid1(VALU_DEP_1)
	v_fmac_f64_e32 v[142:143], v[124:125], v[118:119]
	s_wait_dscnt 0x0
	v_fmac_f64_e32 v[142:143], v[126:127], v[108:109]
	s_delay_alu instid0(VALU_DEP_1) | instskip(NEXT) | instid1(VALU_DEP_1)
	v_fmac_f64_e32 v[142:143], v[132:133], v[110:111]
	v_add_f64_e64 v[2:3], v[106:107], -v[142:143]
	scratch_store_b64 off, v[2:3], off offset:128
	s_wait_xcnt 0x0
	v_cmpx_lt_u32_e32 15, v0
	s_cbranch_execz .LBB50_285
; %bb.284:
	scratch_load_b64 v[2:3], off, off offset:120
	v_mov_b64_e32 v[106:107], 0
	scratch_store_b64 off, v[106:107], off offset:120
	s_wait_loadcnt 0x0
	ds_store_b64 v1, v[2:3]
.LBB50_285:
	s_wait_xcnt 0x0
	s_or_b32 exec_lo, exec_lo, s0
	s_wait_storecnt_dscnt 0x0
	s_barrier_signal -1
	s_barrier_wait -1
	s_clause 0x5
	scratch_load_b128 v[106:109], off, off offset:120
	scratch_load_b128 v[110:113], off, off offset:136
	;; [unrolled: 1-line block ×6, first 2 shown]
	v_mov_b32_e32 v2, 0
	ds_load_b128 v[130:133], v2 offset:544
	ds_load_b128 v[134:137], v2 offset:560
	scratch_load_b128 v[138:141], off, off offset:216
	s_mov_b32 s0, exec_lo
	s_wait_loadcnt_dscnt 0x601
	v_fma_f64 v[142:143], v[108:109], v[130:131], 0
	s_wait_loadcnt 0x5
	s_delay_alu instid0(VALU_DEP_1) | instskip(SKIP_4) | instid1(VALU_DEP_1)
	v_fmac_f64_e32 v[142:143], v[110:111], v[132:133]
	scratch_load_b128 v[108:111], off, off offset:232
	s_wait_dscnt 0x0
	v_fmac_f64_e32 v[142:143], v[112:113], v[134:135]
	s_wait_loadcnt 0x5
	v_fmac_f64_e32 v[142:143], v[114:115], v[136:137]
	ds_load_b128 v[112:115], v2 offset:576
	ds_load_b128 v[130:133], v2 offset:592
	scratch_load_b128 v[134:137], off, off offset:248
	s_wait_dscnt 0x1
	v_fmac_f64_e32 v[142:143], v[116:117], v[112:113]
	s_wait_loadcnt 0x5
	s_delay_alu instid0(VALU_DEP_1) | instskip(SKIP_4) | instid1(VALU_DEP_1)
	v_fmac_f64_e32 v[142:143], v[118:119], v[114:115]
	scratch_load_b128 v[112:115], off, off offset:264
	s_wait_dscnt 0x0
	v_fmac_f64_e32 v[142:143], v[120:121], v[130:131]
	s_wait_loadcnt 0x5
	v_fmac_f64_e32 v[142:143], v[122:123], v[132:133]
	ds_load_b128 v[116:119], v2 offset:608
	ds_load_b128 v[120:123], v2 offset:624
	scratch_load_b128 v[130:133], off, off offset:280
	s_wait_dscnt 0x1
	v_fmac_f64_e32 v[142:143], v[124:125], v[116:117]
	s_wait_loadcnt 0x5
	s_delay_alu instid0(VALU_DEP_1) | instskip(SKIP_4) | instid1(VALU_DEP_1)
	v_fmac_f64_e32 v[142:143], v[126:127], v[118:119]
	scratch_load_b128 v[116:119], off, off offset:296
	s_wait_dscnt 0x0
	v_fmac_f64_e32 v[142:143], v[128:129], v[120:121]
	s_wait_loadcnt 0x5
	v_fmac_f64_e32 v[142:143], v[138:139], v[122:123]
	ds_load_b128 v[120:123], v2 offset:640
	ds_load_b128 v[124:127], v2 offset:656
	s_wait_dscnt 0x1
	v_fmac_f64_e32 v[142:143], v[140:141], v[120:121]
	scratch_load_b128 v[138:141], off, off offset:312
	s_wait_loadcnt 0x5
	v_fmac_f64_e32 v[142:143], v[108:109], v[122:123]
	s_wait_dscnt 0x0
	s_delay_alu instid0(VALU_DEP_1)
	v_fmac_f64_e32 v[142:143], v[110:111], v[124:125]
	scratch_load_b128 v[108:111], off, off offset:328
	s_wait_loadcnt 0x5
	v_fmac_f64_e32 v[142:143], v[134:135], v[126:127]
	ds_load_b128 v[120:123], v2 offset:672
	ds_load_b128 v[124:127], v2 offset:688
	s_wait_dscnt 0x1
	v_fmac_f64_e32 v[142:143], v[136:137], v[120:121]
	s_wait_loadcnt 0x4
	s_delay_alu instid0(VALU_DEP_1)
	v_fmac_f64_e32 v[142:143], v[112:113], v[122:123]
	scratch_load_b128 v[120:123], off, off offset:344
	s_wait_dscnt 0x0
	v_fmac_f64_e32 v[142:143], v[114:115], v[124:125]
	scratch_load_b128 v[112:115], off, off offset:360
	s_wait_loadcnt 0x5
	v_fmac_f64_e32 v[142:143], v[130:131], v[126:127]
	ds_load_b128 v[124:127], v2 offset:704
	ds_load_b128 v[128:131], v2 offset:720
	s_wait_dscnt 0x1
	v_fmac_f64_e32 v[142:143], v[132:133], v[124:125]
	s_wait_loadcnt 0x4
	s_delay_alu instid0(VALU_DEP_1)
	v_fmac_f64_e32 v[142:143], v[116:117], v[126:127]
	scratch_load_b128 v[124:127], off, off offset:376
	s_wait_dscnt 0x0
	v_fmac_f64_e32 v[142:143], v[118:119], v[128:129]
	scratch_load_b128 v[116:119], off, off offset:392
	s_wait_loadcnt 0x5
	v_fmac_f64_e32 v[142:143], v[138:139], v[130:131]
	ds_load_b128 v[128:131], v2 offset:736
	ds_load_b128 v[132:135], v2 offset:752
	s_wait_dscnt 0x1
	v_fmac_f64_e32 v[142:143], v[140:141], v[128:129]
	s_wait_loadcnt 0x4
	s_delay_alu instid0(VALU_DEP_1) | instskip(SKIP_1) | instid1(VALU_DEP_1)
	v_fmac_f64_e32 v[142:143], v[108:109], v[130:131]
	s_wait_dscnt 0x0
	v_fmac_f64_e32 v[142:143], v[110:111], v[132:133]
	ds_load_b128 v[108:111], v2 offset:768
	ds_load_b128 v[128:131], v2 offset:784
	s_wait_loadcnt 0x3
	v_fmac_f64_e32 v[142:143], v[120:121], v[134:135]
	s_wait_dscnt 0x1
	s_delay_alu instid0(VALU_DEP_1) | instskip(SKIP_1) | instid1(VALU_DEP_1)
	v_fmac_f64_e32 v[142:143], v[122:123], v[108:109]
	s_wait_loadcnt 0x2
	v_fmac_f64_e32 v[142:143], v[112:113], v[110:111]
	ds_load_b128 v[108:111], v2 offset:800
	ds_load_b64 v[112:113], v2 offset:816
	s_wait_dscnt 0x2
	v_fmac_f64_e32 v[142:143], v[114:115], v[128:129]
	s_wait_loadcnt 0x1
	s_delay_alu instid0(VALU_DEP_1) | instskip(SKIP_1) | instid1(VALU_DEP_1)
	v_fmac_f64_e32 v[142:143], v[124:125], v[130:131]
	s_wait_dscnt 0x1
	v_fmac_f64_e32 v[142:143], v[126:127], v[108:109]
	s_wait_loadcnt 0x0
	s_delay_alu instid0(VALU_DEP_1) | instskip(SKIP_1) | instid1(VALU_DEP_1)
	v_fmac_f64_e32 v[142:143], v[116:117], v[110:111]
	s_wait_dscnt 0x0
	v_fmac_f64_e32 v[142:143], v[118:119], v[112:113]
	s_delay_alu instid0(VALU_DEP_1)
	v_add_f64_e64 v[106:107], v[106:107], -v[142:143]
	scratch_store_b64 off, v[106:107], off offset:120
	s_wait_xcnt 0x0
	v_cmpx_lt_u32_e32 14, v0
	s_cbranch_execz .LBB50_287
; %bb.286:
	scratch_load_b64 v[106:107], off, off offset:112
	v_mov_b64_e32 v[108:109], 0
	scratch_store_b64 off, v[108:109], off offset:112
	s_wait_loadcnt 0x0
	ds_store_b64 v1, v[106:107]
.LBB50_287:
	s_wait_xcnt 0x0
	s_or_b32 exec_lo, exec_lo, s0
	s_wait_storecnt_dscnt 0x0
	s_barrier_signal -1
	s_barrier_wait -1
	s_clause 0x5
	scratch_load_b128 v[106:109], off, off offset:112
	scratch_load_b128 v[110:113], off, off offset:128
	;; [unrolled: 1-line block ×6, first 2 shown]
	ds_load_2addr_b64 v[130:133], v2 offset0:67 offset1:68
	ds_load_2addr_b64 v[134:137], v2 offset0:69 offset1:70
	scratch_load_b128 v[138:141], off, off offset:208
	s_mov_b32 s0, exec_lo
	s_wait_loadcnt_dscnt 0x601
	v_fma_f64 v[142:143], v[108:109], v[130:131], 0
	s_wait_loadcnt 0x5
	s_delay_alu instid0(VALU_DEP_1) | instskip(SKIP_4) | instid1(VALU_DEP_1)
	v_fmac_f64_e32 v[142:143], v[110:111], v[132:133]
	scratch_load_b128 v[108:111], off, off offset:224
	s_wait_dscnt 0x0
	v_fmac_f64_e32 v[142:143], v[112:113], v[134:135]
	s_wait_loadcnt 0x5
	v_fmac_f64_e32 v[142:143], v[114:115], v[136:137]
	ds_load_2addr_b64 v[112:115], v2 offset0:71 offset1:72
	ds_load_2addr_b64 v[130:133], v2 offset0:73 offset1:74
	scratch_load_b128 v[134:137], off, off offset:240
	s_wait_dscnt 0x1
	v_fmac_f64_e32 v[142:143], v[116:117], v[112:113]
	s_wait_loadcnt 0x5
	s_delay_alu instid0(VALU_DEP_1) | instskip(SKIP_4) | instid1(VALU_DEP_1)
	v_fmac_f64_e32 v[142:143], v[118:119], v[114:115]
	scratch_load_b128 v[112:115], off, off offset:256
	s_wait_dscnt 0x0
	v_fmac_f64_e32 v[142:143], v[120:121], v[130:131]
	s_wait_loadcnt 0x5
	v_fmac_f64_e32 v[142:143], v[122:123], v[132:133]
	ds_load_2addr_b64 v[116:119], v2 offset0:75 offset1:76
	ds_load_2addr_b64 v[120:123], v2 offset0:77 offset1:78
	scratch_load_b128 v[130:133], off, off offset:272
	s_wait_dscnt 0x1
	v_fmac_f64_e32 v[142:143], v[124:125], v[116:117]
	s_wait_loadcnt 0x5
	s_delay_alu instid0(VALU_DEP_1) | instskip(SKIP_4) | instid1(VALU_DEP_1)
	v_fmac_f64_e32 v[142:143], v[126:127], v[118:119]
	scratch_load_b128 v[116:119], off, off offset:288
	s_wait_dscnt 0x0
	v_fmac_f64_e32 v[142:143], v[128:129], v[120:121]
	s_wait_loadcnt 0x5
	v_fmac_f64_e32 v[142:143], v[138:139], v[122:123]
	ds_load_2addr_b64 v[120:123], v2 offset0:79 offset1:80
	ds_load_2addr_b64 v[124:127], v2 offset0:81 offset1:82
	s_wait_dscnt 0x1
	v_fmac_f64_e32 v[142:143], v[140:141], v[120:121]
	scratch_load_b128 v[138:141], off, off offset:304
	s_wait_loadcnt 0x5
	v_fmac_f64_e32 v[142:143], v[108:109], v[122:123]
	s_wait_dscnt 0x0
	s_delay_alu instid0(VALU_DEP_1)
	v_fmac_f64_e32 v[142:143], v[110:111], v[124:125]
	scratch_load_b128 v[108:111], off, off offset:320
	s_wait_loadcnt 0x5
	v_fmac_f64_e32 v[142:143], v[134:135], v[126:127]
	ds_load_2addr_b64 v[120:123], v2 offset0:83 offset1:84
	ds_load_2addr_b64 v[124:127], v2 offset0:85 offset1:86
	s_wait_dscnt 0x1
	v_fmac_f64_e32 v[142:143], v[136:137], v[120:121]
	s_wait_loadcnt 0x4
	s_delay_alu instid0(VALU_DEP_1)
	v_fmac_f64_e32 v[142:143], v[112:113], v[122:123]
	scratch_load_b128 v[120:123], off, off offset:336
	s_wait_dscnt 0x0
	v_fmac_f64_e32 v[142:143], v[114:115], v[124:125]
	scratch_load_b128 v[112:115], off, off offset:352
	s_wait_loadcnt 0x5
	v_fmac_f64_e32 v[142:143], v[130:131], v[126:127]
	ds_load_2addr_b64 v[124:127], v2 offset0:87 offset1:88
	ds_load_2addr_b64 v[128:131], v2 offset0:89 offset1:90
	s_wait_dscnt 0x1
	v_fmac_f64_e32 v[142:143], v[132:133], v[124:125]
	s_wait_loadcnt 0x4
	s_delay_alu instid0(VALU_DEP_1)
	v_fmac_f64_e32 v[142:143], v[116:117], v[126:127]
	scratch_load_b128 v[124:127], off, off offset:368
	s_wait_dscnt 0x0
	v_fmac_f64_e32 v[142:143], v[118:119], v[128:129]
	scratch_load_b128 v[116:119], off, off offset:384
	s_wait_loadcnt 0x5
	v_fmac_f64_e32 v[142:143], v[138:139], v[130:131]
	ds_load_2addr_b64 v[128:131], v2 offset0:91 offset1:92
	ds_load_2addr_b64 v[132:135], v2 offset0:93 offset1:94
	scratch_load_b64 v[136:137], off, off offset:400
	s_wait_dscnt 0x1
	v_fmac_f64_e32 v[142:143], v[140:141], v[128:129]
	s_wait_loadcnt 0x5
	s_delay_alu instid0(VALU_DEP_1) | instskip(SKIP_1) | instid1(VALU_DEP_1)
	v_fmac_f64_e32 v[142:143], v[108:109], v[130:131]
	s_wait_dscnt 0x0
	v_fmac_f64_e32 v[142:143], v[110:111], v[132:133]
	ds_load_2addr_b64 v[108:111], v2 offset0:95 offset1:96
	ds_load_2addr_b64 v[128:131], v2 offset0:97 offset1:98
	s_wait_loadcnt 0x4
	v_fmac_f64_e32 v[142:143], v[120:121], v[134:135]
	s_wait_dscnt 0x1
	s_delay_alu instid0(VALU_DEP_1) | instskip(SKIP_1) | instid1(VALU_DEP_1)
	v_fmac_f64_e32 v[142:143], v[122:123], v[108:109]
	s_wait_loadcnt 0x3
	v_fmac_f64_e32 v[142:143], v[112:113], v[110:111]
	s_wait_dscnt 0x0
	s_delay_alu instid0(VALU_DEP_1)
	v_fmac_f64_e32 v[142:143], v[114:115], v[128:129]
	ds_load_2addr_b64 v[108:111], v2 offset0:99 offset1:100
	ds_load_2addr_b64 v[112:115], v2 offset0:101 offset1:102
	s_wait_loadcnt 0x2
	v_fmac_f64_e32 v[142:143], v[124:125], v[130:131]
	s_wait_dscnt 0x1
	s_delay_alu instid0(VALU_DEP_1) | instskip(SKIP_1) | instid1(VALU_DEP_1)
	v_fmac_f64_e32 v[142:143], v[126:127], v[108:109]
	s_wait_loadcnt 0x1
	v_fmac_f64_e32 v[142:143], v[116:117], v[110:111]
	s_wait_dscnt 0x0
	s_delay_alu instid0(VALU_DEP_1) | instskip(SKIP_1) | instid1(VALU_DEP_1)
	v_fmac_f64_e32 v[142:143], v[118:119], v[112:113]
	s_wait_loadcnt 0x0
	v_fmac_f64_e32 v[142:143], v[136:137], v[114:115]
	s_delay_alu instid0(VALU_DEP_1)
	v_add_f64_e64 v[2:3], v[106:107], -v[142:143]
	scratch_store_b64 off, v[2:3], off offset:112
	s_wait_xcnt 0x0
	v_cmpx_lt_u32_e32 13, v0
	s_cbranch_execz .LBB50_289
; %bb.288:
	scratch_load_b64 v[2:3], off, off offset:104
	v_mov_b64_e32 v[106:107], 0
	scratch_store_b64 off, v[106:107], off offset:104
	s_wait_loadcnt 0x0
	ds_store_b64 v1, v[2:3]
.LBB50_289:
	s_wait_xcnt 0x0
	s_or_b32 exec_lo, exec_lo, s0
	s_wait_storecnt_dscnt 0x0
	s_barrier_signal -1
	s_barrier_wait -1
	s_clause 0x5
	scratch_load_b128 v[106:109], off, off offset:104
	scratch_load_b128 v[110:113], off, off offset:120
	;; [unrolled: 1-line block ×6, first 2 shown]
	v_mov_b32_e32 v2, 0
	ds_load_b128 v[130:133], v2 offset:528
	ds_load_b128 v[134:137], v2 offset:544
	scratch_load_b128 v[138:141], off, off offset:200
	s_mov_b32 s0, exec_lo
	s_wait_loadcnt_dscnt 0x601
	v_fma_f64 v[142:143], v[108:109], v[130:131], 0
	s_wait_loadcnt 0x5
	s_delay_alu instid0(VALU_DEP_1) | instskip(SKIP_4) | instid1(VALU_DEP_1)
	v_fmac_f64_e32 v[142:143], v[110:111], v[132:133]
	scratch_load_b128 v[108:111], off, off offset:216
	s_wait_dscnt 0x0
	v_fmac_f64_e32 v[142:143], v[112:113], v[134:135]
	s_wait_loadcnt 0x5
	v_fmac_f64_e32 v[142:143], v[114:115], v[136:137]
	ds_load_b128 v[112:115], v2 offset:560
	ds_load_b128 v[130:133], v2 offset:576
	scratch_load_b128 v[134:137], off, off offset:232
	s_wait_dscnt 0x1
	v_fmac_f64_e32 v[142:143], v[116:117], v[112:113]
	s_wait_loadcnt 0x5
	s_delay_alu instid0(VALU_DEP_1) | instskip(SKIP_4) | instid1(VALU_DEP_1)
	v_fmac_f64_e32 v[142:143], v[118:119], v[114:115]
	scratch_load_b128 v[112:115], off, off offset:248
	s_wait_dscnt 0x0
	v_fmac_f64_e32 v[142:143], v[120:121], v[130:131]
	s_wait_loadcnt 0x5
	v_fmac_f64_e32 v[142:143], v[122:123], v[132:133]
	ds_load_b128 v[116:119], v2 offset:592
	ds_load_b128 v[120:123], v2 offset:608
	scratch_load_b128 v[130:133], off, off offset:264
	s_wait_dscnt 0x1
	v_fmac_f64_e32 v[142:143], v[124:125], v[116:117]
	s_wait_loadcnt 0x5
	s_delay_alu instid0(VALU_DEP_1) | instskip(SKIP_4) | instid1(VALU_DEP_1)
	v_fmac_f64_e32 v[142:143], v[126:127], v[118:119]
	scratch_load_b128 v[116:119], off, off offset:280
	s_wait_dscnt 0x0
	v_fmac_f64_e32 v[142:143], v[128:129], v[120:121]
	s_wait_loadcnt 0x5
	v_fmac_f64_e32 v[142:143], v[138:139], v[122:123]
	ds_load_b128 v[120:123], v2 offset:624
	ds_load_b128 v[124:127], v2 offset:640
	s_wait_dscnt 0x1
	v_fmac_f64_e32 v[142:143], v[140:141], v[120:121]
	scratch_load_b128 v[138:141], off, off offset:296
	s_wait_loadcnt 0x5
	v_fmac_f64_e32 v[142:143], v[108:109], v[122:123]
	s_wait_dscnt 0x0
	s_delay_alu instid0(VALU_DEP_1)
	v_fmac_f64_e32 v[142:143], v[110:111], v[124:125]
	scratch_load_b128 v[108:111], off, off offset:312
	s_wait_loadcnt 0x5
	v_fmac_f64_e32 v[142:143], v[134:135], v[126:127]
	ds_load_b128 v[120:123], v2 offset:656
	ds_load_b128 v[124:127], v2 offset:672
	s_wait_dscnt 0x1
	v_fmac_f64_e32 v[142:143], v[136:137], v[120:121]
	s_wait_loadcnt 0x4
	s_delay_alu instid0(VALU_DEP_1)
	v_fmac_f64_e32 v[142:143], v[112:113], v[122:123]
	scratch_load_b128 v[120:123], off, off offset:328
	s_wait_dscnt 0x0
	v_fmac_f64_e32 v[142:143], v[114:115], v[124:125]
	scratch_load_b128 v[112:115], off, off offset:344
	s_wait_loadcnt 0x5
	v_fmac_f64_e32 v[142:143], v[130:131], v[126:127]
	ds_load_b128 v[124:127], v2 offset:688
	ds_load_b128 v[128:131], v2 offset:704
	s_wait_dscnt 0x1
	v_fmac_f64_e32 v[142:143], v[132:133], v[124:125]
	s_wait_loadcnt 0x4
	s_delay_alu instid0(VALU_DEP_1)
	v_fmac_f64_e32 v[142:143], v[116:117], v[126:127]
	scratch_load_b128 v[124:127], off, off offset:360
	s_wait_dscnt 0x0
	v_fmac_f64_e32 v[142:143], v[118:119], v[128:129]
	scratch_load_b128 v[116:119], off, off offset:376
	s_wait_loadcnt 0x5
	v_fmac_f64_e32 v[142:143], v[138:139], v[130:131]
	ds_load_b128 v[128:131], v2 offset:720
	ds_load_b128 v[132:135], v2 offset:736
	s_wait_dscnt 0x1
	v_fmac_f64_e32 v[142:143], v[140:141], v[128:129]
	s_wait_loadcnt 0x4
	s_delay_alu instid0(VALU_DEP_1) | instskip(SKIP_4) | instid1(VALU_DEP_1)
	v_fmac_f64_e32 v[142:143], v[108:109], v[130:131]
	scratch_load_b128 v[128:131], off, off offset:392
	s_wait_dscnt 0x0
	v_fmac_f64_e32 v[142:143], v[110:111], v[132:133]
	s_wait_loadcnt 0x4
	v_fmac_f64_e32 v[142:143], v[120:121], v[134:135]
	ds_load_b128 v[108:111], v2 offset:752
	ds_load_b128 v[132:135], v2 offset:768
	s_wait_dscnt 0x1
	v_fmac_f64_e32 v[142:143], v[122:123], v[108:109]
	s_wait_loadcnt 0x3
	s_delay_alu instid0(VALU_DEP_1) | instskip(SKIP_1) | instid1(VALU_DEP_1)
	v_fmac_f64_e32 v[142:143], v[112:113], v[110:111]
	s_wait_dscnt 0x0
	v_fmac_f64_e32 v[142:143], v[114:115], v[132:133]
	ds_load_b128 v[108:111], v2 offset:784
	ds_load_b128 v[112:115], v2 offset:800
	s_wait_loadcnt 0x2
	v_fmac_f64_e32 v[142:143], v[124:125], v[134:135]
	s_wait_dscnt 0x1
	s_delay_alu instid0(VALU_DEP_1) | instskip(SKIP_4) | instid1(VALU_DEP_1)
	v_fmac_f64_e32 v[142:143], v[126:127], v[108:109]
	ds_load_b64 v[108:109], v2 offset:816
	s_wait_loadcnt 0x1
	v_fmac_f64_e32 v[142:143], v[116:117], v[110:111]
	s_wait_dscnt 0x1
	v_fmac_f64_e32 v[142:143], v[118:119], v[112:113]
	s_wait_loadcnt 0x0
	s_delay_alu instid0(VALU_DEP_1) | instskip(SKIP_1) | instid1(VALU_DEP_1)
	v_fmac_f64_e32 v[142:143], v[128:129], v[114:115]
	s_wait_dscnt 0x0
	v_fmac_f64_e32 v[142:143], v[130:131], v[108:109]
	s_delay_alu instid0(VALU_DEP_1)
	v_add_f64_e64 v[106:107], v[106:107], -v[142:143]
	scratch_store_b64 off, v[106:107], off offset:104
	s_wait_xcnt 0x0
	v_cmpx_lt_u32_e32 12, v0
	s_cbranch_execz .LBB50_291
; %bb.290:
	scratch_load_b64 v[106:107], off, off offset:96
	v_mov_b64_e32 v[108:109], 0
	scratch_store_b64 off, v[108:109], off offset:96
	s_wait_loadcnt 0x0
	ds_store_b64 v1, v[106:107]
.LBB50_291:
	s_wait_xcnt 0x0
	s_or_b32 exec_lo, exec_lo, s0
	s_wait_storecnt_dscnt 0x0
	s_barrier_signal -1
	s_barrier_wait -1
	s_clause 0x5
	scratch_load_b128 v[106:109], off, off offset:96
	scratch_load_b128 v[110:113], off, off offset:112
	;; [unrolled: 1-line block ×6, first 2 shown]
	ds_load_2addr_b64 v[130:133], v2 offset0:65 offset1:66
	ds_load_2addr_b64 v[134:137], v2 offset0:67 offset1:68
	scratch_load_b128 v[138:141], off, off offset:192
	s_mov_b32 s0, exec_lo
	s_wait_loadcnt_dscnt 0x601
	v_fma_f64 v[142:143], v[108:109], v[130:131], 0
	s_wait_loadcnt 0x5
	s_delay_alu instid0(VALU_DEP_1) | instskip(SKIP_4) | instid1(VALU_DEP_1)
	v_fmac_f64_e32 v[142:143], v[110:111], v[132:133]
	scratch_load_b128 v[108:111], off, off offset:208
	s_wait_dscnt 0x0
	v_fmac_f64_e32 v[142:143], v[112:113], v[134:135]
	s_wait_loadcnt 0x5
	v_fmac_f64_e32 v[142:143], v[114:115], v[136:137]
	ds_load_2addr_b64 v[112:115], v2 offset0:69 offset1:70
	ds_load_2addr_b64 v[130:133], v2 offset0:71 offset1:72
	scratch_load_b128 v[134:137], off, off offset:224
	s_wait_dscnt 0x1
	v_fmac_f64_e32 v[142:143], v[116:117], v[112:113]
	s_wait_loadcnt 0x5
	s_delay_alu instid0(VALU_DEP_1) | instskip(SKIP_4) | instid1(VALU_DEP_1)
	v_fmac_f64_e32 v[142:143], v[118:119], v[114:115]
	scratch_load_b128 v[112:115], off, off offset:240
	s_wait_dscnt 0x0
	v_fmac_f64_e32 v[142:143], v[120:121], v[130:131]
	s_wait_loadcnt 0x5
	v_fmac_f64_e32 v[142:143], v[122:123], v[132:133]
	ds_load_2addr_b64 v[116:119], v2 offset0:73 offset1:74
	ds_load_2addr_b64 v[120:123], v2 offset0:75 offset1:76
	scratch_load_b128 v[130:133], off, off offset:256
	s_wait_dscnt 0x1
	v_fmac_f64_e32 v[142:143], v[124:125], v[116:117]
	s_wait_loadcnt 0x5
	s_delay_alu instid0(VALU_DEP_1) | instskip(SKIP_4) | instid1(VALU_DEP_1)
	v_fmac_f64_e32 v[142:143], v[126:127], v[118:119]
	scratch_load_b128 v[116:119], off, off offset:272
	s_wait_dscnt 0x0
	v_fmac_f64_e32 v[142:143], v[128:129], v[120:121]
	s_wait_loadcnt 0x5
	v_fmac_f64_e32 v[142:143], v[138:139], v[122:123]
	ds_load_2addr_b64 v[120:123], v2 offset0:77 offset1:78
	ds_load_2addr_b64 v[124:127], v2 offset0:79 offset1:80
	s_wait_dscnt 0x1
	v_fmac_f64_e32 v[142:143], v[140:141], v[120:121]
	scratch_load_b128 v[138:141], off, off offset:288
	s_wait_loadcnt 0x5
	v_fmac_f64_e32 v[142:143], v[108:109], v[122:123]
	s_wait_dscnt 0x0
	s_delay_alu instid0(VALU_DEP_1)
	v_fmac_f64_e32 v[142:143], v[110:111], v[124:125]
	scratch_load_b128 v[108:111], off, off offset:304
	s_wait_loadcnt 0x5
	v_fmac_f64_e32 v[142:143], v[134:135], v[126:127]
	ds_load_2addr_b64 v[120:123], v2 offset0:81 offset1:82
	ds_load_2addr_b64 v[124:127], v2 offset0:83 offset1:84
	s_wait_dscnt 0x1
	v_fmac_f64_e32 v[142:143], v[136:137], v[120:121]
	scratch_load_b128 v[134:137], off, off offset:320
	s_wait_loadcnt 0x5
	v_fmac_f64_e32 v[142:143], v[112:113], v[122:123]
	s_wait_dscnt 0x0
	s_delay_alu instid0(VALU_DEP_1)
	v_fmac_f64_e32 v[142:143], v[114:115], v[124:125]
	scratch_load_b128 v[112:115], off, off offset:336
	s_wait_loadcnt 0x5
	v_fmac_f64_e32 v[142:143], v[130:131], v[126:127]
	ds_load_2addr_b64 v[120:123], v2 offset0:85 offset1:86
	ds_load_2addr_b64 v[124:127], v2 offset0:87 offset1:88
	s_wait_dscnt 0x1
	v_fmac_f64_e32 v[142:143], v[132:133], v[120:121]
	s_wait_loadcnt 0x4
	s_delay_alu instid0(VALU_DEP_1)
	v_fmac_f64_e32 v[142:143], v[116:117], v[122:123]
	scratch_load_b128 v[120:123], off, off offset:352
	s_wait_dscnt 0x0
	v_fmac_f64_e32 v[142:143], v[118:119], v[124:125]
	scratch_load_b128 v[116:119], off, off offset:368
	s_wait_loadcnt 0x5
	v_fmac_f64_e32 v[142:143], v[138:139], v[126:127]
	ds_load_2addr_b64 v[124:127], v2 offset0:89 offset1:90
	ds_load_2addr_b64 v[128:131], v2 offset0:91 offset1:92
	scratch_load_b64 v[132:133], off, off offset:400
	s_wait_dscnt 0x1
	v_fmac_f64_e32 v[142:143], v[140:141], v[124:125]
	s_wait_loadcnt 0x5
	s_delay_alu instid0(VALU_DEP_1) | instskip(SKIP_4) | instid1(VALU_DEP_1)
	v_fmac_f64_e32 v[142:143], v[108:109], v[126:127]
	scratch_load_b128 v[124:127], off, off offset:384
	s_wait_dscnt 0x0
	v_fmac_f64_e32 v[142:143], v[110:111], v[128:129]
	s_wait_loadcnt 0x5
	v_fmac_f64_e32 v[142:143], v[134:135], v[130:131]
	ds_load_2addr_b64 v[108:111], v2 offset0:93 offset1:94
	ds_load_2addr_b64 v[128:131], v2 offset0:95 offset1:96
	s_wait_dscnt 0x1
	v_fmac_f64_e32 v[142:143], v[136:137], v[108:109]
	s_wait_loadcnt 0x4
	s_delay_alu instid0(VALU_DEP_1) | instskip(SKIP_1) | instid1(VALU_DEP_1)
	v_fmac_f64_e32 v[142:143], v[112:113], v[110:111]
	s_wait_dscnt 0x0
	v_fmac_f64_e32 v[142:143], v[114:115], v[128:129]
	ds_load_2addr_b64 v[108:111], v2 offset0:97 offset1:98
	ds_load_2addr_b64 v[112:115], v2 offset0:99 offset1:100
	s_wait_loadcnt 0x3
	v_fmac_f64_e32 v[142:143], v[120:121], v[130:131]
	s_wait_dscnt 0x1
	s_delay_alu instid0(VALU_DEP_1) | instskip(SKIP_1) | instid1(VALU_DEP_1)
	v_fmac_f64_e32 v[142:143], v[122:123], v[108:109]
	s_wait_loadcnt 0x2
	v_fmac_f64_e32 v[142:143], v[116:117], v[110:111]
	ds_load_2addr_b64 v[108:111], v2 offset0:101 offset1:102
	s_wait_dscnt 0x1
	v_fmac_f64_e32 v[142:143], v[118:119], v[112:113]
	s_wait_loadcnt 0x0
	s_delay_alu instid0(VALU_DEP_1) | instskip(SKIP_1) | instid1(VALU_DEP_1)
	v_fmac_f64_e32 v[142:143], v[124:125], v[114:115]
	s_wait_dscnt 0x0
	v_fmac_f64_e32 v[142:143], v[126:127], v[108:109]
	s_delay_alu instid0(VALU_DEP_1) | instskip(NEXT) | instid1(VALU_DEP_1)
	v_fmac_f64_e32 v[142:143], v[132:133], v[110:111]
	v_add_f64_e64 v[2:3], v[106:107], -v[142:143]
	scratch_store_b64 off, v[2:3], off offset:96
	s_wait_xcnt 0x0
	v_cmpx_lt_u32_e32 11, v0
	s_cbranch_execz .LBB50_293
; %bb.292:
	scratch_load_b64 v[2:3], off, off offset:88
	v_mov_b64_e32 v[106:107], 0
	scratch_store_b64 off, v[106:107], off offset:88
	s_wait_loadcnt 0x0
	ds_store_b64 v1, v[2:3]
.LBB50_293:
	s_wait_xcnt 0x0
	s_or_b32 exec_lo, exec_lo, s0
	s_wait_storecnt_dscnt 0x0
	s_barrier_signal -1
	s_barrier_wait -1
	s_clause 0x5
	scratch_load_b128 v[106:109], off, off offset:88
	scratch_load_b128 v[110:113], off, off offset:104
	;; [unrolled: 1-line block ×6, first 2 shown]
	v_mov_b32_e32 v2, 0
	ds_load_b128 v[130:133], v2 offset:512
	ds_load_b128 v[134:137], v2 offset:528
	scratch_load_b128 v[138:141], off, off offset:184
	s_mov_b32 s0, exec_lo
	s_wait_loadcnt_dscnt 0x601
	v_fma_f64 v[142:143], v[108:109], v[130:131], 0
	s_wait_loadcnt 0x5
	s_delay_alu instid0(VALU_DEP_1) | instskip(SKIP_4) | instid1(VALU_DEP_1)
	v_fmac_f64_e32 v[142:143], v[110:111], v[132:133]
	scratch_load_b128 v[108:111], off, off offset:200
	s_wait_dscnt 0x0
	v_fmac_f64_e32 v[142:143], v[112:113], v[134:135]
	s_wait_loadcnt 0x5
	v_fmac_f64_e32 v[142:143], v[114:115], v[136:137]
	ds_load_b128 v[112:115], v2 offset:544
	ds_load_b128 v[130:133], v2 offset:560
	scratch_load_b128 v[134:137], off, off offset:216
	s_wait_dscnt 0x1
	v_fmac_f64_e32 v[142:143], v[116:117], v[112:113]
	s_wait_loadcnt 0x5
	s_delay_alu instid0(VALU_DEP_1) | instskip(SKIP_4) | instid1(VALU_DEP_1)
	v_fmac_f64_e32 v[142:143], v[118:119], v[114:115]
	scratch_load_b128 v[112:115], off, off offset:232
	s_wait_dscnt 0x0
	v_fmac_f64_e32 v[142:143], v[120:121], v[130:131]
	s_wait_loadcnt 0x5
	v_fmac_f64_e32 v[142:143], v[122:123], v[132:133]
	ds_load_b128 v[116:119], v2 offset:576
	ds_load_b128 v[120:123], v2 offset:592
	scratch_load_b128 v[130:133], off, off offset:248
	s_wait_dscnt 0x1
	v_fmac_f64_e32 v[142:143], v[124:125], v[116:117]
	s_wait_loadcnt 0x5
	s_delay_alu instid0(VALU_DEP_1) | instskip(SKIP_4) | instid1(VALU_DEP_1)
	v_fmac_f64_e32 v[142:143], v[126:127], v[118:119]
	scratch_load_b128 v[116:119], off, off offset:264
	s_wait_dscnt 0x0
	v_fmac_f64_e32 v[142:143], v[128:129], v[120:121]
	s_wait_loadcnt 0x5
	v_fmac_f64_e32 v[142:143], v[138:139], v[122:123]
	ds_load_b128 v[120:123], v2 offset:608
	ds_load_b128 v[124:127], v2 offset:624
	s_wait_dscnt 0x1
	v_fmac_f64_e32 v[142:143], v[140:141], v[120:121]
	scratch_load_b128 v[138:141], off, off offset:280
	s_wait_loadcnt 0x5
	v_fmac_f64_e32 v[142:143], v[108:109], v[122:123]
	s_wait_dscnt 0x0
	s_delay_alu instid0(VALU_DEP_1)
	v_fmac_f64_e32 v[142:143], v[110:111], v[124:125]
	scratch_load_b128 v[108:111], off, off offset:296
	s_wait_loadcnt 0x5
	v_fmac_f64_e32 v[142:143], v[134:135], v[126:127]
	ds_load_b128 v[120:123], v2 offset:640
	ds_load_b128 v[124:127], v2 offset:656
	s_wait_dscnt 0x1
	v_fmac_f64_e32 v[142:143], v[136:137], v[120:121]
	scratch_load_b128 v[134:137], off, off offset:312
	s_wait_loadcnt 0x5
	v_fmac_f64_e32 v[142:143], v[112:113], v[122:123]
	s_wait_dscnt 0x0
	s_delay_alu instid0(VALU_DEP_1)
	v_fmac_f64_e32 v[142:143], v[114:115], v[124:125]
	scratch_load_b128 v[112:115], off, off offset:328
	s_wait_loadcnt 0x5
	v_fmac_f64_e32 v[142:143], v[130:131], v[126:127]
	ds_load_b128 v[120:123], v2 offset:672
	ds_load_b128 v[124:127], v2 offset:688
	s_wait_dscnt 0x1
	v_fmac_f64_e32 v[142:143], v[132:133], v[120:121]
	s_wait_loadcnt 0x4
	s_delay_alu instid0(VALU_DEP_1)
	v_fmac_f64_e32 v[142:143], v[116:117], v[122:123]
	scratch_load_b128 v[120:123], off, off offset:344
	s_wait_dscnt 0x0
	v_fmac_f64_e32 v[142:143], v[118:119], v[124:125]
	scratch_load_b128 v[116:119], off, off offset:360
	s_wait_loadcnt 0x5
	v_fmac_f64_e32 v[142:143], v[138:139], v[126:127]
	ds_load_b128 v[124:127], v2 offset:704
	ds_load_b128 v[128:131], v2 offset:720
	s_wait_dscnt 0x1
	v_fmac_f64_e32 v[142:143], v[140:141], v[124:125]
	s_wait_loadcnt 0x4
	s_delay_alu instid0(VALU_DEP_1)
	v_fmac_f64_e32 v[142:143], v[108:109], v[126:127]
	scratch_load_b128 v[124:127], off, off offset:376
	s_wait_dscnt 0x0
	v_fmac_f64_e32 v[142:143], v[110:111], v[128:129]
	scratch_load_b128 v[108:111], off, off offset:392
	s_wait_loadcnt 0x5
	v_fmac_f64_e32 v[142:143], v[134:135], v[130:131]
	ds_load_b128 v[128:131], v2 offset:736
	ds_load_b128 v[132:135], v2 offset:752
	s_wait_dscnt 0x1
	v_fmac_f64_e32 v[142:143], v[136:137], v[128:129]
	s_wait_loadcnt 0x4
	s_delay_alu instid0(VALU_DEP_1) | instskip(SKIP_1) | instid1(VALU_DEP_1)
	v_fmac_f64_e32 v[142:143], v[112:113], v[130:131]
	s_wait_dscnt 0x0
	v_fmac_f64_e32 v[142:143], v[114:115], v[132:133]
	ds_load_b128 v[112:115], v2 offset:768
	ds_load_b128 v[128:131], v2 offset:784
	s_wait_loadcnt 0x3
	v_fmac_f64_e32 v[142:143], v[120:121], v[134:135]
	s_wait_dscnt 0x1
	s_delay_alu instid0(VALU_DEP_1) | instskip(SKIP_1) | instid1(VALU_DEP_1)
	v_fmac_f64_e32 v[142:143], v[122:123], v[112:113]
	s_wait_loadcnt 0x2
	v_fmac_f64_e32 v[142:143], v[116:117], v[114:115]
	ds_load_b128 v[112:115], v2 offset:800
	ds_load_b64 v[116:117], v2 offset:816
	s_wait_dscnt 0x2
	v_fmac_f64_e32 v[142:143], v[118:119], v[128:129]
	s_wait_loadcnt 0x1
	s_delay_alu instid0(VALU_DEP_1) | instskip(SKIP_1) | instid1(VALU_DEP_1)
	v_fmac_f64_e32 v[142:143], v[124:125], v[130:131]
	s_wait_dscnt 0x1
	v_fmac_f64_e32 v[142:143], v[126:127], v[112:113]
	s_wait_loadcnt 0x0
	s_delay_alu instid0(VALU_DEP_1) | instskip(SKIP_1) | instid1(VALU_DEP_1)
	v_fmac_f64_e32 v[142:143], v[108:109], v[114:115]
	s_wait_dscnt 0x0
	v_fmac_f64_e32 v[142:143], v[110:111], v[116:117]
	s_delay_alu instid0(VALU_DEP_1)
	v_add_f64_e64 v[106:107], v[106:107], -v[142:143]
	scratch_store_b64 off, v[106:107], off offset:88
	s_wait_xcnt 0x0
	v_cmpx_lt_u32_e32 10, v0
	s_cbranch_execz .LBB50_295
; %bb.294:
	scratch_load_b64 v[106:107], off, off offset:80
	v_mov_b64_e32 v[108:109], 0
	scratch_store_b64 off, v[108:109], off offset:80
	s_wait_loadcnt 0x0
	ds_store_b64 v1, v[106:107]
.LBB50_295:
	s_wait_xcnt 0x0
	s_or_b32 exec_lo, exec_lo, s0
	s_wait_storecnt_dscnt 0x0
	s_barrier_signal -1
	s_barrier_wait -1
	s_clause 0x5
	scratch_load_b128 v[106:109], off, off offset:80
	scratch_load_b128 v[110:113], off, off offset:96
	;; [unrolled: 1-line block ×6, first 2 shown]
	ds_load_2addr_b64 v[130:133], v2 offset0:63 offset1:64
	ds_load_2addr_b64 v[134:137], v2 offset0:65 offset1:66
	scratch_load_b128 v[138:141], off, off offset:176
	s_mov_b32 s0, exec_lo
	s_wait_loadcnt_dscnt 0x601
	v_fma_f64 v[142:143], v[108:109], v[130:131], 0
	s_wait_loadcnt 0x5
	s_delay_alu instid0(VALU_DEP_1) | instskip(SKIP_4) | instid1(VALU_DEP_1)
	v_fmac_f64_e32 v[142:143], v[110:111], v[132:133]
	scratch_load_b128 v[108:111], off, off offset:192
	s_wait_dscnt 0x0
	v_fmac_f64_e32 v[142:143], v[112:113], v[134:135]
	s_wait_loadcnt 0x5
	v_fmac_f64_e32 v[142:143], v[114:115], v[136:137]
	ds_load_2addr_b64 v[112:115], v2 offset0:67 offset1:68
	ds_load_2addr_b64 v[130:133], v2 offset0:69 offset1:70
	scratch_load_b128 v[134:137], off, off offset:208
	s_wait_dscnt 0x1
	v_fmac_f64_e32 v[142:143], v[116:117], v[112:113]
	s_wait_loadcnt 0x5
	s_delay_alu instid0(VALU_DEP_1) | instskip(SKIP_4) | instid1(VALU_DEP_1)
	v_fmac_f64_e32 v[142:143], v[118:119], v[114:115]
	scratch_load_b128 v[112:115], off, off offset:224
	s_wait_dscnt 0x0
	v_fmac_f64_e32 v[142:143], v[120:121], v[130:131]
	s_wait_loadcnt 0x5
	v_fmac_f64_e32 v[142:143], v[122:123], v[132:133]
	ds_load_2addr_b64 v[116:119], v2 offset0:71 offset1:72
	ds_load_2addr_b64 v[120:123], v2 offset0:73 offset1:74
	scratch_load_b128 v[130:133], off, off offset:240
	s_wait_dscnt 0x1
	v_fmac_f64_e32 v[142:143], v[124:125], v[116:117]
	s_wait_loadcnt 0x5
	s_delay_alu instid0(VALU_DEP_1) | instskip(SKIP_4) | instid1(VALU_DEP_1)
	v_fmac_f64_e32 v[142:143], v[126:127], v[118:119]
	scratch_load_b128 v[116:119], off, off offset:256
	s_wait_dscnt 0x0
	v_fmac_f64_e32 v[142:143], v[128:129], v[120:121]
	s_wait_loadcnt 0x5
	v_fmac_f64_e32 v[142:143], v[138:139], v[122:123]
	ds_load_2addr_b64 v[120:123], v2 offset0:75 offset1:76
	ds_load_2addr_b64 v[124:127], v2 offset0:77 offset1:78
	s_wait_dscnt 0x1
	v_fmac_f64_e32 v[142:143], v[140:141], v[120:121]
	scratch_load_b128 v[138:141], off, off offset:272
	s_wait_loadcnt 0x5
	v_fmac_f64_e32 v[142:143], v[108:109], v[122:123]
	s_wait_dscnt 0x0
	s_delay_alu instid0(VALU_DEP_1)
	v_fmac_f64_e32 v[142:143], v[110:111], v[124:125]
	scratch_load_b128 v[108:111], off, off offset:288
	s_wait_loadcnt 0x5
	v_fmac_f64_e32 v[142:143], v[134:135], v[126:127]
	ds_load_2addr_b64 v[120:123], v2 offset0:79 offset1:80
	ds_load_2addr_b64 v[124:127], v2 offset0:81 offset1:82
	s_wait_dscnt 0x1
	v_fmac_f64_e32 v[142:143], v[136:137], v[120:121]
	scratch_load_b128 v[134:137], off, off offset:304
	s_wait_loadcnt 0x5
	v_fmac_f64_e32 v[142:143], v[112:113], v[122:123]
	s_wait_dscnt 0x0
	s_delay_alu instid0(VALU_DEP_1)
	v_fmac_f64_e32 v[142:143], v[114:115], v[124:125]
	scratch_load_b128 v[112:115], off, off offset:320
	s_wait_loadcnt 0x5
	v_fmac_f64_e32 v[142:143], v[130:131], v[126:127]
	ds_load_2addr_b64 v[120:123], v2 offset0:83 offset1:84
	ds_load_2addr_b64 v[124:127], v2 offset0:85 offset1:86
	s_wait_dscnt 0x1
	v_fmac_f64_e32 v[142:143], v[132:133], v[120:121]
	s_wait_loadcnt 0x4
	s_delay_alu instid0(VALU_DEP_1)
	v_fmac_f64_e32 v[142:143], v[116:117], v[122:123]
	scratch_load_b128 v[120:123], off, off offset:336
	s_wait_dscnt 0x0
	v_fmac_f64_e32 v[142:143], v[118:119], v[124:125]
	scratch_load_b128 v[116:119], off, off offset:352
	s_wait_loadcnt 0x5
	v_fmac_f64_e32 v[142:143], v[138:139], v[126:127]
	ds_load_2addr_b64 v[124:127], v2 offset0:87 offset1:88
	ds_load_2addr_b64 v[128:131], v2 offset0:89 offset1:90
	s_wait_dscnt 0x1
	v_fmac_f64_e32 v[142:143], v[140:141], v[124:125]
	s_wait_loadcnt 0x4
	s_delay_alu instid0(VALU_DEP_1)
	v_fmac_f64_e32 v[142:143], v[108:109], v[126:127]
	scratch_load_b128 v[124:127], off, off offset:368
	s_wait_dscnt 0x0
	v_fmac_f64_e32 v[142:143], v[110:111], v[128:129]
	scratch_load_b128 v[108:111], off, off offset:384
	s_wait_loadcnt 0x5
	v_fmac_f64_e32 v[142:143], v[134:135], v[130:131]
	ds_load_2addr_b64 v[128:131], v2 offset0:91 offset1:92
	ds_load_2addr_b64 v[132:135], v2 offset0:93 offset1:94
	s_wait_dscnt 0x1
	v_fmac_f64_e32 v[142:143], v[136:137], v[128:129]
	scratch_load_b64 v[136:137], off, off offset:400
	s_wait_loadcnt 0x5
	v_fmac_f64_e32 v[142:143], v[112:113], v[130:131]
	s_wait_dscnt 0x0
	s_delay_alu instid0(VALU_DEP_1)
	v_fmac_f64_e32 v[142:143], v[114:115], v[132:133]
	ds_load_2addr_b64 v[112:115], v2 offset0:95 offset1:96
	ds_load_2addr_b64 v[128:131], v2 offset0:97 offset1:98
	s_wait_loadcnt 0x4
	v_fmac_f64_e32 v[142:143], v[120:121], v[134:135]
	s_wait_dscnt 0x1
	s_delay_alu instid0(VALU_DEP_1) | instskip(SKIP_1) | instid1(VALU_DEP_1)
	v_fmac_f64_e32 v[142:143], v[122:123], v[112:113]
	s_wait_loadcnt 0x3
	v_fmac_f64_e32 v[142:143], v[116:117], v[114:115]
	s_wait_dscnt 0x0
	s_delay_alu instid0(VALU_DEP_1)
	v_fmac_f64_e32 v[142:143], v[118:119], v[128:129]
	ds_load_2addr_b64 v[112:115], v2 offset0:99 offset1:100
	ds_load_2addr_b64 v[116:119], v2 offset0:101 offset1:102
	s_wait_loadcnt 0x2
	v_fmac_f64_e32 v[142:143], v[124:125], v[130:131]
	s_wait_dscnt 0x1
	s_delay_alu instid0(VALU_DEP_1) | instskip(SKIP_1) | instid1(VALU_DEP_1)
	v_fmac_f64_e32 v[142:143], v[126:127], v[112:113]
	s_wait_loadcnt 0x1
	v_fmac_f64_e32 v[142:143], v[108:109], v[114:115]
	s_wait_dscnt 0x0
	s_delay_alu instid0(VALU_DEP_1) | instskip(SKIP_1) | instid1(VALU_DEP_1)
	v_fmac_f64_e32 v[142:143], v[110:111], v[116:117]
	s_wait_loadcnt 0x0
	v_fmac_f64_e32 v[142:143], v[136:137], v[118:119]
	s_delay_alu instid0(VALU_DEP_1)
	v_add_f64_e64 v[2:3], v[106:107], -v[142:143]
	scratch_store_b64 off, v[2:3], off offset:80
	s_wait_xcnt 0x0
	v_cmpx_lt_u32_e32 9, v0
	s_cbranch_execz .LBB50_297
; %bb.296:
	scratch_load_b64 v[2:3], off, off offset:72
	v_mov_b64_e32 v[106:107], 0
	scratch_store_b64 off, v[106:107], off offset:72
	s_wait_loadcnt 0x0
	ds_store_b64 v1, v[2:3]
.LBB50_297:
	s_wait_xcnt 0x0
	s_or_b32 exec_lo, exec_lo, s0
	s_wait_storecnt_dscnt 0x0
	s_barrier_signal -1
	s_barrier_wait -1
	s_clause 0x5
	scratch_load_b128 v[106:109], off, off offset:72
	scratch_load_b128 v[110:113], off, off offset:88
	;; [unrolled: 1-line block ×6, first 2 shown]
	v_mov_b32_e32 v2, 0
	ds_load_b128 v[130:133], v2 offset:496
	ds_load_b128 v[134:137], v2 offset:512
	scratch_load_b128 v[138:141], off, off offset:168
	s_mov_b32 s0, exec_lo
	s_wait_loadcnt_dscnt 0x601
	v_fma_f64 v[142:143], v[108:109], v[130:131], 0
	s_wait_loadcnt 0x5
	s_delay_alu instid0(VALU_DEP_1) | instskip(SKIP_4) | instid1(VALU_DEP_1)
	v_fmac_f64_e32 v[142:143], v[110:111], v[132:133]
	scratch_load_b128 v[108:111], off, off offset:184
	s_wait_dscnt 0x0
	v_fmac_f64_e32 v[142:143], v[112:113], v[134:135]
	s_wait_loadcnt 0x5
	v_fmac_f64_e32 v[142:143], v[114:115], v[136:137]
	ds_load_b128 v[112:115], v2 offset:528
	ds_load_b128 v[130:133], v2 offset:544
	scratch_load_b128 v[134:137], off, off offset:200
	s_wait_dscnt 0x1
	v_fmac_f64_e32 v[142:143], v[116:117], v[112:113]
	s_wait_loadcnt 0x5
	s_delay_alu instid0(VALU_DEP_1) | instskip(SKIP_4) | instid1(VALU_DEP_1)
	v_fmac_f64_e32 v[142:143], v[118:119], v[114:115]
	scratch_load_b128 v[112:115], off, off offset:216
	s_wait_dscnt 0x0
	v_fmac_f64_e32 v[142:143], v[120:121], v[130:131]
	s_wait_loadcnt 0x5
	v_fmac_f64_e32 v[142:143], v[122:123], v[132:133]
	ds_load_b128 v[116:119], v2 offset:560
	ds_load_b128 v[120:123], v2 offset:576
	scratch_load_b128 v[130:133], off, off offset:232
	s_wait_dscnt 0x1
	v_fmac_f64_e32 v[142:143], v[124:125], v[116:117]
	s_wait_loadcnt 0x5
	s_delay_alu instid0(VALU_DEP_1) | instskip(SKIP_4) | instid1(VALU_DEP_1)
	v_fmac_f64_e32 v[142:143], v[126:127], v[118:119]
	scratch_load_b128 v[116:119], off, off offset:248
	s_wait_dscnt 0x0
	v_fmac_f64_e32 v[142:143], v[128:129], v[120:121]
	s_wait_loadcnt 0x5
	v_fmac_f64_e32 v[142:143], v[138:139], v[122:123]
	ds_load_b128 v[120:123], v2 offset:592
	ds_load_b128 v[124:127], v2 offset:608
	s_wait_dscnt 0x1
	v_fmac_f64_e32 v[142:143], v[140:141], v[120:121]
	scratch_load_b128 v[138:141], off, off offset:264
	s_wait_loadcnt 0x5
	v_fmac_f64_e32 v[142:143], v[108:109], v[122:123]
	s_wait_dscnt 0x0
	s_delay_alu instid0(VALU_DEP_1)
	v_fmac_f64_e32 v[142:143], v[110:111], v[124:125]
	scratch_load_b128 v[108:111], off, off offset:280
	s_wait_loadcnt 0x5
	v_fmac_f64_e32 v[142:143], v[134:135], v[126:127]
	ds_load_b128 v[120:123], v2 offset:624
	ds_load_b128 v[124:127], v2 offset:640
	s_wait_dscnt 0x1
	v_fmac_f64_e32 v[142:143], v[136:137], v[120:121]
	scratch_load_b128 v[134:137], off, off offset:296
	s_wait_loadcnt 0x5
	v_fmac_f64_e32 v[142:143], v[112:113], v[122:123]
	s_wait_dscnt 0x0
	s_delay_alu instid0(VALU_DEP_1)
	v_fmac_f64_e32 v[142:143], v[114:115], v[124:125]
	scratch_load_b128 v[112:115], off, off offset:312
	s_wait_loadcnt 0x5
	v_fmac_f64_e32 v[142:143], v[130:131], v[126:127]
	ds_load_b128 v[120:123], v2 offset:656
	ds_load_b128 v[124:127], v2 offset:672
	s_wait_dscnt 0x1
	v_fmac_f64_e32 v[142:143], v[132:133], v[120:121]
	s_wait_loadcnt 0x4
	s_delay_alu instid0(VALU_DEP_1)
	v_fmac_f64_e32 v[142:143], v[116:117], v[122:123]
	scratch_load_b128 v[120:123], off, off offset:328
	s_wait_dscnt 0x0
	v_fmac_f64_e32 v[142:143], v[118:119], v[124:125]
	scratch_load_b128 v[116:119], off, off offset:344
	s_wait_loadcnt 0x5
	v_fmac_f64_e32 v[142:143], v[138:139], v[126:127]
	ds_load_b128 v[124:127], v2 offset:688
	ds_load_b128 v[128:131], v2 offset:704
	s_wait_dscnt 0x1
	v_fmac_f64_e32 v[142:143], v[140:141], v[124:125]
	s_wait_loadcnt 0x4
	s_delay_alu instid0(VALU_DEP_1)
	v_fmac_f64_e32 v[142:143], v[108:109], v[126:127]
	scratch_load_b128 v[124:127], off, off offset:360
	s_wait_dscnt 0x0
	v_fmac_f64_e32 v[142:143], v[110:111], v[128:129]
	scratch_load_b128 v[108:111], off, off offset:376
	s_wait_loadcnt 0x5
	v_fmac_f64_e32 v[142:143], v[134:135], v[130:131]
	ds_load_b128 v[128:131], v2 offset:720
	ds_load_b128 v[132:135], v2 offset:736
	s_wait_dscnt 0x1
	v_fmac_f64_e32 v[142:143], v[136:137], v[128:129]
	s_wait_loadcnt 0x4
	s_delay_alu instid0(VALU_DEP_1) | instskip(SKIP_4) | instid1(VALU_DEP_1)
	v_fmac_f64_e32 v[142:143], v[112:113], v[130:131]
	scratch_load_b128 v[128:131], off, off offset:392
	s_wait_dscnt 0x0
	v_fmac_f64_e32 v[142:143], v[114:115], v[132:133]
	s_wait_loadcnt 0x4
	v_fmac_f64_e32 v[142:143], v[120:121], v[134:135]
	ds_load_b128 v[112:115], v2 offset:752
	ds_load_b128 v[132:135], v2 offset:768
	s_wait_dscnt 0x1
	v_fmac_f64_e32 v[142:143], v[122:123], v[112:113]
	s_wait_loadcnt 0x3
	s_delay_alu instid0(VALU_DEP_1) | instskip(SKIP_1) | instid1(VALU_DEP_1)
	v_fmac_f64_e32 v[142:143], v[116:117], v[114:115]
	s_wait_dscnt 0x0
	v_fmac_f64_e32 v[142:143], v[118:119], v[132:133]
	ds_load_b128 v[112:115], v2 offset:784
	ds_load_b128 v[116:119], v2 offset:800
	s_wait_loadcnt 0x2
	v_fmac_f64_e32 v[142:143], v[124:125], v[134:135]
	s_wait_dscnt 0x1
	s_delay_alu instid0(VALU_DEP_1) | instskip(SKIP_1) | instid1(VALU_DEP_1)
	v_fmac_f64_e32 v[142:143], v[126:127], v[112:113]
	s_wait_loadcnt 0x1
	v_fmac_f64_e32 v[142:143], v[108:109], v[114:115]
	ds_load_b64 v[108:109], v2 offset:816
	s_wait_dscnt 0x1
	v_fmac_f64_e32 v[142:143], v[110:111], v[116:117]
	s_wait_loadcnt 0x0
	s_delay_alu instid0(VALU_DEP_1) | instskip(SKIP_1) | instid1(VALU_DEP_1)
	v_fmac_f64_e32 v[142:143], v[128:129], v[118:119]
	s_wait_dscnt 0x0
	v_fmac_f64_e32 v[142:143], v[130:131], v[108:109]
	s_delay_alu instid0(VALU_DEP_1)
	v_add_f64_e64 v[106:107], v[106:107], -v[142:143]
	scratch_store_b64 off, v[106:107], off offset:72
	s_wait_xcnt 0x0
	v_cmpx_lt_u32_e32 8, v0
	s_cbranch_execz .LBB50_299
; %bb.298:
	scratch_load_b64 v[106:107], off, off offset:64
	v_mov_b64_e32 v[108:109], 0
	scratch_store_b64 off, v[108:109], off offset:64
	s_wait_loadcnt 0x0
	ds_store_b64 v1, v[106:107]
.LBB50_299:
	s_wait_xcnt 0x0
	s_or_b32 exec_lo, exec_lo, s0
	s_wait_storecnt_dscnt 0x0
	s_barrier_signal -1
	s_barrier_wait -1
	s_clause 0x5
	scratch_load_b128 v[106:109], off, off offset:64
	scratch_load_b128 v[110:113], off, off offset:80
	;; [unrolled: 1-line block ×6, first 2 shown]
	ds_load_2addr_b64 v[130:133], v2 offset0:61 offset1:62
	ds_load_2addr_b64 v[134:137], v2 offset0:63 offset1:64
	scratch_load_b128 v[138:141], off, off offset:160
	s_mov_b32 s0, exec_lo
	s_wait_loadcnt_dscnt 0x601
	v_fma_f64 v[142:143], v[108:109], v[130:131], 0
	s_wait_loadcnt 0x5
	s_delay_alu instid0(VALU_DEP_1) | instskip(SKIP_4) | instid1(VALU_DEP_1)
	v_fmac_f64_e32 v[142:143], v[110:111], v[132:133]
	scratch_load_b128 v[108:111], off, off offset:176
	s_wait_dscnt 0x0
	v_fmac_f64_e32 v[142:143], v[112:113], v[134:135]
	s_wait_loadcnt 0x5
	v_fmac_f64_e32 v[142:143], v[114:115], v[136:137]
	ds_load_2addr_b64 v[112:115], v2 offset0:65 offset1:66
	ds_load_2addr_b64 v[130:133], v2 offset0:67 offset1:68
	scratch_load_b128 v[134:137], off, off offset:192
	s_wait_dscnt 0x1
	v_fmac_f64_e32 v[142:143], v[116:117], v[112:113]
	s_wait_loadcnt 0x5
	s_delay_alu instid0(VALU_DEP_1) | instskip(SKIP_4) | instid1(VALU_DEP_1)
	v_fmac_f64_e32 v[142:143], v[118:119], v[114:115]
	scratch_load_b128 v[112:115], off, off offset:208
	s_wait_dscnt 0x0
	v_fmac_f64_e32 v[142:143], v[120:121], v[130:131]
	s_wait_loadcnt 0x5
	v_fmac_f64_e32 v[142:143], v[122:123], v[132:133]
	ds_load_2addr_b64 v[116:119], v2 offset0:69 offset1:70
	ds_load_2addr_b64 v[120:123], v2 offset0:71 offset1:72
	scratch_load_b128 v[130:133], off, off offset:224
	s_wait_dscnt 0x1
	v_fmac_f64_e32 v[142:143], v[124:125], v[116:117]
	s_wait_loadcnt 0x5
	s_delay_alu instid0(VALU_DEP_1) | instskip(SKIP_4) | instid1(VALU_DEP_1)
	v_fmac_f64_e32 v[142:143], v[126:127], v[118:119]
	scratch_load_b128 v[116:119], off, off offset:240
	s_wait_dscnt 0x0
	v_fmac_f64_e32 v[142:143], v[128:129], v[120:121]
	s_wait_loadcnt 0x5
	v_fmac_f64_e32 v[142:143], v[138:139], v[122:123]
	ds_load_2addr_b64 v[120:123], v2 offset0:73 offset1:74
	ds_load_2addr_b64 v[124:127], v2 offset0:75 offset1:76
	s_wait_dscnt 0x1
	v_fmac_f64_e32 v[142:143], v[140:141], v[120:121]
	scratch_load_b128 v[138:141], off, off offset:256
	s_wait_loadcnt 0x5
	v_fmac_f64_e32 v[142:143], v[108:109], v[122:123]
	s_wait_dscnt 0x0
	s_delay_alu instid0(VALU_DEP_1)
	v_fmac_f64_e32 v[142:143], v[110:111], v[124:125]
	scratch_load_b128 v[108:111], off, off offset:272
	s_wait_loadcnt 0x5
	v_fmac_f64_e32 v[142:143], v[134:135], v[126:127]
	ds_load_2addr_b64 v[120:123], v2 offset0:77 offset1:78
	ds_load_2addr_b64 v[124:127], v2 offset0:79 offset1:80
	s_wait_dscnt 0x1
	v_fmac_f64_e32 v[142:143], v[136:137], v[120:121]
	scratch_load_b128 v[134:137], off, off offset:288
	s_wait_loadcnt 0x5
	v_fmac_f64_e32 v[142:143], v[112:113], v[122:123]
	s_wait_dscnt 0x0
	s_delay_alu instid0(VALU_DEP_1)
	v_fmac_f64_e32 v[142:143], v[114:115], v[124:125]
	scratch_load_b128 v[112:115], off, off offset:304
	s_wait_loadcnt 0x5
	v_fmac_f64_e32 v[142:143], v[130:131], v[126:127]
	ds_load_2addr_b64 v[120:123], v2 offset0:81 offset1:82
	ds_load_2addr_b64 v[124:127], v2 offset0:83 offset1:84
	scratch_load_b128 v[128:131], off, off offset:320
	s_wait_dscnt 0x1
	v_fmac_f64_e32 v[142:143], v[132:133], v[120:121]
	s_wait_loadcnt 0x5
	s_delay_alu instid0(VALU_DEP_1) | instskip(SKIP_1) | instid1(VALU_DEP_1)
	v_fmac_f64_e32 v[142:143], v[116:117], v[122:123]
	s_wait_dscnt 0x0
	v_fmac_f64_e32 v[142:143], v[118:119], v[124:125]
	scratch_load_b128 v[116:119], off, off offset:336
	s_wait_loadcnt 0x5
	v_fmac_f64_e32 v[142:143], v[138:139], v[126:127]
	ds_load_2addr_b64 v[120:123], v2 offset0:85 offset1:86
	ds_load_2addr_b64 v[124:127], v2 offset0:87 offset1:88
	s_wait_dscnt 0x1
	v_fmac_f64_e32 v[142:143], v[140:141], v[120:121]
	s_wait_loadcnt 0x4
	s_delay_alu instid0(VALU_DEP_1)
	v_fmac_f64_e32 v[142:143], v[108:109], v[122:123]
	scratch_load_b128 v[120:123], off, off offset:352
	s_wait_dscnt 0x0
	v_fmac_f64_e32 v[142:143], v[110:111], v[124:125]
	scratch_load_b128 v[108:111], off, off offset:368
	s_wait_loadcnt 0x5
	v_fmac_f64_e32 v[142:143], v[134:135], v[126:127]
	ds_load_2addr_b64 v[124:127], v2 offset0:89 offset1:90
	ds_load_2addr_b64 v[132:135], v2 offset0:91 offset1:92
	s_wait_dscnt 0x1
	v_fmac_f64_e32 v[142:143], v[136:137], v[124:125]
	s_wait_loadcnt 0x4
	s_delay_alu instid0(VALU_DEP_1) | instskip(SKIP_4) | instid1(VALU_DEP_1)
	v_fmac_f64_e32 v[142:143], v[112:113], v[126:127]
	scratch_load_b128 v[124:127], off, off offset:384
	s_wait_dscnt 0x0
	v_fmac_f64_e32 v[142:143], v[114:115], v[132:133]
	s_wait_loadcnt 0x4
	v_fmac_f64_e32 v[142:143], v[128:129], v[134:135]
	scratch_load_b64 v[128:129], off, off offset:400
	ds_load_2addr_b64 v[112:115], v2 offset0:93 offset1:94
	ds_load_2addr_b64 v[132:135], v2 offset0:95 offset1:96
	s_wait_dscnt 0x1
	v_fmac_f64_e32 v[142:143], v[130:131], v[112:113]
	s_wait_loadcnt 0x4
	s_delay_alu instid0(VALU_DEP_1) | instskip(SKIP_1) | instid1(VALU_DEP_1)
	v_fmac_f64_e32 v[142:143], v[116:117], v[114:115]
	s_wait_dscnt 0x0
	v_fmac_f64_e32 v[142:143], v[118:119], v[132:133]
	ds_load_2addr_b64 v[112:115], v2 offset0:97 offset1:98
	ds_load_2addr_b64 v[116:119], v2 offset0:99 offset1:100
	s_wait_loadcnt 0x3
	v_fmac_f64_e32 v[142:143], v[120:121], v[134:135]
	s_wait_dscnt 0x1
	s_delay_alu instid0(VALU_DEP_1) | instskip(SKIP_1) | instid1(VALU_DEP_1)
	v_fmac_f64_e32 v[142:143], v[122:123], v[112:113]
	s_wait_loadcnt 0x2
	v_fmac_f64_e32 v[142:143], v[108:109], v[114:115]
	s_wait_dscnt 0x0
	s_delay_alu instid0(VALU_DEP_1) | instskip(SKIP_4) | instid1(VALU_DEP_1)
	v_fmac_f64_e32 v[142:143], v[110:111], v[116:117]
	ds_load_2addr_b64 v[108:111], v2 offset0:101 offset1:102
	s_wait_loadcnt 0x1
	v_fmac_f64_e32 v[142:143], v[124:125], v[118:119]
	s_wait_dscnt 0x0
	v_fmac_f64_e32 v[142:143], v[126:127], v[108:109]
	s_wait_loadcnt 0x0
	s_delay_alu instid0(VALU_DEP_1) | instskip(NEXT) | instid1(VALU_DEP_1)
	v_fmac_f64_e32 v[142:143], v[128:129], v[110:111]
	v_add_f64_e64 v[2:3], v[106:107], -v[142:143]
	scratch_store_b64 off, v[2:3], off offset:64
	s_wait_xcnt 0x0
	v_cmpx_lt_u32_e32 7, v0
	s_cbranch_execz .LBB50_301
; %bb.300:
	scratch_load_b64 v[2:3], off, off offset:56
	v_mov_b64_e32 v[106:107], 0
	scratch_store_b64 off, v[106:107], off offset:56
	s_wait_loadcnt 0x0
	ds_store_b64 v1, v[2:3]
.LBB50_301:
	s_wait_xcnt 0x0
	s_or_b32 exec_lo, exec_lo, s0
	s_wait_storecnt_dscnt 0x0
	s_barrier_signal -1
	s_barrier_wait -1
	s_clause 0x5
	scratch_load_b128 v[106:109], off, off offset:56
	scratch_load_b128 v[110:113], off, off offset:72
	;; [unrolled: 1-line block ×6, first 2 shown]
	v_mov_b32_e32 v2, 0
	ds_load_b128 v[130:133], v2 offset:480
	ds_load_b128 v[134:137], v2 offset:496
	scratch_load_b128 v[138:141], off, off offset:152
	s_mov_b32 s0, exec_lo
	s_wait_loadcnt_dscnt 0x601
	v_fma_f64 v[142:143], v[108:109], v[130:131], 0
	s_wait_loadcnt 0x5
	s_delay_alu instid0(VALU_DEP_1) | instskip(SKIP_4) | instid1(VALU_DEP_1)
	v_fmac_f64_e32 v[142:143], v[110:111], v[132:133]
	scratch_load_b128 v[108:111], off, off offset:168
	s_wait_dscnt 0x0
	v_fmac_f64_e32 v[142:143], v[112:113], v[134:135]
	s_wait_loadcnt 0x5
	v_fmac_f64_e32 v[142:143], v[114:115], v[136:137]
	ds_load_b128 v[112:115], v2 offset:512
	ds_load_b128 v[130:133], v2 offset:528
	scratch_load_b128 v[134:137], off, off offset:184
	s_wait_dscnt 0x1
	v_fmac_f64_e32 v[142:143], v[116:117], v[112:113]
	s_wait_loadcnt 0x5
	s_delay_alu instid0(VALU_DEP_1) | instskip(SKIP_4) | instid1(VALU_DEP_1)
	v_fmac_f64_e32 v[142:143], v[118:119], v[114:115]
	scratch_load_b128 v[112:115], off, off offset:200
	s_wait_dscnt 0x0
	v_fmac_f64_e32 v[142:143], v[120:121], v[130:131]
	s_wait_loadcnt 0x5
	v_fmac_f64_e32 v[142:143], v[122:123], v[132:133]
	ds_load_b128 v[116:119], v2 offset:544
	ds_load_b128 v[120:123], v2 offset:560
	scratch_load_b128 v[130:133], off, off offset:216
	s_wait_dscnt 0x1
	v_fmac_f64_e32 v[142:143], v[124:125], v[116:117]
	s_wait_loadcnt 0x5
	s_delay_alu instid0(VALU_DEP_1) | instskip(SKIP_4) | instid1(VALU_DEP_1)
	v_fmac_f64_e32 v[142:143], v[126:127], v[118:119]
	scratch_load_b128 v[116:119], off, off offset:232
	s_wait_dscnt 0x0
	v_fmac_f64_e32 v[142:143], v[128:129], v[120:121]
	s_wait_loadcnt 0x5
	v_fmac_f64_e32 v[142:143], v[138:139], v[122:123]
	ds_load_b128 v[120:123], v2 offset:576
	ds_load_b128 v[124:127], v2 offset:592
	s_wait_dscnt 0x1
	v_fmac_f64_e32 v[142:143], v[140:141], v[120:121]
	scratch_load_b128 v[138:141], off, off offset:248
	s_wait_loadcnt 0x5
	v_fmac_f64_e32 v[142:143], v[108:109], v[122:123]
	s_wait_dscnt 0x0
	s_delay_alu instid0(VALU_DEP_1)
	v_fmac_f64_e32 v[142:143], v[110:111], v[124:125]
	scratch_load_b128 v[108:111], off, off offset:264
	s_wait_loadcnt 0x5
	v_fmac_f64_e32 v[142:143], v[134:135], v[126:127]
	ds_load_b128 v[120:123], v2 offset:608
	ds_load_b128 v[124:127], v2 offset:624
	s_wait_dscnt 0x1
	v_fmac_f64_e32 v[142:143], v[136:137], v[120:121]
	scratch_load_b128 v[134:137], off, off offset:280
	s_wait_loadcnt 0x5
	v_fmac_f64_e32 v[142:143], v[112:113], v[122:123]
	s_wait_dscnt 0x0
	s_delay_alu instid0(VALU_DEP_1)
	v_fmac_f64_e32 v[142:143], v[114:115], v[124:125]
	scratch_load_b128 v[112:115], off, off offset:296
	s_wait_loadcnt 0x5
	v_fmac_f64_e32 v[142:143], v[130:131], v[126:127]
	ds_load_b128 v[120:123], v2 offset:640
	ds_load_b128 v[124:127], v2 offset:656
	scratch_load_b128 v[128:131], off, off offset:312
	s_wait_dscnt 0x1
	v_fmac_f64_e32 v[142:143], v[132:133], v[120:121]
	s_wait_loadcnt 0x5
	s_delay_alu instid0(VALU_DEP_1) | instskip(SKIP_1) | instid1(VALU_DEP_1)
	v_fmac_f64_e32 v[142:143], v[116:117], v[122:123]
	s_wait_dscnt 0x0
	v_fmac_f64_e32 v[142:143], v[118:119], v[124:125]
	scratch_load_b128 v[116:119], off, off offset:328
	s_wait_loadcnt 0x5
	v_fmac_f64_e32 v[142:143], v[138:139], v[126:127]
	ds_load_b128 v[120:123], v2 offset:672
	ds_load_b128 v[124:127], v2 offset:688
	s_wait_dscnt 0x1
	v_fmac_f64_e32 v[142:143], v[140:141], v[120:121]
	s_wait_loadcnt 0x4
	s_delay_alu instid0(VALU_DEP_1)
	v_fmac_f64_e32 v[142:143], v[108:109], v[122:123]
	scratch_load_b128 v[120:123], off, off offset:344
	s_wait_dscnt 0x0
	v_fmac_f64_e32 v[142:143], v[110:111], v[124:125]
	scratch_load_b128 v[108:111], off, off offset:360
	s_wait_loadcnt 0x5
	v_fmac_f64_e32 v[142:143], v[134:135], v[126:127]
	ds_load_b128 v[124:127], v2 offset:704
	ds_load_b128 v[132:135], v2 offset:720
	s_wait_dscnt 0x1
	v_fmac_f64_e32 v[142:143], v[136:137], v[124:125]
	s_wait_loadcnt 0x4
	s_delay_alu instid0(VALU_DEP_1)
	v_fmac_f64_e32 v[142:143], v[112:113], v[126:127]
	scratch_load_b128 v[124:127], off, off offset:376
	s_wait_dscnt 0x0
	v_fmac_f64_e32 v[142:143], v[114:115], v[132:133]
	scratch_load_b128 v[112:115], off, off offset:392
	s_wait_loadcnt 0x5
	v_fmac_f64_e32 v[142:143], v[128:129], v[134:135]
	ds_load_b128 v[132:135], v2 offset:736
	ds_load_b128 v[136:139], v2 offset:752
	s_wait_dscnt 0x1
	v_fmac_f64_e32 v[142:143], v[130:131], v[132:133]
	s_wait_loadcnt 0x4
	s_delay_alu instid0(VALU_DEP_1) | instskip(SKIP_1) | instid1(VALU_DEP_1)
	v_fmac_f64_e32 v[142:143], v[116:117], v[134:135]
	s_wait_dscnt 0x0
	v_fmac_f64_e32 v[142:143], v[118:119], v[136:137]
	ds_load_b128 v[116:119], v2 offset:768
	ds_load_b128 v[128:131], v2 offset:784
	s_wait_loadcnt 0x3
	v_fmac_f64_e32 v[142:143], v[120:121], v[138:139]
	s_wait_dscnt 0x1
	s_delay_alu instid0(VALU_DEP_1) | instskip(SKIP_1) | instid1(VALU_DEP_1)
	v_fmac_f64_e32 v[142:143], v[122:123], v[116:117]
	s_wait_loadcnt 0x2
	v_fmac_f64_e32 v[142:143], v[108:109], v[118:119]
	s_wait_dscnt 0x0
	s_delay_alu instid0(VALU_DEP_1)
	v_fmac_f64_e32 v[142:143], v[110:111], v[128:129]
	ds_load_b128 v[108:111], v2 offset:800
	ds_load_b64 v[116:117], v2 offset:816
	s_wait_loadcnt 0x1
	v_fmac_f64_e32 v[142:143], v[124:125], v[130:131]
	s_wait_dscnt 0x1
	s_delay_alu instid0(VALU_DEP_1) | instskip(SKIP_1) | instid1(VALU_DEP_1)
	v_fmac_f64_e32 v[142:143], v[126:127], v[108:109]
	s_wait_loadcnt 0x0
	v_fmac_f64_e32 v[142:143], v[112:113], v[110:111]
	s_wait_dscnt 0x0
	s_delay_alu instid0(VALU_DEP_1) | instskip(NEXT) | instid1(VALU_DEP_1)
	v_fmac_f64_e32 v[142:143], v[114:115], v[116:117]
	v_add_f64_e64 v[106:107], v[106:107], -v[142:143]
	scratch_store_b64 off, v[106:107], off offset:56
	s_wait_xcnt 0x0
	v_cmpx_lt_u32_e32 6, v0
	s_cbranch_execz .LBB50_303
; %bb.302:
	scratch_load_b64 v[106:107], off, off offset:48
	v_mov_b64_e32 v[108:109], 0
	scratch_store_b64 off, v[108:109], off offset:48
	s_wait_loadcnt 0x0
	ds_store_b64 v1, v[106:107]
.LBB50_303:
	s_wait_xcnt 0x0
	s_or_b32 exec_lo, exec_lo, s0
	s_wait_storecnt_dscnt 0x0
	s_barrier_signal -1
	s_barrier_wait -1
	s_clause 0x5
	scratch_load_b128 v[106:109], off, off offset:48
	scratch_load_b128 v[110:113], off, off offset:64
	;; [unrolled: 1-line block ×6, first 2 shown]
	ds_load_2addr_b64 v[130:133], v2 offset0:59 offset1:60
	ds_load_2addr_b64 v[134:137], v2 offset0:61 offset1:62
	scratch_load_b128 v[138:141], off, off offset:144
	s_mov_b32 s0, exec_lo
	s_wait_loadcnt_dscnt 0x601
	v_fma_f64 v[142:143], v[108:109], v[130:131], 0
	s_wait_loadcnt 0x5
	s_delay_alu instid0(VALU_DEP_1) | instskip(SKIP_4) | instid1(VALU_DEP_1)
	v_fmac_f64_e32 v[142:143], v[110:111], v[132:133]
	scratch_load_b128 v[108:111], off, off offset:160
	s_wait_dscnt 0x0
	v_fmac_f64_e32 v[142:143], v[112:113], v[134:135]
	s_wait_loadcnt 0x5
	v_fmac_f64_e32 v[142:143], v[114:115], v[136:137]
	ds_load_2addr_b64 v[112:115], v2 offset0:63 offset1:64
	ds_load_2addr_b64 v[130:133], v2 offset0:65 offset1:66
	scratch_load_b128 v[134:137], off, off offset:176
	s_wait_dscnt 0x1
	v_fmac_f64_e32 v[142:143], v[116:117], v[112:113]
	s_wait_loadcnt 0x5
	s_delay_alu instid0(VALU_DEP_1) | instskip(SKIP_4) | instid1(VALU_DEP_1)
	v_fmac_f64_e32 v[142:143], v[118:119], v[114:115]
	scratch_load_b128 v[112:115], off, off offset:192
	s_wait_dscnt 0x0
	v_fmac_f64_e32 v[142:143], v[120:121], v[130:131]
	s_wait_loadcnt 0x5
	v_fmac_f64_e32 v[142:143], v[122:123], v[132:133]
	ds_load_2addr_b64 v[116:119], v2 offset0:67 offset1:68
	ds_load_2addr_b64 v[120:123], v2 offset0:69 offset1:70
	scratch_load_b128 v[130:133], off, off offset:208
	s_wait_dscnt 0x1
	v_fmac_f64_e32 v[142:143], v[124:125], v[116:117]
	s_wait_loadcnt 0x5
	s_delay_alu instid0(VALU_DEP_1) | instskip(SKIP_4) | instid1(VALU_DEP_1)
	v_fmac_f64_e32 v[142:143], v[126:127], v[118:119]
	scratch_load_b128 v[116:119], off, off offset:224
	s_wait_dscnt 0x0
	v_fmac_f64_e32 v[142:143], v[128:129], v[120:121]
	s_wait_loadcnt 0x5
	v_fmac_f64_e32 v[142:143], v[138:139], v[122:123]
	ds_load_2addr_b64 v[120:123], v2 offset0:71 offset1:72
	ds_load_2addr_b64 v[124:127], v2 offset0:73 offset1:74
	s_wait_dscnt 0x1
	v_fmac_f64_e32 v[142:143], v[140:141], v[120:121]
	scratch_load_b128 v[138:141], off, off offset:240
	s_wait_loadcnt 0x5
	v_fmac_f64_e32 v[142:143], v[108:109], v[122:123]
	s_wait_dscnt 0x0
	s_delay_alu instid0(VALU_DEP_1)
	v_fmac_f64_e32 v[142:143], v[110:111], v[124:125]
	scratch_load_b128 v[108:111], off, off offset:256
	s_wait_loadcnt 0x5
	v_fmac_f64_e32 v[142:143], v[134:135], v[126:127]
	ds_load_2addr_b64 v[120:123], v2 offset0:75 offset1:76
	ds_load_2addr_b64 v[124:127], v2 offset0:77 offset1:78
	s_wait_dscnt 0x1
	v_fmac_f64_e32 v[142:143], v[136:137], v[120:121]
	scratch_load_b128 v[134:137], off, off offset:272
	s_wait_loadcnt 0x5
	v_fmac_f64_e32 v[142:143], v[112:113], v[122:123]
	s_wait_dscnt 0x0
	s_delay_alu instid0(VALU_DEP_1)
	v_fmac_f64_e32 v[142:143], v[114:115], v[124:125]
	scratch_load_b128 v[112:115], off, off offset:288
	s_wait_loadcnt 0x5
	v_fmac_f64_e32 v[142:143], v[130:131], v[126:127]
	ds_load_2addr_b64 v[120:123], v2 offset0:79 offset1:80
	ds_load_2addr_b64 v[124:127], v2 offset0:81 offset1:82
	scratch_load_b128 v[128:131], off, off offset:304
	s_wait_dscnt 0x1
	v_fmac_f64_e32 v[142:143], v[132:133], v[120:121]
	s_wait_loadcnt 0x5
	s_delay_alu instid0(VALU_DEP_1) | instskip(SKIP_1) | instid1(VALU_DEP_1)
	v_fmac_f64_e32 v[142:143], v[116:117], v[122:123]
	s_wait_dscnt 0x0
	v_fmac_f64_e32 v[142:143], v[118:119], v[124:125]
	scratch_load_b128 v[116:119], off, off offset:320
	s_wait_loadcnt 0x5
	v_fmac_f64_e32 v[142:143], v[138:139], v[126:127]
	ds_load_2addr_b64 v[120:123], v2 offset0:83 offset1:84
	ds_load_2addr_b64 v[124:127], v2 offset0:85 offset1:86
	s_wait_dscnt 0x1
	v_fmac_f64_e32 v[142:143], v[140:141], v[120:121]
	s_wait_loadcnt 0x4
	s_delay_alu instid0(VALU_DEP_1)
	v_fmac_f64_e32 v[142:143], v[108:109], v[122:123]
	scratch_load_b128 v[120:123], off, off offset:336
	s_wait_dscnt 0x0
	v_fmac_f64_e32 v[142:143], v[110:111], v[124:125]
	scratch_load_b128 v[108:111], off, off offset:352
	s_wait_loadcnt 0x5
	v_fmac_f64_e32 v[142:143], v[134:135], v[126:127]
	ds_load_2addr_b64 v[124:127], v2 offset0:87 offset1:88
	ds_load_2addr_b64 v[132:135], v2 offset0:89 offset1:90
	s_wait_dscnt 0x1
	v_fmac_f64_e32 v[142:143], v[136:137], v[124:125]
	s_wait_loadcnt 0x4
	s_delay_alu instid0(VALU_DEP_1)
	v_fmac_f64_e32 v[142:143], v[112:113], v[126:127]
	scratch_load_b128 v[124:127], off, off offset:368
	s_wait_dscnt 0x0
	v_fmac_f64_e32 v[142:143], v[114:115], v[132:133]
	scratch_load_b128 v[112:115], off, off offset:384
	s_wait_loadcnt 0x5
	v_fmac_f64_e32 v[142:143], v[128:129], v[134:135]
	ds_load_2addr_b64 v[132:135], v2 offset0:91 offset1:92
	ds_load_2addr_b64 v[136:139], v2 offset0:93 offset1:94
	s_wait_dscnt 0x1
	v_fmac_f64_e32 v[142:143], v[130:131], v[132:133]
	scratch_load_b64 v[132:133], off, off offset:400
	s_wait_loadcnt 0x5
	v_fmac_f64_e32 v[142:143], v[116:117], v[134:135]
	s_wait_dscnt 0x0
	s_delay_alu instid0(VALU_DEP_1)
	v_fmac_f64_e32 v[142:143], v[118:119], v[136:137]
	ds_load_2addr_b64 v[116:119], v2 offset0:95 offset1:96
	ds_load_2addr_b64 v[128:131], v2 offset0:97 offset1:98
	s_wait_loadcnt 0x4
	v_fmac_f64_e32 v[142:143], v[120:121], v[138:139]
	s_wait_dscnt 0x1
	s_delay_alu instid0(VALU_DEP_1) | instskip(SKIP_1) | instid1(VALU_DEP_1)
	v_fmac_f64_e32 v[142:143], v[122:123], v[116:117]
	s_wait_loadcnt 0x3
	v_fmac_f64_e32 v[142:143], v[108:109], v[118:119]
	s_wait_dscnt 0x0
	s_delay_alu instid0(VALU_DEP_1)
	v_fmac_f64_e32 v[142:143], v[110:111], v[128:129]
	ds_load_2addr_b64 v[108:111], v2 offset0:99 offset1:100
	ds_load_2addr_b64 v[116:119], v2 offset0:101 offset1:102
	s_wait_loadcnt 0x2
	v_fmac_f64_e32 v[142:143], v[124:125], v[130:131]
	s_wait_dscnt 0x1
	s_delay_alu instid0(VALU_DEP_1) | instskip(SKIP_1) | instid1(VALU_DEP_1)
	v_fmac_f64_e32 v[142:143], v[126:127], v[108:109]
	s_wait_loadcnt 0x1
	v_fmac_f64_e32 v[142:143], v[112:113], v[110:111]
	s_wait_dscnt 0x0
	s_delay_alu instid0(VALU_DEP_1) | instskip(SKIP_1) | instid1(VALU_DEP_1)
	v_fmac_f64_e32 v[142:143], v[114:115], v[116:117]
	s_wait_loadcnt 0x0
	v_fmac_f64_e32 v[142:143], v[132:133], v[118:119]
	s_delay_alu instid0(VALU_DEP_1)
	v_add_f64_e64 v[2:3], v[106:107], -v[142:143]
	scratch_store_b64 off, v[2:3], off offset:48
	s_wait_xcnt 0x0
	v_cmpx_lt_u32_e32 5, v0
	s_cbranch_execz .LBB50_305
; %bb.304:
	scratch_load_b64 v[2:3], off, off offset:40
	v_mov_b64_e32 v[106:107], 0
	scratch_store_b64 off, v[106:107], off offset:40
	s_wait_loadcnt 0x0
	ds_store_b64 v1, v[2:3]
.LBB50_305:
	s_wait_xcnt 0x0
	s_or_b32 exec_lo, exec_lo, s0
	s_wait_storecnt_dscnt 0x0
	s_barrier_signal -1
	s_barrier_wait -1
	s_clause 0x5
	scratch_load_b128 v[106:109], off, off offset:40
	scratch_load_b128 v[110:113], off, off offset:56
	scratch_load_b128 v[114:117], off, off offset:72
	scratch_load_b128 v[118:121], off, off offset:88
	scratch_load_b128 v[122:125], off, off offset:104
	scratch_load_b128 v[126:129], off, off offset:120
	v_mov_b32_e32 v2, 0
	ds_load_b128 v[130:133], v2 offset:464
	ds_load_b128 v[134:137], v2 offset:480
	scratch_load_b128 v[138:141], off, off offset:136
	s_mov_b32 s0, exec_lo
	s_wait_loadcnt_dscnt 0x601
	v_fma_f64 v[142:143], v[108:109], v[130:131], 0
	s_wait_loadcnt 0x5
	s_delay_alu instid0(VALU_DEP_1) | instskip(SKIP_4) | instid1(VALU_DEP_1)
	v_fmac_f64_e32 v[142:143], v[110:111], v[132:133]
	scratch_load_b128 v[108:111], off, off offset:152
	s_wait_dscnt 0x0
	v_fmac_f64_e32 v[142:143], v[112:113], v[134:135]
	s_wait_loadcnt 0x5
	v_fmac_f64_e32 v[142:143], v[114:115], v[136:137]
	ds_load_b128 v[112:115], v2 offset:496
	ds_load_b128 v[130:133], v2 offset:512
	scratch_load_b128 v[134:137], off, off offset:168
	s_wait_dscnt 0x1
	v_fmac_f64_e32 v[142:143], v[116:117], v[112:113]
	s_wait_loadcnt 0x5
	s_delay_alu instid0(VALU_DEP_1) | instskip(SKIP_4) | instid1(VALU_DEP_1)
	v_fmac_f64_e32 v[142:143], v[118:119], v[114:115]
	scratch_load_b128 v[112:115], off, off offset:184
	s_wait_dscnt 0x0
	v_fmac_f64_e32 v[142:143], v[120:121], v[130:131]
	s_wait_loadcnt 0x5
	v_fmac_f64_e32 v[142:143], v[122:123], v[132:133]
	ds_load_b128 v[116:119], v2 offset:528
	ds_load_b128 v[120:123], v2 offset:544
	scratch_load_b128 v[130:133], off, off offset:200
	s_wait_dscnt 0x1
	v_fmac_f64_e32 v[142:143], v[124:125], v[116:117]
	s_wait_loadcnt 0x5
	s_delay_alu instid0(VALU_DEP_1) | instskip(SKIP_4) | instid1(VALU_DEP_1)
	v_fmac_f64_e32 v[142:143], v[126:127], v[118:119]
	scratch_load_b128 v[116:119], off, off offset:216
	s_wait_dscnt 0x0
	v_fmac_f64_e32 v[142:143], v[128:129], v[120:121]
	s_wait_loadcnt 0x5
	v_fmac_f64_e32 v[142:143], v[138:139], v[122:123]
	ds_load_b128 v[120:123], v2 offset:560
	ds_load_b128 v[124:127], v2 offset:576
	s_wait_dscnt 0x1
	v_fmac_f64_e32 v[142:143], v[140:141], v[120:121]
	scratch_load_b128 v[138:141], off, off offset:232
	s_wait_loadcnt 0x5
	v_fmac_f64_e32 v[142:143], v[108:109], v[122:123]
	s_wait_dscnt 0x0
	s_delay_alu instid0(VALU_DEP_1)
	v_fmac_f64_e32 v[142:143], v[110:111], v[124:125]
	scratch_load_b128 v[108:111], off, off offset:248
	s_wait_loadcnt 0x5
	v_fmac_f64_e32 v[142:143], v[134:135], v[126:127]
	ds_load_b128 v[120:123], v2 offset:592
	ds_load_b128 v[124:127], v2 offset:608
	s_wait_dscnt 0x1
	v_fmac_f64_e32 v[142:143], v[136:137], v[120:121]
	scratch_load_b128 v[134:137], off, off offset:264
	s_wait_loadcnt 0x5
	v_fmac_f64_e32 v[142:143], v[112:113], v[122:123]
	s_wait_dscnt 0x0
	s_delay_alu instid0(VALU_DEP_1)
	v_fmac_f64_e32 v[142:143], v[114:115], v[124:125]
	scratch_load_b128 v[112:115], off, off offset:280
	s_wait_loadcnt 0x5
	v_fmac_f64_e32 v[142:143], v[130:131], v[126:127]
	ds_load_b128 v[120:123], v2 offset:624
	ds_load_b128 v[124:127], v2 offset:640
	scratch_load_b128 v[128:131], off, off offset:296
	s_wait_dscnt 0x1
	v_fmac_f64_e32 v[142:143], v[132:133], v[120:121]
	s_wait_loadcnt 0x5
	s_delay_alu instid0(VALU_DEP_1) | instskip(SKIP_1) | instid1(VALU_DEP_1)
	v_fmac_f64_e32 v[142:143], v[116:117], v[122:123]
	s_wait_dscnt 0x0
	v_fmac_f64_e32 v[142:143], v[118:119], v[124:125]
	scratch_load_b128 v[116:119], off, off offset:312
	s_wait_loadcnt 0x5
	v_fmac_f64_e32 v[142:143], v[138:139], v[126:127]
	ds_load_b128 v[120:123], v2 offset:656
	ds_load_b128 v[124:127], v2 offset:672
	s_wait_dscnt 0x1
	v_fmac_f64_e32 v[142:143], v[140:141], v[120:121]
	s_wait_loadcnt 0x4
	s_delay_alu instid0(VALU_DEP_1)
	v_fmac_f64_e32 v[142:143], v[108:109], v[122:123]
	scratch_load_b128 v[120:123], off, off offset:328
	s_wait_dscnt 0x0
	v_fmac_f64_e32 v[142:143], v[110:111], v[124:125]
	scratch_load_b128 v[108:111], off, off offset:344
	s_wait_loadcnt 0x5
	v_fmac_f64_e32 v[142:143], v[134:135], v[126:127]
	ds_load_b128 v[124:127], v2 offset:688
	ds_load_b128 v[132:135], v2 offset:704
	s_wait_dscnt 0x1
	v_fmac_f64_e32 v[142:143], v[136:137], v[124:125]
	s_wait_loadcnt 0x4
	s_delay_alu instid0(VALU_DEP_1)
	v_fmac_f64_e32 v[142:143], v[112:113], v[126:127]
	scratch_load_b128 v[124:127], off, off offset:360
	s_wait_dscnt 0x0
	v_fmac_f64_e32 v[142:143], v[114:115], v[132:133]
	scratch_load_b128 v[112:115], off, off offset:376
	s_wait_loadcnt 0x5
	v_fmac_f64_e32 v[142:143], v[128:129], v[134:135]
	ds_load_b128 v[132:135], v2 offset:720
	ds_load_b128 v[136:139], v2 offset:736
	s_wait_dscnt 0x1
	v_fmac_f64_e32 v[142:143], v[130:131], v[132:133]
	scratch_load_b128 v[128:131], off, off offset:392
	s_wait_loadcnt 0x5
	v_fmac_f64_e32 v[142:143], v[116:117], v[134:135]
	s_wait_dscnt 0x0
	s_delay_alu instid0(VALU_DEP_1)
	v_fmac_f64_e32 v[142:143], v[118:119], v[136:137]
	ds_load_b128 v[116:119], v2 offset:752
	ds_load_b128 v[132:135], v2 offset:768
	s_wait_loadcnt 0x4
	v_fmac_f64_e32 v[142:143], v[120:121], v[138:139]
	s_wait_dscnt 0x1
	s_delay_alu instid0(VALU_DEP_1) | instskip(SKIP_1) | instid1(VALU_DEP_1)
	v_fmac_f64_e32 v[142:143], v[122:123], v[116:117]
	s_wait_loadcnt 0x3
	v_fmac_f64_e32 v[142:143], v[108:109], v[118:119]
	s_wait_dscnt 0x0
	s_delay_alu instid0(VALU_DEP_1)
	v_fmac_f64_e32 v[142:143], v[110:111], v[132:133]
	ds_load_b128 v[108:111], v2 offset:784
	ds_load_b128 v[116:119], v2 offset:800
	s_wait_loadcnt 0x2
	v_fmac_f64_e32 v[142:143], v[124:125], v[134:135]
	s_wait_dscnt 0x1
	s_delay_alu instid0(VALU_DEP_1) | instskip(SKIP_4) | instid1(VALU_DEP_1)
	v_fmac_f64_e32 v[142:143], v[126:127], v[108:109]
	ds_load_b64 v[108:109], v2 offset:816
	s_wait_loadcnt 0x1
	v_fmac_f64_e32 v[142:143], v[112:113], v[110:111]
	s_wait_dscnt 0x1
	v_fmac_f64_e32 v[142:143], v[114:115], v[116:117]
	s_wait_loadcnt 0x0
	s_delay_alu instid0(VALU_DEP_1) | instskip(SKIP_1) | instid1(VALU_DEP_1)
	v_fmac_f64_e32 v[142:143], v[128:129], v[118:119]
	s_wait_dscnt 0x0
	v_fmac_f64_e32 v[142:143], v[130:131], v[108:109]
	s_delay_alu instid0(VALU_DEP_1)
	v_add_f64_e64 v[106:107], v[106:107], -v[142:143]
	scratch_store_b64 off, v[106:107], off offset:40
	s_wait_xcnt 0x0
	v_cmpx_lt_u32_e32 4, v0
	s_cbranch_execz .LBB50_307
; %bb.306:
	scratch_load_b64 v[106:107], off, off offset:32
	v_mov_b64_e32 v[108:109], 0
	scratch_store_b64 off, v[108:109], off offset:32
	s_wait_loadcnt 0x0
	ds_store_b64 v1, v[106:107]
.LBB50_307:
	s_wait_xcnt 0x0
	s_or_b32 exec_lo, exec_lo, s0
	s_wait_storecnt_dscnt 0x0
	s_barrier_signal -1
	s_barrier_wait -1
	s_clause 0x5
	scratch_load_b128 v[106:109], off, off offset:32
	scratch_load_b128 v[110:113], off, off offset:48
	scratch_load_b128 v[114:117], off, off offset:64
	scratch_load_b128 v[118:121], off, off offset:80
	scratch_load_b128 v[122:125], off, off offset:96
	scratch_load_b128 v[126:129], off, off offset:112
	ds_load_2addr_b64 v[130:133], v2 offset0:57 offset1:58
	ds_load_2addr_b64 v[134:137], v2 offset0:59 offset1:60
	scratch_load_b128 v[138:141], off, off offset:128
	s_mov_b32 s0, exec_lo
	s_wait_loadcnt_dscnt 0x601
	v_fma_f64 v[142:143], v[108:109], v[130:131], 0
	s_wait_loadcnt 0x5
	s_delay_alu instid0(VALU_DEP_1) | instskip(SKIP_4) | instid1(VALU_DEP_1)
	v_fmac_f64_e32 v[142:143], v[110:111], v[132:133]
	scratch_load_b128 v[108:111], off, off offset:144
	s_wait_dscnt 0x0
	v_fmac_f64_e32 v[142:143], v[112:113], v[134:135]
	s_wait_loadcnt 0x5
	v_fmac_f64_e32 v[142:143], v[114:115], v[136:137]
	ds_load_2addr_b64 v[112:115], v2 offset0:61 offset1:62
	ds_load_2addr_b64 v[130:133], v2 offset0:63 offset1:64
	scratch_load_b128 v[134:137], off, off offset:160
	s_wait_dscnt 0x1
	v_fmac_f64_e32 v[142:143], v[116:117], v[112:113]
	s_wait_loadcnt 0x5
	s_delay_alu instid0(VALU_DEP_1) | instskip(SKIP_4) | instid1(VALU_DEP_1)
	v_fmac_f64_e32 v[142:143], v[118:119], v[114:115]
	scratch_load_b128 v[112:115], off, off offset:176
	s_wait_dscnt 0x0
	v_fmac_f64_e32 v[142:143], v[120:121], v[130:131]
	s_wait_loadcnt 0x5
	v_fmac_f64_e32 v[142:143], v[122:123], v[132:133]
	ds_load_2addr_b64 v[116:119], v2 offset0:65 offset1:66
	ds_load_2addr_b64 v[120:123], v2 offset0:67 offset1:68
	scratch_load_b128 v[130:133], off, off offset:192
	s_wait_dscnt 0x1
	v_fmac_f64_e32 v[142:143], v[124:125], v[116:117]
	s_wait_loadcnt 0x5
	s_delay_alu instid0(VALU_DEP_1) | instskip(SKIP_4) | instid1(VALU_DEP_1)
	v_fmac_f64_e32 v[142:143], v[126:127], v[118:119]
	scratch_load_b128 v[116:119], off, off offset:208
	s_wait_dscnt 0x0
	v_fmac_f64_e32 v[142:143], v[128:129], v[120:121]
	s_wait_loadcnt 0x5
	v_fmac_f64_e32 v[142:143], v[138:139], v[122:123]
	ds_load_2addr_b64 v[120:123], v2 offset0:69 offset1:70
	ds_load_2addr_b64 v[124:127], v2 offset0:71 offset1:72
	s_wait_dscnt 0x1
	v_fmac_f64_e32 v[142:143], v[140:141], v[120:121]
	scratch_load_b128 v[138:141], off, off offset:224
	s_wait_loadcnt 0x5
	v_fmac_f64_e32 v[142:143], v[108:109], v[122:123]
	s_wait_dscnt 0x0
	s_delay_alu instid0(VALU_DEP_1)
	v_fmac_f64_e32 v[142:143], v[110:111], v[124:125]
	scratch_load_b128 v[108:111], off, off offset:240
	s_wait_loadcnt 0x5
	v_fmac_f64_e32 v[142:143], v[134:135], v[126:127]
	ds_load_2addr_b64 v[120:123], v2 offset0:73 offset1:74
	ds_load_2addr_b64 v[124:127], v2 offset0:75 offset1:76
	s_wait_dscnt 0x1
	v_fmac_f64_e32 v[142:143], v[136:137], v[120:121]
	scratch_load_b128 v[134:137], off, off offset:256
	s_wait_loadcnt 0x5
	v_fmac_f64_e32 v[142:143], v[112:113], v[122:123]
	s_wait_dscnt 0x0
	s_delay_alu instid0(VALU_DEP_1)
	v_fmac_f64_e32 v[142:143], v[114:115], v[124:125]
	scratch_load_b128 v[112:115], off, off offset:272
	s_wait_loadcnt 0x5
	v_fmac_f64_e32 v[142:143], v[130:131], v[126:127]
	ds_load_2addr_b64 v[120:123], v2 offset0:77 offset1:78
	ds_load_2addr_b64 v[124:127], v2 offset0:79 offset1:80
	scratch_load_b128 v[128:131], off, off offset:288
	s_wait_dscnt 0x1
	v_fmac_f64_e32 v[142:143], v[132:133], v[120:121]
	s_wait_loadcnt 0x5
	s_delay_alu instid0(VALU_DEP_1) | instskip(SKIP_1) | instid1(VALU_DEP_1)
	v_fmac_f64_e32 v[142:143], v[116:117], v[122:123]
	s_wait_dscnt 0x0
	v_fmac_f64_e32 v[142:143], v[118:119], v[124:125]
	scratch_load_b128 v[116:119], off, off offset:304
	s_wait_loadcnt 0x5
	v_fmac_f64_e32 v[142:143], v[138:139], v[126:127]
	ds_load_2addr_b64 v[120:123], v2 offset0:81 offset1:82
	ds_load_2addr_b64 v[124:127], v2 offset0:83 offset1:84
	s_wait_dscnt 0x1
	v_fmac_f64_e32 v[142:143], v[140:141], v[120:121]
	scratch_load_b128 v[138:141], off, off offset:320
	s_wait_loadcnt 0x5
	v_fmac_f64_e32 v[142:143], v[108:109], v[122:123]
	s_wait_dscnt 0x0
	s_delay_alu instid0(VALU_DEP_1)
	v_fmac_f64_e32 v[142:143], v[110:111], v[124:125]
	scratch_load_b128 v[108:111], off, off offset:336
	s_wait_loadcnt 0x5
	v_fmac_f64_e32 v[142:143], v[134:135], v[126:127]
	ds_load_2addr_b64 v[120:123], v2 offset0:85 offset1:86
	ds_load_2addr_b64 v[124:127], v2 offset0:87 offset1:88
	s_wait_dscnt 0x1
	v_fmac_f64_e32 v[142:143], v[136:137], v[120:121]
	s_wait_loadcnt 0x4
	s_delay_alu instid0(VALU_DEP_1)
	v_fmac_f64_e32 v[142:143], v[112:113], v[122:123]
	scratch_load_b128 v[120:123], off, off offset:352
	s_wait_dscnt 0x0
	v_fmac_f64_e32 v[142:143], v[114:115], v[124:125]
	scratch_load_b128 v[112:115], off, off offset:368
	s_wait_loadcnt 0x5
	v_fmac_f64_e32 v[142:143], v[128:129], v[126:127]
	ds_load_2addr_b64 v[124:127], v2 offset0:89 offset1:90
	ds_load_2addr_b64 v[132:135], v2 offset0:91 offset1:92
	s_wait_dscnt 0x1
	v_fmac_f64_e32 v[142:143], v[130:131], v[124:125]
	s_wait_loadcnt 0x4
	s_delay_alu instid0(VALU_DEP_1)
	v_fmac_f64_e32 v[142:143], v[116:117], v[126:127]
	scratch_load_b128 v[124:127], off, off offset:384
	s_wait_dscnt 0x0
	v_fmac_f64_e32 v[142:143], v[118:119], v[132:133]
	scratch_load_b64 v[132:133], off, off offset:400
	ds_load_2addr_b64 v[116:119], v2 offset0:93 offset1:94
	ds_load_2addr_b64 v[128:131], v2 offset0:95 offset1:96
	s_wait_loadcnt 0x5
	v_fmac_f64_e32 v[142:143], v[138:139], v[134:135]
	s_wait_dscnt 0x1
	s_delay_alu instid0(VALU_DEP_1) | instskip(SKIP_1) | instid1(VALU_DEP_1)
	v_fmac_f64_e32 v[142:143], v[140:141], v[116:117]
	s_wait_loadcnt 0x4
	v_fmac_f64_e32 v[142:143], v[108:109], v[118:119]
	s_wait_dscnt 0x0
	s_delay_alu instid0(VALU_DEP_1)
	v_fmac_f64_e32 v[142:143], v[110:111], v[128:129]
	ds_load_2addr_b64 v[108:111], v2 offset0:97 offset1:98
	ds_load_2addr_b64 v[116:119], v2 offset0:99 offset1:100
	s_wait_loadcnt 0x3
	v_fmac_f64_e32 v[142:143], v[120:121], v[130:131]
	s_wait_dscnt 0x1
	s_delay_alu instid0(VALU_DEP_1) | instskip(SKIP_1) | instid1(VALU_DEP_1)
	v_fmac_f64_e32 v[142:143], v[122:123], v[108:109]
	s_wait_loadcnt 0x2
	v_fmac_f64_e32 v[142:143], v[112:113], v[110:111]
	ds_load_2addr_b64 v[108:111], v2 offset0:101 offset1:102
	s_wait_dscnt 0x1
	v_fmac_f64_e32 v[142:143], v[114:115], v[116:117]
	s_wait_loadcnt 0x1
	s_delay_alu instid0(VALU_DEP_1) | instskip(SKIP_1) | instid1(VALU_DEP_1)
	v_fmac_f64_e32 v[142:143], v[124:125], v[118:119]
	s_wait_dscnt 0x0
	v_fmac_f64_e32 v[142:143], v[126:127], v[108:109]
	s_wait_loadcnt 0x0
	s_delay_alu instid0(VALU_DEP_1) | instskip(NEXT) | instid1(VALU_DEP_1)
	v_fmac_f64_e32 v[142:143], v[132:133], v[110:111]
	v_add_f64_e64 v[2:3], v[106:107], -v[142:143]
	scratch_store_b64 off, v[2:3], off offset:32
	s_wait_xcnt 0x0
	v_cmpx_lt_u32_e32 3, v0
	s_cbranch_execz .LBB50_309
; %bb.308:
	scratch_load_b64 v[2:3], off, off offset:24
	v_mov_b64_e32 v[106:107], 0
	scratch_store_b64 off, v[106:107], off offset:24
	s_wait_loadcnt 0x0
	ds_store_b64 v1, v[2:3]
.LBB50_309:
	s_wait_xcnt 0x0
	s_or_b32 exec_lo, exec_lo, s0
	s_wait_storecnt_dscnt 0x0
	s_barrier_signal -1
	s_barrier_wait -1
	s_clause 0x5
	scratch_load_b128 v[106:109], off, off offset:24
	scratch_load_b128 v[110:113], off, off offset:40
	;; [unrolled: 1-line block ×6, first 2 shown]
	v_mov_b32_e32 v2, 0
	ds_load_b128 v[130:133], v2 offset:448
	ds_load_b128 v[134:137], v2 offset:464
	scratch_load_b128 v[138:141], off, off offset:120
	s_mov_b32 s0, exec_lo
	s_wait_loadcnt_dscnt 0x601
	v_fma_f64 v[142:143], v[108:109], v[130:131], 0
	s_wait_loadcnt 0x5
	s_delay_alu instid0(VALU_DEP_1) | instskip(SKIP_4) | instid1(VALU_DEP_1)
	v_fmac_f64_e32 v[142:143], v[110:111], v[132:133]
	scratch_load_b128 v[108:111], off, off offset:136
	s_wait_dscnt 0x0
	v_fmac_f64_e32 v[142:143], v[112:113], v[134:135]
	s_wait_loadcnt 0x5
	v_fmac_f64_e32 v[142:143], v[114:115], v[136:137]
	ds_load_b128 v[112:115], v2 offset:480
	ds_load_b128 v[130:133], v2 offset:496
	scratch_load_b128 v[134:137], off, off offset:152
	s_wait_dscnt 0x1
	v_fmac_f64_e32 v[142:143], v[116:117], v[112:113]
	s_wait_loadcnt 0x5
	s_delay_alu instid0(VALU_DEP_1) | instskip(SKIP_4) | instid1(VALU_DEP_1)
	v_fmac_f64_e32 v[142:143], v[118:119], v[114:115]
	scratch_load_b128 v[112:115], off, off offset:168
	s_wait_dscnt 0x0
	v_fmac_f64_e32 v[142:143], v[120:121], v[130:131]
	s_wait_loadcnt 0x5
	v_fmac_f64_e32 v[142:143], v[122:123], v[132:133]
	ds_load_b128 v[116:119], v2 offset:512
	ds_load_b128 v[120:123], v2 offset:528
	scratch_load_b128 v[130:133], off, off offset:184
	s_wait_dscnt 0x1
	v_fmac_f64_e32 v[142:143], v[124:125], v[116:117]
	s_wait_loadcnt 0x5
	s_delay_alu instid0(VALU_DEP_1) | instskip(SKIP_4) | instid1(VALU_DEP_1)
	v_fmac_f64_e32 v[142:143], v[126:127], v[118:119]
	scratch_load_b128 v[116:119], off, off offset:200
	s_wait_dscnt 0x0
	v_fmac_f64_e32 v[142:143], v[128:129], v[120:121]
	s_wait_loadcnt 0x5
	v_fmac_f64_e32 v[142:143], v[138:139], v[122:123]
	ds_load_b128 v[120:123], v2 offset:544
	ds_load_b128 v[124:127], v2 offset:560
	s_wait_dscnt 0x1
	v_fmac_f64_e32 v[142:143], v[140:141], v[120:121]
	scratch_load_b128 v[138:141], off, off offset:216
	s_wait_loadcnt 0x5
	v_fmac_f64_e32 v[142:143], v[108:109], v[122:123]
	s_wait_dscnt 0x0
	s_delay_alu instid0(VALU_DEP_1)
	v_fmac_f64_e32 v[142:143], v[110:111], v[124:125]
	scratch_load_b128 v[108:111], off, off offset:232
	s_wait_loadcnt 0x5
	v_fmac_f64_e32 v[142:143], v[134:135], v[126:127]
	ds_load_b128 v[120:123], v2 offset:576
	ds_load_b128 v[124:127], v2 offset:592
	s_wait_dscnt 0x1
	v_fmac_f64_e32 v[142:143], v[136:137], v[120:121]
	scratch_load_b128 v[134:137], off, off offset:248
	s_wait_loadcnt 0x5
	v_fmac_f64_e32 v[142:143], v[112:113], v[122:123]
	s_wait_dscnt 0x0
	s_delay_alu instid0(VALU_DEP_1)
	v_fmac_f64_e32 v[142:143], v[114:115], v[124:125]
	scratch_load_b128 v[112:115], off, off offset:264
	s_wait_loadcnt 0x5
	v_fmac_f64_e32 v[142:143], v[130:131], v[126:127]
	ds_load_b128 v[120:123], v2 offset:608
	ds_load_b128 v[124:127], v2 offset:624
	scratch_load_b128 v[128:131], off, off offset:280
	s_wait_dscnt 0x1
	v_fmac_f64_e32 v[142:143], v[132:133], v[120:121]
	s_wait_loadcnt 0x5
	s_delay_alu instid0(VALU_DEP_1) | instskip(SKIP_1) | instid1(VALU_DEP_1)
	v_fmac_f64_e32 v[142:143], v[116:117], v[122:123]
	s_wait_dscnt 0x0
	v_fmac_f64_e32 v[142:143], v[118:119], v[124:125]
	scratch_load_b128 v[116:119], off, off offset:296
	s_wait_loadcnt 0x5
	v_fmac_f64_e32 v[142:143], v[138:139], v[126:127]
	ds_load_b128 v[120:123], v2 offset:640
	ds_load_b128 v[124:127], v2 offset:656
	s_wait_dscnt 0x1
	v_fmac_f64_e32 v[142:143], v[140:141], v[120:121]
	scratch_load_b128 v[138:141], off, off offset:312
	s_wait_loadcnt 0x5
	v_fmac_f64_e32 v[142:143], v[108:109], v[122:123]
	s_wait_dscnt 0x0
	s_delay_alu instid0(VALU_DEP_1)
	v_fmac_f64_e32 v[142:143], v[110:111], v[124:125]
	scratch_load_b128 v[108:111], off, off offset:328
	s_wait_loadcnt 0x5
	v_fmac_f64_e32 v[142:143], v[134:135], v[126:127]
	ds_load_b128 v[120:123], v2 offset:672
	ds_load_b128 v[124:127], v2 offset:688
	s_wait_dscnt 0x1
	v_fmac_f64_e32 v[142:143], v[136:137], v[120:121]
	s_wait_loadcnt 0x4
	s_delay_alu instid0(VALU_DEP_1)
	v_fmac_f64_e32 v[142:143], v[112:113], v[122:123]
	scratch_load_b128 v[120:123], off, off offset:344
	s_wait_dscnt 0x0
	v_fmac_f64_e32 v[142:143], v[114:115], v[124:125]
	scratch_load_b128 v[112:115], off, off offset:360
	s_wait_loadcnt 0x5
	v_fmac_f64_e32 v[142:143], v[128:129], v[126:127]
	ds_load_b128 v[124:127], v2 offset:704
	ds_load_b128 v[132:135], v2 offset:720
	s_wait_dscnt 0x1
	v_fmac_f64_e32 v[142:143], v[130:131], v[124:125]
	s_wait_loadcnt 0x4
	s_delay_alu instid0(VALU_DEP_1)
	v_fmac_f64_e32 v[142:143], v[116:117], v[126:127]
	scratch_load_b128 v[124:127], off, off offset:376
	s_wait_dscnt 0x0
	v_fmac_f64_e32 v[142:143], v[118:119], v[132:133]
	scratch_load_b128 v[116:119], off, off offset:392
	s_wait_loadcnt 0x5
	v_fmac_f64_e32 v[142:143], v[138:139], v[134:135]
	ds_load_b128 v[128:131], v2 offset:736
	ds_load_b128 v[132:135], v2 offset:752
	s_wait_dscnt 0x1
	v_fmac_f64_e32 v[142:143], v[140:141], v[128:129]
	s_wait_loadcnt 0x4
	s_delay_alu instid0(VALU_DEP_1) | instskip(SKIP_1) | instid1(VALU_DEP_1)
	v_fmac_f64_e32 v[142:143], v[108:109], v[130:131]
	s_wait_dscnt 0x0
	v_fmac_f64_e32 v[142:143], v[110:111], v[132:133]
	ds_load_b128 v[108:111], v2 offset:768
	ds_load_b128 v[128:131], v2 offset:784
	s_wait_loadcnt 0x3
	v_fmac_f64_e32 v[142:143], v[120:121], v[134:135]
	s_wait_dscnt 0x1
	s_delay_alu instid0(VALU_DEP_1) | instskip(SKIP_1) | instid1(VALU_DEP_1)
	v_fmac_f64_e32 v[142:143], v[122:123], v[108:109]
	s_wait_loadcnt 0x2
	v_fmac_f64_e32 v[142:143], v[112:113], v[110:111]
	ds_load_b128 v[108:111], v2 offset:800
	ds_load_b64 v[112:113], v2 offset:816
	s_wait_dscnt 0x2
	v_fmac_f64_e32 v[142:143], v[114:115], v[128:129]
	s_wait_loadcnt 0x1
	s_delay_alu instid0(VALU_DEP_1) | instskip(SKIP_1) | instid1(VALU_DEP_1)
	v_fmac_f64_e32 v[142:143], v[124:125], v[130:131]
	s_wait_dscnt 0x1
	v_fmac_f64_e32 v[142:143], v[126:127], v[108:109]
	s_wait_loadcnt 0x0
	s_delay_alu instid0(VALU_DEP_1) | instskip(SKIP_1) | instid1(VALU_DEP_1)
	v_fmac_f64_e32 v[142:143], v[116:117], v[110:111]
	s_wait_dscnt 0x0
	v_fmac_f64_e32 v[142:143], v[118:119], v[112:113]
	s_delay_alu instid0(VALU_DEP_1)
	v_add_f64_e64 v[106:107], v[106:107], -v[142:143]
	scratch_store_b64 off, v[106:107], off offset:24
	s_wait_xcnt 0x0
	v_cmpx_lt_u32_e32 2, v0
	s_cbranch_execz .LBB50_311
; %bb.310:
	scratch_load_b64 v[106:107], off, off offset:16
	v_mov_b64_e32 v[108:109], 0
	scratch_store_b64 off, v[108:109], off offset:16
	s_wait_loadcnt 0x0
	ds_store_b64 v1, v[106:107]
.LBB50_311:
	s_wait_xcnt 0x0
	s_or_b32 exec_lo, exec_lo, s0
	s_wait_storecnt_dscnt 0x0
	s_barrier_signal -1
	s_barrier_wait -1
	s_clause 0x5
	scratch_load_b128 v[106:109], off, off offset:16
	scratch_load_b128 v[110:113], off, off offset:32
	;; [unrolled: 1-line block ×6, first 2 shown]
	ds_load_2addr_b64 v[130:133], v2 offset0:55 offset1:56
	ds_load_2addr_b64 v[134:137], v2 offset0:57 offset1:58
	scratch_load_b128 v[138:141], off, off offset:112
	s_mov_b32 s0, exec_lo
	s_wait_loadcnt_dscnt 0x601
	v_fma_f64 v[142:143], v[108:109], v[130:131], 0
	s_wait_loadcnt 0x5
	s_delay_alu instid0(VALU_DEP_1) | instskip(SKIP_4) | instid1(VALU_DEP_1)
	v_fmac_f64_e32 v[142:143], v[110:111], v[132:133]
	scratch_load_b128 v[108:111], off, off offset:128
	s_wait_dscnt 0x0
	v_fmac_f64_e32 v[142:143], v[112:113], v[134:135]
	s_wait_loadcnt 0x5
	v_fmac_f64_e32 v[142:143], v[114:115], v[136:137]
	ds_load_2addr_b64 v[112:115], v2 offset0:59 offset1:60
	ds_load_2addr_b64 v[130:133], v2 offset0:61 offset1:62
	scratch_load_b128 v[134:137], off, off offset:144
	s_wait_dscnt 0x1
	v_fmac_f64_e32 v[142:143], v[116:117], v[112:113]
	s_wait_loadcnt 0x5
	s_delay_alu instid0(VALU_DEP_1) | instskip(SKIP_4) | instid1(VALU_DEP_1)
	v_fmac_f64_e32 v[142:143], v[118:119], v[114:115]
	scratch_load_b128 v[112:115], off, off offset:160
	s_wait_dscnt 0x0
	v_fmac_f64_e32 v[142:143], v[120:121], v[130:131]
	s_wait_loadcnt 0x5
	v_fmac_f64_e32 v[142:143], v[122:123], v[132:133]
	ds_load_2addr_b64 v[116:119], v2 offset0:63 offset1:64
	ds_load_2addr_b64 v[120:123], v2 offset0:65 offset1:66
	scratch_load_b128 v[130:133], off, off offset:176
	s_wait_dscnt 0x1
	v_fmac_f64_e32 v[142:143], v[124:125], v[116:117]
	s_wait_loadcnt 0x5
	s_delay_alu instid0(VALU_DEP_1) | instskip(SKIP_4) | instid1(VALU_DEP_1)
	v_fmac_f64_e32 v[142:143], v[126:127], v[118:119]
	scratch_load_b128 v[116:119], off, off offset:192
	s_wait_dscnt 0x0
	v_fmac_f64_e32 v[142:143], v[128:129], v[120:121]
	s_wait_loadcnt 0x5
	v_fmac_f64_e32 v[142:143], v[138:139], v[122:123]
	ds_load_2addr_b64 v[120:123], v2 offset0:67 offset1:68
	ds_load_2addr_b64 v[124:127], v2 offset0:69 offset1:70
	s_wait_dscnt 0x1
	v_fmac_f64_e32 v[142:143], v[140:141], v[120:121]
	scratch_load_b128 v[138:141], off, off offset:208
	s_wait_loadcnt 0x5
	v_fmac_f64_e32 v[142:143], v[108:109], v[122:123]
	s_wait_dscnt 0x0
	s_delay_alu instid0(VALU_DEP_1)
	v_fmac_f64_e32 v[142:143], v[110:111], v[124:125]
	scratch_load_b128 v[108:111], off, off offset:224
	s_wait_loadcnt 0x5
	v_fmac_f64_e32 v[142:143], v[134:135], v[126:127]
	ds_load_2addr_b64 v[120:123], v2 offset0:71 offset1:72
	ds_load_2addr_b64 v[124:127], v2 offset0:73 offset1:74
	s_wait_dscnt 0x1
	v_fmac_f64_e32 v[142:143], v[136:137], v[120:121]
	scratch_load_b128 v[134:137], off, off offset:240
	s_wait_loadcnt 0x5
	v_fmac_f64_e32 v[142:143], v[112:113], v[122:123]
	s_wait_dscnt 0x0
	s_delay_alu instid0(VALU_DEP_1)
	v_fmac_f64_e32 v[142:143], v[114:115], v[124:125]
	scratch_load_b128 v[112:115], off, off offset:256
	s_wait_loadcnt 0x5
	v_fmac_f64_e32 v[142:143], v[130:131], v[126:127]
	ds_load_2addr_b64 v[120:123], v2 offset0:75 offset1:76
	ds_load_2addr_b64 v[124:127], v2 offset0:77 offset1:78
	scratch_load_b128 v[128:131], off, off offset:272
	s_wait_dscnt 0x1
	v_fmac_f64_e32 v[142:143], v[132:133], v[120:121]
	s_wait_loadcnt 0x5
	s_delay_alu instid0(VALU_DEP_1) | instskip(SKIP_1) | instid1(VALU_DEP_1)
	v_fmac_f64_e32 v[142:143], v[116:117], v[122:123]
	s_wait_dscnt 0x0
	v_fmac_f64_e32 v[142:143], v[118:119], v[124:125]
	scratch_load_b128 v[116:119], off, off offset:288
	s_wait_loadcnt 0x5
	v_fmac_f64_e32 v[142:143], v[138:139], v[126:127]
	ds_load_2addr_b64 v[120:123], v2 offset0:79 offset1:80
	ds_load_2addr_b64 v[124:127], v2 offset0:81 offset1:82
	s_wait_dscnt 0x1
	v_fmac_f64_e32 v[142:143], v[140:141], v[120:121]
	scratch_load_b128 v[138:141], off, off offset:304
	s_wait_loadcnt 0x5
	v_fmac_f64_e32 v[142:143], v[108:109], v[122:123]
	s_wait_dscnt 0x0
	s_delay_alu instid0(VALU_DEP_1)
	v_fmac_f64_e32 v[142:143], v[110:111], v[124:125]
	scratch_load_b128 v[108:111], off, off offset:320
	s_wait_loadcnt 0x5
	v_fmac_f64_e32 v[142:143], v[134:135], v[126:127]
	ds_load_2addr_b64 v[120:123], v2 offset0:83 offset1:84
	ds_load_2addr_b64 v[124:127], v2 offset0:85 offset1:86
	s_wait_dscnt 0x1
	v_fmac_f64_e32 v[142:143], v[136:137], v[120:121]
	s_wait_loadcnt 0x4
	s_delay_alu instid0(VALU_DEP_1)
	v_fmac_f64_e32 v[142:143], v[112:113], v[122:123]
	scratch_load_b128 v[120:123], off, off offset:336
	s_wait_dscnt 0x0
	v_fmac_f64_e32 v[142:143], v[114:115], v[124:125]
	scratch_load_b128 v[112:115], off, off offset:352
	s_wait_loadcnt 0x5
	v_fmac_f64_e32 v[142:143], v[128:129], v[126:127]
	ds_load_2addr_b64 v[124:127], v2 offset0:87 offset1:88
	ds_load_2addr_b64 v[132:135], v2 offset0:89 offset1:90
	s_wait_dscnt 0x1
	v_fmac_f64_e32 v[142:143], v[130:131], v[124:125]
	s_wait_loadcnt 0x4
	s_delay_alu instid0(VALU_DEP_1)
	v_fmac_f64_e32 v[142:143], v[116:117], v[126:127]
	scratch_load_b128 v[124:127], off, off offset:368
	s_wait_dscnt 0x0
	v_fmac_f64_e32 v[142:143], v[118:119], v[132:133]
	scratch_load_b128 v[116:119], off, off offset:384
	s_wait_loadcnt 0x5
	v_fmac_f64_e32 v[142:143], v[138:139], v[134:135]
	ds_load_2addr_b64 v[128:131], v2 offset0:91 offset1:92
	ds_load_2addr_b64 v[132:135], v2 offset0:93 offset1:94
	scratch_load_b64 v[136:137], off, off offset:400
	s_wait_dscnt 0x1
	v_fmac_f64_e32 v[142:143], v[140:141], v[128:129]
	s_wait_loadcnt 0x5
	s_delay_alu instid0(VALU_DEP_1) | instskip(SKIP_1) | instid1(VALU_DEP_1)
	v_fmac_f64_e32 v[142:143], v[108:109], v[130:131]
	s_wait_dscnt 0x0
	v_fmac_f64_e32 v[142:143], v[110:111], v[132:133]
	ds_load_2addr_b64 v[108:111], v2 offset0:95 offset1:96
	ds_load_2addr_b64 v[128:131], v2 offset0:97 offset1:98
	s_wait_loadcnt 0x4
	v_fmac_f64_e32 v[142:143], v[120:121], v[134:135]
	s_wait_dscnt 0x1
	s_delay_alu instid0(VALU_DEP_1) | instskip(SKIP_1) | instid1(VALU_DEP_1)
	v_fmac_f64_e32 v[142:143], v[122:123], v[108:109]
	s_wait_loadcnt 0x3
	v_fmac_f64_e32 v[142:143], v[112:113], v[110:111]
	s_wait_dscnt 0x0
	s_delay_alu instid0(VALU_DEP_1)
	v_fmac_f64_e32 v[142:143], v[114:115], v[128:129]
	ds_load_2addr_b64 v[108:111], v2 offset0:99 offset1:100
	ds_load_2addr_b64 v[112:115], v2 offset0:101 offset1:102
	s_wait_loadcnt 0x2
	v_fmac_f64_e32 v[142:143], v[124:125], v[130:131]
	s_wait_dscnt 0x1
	s_delay_alu instid0(VALU_DEP_1) | instskip(SKIP_1) | instid1(VALU_DEP_1)
	v_fmac_f64_e32 v[142:143], v[126:127], v[108:109]
	s_wait_loadcnt 0x1
	v_fmac_f64_e32 v[142:143], v[116:117], v[110:111]
	s_wait_dscnt 0x0
	s_delay_alu instid0(VALU_DEP_1) | instskip(SKIP_1) | instid1(VALU_DEP_1)
	v_fmac_f64_e32 v[142:143], v[118:119], v[112:113]
	s_wait_loadcnt 0x0
	v_fmac_f64_e32 v[142:143], v[136:137], v[114:115]
	s_delay_alu instid0(VALU_DEP_1)
	v_add_f64_e64 v[2:3], v[106:107], -v[142:143]
	scratch_store_b64 off, v[2:3], off offset:16
	s_wait_xcnt 0x0
	v_cmpx_lt_u32_e32 1, v0
	s_cbranch_execz .LBB50_313
; %bb.312:
	scratch_load_b64 v[2:3], off, off offset:8
	v_mov_b64_e32 v[106:107], 0
	scratch_store_b64 off, v[106:107], off offset:8
	s_wait_loadcnt 0x0
	ds_store_b64 v1, v[2:3]
.LBB50_313:
	s_wait_xcnt 0x0
	s_or_b32 exec_lo, exec_lo, s0
	s_wait_storecnt_dscnt 0x0
	s_barrier_signal -1
	s_barrier_wait -1
	s_clause 0x5
	scratch_load_b128 v[108:111], off, off offset:8
	scratch_load_b128 v[112:115], off, off offset:24
	;; [unrolled: 1-line block ×6, first 2 shown]
	v_dual_mov_b32 v106, 0 :: v_dual_ashrrev_i32 v9, 31, v8
	ds_load_b128 v[132:135], v106 offset:432
	ds_load_b128 v[136:139], v106 offset:448
	scratch_load_b128 v[140:143], off, off offset:104
	v_dual_ashrrev_i32 v11, 31, v10 :: v_dual_ashrrev_i32 v13, 31, v12
	v_dual_ashrrev_i32 v15, 31, v14 :: v_dual_ashrrev_i32 v17, 31, v16
	;; [unrolled: 1-line block ×23, first 2 shown]
	v_ashrrev_i32_e32 v103, 31, v102
	s_mov_b32 s0, exec_lo
	v_ashrrev_i32_e32 v57, 31, v56
	s_wait_loadcnt_dscnt 0x601
	v_fma_f64 v[2:3], v[110:111], v[132:133], 0
	s_wait_loadcnt 0x5
	s_delay_alu instid0(VALU_DEP_1) | instskip(SKIP_4) | instid1(VALU_DEP_1)
	v_fmac_f64_e32 v[2:3], v[112:113], v[134:135]
	scratch_load_b128 v[110:113], off, off offset:120
	s_wait_dscnt 0x0
	v_fmac_f64_e32 v[2:3], v[114:115], v[136:137]
	s_wait_loadcnt 0x5
	v_fmac_f64_e32 v[2:3], v[116:117], v[138:139]
	ds_load_b128 v[114:117], v106 offset:464
	ds_load_b128 v[132:135], v106 offset:480
	scratch_load_b128 v[136:139], off, off offset:136
	s_wait_dscnt 0x1
	v_fmac_f64_e32 v[2:3], v[118:119], v[114:115]
	s_wait_loadcnt 0x5
	s_delay_alu instid0(VALU_DEP_1) | instskip(SKIP_4) | instid1(VALU_DEP_1)
	v_fmac_f64_e32 v[2:3], v[120:121], v[116:117]
	scratch_load_b128 v[114:117], off, off offset:152
	s_wait_dscnt 0x0
	v_fmac_f64_e32 v[2:3], v[122:123], v[132:133]
	s_wait_loadcnt 0x5
	v_fmac_f64_e32 v[2:3], v[124:125], v[134:135]
	ds_load_b128 v[118:121], v106 offset:496
	ds_load_b128 v[122:125], v106 offset:512
	scratch_load_b128 v[132:135], off, off offset:168
	s_wait_dscnt 0x1
	v_fmac_f64_e32 v[2:3], v[126:127], v[118:119]
	s_wait_loadcnt 0x5
	s_delay_alu instid0(VALU_DEP_1) | instskip(SKIP_4) | instid1(VALU_DEP_1)
	v_fmac_f64_e32 v[2:3], v[128:129], v[120:121]
	scratch_load_b128 v[118:121], off, off offset:184
	s_wait_dscnt 0x0
	v_fmac_f64_e32 v[2:3], v[130:131], v[122:123]
	s_wait_loadcnt 0x5
	v_fmac_f64_e32 v[2:3], v[140:141], v[124:125]
	ds_load_b128 v[122:125], v106 offset:528
	ds_load_b128 v[126:129], v106 offset:544
	s_wait_dscnt 0x1
	v_fmac_f64_e32 v[2:3], v[142:143], v[122:123]
	scratch_load_b128 v[140:143], off, off offset:200
	s_wait_loadcnt 0x5
	v_fmac_f64_e32 v[2:3], v[110:111], v[124:125]
	s_wait_dscnt 0x0
	s_delay_alu instid0(VALU_DEP_1)
	v_fmac_f64_e32 v[2:3], v[112:113], v[126:127]
	scratch_load_b128 v[110:113], off, off offset:216
	s_wait_loadcnt 0x5
	v_fmac_f64_e32 v[2:3], v[136:137], v[128:129]
	ds_load_b128 v[122:125], v106 offset:560
	ds_load_b128 v[126:129], v106 offset:576
	s_wait_dscnt 0x1
	v_fmac_f64_e32 v[2:3], v[138:139], v[122:123]
	scratch_load_b128 v[136:139], off, off offset:232
	s_wait_loadcnt 0x5
	v_fmac_f64_e32 v[2:3], v[114:115], v[124:125]
	s_wait_dscnt 0x0
	s_delay_alu instid0(VALU_DEP_1)
	v_fmac_f64_e32 v[2:3], v[116:117], v[126:127]
	scratch_load_b128 v[114:117], off, off offset:248
	s_wait_loadcnt 0x5
	v_fmac_f64_e32 v[2:3], v[132:133], v[128:129]
	ds_load_b128 v[122:125], v106 offset:592
	ds_load_b128 v[126:129], v106 offset:608
	scratch_load_b128 v[130:133], off, off offset:264
	s_wait_dscnt 0x1
	v_fmac_f64_e32 v[2:3], v[134:135], v[122:123]
	s_wait_loadcnt 0x5
	s_delay_alu instid0(VALU_DEP_1) | instskip(SKIP_1) | instid1(VALU_DEP_1)
	v_fmac_f64_e32 v[2:3], v[118:119], v[124:125]
	s_wait_dscnt 0x0
	v_fmac_f64_e32 v[2:3], v[120:121], v[126:127]
	scratch_load_b128 v[118:121], off, off offset:280
	s_wait_loadcnt 0x5
	v_fmac_f64_e32 v[2:3], v[140:141], v[128:129]
	ds_load_b128 v[122:125], v106 offset:624
	ds_load_b128 v[126:129], v106 offset:640
	s_wait_dscnt 0x1
	v_fmac_f64_e32 v[2:3], v[142:143], v[122:123]
	scratch_load_b128 v[140:143], off, off offset:296
	s_wait_loadcnt 0x5
	v_fmac_f64_e32 v[2:3], v[110:111], v[124:125]
	s_wait_dscnt 0x0
	s_delay_alu instid0(VALU_DEP_1)
	v_fmac_f64_e32 v[2:3], v[112:113], v[126:127]
	scratch_load_b128 v[110:113], off, off offset:312
	s_wait_loadcnt 0x5
	v_fmac_f64_e32 v[2:3], v[136:137], v[128:129]
	ds_load_b128 v[122:125], v106 offset:656
	ds_load_b128 v[126:129], v106 offset:672
	s_wait_dscnt 0x1
	v_fmac_f64_e32 v[2:3], v[138:139], v[122:123]
	s_wait_loadcnt 0x4
	s_delay_alu instid0(VALU_DEP_1)
	v_fmac_f64_e32 v[2:3], v[114:115], v[124:125]
	scratch_load_b128 v[122:125], off, off offset:328
	s_wait_dscnt 0x0
	v_fmac_f64_e32 v[2:3], v[116:117], v[126:127]
	scratch_load_b128 v[114:117], off, off offset:344
	s_wait_loadcnt 0x5
	v_fmac_f64_e32 v[2:3], v[130:131], v[128:129]
	ds_load_b128 v[126:129], v106 offset:688
	ds_load_b128 v[134:137], v106 offset:704
	s_wait_dscnt 0x1
	v_fmac_f64_e32 v[2:3], v[132:133], v[126:127]
	s_wait_loadcnt 0x4
	s_delay_alu instid0(VALU_DEP_1)
	v_fmac_f64_e32 v[2:3], v[118:119], v[128:129]
	scratch_load_b128 v[126:129], off, off offset:360
	s_wait_dscnt 0x0
	v_fmac_f64_e32 v[2:3], v[120:121], v[134:135]
	scratch_load_b128 v[118:121], off, off offset:376
	s_wait_loadcnt 0x5
	v_fmac_f64_e32 v[2:3], v[140:141], v[136:137]
	ds_load_b128 v[130:133], v106 offset:720
	ds_load_b128 v[134:137], v106 offset:736
	s_wait_dscnt 0x1
	v_fmac_f64_e32 v[2:3], v[142:143], v[130:131]
	s_wait_loadcnt 0x4
	s_delay_alu instid0(VALU_DEP_1) | instskip(SKIP_4) | instid1(VALU_DEP_1)
	v_fmac_f64_e32 v[2:3], v[110:111], v[132:133]
	scratch_load_b128 v[130:133], off, off offset:392
	s_wait_dscnt 0x0
	v_fmac_f64_e32 v[2:3], v[112:113], v[134:135]
	s_wait_loadcnt 0x4
	v_fmac_f64_e32 v[2:3], v[122:123], v[136:137]
	ds_load_b128 v[110:113], v106 offset:752
	ds_load_b128 v[134:137], v106 offset:768
	s_wait_dscnt 0x1
	v_fmac_f64_e32 v[2:3], v[124:125], v[110:111]
	s_wait_loadcnt 0x3
	s_delay_alu instid0(VALU_DEP_1) | instskip(SKIP_1) | instid1(VALU_DEP_1)
	v_fmac_f64_e32 v[2:3], v[114:115], v[112:113]
	s_wait_dscnt 0x0
	v_fmac_f64_e32 v[2:3], v[116:117], v[134:135]
	ds_load_b128 v[110:113], v106 offset:784
	ds_load_b128 v[114:117], v106 offset:800
	s_wait_loadcnt 0x2
	v_fmac_f64_e32 v[2:3], v[126:127], v[136:137]
	s_wait_dscnt 0x1
	s_delay_alu instid0(VALU_DEP_1) | instskip(SKIP_4) | instid1(VALU_DEP_1)
	v_fmac_f64_e32 v[2:3], v[128:129], v[110:111]
	ds_load_b64 v[110:111], v106 offset:816
	s_wait_loadcnt 0x1
	v_fmac_f64_e32 v[2:3], v[118:119], v[112:113]
	s_wait_dscnt 0x1
	v_fmac_f64_e32 v[2:3], v[120:121], v[114:115]
	s_wait_loadcnt 0x0
	s_delay_alu instid0(VALU_DEP_1) | instskip(SKIP_1) | instid1(VALU_DEP_1)
	v_fmac_f64_e32 v[2:3], v[130:131], v[116:117]
	s_wait_dscnt 0x0
	v_fmac_f64_e32 v[2:3], v[132:133], v[110:111]
	s_delay_alu instid0(VALU_DEP_1)
	v_add_f64_e64 v[2:3], v[108:109], -v[2:3]
	scratch_store_b64 off, v[2:3], off offset:8
	s_wait_xcnt 0x0
	v_cmpx_ne_u32_e32 0, v0
	s_cbranch_execz .LBB50_315
; %bb.314:
	scratch_load_b64 v[2:3], off, off
	v_mov_b64_e32 v[108:109], 0
	scratch_store_b64 off, v[108:109], off
	s_wait_loadcnt 0x0
	ds_store_b64 v1, v[2:3]
.LBB50_315:
	s_wait_xcnt 0x0
	s_or_b32 exec_lo, exec_lo, s0
	s_wait_storecnt_dscnt 0x0
	s_barrier_signal -1
	s_barrier_wait -1
	s_clause 0x5
	scratch_load_b128 v[108:111], off, off
	scratch_load_b128 v[0:3], off, off offset:16
	scratch_load_b128 v[112:115], off, off offset:32
	;; [unrolled: 1-line block ×5, first 2 shown]
	ds_load_2addr_b64 v[128:131], v106 offset0:53 offset1:54
	scratch_load_b128 v[132:135], off, off offset:96
	s_and_b32 vcc_lo, exec_lo, s18
	s_wait_loadcnt_dscnt 0x600
	v_fma_f64 v[138:139], v[110:111], v[128:129], 0
	s_wait_loadcnt 0x5
	s_delay_alu instid0(VALU_DEP_1)
	v_fmac_f64_e32 v[138:139], v[0:1], v[130:131]
	ds_load_2addr_b64 v[128:131], v106 offset0:55 offset1:56
	s_wait_dscnt 0x0
	v_fmac_f64_e32 v[138:139], v[2:3], v[128:129]
	scratch_load_b128 v[0:3], off, off offset:112
	s_wait_loadcnt 0x5
	v_fmac_f64_e32 v[138:139], v[112:113], v[130:131]
	ds_load_2addr_b64 v[110:113], v106 offset0:57 offset1:58
	scratch_load_b128 v[128:131], off, off offset:128
	s_wait_dscnt 0x0
	v_fmac_f64_e32 v[138:139], v[114:115], v[110:111]
	s_wait_loadcnt 0x5
	s_delay_alu instid0(VALU_DEP_1)
	v_fmac_f64_e32 v[138:139], v[116:117], v[112:113]
	ds_load_2addr_b64 v[110:113], v106 offset0:59 offset1:60
	scratch_load_b128 v[114:117], off, off offset:144
	s_wait_dscnt 0x0
	v_fmac_f64_e32 v[138:139], v[118:119], v[110:111]
	s_wait_loadcnt 0x5
	s_delay_alu instid0(VALU_DEP_1)
	;; [unrolled: 7-line block ×4, first 2 shown]
	v_fmac_f64_e32 v[138:139], v[132:133], v[112:113]
	ds_load_2addr_b64 v[110:113], v106 offset0:65 offset1:66
	s_wait_dscnt 0x0
	v_fmac_f64_e32 v[138:139], v[134:135], v[110:111]
	scratch_load_b128 v[132:135], off, off offset:192
	s_wait_loadcnt 0x5
	v_fmac_f64_e32 v[138:139], v[0:1], v[112:113]
	ds_load_2addr_b64 v[110:113], v106 offset0:67 offset1:68
	s_wait_dscnt 0x0
	v_fmac_f64_e32 v[138:139], v[2:3], v[110:111]
	scratch_load_b128 v[0:3], off, off offset:208
	s_wait_loadcnt 0x5
	v_fmac_f64_e32 v[138:139], v[128:129], v[112:113]
	ds_load_2addr_b64 v[110:113], v106 offset0:69 offset1:70
	scratch_load_b128 v[126:129], off, off offset:224
	s_wait_dscnt 0x0
	v_fmac_f64_e32 v[138:139], v[130:131], v[110:111]
	s_wait_loadcnt 0x5
	s_delay_alu instid0(VALU_DEP_1)
	v_fmac_f64_e32 v[138:139], v[114:115], v[112:113]
	ds_load_2addr_b64 v[110:113], v106 offset0:71 offset1:72
	s_wait_dscnt 0x0
	v_fmac_f64_e32 v[138:139], v[116:117], v[110:111]
	scratch_load_b128 v[114:117], off, off offset:240
	s_wait_loadcnt 0x5
	v_fmac_f64_e32 v[138:139], v[118:119], v[112:113]
	ds_load_2addr_b64 v[110:113], v106 offset0:73 offset1:74
	s_wait_dscnt 0x0
	v_fmac_f64_e32 v[138:139], v[120:121], v[110:111]
	scratch_load_b128 v[118:121], off, off offset:256
	s_wait_loadcnt 0x5
	;; [unrolled: 6-line block ×3, first 2 shown]
	v_fmac_f64_e32 v[138:139], v[132:133], v[112:113]
	ds_load_2addr_b64 v[110:113], v106 offset0:77 offset1:78
	scratch_load_b128 v[130:133], off, off offset:288
	s_wait_dscnt 0x0
	v_fmac_f64_e32 v[138:139], v[134:135], v[110:111]
	scratch_load_b128 v[134:137], off, off offset:304
	s_wait_loadcnt 0x6
	v_fmac_f64_e32 v[138:139], v[0:1], v[112:113]
	ds_load_2addr_b64 v[110:113], v106 offset0:79 offset1:80
	s_wait_dscnt 0x0
	v_fmac_f64_e32 v[138:139], v[2:3], v[110:111]
	ds_load_2addr_b64 v[0:3], v106 offset0:81 offset1:82
	s_wait_loadcnt 0x5
	v_fmac_f64_e32 v[138:139], v[126:127], v[112:113]
	scratch_load_b128 v[110:113], off, off offset:320
	s_wait_dscnt 0x0
	v_fmac_f64_e32 v[138:139], v[128:129], v[0:1]
	ds_load_2addr_b64 v[126:129], v106 offset0:89 offset1:90
	s_wait_loadcnt 0x5
	v_fmac_f64_e32 v[138:139], v[114:115], v[2:3]
	ds_load_2addr_b64 v[0:3], v106 offset0:83 offset1:84
	s_wait_dscnt 0x0
	v_fmac_f64_e32 v[138:139], v[116:117], v[0:1]
	scratch_load_b128 v[114:117], off, off offset:336
	s_wait_loadcnt 0x5
	v_fmac_f64_e32 v[138:139], v[118:119], v[2:3]
	ds_load_2addr_b64 v[0:3], v106 offset0:85 offset1:86
	s_wait_dscnt 0x0
	v_fmac_f64_e32 v[138:139], v[120:121], v[0:1]
	scratch_load_b128 v[118:121], off, off offset:352
	;; [unrolled: 6-line block ×3, first 2 shown]
	s_wait_loadcnt 0x5
	v_fmac_f64_e32 v[138:139], v[130:131], v[2:3]
	s_clause 0x1
	scratch_load_b128 v[0:3], off, off offset:384
	scratch_load_b64 v[130:131], off, off offset:400
	v_fmac_f64_e32 v[138:139], v[132:133], v[126:127]
	s_wait_loadcnt 0x6
	s_delay_alu instid0(VALU_DEP_1) | instskip(SKIP_4) | instid1(VALU_DEP_1)
	v_fmac_f64_e32 v[138:139], v[134:135], v[128:129]
	ds_load_2addr_b64 v[126:129], v106 offset0:91 offset1:92
	s_wait_dscnt 0x0
	v_fmac_f64_e32 v[138:139], v[136:137], v[126:127]
	s_wait_loadcnt 0x5
	v_fmac_f64_e32 v[138:139], v[110:111], v[128:129]
	ds_load_2addr_b64 v[126:129], v106 offset0:93 offset1:94
	s_wait_dscnt 0x0
	v_fmac_f64_e32 v[138:139], v[112:113], v[126:127]
	ds_load_2addr_b64 v[110:113], v106 offset0:95 offset1:96
	s_wait_loadcnt 0x4
	v_fmac_f64_e32 v[138:139], v[114:115], v[128:129]
	s_wait_dscnt 0x0
	s_delay_alu instid0(VALU_DEP_1) | instskip(SKIP_1) | instid1(VALU_DEP_1)
	v_fmac_f64_e32 v[138:139], v[116:117], v[110:111]
	s_wait_loadcnt 0x3
	v_fmac_f64_e32 v[138:139], v[118:119], v[112:113]
	ds_load_2addr_b64 v[110:113], v106 offset0:97 offset1:98
	s_wait_dscnt 0x0
	v_fmac_f64_e32 v[138:139], v[120:121], v[110:111]
	s_wait_loadcnt 0x2
	s_delay_alu instid0(VALU_DEP_1) | instskip(SKIP_4) | instid1(VALU_DEP_1)
	v_fmac_f64_e32 v[138:139], v[122:123], v[112:113]
	ds_load_2addr_b64 v[110:113], v106 offset0:99 offset1:100
	s_wait_dscnt 0x0
	v_fmac_f64_e32 v[138:139], v[124:125], v[110:111]
	s_wait_loadcnt 0x1
	v_fmac_f64_e32 v[138:139], v[0:1], v[112:113]
	ds_load_2addr_b64 v[110:113], v106 offset0:101 offset1:102
	s_wait_dscnt 0x0
	v_fmac_f64_e32 v[138:139], v[2:3], v[110:111]
	s_wait_loadcnt 0x0
	s_delay_alu instid0(VALU_DEP_1) | instskip(NEXT) | instid1(VALU_DEP_1)
	v_fmac_f64_e32 v[138:139], v[130:131], v[112:113]
	v_add_f64_e64 v[134:135], v[108:109], -v[138:139]
	scratch_store_b64 off, v[134:135], off
	s_cbranch_vccz .LBB50_416
; %bb.316:
	v_mov_b32_e32 v0, 0
	global_load_b32 v1, v0, s[2:3] offset:196
	s_wait_loadcnt 0x0
	v_cmp_ne_u32_e32 vcc_lo, 50, v1
	s_cbranch_vccz .LBB50_318
; %bb.317:
	v_lshlrev_b32_e32 v1, 3, v1
	scratch_load_b64 v[106:107], v1, off offset:-8
	s_wait_loadcnt 0x0
	scratch_store_b64 off, v[106:107], off offset:392
	scratch_store_b64 v1, v[2:3], off offset:-8
.LBB50_318:
	global_load_b32 v0, v0, s[2:3] offset:192
	s_wait_loadcnt 0x0
	v_cmp_eq_u32_e32 vcc_lo, 49, v0
	s_cbranch_vccnz .LBB50_320
; %bb.319:
	s_wait_xcnt 0x0
	v_lshlrev_b32_e32 v0, 3, v0
	s_delay_alu instid0(VALU_DEP_1)
	v_mov_b32_e32 v106, v0
	scratch_load_b64 v[0:1], v106, off offset:-8
	scratch_load_b64 v[2:3], off, off offset:384
	s_wait_loadcnt 0x1
	scratch_store_b64 off, v[0:1], off offset:384
	s_wait_loadcnt 0x0
	scratch_store_b64 v106, v[2:3], off offset:-8
.LBB50_320:
	s_wait_xcnt 0x0
	v_mov_b32_e32 v0, 0
	global_load_b32 v1, v0, s[2:3] offset:188
	s_wait_loadcnt 0x0
	v_cmp_eq_u32_e32 vcc_lo, 48, v1
	s_cbranch_vccnz .LBB50_322
; %bb.321:
	v_lshlrev_b32_e32 v1, 3, v1
	scratch_load_b64 v[2:3], v1, off offset:-8
	scratch_load_b64 v[106:107], off, off offset:376
	s_wait_loadcnt 0x1
	scratch_store_b64 off, v[2:3], off offset:376
	s_wait_loadcnt 0x0
	scratch_store_b64 v1, v[106:107], off offset:-8
.LBB50_322:
	global_load_b32 v0, v0, s[2:3] offset:184
	s_wait_loadcnt 0x0
	v_cmp_eq_u32_e32 vcc_lo, 47, v0
	s_cbranch_vccnz .LBB50_324
; %bb.323:
	s_wait_xcnt 0x0
	v_lshlrev_b32_e32 v0, 3, v0
	s_delay_alu instid0(VALU_DEP_1)
	v_mov_b32_e32 v106, v0
	scratch_load_b64 v[0:1], v106, off offset:-8
	scratch_load_b64 v[2:3], off, off offset:368
	s_wait_loadcnt 0x1
	scratch_store_b64 off, v[0:1], off offset:368
	s_wait_loadcnt 0x0
	scratch_store_b64 v106, v[2:3], off offset:-8
.LBB50_324:
	s_wait_xcnt 0x0
	v_mov_b32_e32 v0, 0
	global_load_b32 v1, v0, s[2:3] offset:180
	s_wait_loadcnt 0x0
	v_cmp_eq_u32_e32 vcc_lo, 46, v1
	s_cbranch_vccnz .LBB50_326
; %bb.325:
	v_lshlrev_b32_e32 v1, 3, v1
	scratch_load_b64 v[2:3], v1, off offset:-8
	scratch_load_b64 v[106:107], off, off offset:360
	s_wait_loadcnt 0x1
	scratch_store_b64 off, v[2:3], off offset:360
	s_wait_loadcnt 0x0
	scratch_store_b64 v1, v[106:107], off offset:-8
.LBB50_326:
	;; [unrolled: 31-line block ×24, first 2 shown]
	global_load_b32 v0, v0, s[2:3]
	scratch_load_b64 v[134:135], off, off
	s_wait_loadcnt 0x1
	v_cmp_eq_u32_e32 vcc_lo, 1, v0
	s_cbranch_vccnz .LBB50_416
; %bb.415:
	s_wait_xcnt 0x1
	v_lshlrev_b32_e32 v0, 3, v0
	s_delay_alu instid0(VALU_DEP_1)
	v_mov_b32_e32 v2, v0
	scratch_load_b64 v[0:1], v2, off offset:-8
	s_wait_loadcnt 0x0
	scratch_store_b64 off, v[0:1], off
	scratch_store_b64 v2, v[134:135], off offset:-8
	scratch_load_b64 v[134:135], off, off
.LBB50_416:
	v_lshl_add_u64 v[136:137], v[8:9], 3, s[4:5]
	v_lshl_add_u64 v[130:131], v[10:11], 3, s[4:5]
	;; [unrolled: 1-line block ×47, first 2 shown]
	s_wait_xcnt 0x1
	v_lshl_add_u64 v[0:1], v[102:103], 3, s[4:5]
	s_clause 0x7
	scratch_load_b128 v[72:75], off, off offset:8
	scratch_load_b128 v[76:79], off, off offset:24
	;; [unrolled: 1-line block ×8, first 2 shown]
	s_wait_loadcnt 0x8
	global_store_b64 v[6:7], v[134:135], off
	s_clause 0x1
	scratch_load_b128 v[138:141], off, off offset:136
	scratch_load_b128 v[142:145], off, off offset:152
	v_lshl_add_u64 v[2:3], v[104:105], 3, s[4:5]
	s_wait_loadcnt 0x9
	s_clause 0x1
	global_store_b64 v[4:5], v[72:73], off
	global_store_b64 v[136:137], v[74:75], off
	s_clause 0x1
	scratch_load_b128 v[4:7], off, off offset:168
	scratch_load_b128 v[72:75], off, off offset:184
	s_wait_loadcnt 0xa
	s_clause 0x1
	global_store_b64 v[130:131], v[76:77], off
	global_store_b64 v[132:133], v[78:79], off
	s_clause 0x1
	scratch_load_b128 v[76:79], off, off offset:200
	scratch_load_b128 v[130:133], off, off offset:216
	;; [unrolled: 7-line block ×7, first 2 shown]
	s_wait_loadcnt 0x10
	s_clause 0x1
	global_store_b64 v[106:107], v[100:101], off
	global_store_b64 v[108:109], v[102:103], off
	scratch_load_b128 v[100:103], off, off offset:392
	s_wait_loadcnt 0x10
	s_clause 0x1
	global_store_b64 v[8:9], v[138:139], off
	global_store_b64 v[10:11], v[140:141], off
	s_wait_loadcnt 0xf
	s_clause 0x1
	global_store_b64 v[12:13], v[142:143], off
	global_store_b64 v[14:15], v[144:145], off
	;; [unrolled: 4-line block ×17, first 2 shown]
	s_sendmsg sendmsg(MSG_DEALLOC_VGPRS)
	s_endpgm
	.section	.rodata,"a",@progbits
	.p2align	6, 0x0
	.amdhsa_kernel _ZN9rocsolver6v33100L18getri_kernel_smallILi51EdPdEEvT1_iilPiilS4_bb
		.amdhsa_group_segment_fixed_size 824
		.amdhsa_private_segment_fixed_size 416
		.amdhsa_kernarg_size 60
		.amdhsa_user_sgpr_count 2
		.amdhsa_user_sgpr_dispatch_ptr 0
		.amdhsa_user_sgpr_queue_ptr 0
		.amdhsa_user_sgpr_kernarg_segment_ptr 1
		.amdhsa_user_sgpr_dispatch_id 0
		.amdhsa_user_sgpr_kernarg_preload_length 0
		.amdhsa_user_sgpr_kernarg_preload_offset 0
		.amdhsa_user_sgpr_private_segment_size 0
		.amdhsa_wavefront_size32 1
		.amdhsa_uses_dynamic_stack 0
		.amdhsa_enable_private_segment 1
		.amdhsa_system_sgpr_workgroup_id_x 1
		.amdhsa_system_sgpr_workgroup_id_y 0
		.amdhsa_system_sgpr_workgroup_id_z 0
		.amdhsa_system_sgpr_workgroup_info 0
		.amdhsa_system_vgpr_workitem_id 0
		.amdhsa_next_free_vgpr 148
		.amdhsa_next_free_sgpr 19
		.amdhsa_named_barrier_count 0
		.amdhsa_reserve_vcc 1
		.amdhsa_float_round_mode_32 0
		.amdhsa_float_round_mode_16_64 0
		.amdhsa_float_denorm_mode_32 3
		.amdhsa_float_denorm_mode_16_64 3
		.amdhsa_fp16_overflow 0
		.amdhsa_memory_ordered 1
		.amdhsa_forward_progress 1
		.amdhsa_inst_pref_size 255
		.amdhsa_round_robin_scheduling 0
		.amdhsa_exception_fp_ieee_invalid_op 0
		.amdhsa_exception_fp_denorm_src 0
		.amdhsa_exception_fp_ieee_div_zero 0
		.amdhsa_exception_fp_ieee_overflow 0
		.amdhsa_exception_fp_ieee_underflow 0
		.amdhsa_exception_fp_ieee_inexact 0
		.amdhsa_exception_int_div_zero 0
	.end_amdhsa_kernel
	.section	.text._ZN9rocsolver6v33100L18getri_kernel_smallILi51EdPdEEvT1_iilPiilS4_bb,"axG",@progbits,_ZN9rocsolver6v33100L18getri_kernel_smallILi51EdPdEEvT1_iilPiilS4_bb,comdat
.Lfunc_end50:
	.size	_ZN9rocsolver6v33100L18getri_kernel_smallILi51EdPdEEvT1_iilPiilS4_bb, .Lfunc_end50-_ZN9rocsolver6v33100L18getri_kernel_smallILi51EdPdEEvT1_iilPiilS4_bb
                                        ; -- End function
	.set _ZN9rocsolver6v33100L18getri_kernel_smallILi51EdPdEEvT1_iilPiilS4_bb.num_vgpr, 148
	.set _ZN9rocsolver6v33100L18getri_kernel_smallILi51EdPdEEvT1_iilPiilS4_bb.num_agpr, 0
	.set _ZN9rocsolver6v33100L18getri_kernel_smallILi51EdPdEEvT1_iilPiilS4_bb.numbered_sgpr, 19
	.set _ZN9rocsolver6v33100L18getri_kernel_smallILi51EdPdEEvT1_iilPiilS4_bb.num_named_barrier, 0
	.set _ZN9rocsolver6v33100L18getri_kernel_smallILi51EdPdEEvT1_iilPiilS4_bb.private_seg_size, 416
	.set _ZN9rocsolver6v33100L18getri_kernel_smallILi51EdPdEEvT1_iilPiilS4_bb.uses_vcc, 1
	.set _ZN9rocsolver6v33100L18getri_kernel_smallILi51EdPdEEvT1_iilPiilS4_bb.uses_flat_scratch, 1
	.set _ZN9rocsolver6v33100L18getri_kernel_smallILi51EdPdEEvT1_iilPiilS4_bb.has_dyn_sized_stack, 0
	.set _ZN9rocsolver6v33100L18getri_kernel_smallILi51EdPdEEvT1_iilPiilS4_bb.has_recursion, 0
	.set _ZN9rocsolver6v33100L18getri_kernel_smallILi51EdPdEEvT1_iilPiilS4_bb.has_indirect_call, 0
	.section	.AMDGPU.csdata,"",@progbits
; Kernel info:
; codeLenInByte = 49072
; TotalNumSgprs: 21
; NumVgprs: 148
; ScratchSize: 416
; MemoryBound: 0
; FloatMode: 240
; IeeeMode: 1
; LDSByteSize: 824 bytes/workgroup (compile time only)
; SGPRBlocks: 0
; VGPRBlocks: 9
; NumSGPRsForWavesPerEU: 21
; NumVGPRsForWavesPerEU: 148
; NamedBarCnt: 0
; Occupancy: 6
; WaveLimiterHint : 1
; COMPUTE_PGM_RSRC2:SCRATCH_EN: 1
; COMPUTE_PGM_RSRC2:USER_SGPR: 2
; COMPUTE_PGM_RSRC2:TRAP_HANDLER: 0
; COMPUTE_PGM_RSRC2:TGID_X_EN: 1
; COMPUTE_PGM_RSRC2:TGID_Y_EN: 0
; COMPUTE_PGM_RSRC2:TGID_Z_EN: 0
; COMPUTE_PGM_RSRC2:TIDIG_COMP_CNT: 0
	.section	.text._ZN9rocsolver6v33100L18getri_kernel_smallILi52EdPdEEvT1_iilPiilS4_bb,"axG",@progbits,_ZN9rocsolver6v33100L18getri_kernel_smallILi52EdPdEEvT1_iilPiilS4_bb,comdat
	.globl	_ZN9rocsolver6v33100L18getri_kernel_smallILi52EdPdEEvT1_iilPiilS4_bb ; -- Begin function _ZN9rocsolver6v33100L18getri_kernel_smallILi52EdPdEEvT1_iilPiilS4_bb
	.p2align	8
	.type	_ZN9rocsolver6v33100L18getri_kernel_smallILi52EdPdEEvT1_iilPiilS4_bb,@function
_ZN9rocsolver6v33100L18getri_kernel_smallILi52EdPdEEvT1_iilPiilS4_bb: ; @_ZN9rocsolver6v33100L18getri_kernel_smallILi52EdPdEEvT1_iilPiilS4_bb
; %bb.0:
	s_mov_b32 s2, exec_lo
	v_cmpx_gt_u32_e32 52, v0
	s_cbranch_execz .LBB51_218
; %bb.1:
	s_clause 0x2
	s_load_b32 s2, s[0:1], 0x38
	s_load_b128 s[12:15], s[0:1], 0x10
	s_load_b128 s[4:7], s[0:1], 0x28
	s_getreg_b32 s9, hwreg(HW_REG_IB_STS2, 6, 4)
                                        ; implicit-def: $sgpr16_sgpr17
	s_wait_kmcnt 0x0
	s_bitcmp1_b32 s2, 8
	s_cselect_b32 s20, -1, 0
	s_bfe_u32 s3, ttmp6, 0x4000c
	s_and_b32 s8, ttmp6, 15
	s_add_co_i32 s3, s3, 1
	s_delay_alu instid0(SALU_CYCLE_1) | instskip(NEXT) | instid1(SALU_CYCLE_1)
	s_mul_i32 s3, ttmp9, s3
	s_add_co_i32 s8, s8, s3
	s_cmp_eq_u32 s9, 0
	s_cselect_b32 s18, ttmp9, s8
	s_bfe_u32 s2, s2, 0x10008
	s_ashr_i32 s19, s18, 31
	s_cmp_eq_u32 s2, 0
	s_cbranch_scc1 .LBB51_3
; %bb.2:
	s_load_b32 s2, s[0:1], 0x20
	s_mul_u64 s[4:5], s[4:5], s[18:19]
	s_delay_alu instid0(SALU_CYCLE_1) | instskip(NEXT) | instid1(SALU_CYCLE_1)
	s_lshl_b64 s[4:5], s[4:5], 2
	s_add_nc_u64 s[4:5], s[14:15], s[4:5]
	s_wait_kmcnt 0x0
	s_ashr_i32 s3, s2, 31
	s_delay_alu instid0(SALU_CYCLE_1) | instskip(NEXT) | instid1(SALU_CYCLE_1)
	s_lshl_b64 s[2:3], s[2:3], 2
	s_add_nc_u64 s[16:17], s[4:5], s[2:3]
.LBB51_3:
	s_clause 0x1
	s_load_b128 s[8:11], s[0:1], 0x0
	s_load_b32 s4, s[0:1], 0x38
	s_wait_xcnt 0x0
	s_mul_u64 s[0:1], s[12:13], s[18:19]
	v_dual_mov_b32 v3, 0 :: v_dual_lshlrev_b32 v2, 3, v0
	s_lshl_b64 s[0:1], s[0:1], 3
	s_wait_kmcnt 0x0
	s_ashr_i32 s3, s10, 31
	s_mov_b32 s2, s10
	s_add_nc_u64 s[0:1], s[8:9], s[0:1]
	s_lshl_b64 s[2:3], s[2:3], 3
	v_add3_u32 v8, s11, s11, v0
	s_add_nc_u64 s[2:3], s[0:1], s[2:3]
	s_ashr_i32 s1, s11, 31
	v_add_nc_u64_e32 v[4:5], s[2:3], v[2:3]
	s_mov_b32 s0, s11
	v_add_nc_u32_e32 v10, s11, v8
	s_bitcmp0_b32 s4, 0
	s_delay_alu instid0(VALU_DEP_1) | instskip(NEXT) | instid1(VALU_DEP_3)
	v_add_nc_u32_e32 v12, s11, v10
	v_lshl_add_u64 v[6:7], s[0:1], 3, v[4:5]
	s_mov_b32 s1, -1
	s_clause 0x1
	global_load_b64 v[74:75], v0, s[2:3] scale_offset
	global_load_b64 v[76:77], v[6:7], off
	v_add_nc_u32_e32 v14, s11, v12
	s_delay_alu instid0(VALU_DEP_1) | instskip(SKIP_4) | instid1(VALU_DEP_1)
	v_add_nc_u32_e32 v16, s11, v14
	s_clause 0x1
	global_load_b64 v[78:79], v8, s[2:3] scale_offset
	global_load_b64 v[80:81], v10, s[2:3] scale_offset
	v_add_nc_u32_e32 v18, s11, v16
	v_add_nc_u32_e32 v20, s11, v18
	s_clause 0x3
	global_load_b64 v[82:83], v12, s[2:3] scale_offset
	global_load_b64 v[84:85], v14, s[2:3] scale_offset
	;; [unrolled: 1-line block ×4, first 2 shown]
	v_add_nc_u32_e32 v22, s11, v20
	s_delay_alu instid0(VALU_DEP_1) | instskip(NEXT) | instid1(VALU_DEP_1)
	v_add_nc_u32_e32 v24, s11, v22
	v_add_nc_u32_e32 v26, s11, v24
	s_delay_alu instid0(VALU_DEP_1) | instskip(SKIP_4) | instid1(VALU_DEP_1)
	v_add_nc_u32_e32 v28, s11, v26
	s_clause 0x1
	global_load_b64 v[90:91], v20, s[2:3] scale_offset
	global_load_b64 v[92:93], v22, s[2:3] scale_offset
	v_add_nc_u32_e32 v30, s11, v28
	v_add_nc_u32_e32 v32, s11, v30
	s_clause 0x3
	global_load_b64 v[94:95], v24, s[2:3] scale_offset
	global_load_b64 v[96:97], v26, s[2:3] scale_offset
	;; [unrolled: 1-line block ×4, first 2 shown]
	v_add_nc_u32_e32 v34, s11, v32
	s_delay_alu instid0(VALU_DEP_1) | instskip(NEXT) | instid1(VALU_DEP_1)
	v_add_nc_u32_e32 v36, s11, v34
	v_add_nc_u32_e32 v38, s11, v36
	s_delay_alu instid0(VALU_DEP_1) | instskip(SKIP_4) | instid1(VALU_DEP_1)
	v_add_nc_u32_e32 v40, s11, v38
	s_clause 0x1
	global_load_b64 v[102:103], v32, s[2:3] scale_offset
	global_load_b64 v[104:105], v34, s[2:3] scale_offset
	v_add_nc_u32_e32 v42, s11, v40
	v_add_nc_u32_e32 v44, s11, v42
	s_clause 0x1
	global_load_b64 v[106:107], v36, s[2:3] scale_offset
	global_load_b64 v[108:109], v38, s[2:3] scale_offset
	v_add_nc_u32_e32 v46, s11, v44
	s_delay_alu instid0(VALU_DEP_1) | instskip(NEXT) | instid1(VALU_DEP_1)
	v_add_nc_u32_e32 v48, s11, v46
	v_add_nc_u32_e32 v50, s11, v48
	s_delay_alu instid0(VALU_DEP_1)
	v_add_nc_u32_e32 v52, s11, v50
	s_clause 0x3
	global_load_b64 v[110:111], v40, s[2:3] scale_offset
	global_load_b64 v[112:113], v42, s[2:3] scale_offset
	;; [unrolled: 1-line block ×4, first 2 shown]
	v_add_nc_u32_e32 v54, s11, v52
	s_delay_alu instid0(VALU_DEP_1)
	v_add_nc_u32_e32 v56, s11, v54
	s_clause 0x3
	global_load_b64 v[118:119], v48, s[2:3] scale_offset
	global_load_b64 v[120:121], v50, s[2:3] scale_offset
	;; [unrolled: 1-line block ×4, first 2 shown]
	v_add_nc_u32_e32 v58, s11, v56
	s_delay_alu instid0(VALU_DEP_1) | instskip(NEXT) | instid1(VALU_DEP_1)
	v_add_nc_u32_e32 v60, s11, v58
	v_add_nc_u32_e32 v62, s11, v60
	s_delay_alu instid0(VALU_DEP_1) | instskip(NEXT) | instid1(VALU_DEP_1)
	v_add_nc_u32_e32 v64, s11, v62
	v_add_nc_u32_e32 v66, s11, v64
	s_delay_alu instid0(VALU_DEP_1)
	v_add_nc_u32_e32 v68, s11, v66
	s_clause 0x3
	global_load_b64 v[126:127], v56, s[2:3] scale_offset
	global_load_b64 v[128:129], v58, s[2:3] scale_offset
	;; [unrolled: 1-line block ×4, first 2 shown]
	v_add_nc_u32_e32 v70, s11, v68
	s_delay_alu instid0(VALU_DEP_1) | instskip(SKIP_4) | instid1(VALU_DEP_1)
	v_add_nc_u32_e32 v72, s11, v70
	s_wait_loadcnt 0x1c
	scratch_store_b128 off, v[74:77], off
	s_wait_xcnt 0x0
	v_add_nc_u32_e32 v74, s11, v72
	v_add_nc_u32_e32 v76, s11, v74
	s_clause 0x3
	global_load_b64 v[134:135], v64, s[2:3] scale_offset
	global_load_b64 v[136:137], v66, s[2:3] scale_offset
	;; [unrolled: 1-line block ×4, first 2 shown]
	s_wait_loadcnt 0x1e
	scratch_store_b128 off, v[78:81], off offset:16
	s_wait_xcnt 0x0
	v_add_nc_u32_e32 v78, s11, v76
	s_delay_alu instid0(VALU_DEP_1)
	v_add_nc_u32_e32 v80, s11, v78
	s_clause 0x1
	global_load_b64 v[142:143], v72, s[2:3] scale_offset
	global_load_b64 v[144:145], v74, s[2:3] scale_offset
	s_wait_loadcnt 0x1e
	scratch_store_b128 off, v[82:85], off offset:32
	s_wait_loadcnt 0x1c
	scratch_store_b128 off, v[86:89], off offset:48
	s_wait_xcnt 0x1
	v_add_nc_u32_e32 v82, s11, v80
	s_delay_alu instid0(VALU_DEP_1) | instskip(SKIP_1) | instid1(VALU_DEP_1)
	v_add_nc_u32_e32 v84, s11, v82
	s_wait_xcnt 0x0
	v_add_nc_u32_e32 v86, s11, v84
	s_delay_alu instid0(VALU_DEP_1) | instskip(SKIP_4) | instid1(VALU_DEP_1)
	v_add_nc_u32_e32 v88, s11, v86
	s_wait_loadcnt 0x1a
	scratch_store_b128 off, v[90:93], off offset:64
	s_wait_xcnt 0x0
	v_add_nc_u32_e32 v90, s11, v88
	v_add_nc_u32_e32 v92, s11, v90
	s_wait_loadcnt 0x18
	scratch_store_b128 off, v[94:97], off offset:80
	s_wait_loadcnt 0x16
	scratch_store_b128 off, v[98:101], off offset:96
	s_wait_xcnt 0x1
	v_add_nc_u32_e32 v94, s11, v92
	s_delay_alu instid0(VALU_DEP_1) | instskip(SKIP_1) | instid1(VALU_DEP_1)
	v_add_nc_u32_e32 v96, s11, v94
	s_wait_xcnt 0x0
	v_add_nc_u32_e32 v98, s11, v96
	s_delay_alu instid0(VALU_DEP_1) | instskip(SKIP_4) | instid1(VALU_DEP_1)
	v_add_nc_u32_e32 v100, s11, v98
	s_wait_loadcnt 0x14
	scratch_store_b128 off, v[102:105], off offset:112
	s_wait_xcnt 0x0
	v_add_nc_u32_e32 v102, s11, v100
	v_add_nc_u32_e32 v104, s11, v102
	s_wait_loadcnt 0x12
	scratch_store_b128 off, v[106:109], off offset:128
	s_wait_xcnt 0x0
	v_add_nc_u32_e32 v106, s11, v104
	s_wait_loadcnt 0x10
	scratch_store_b128 off, v[110:113], off offset:144
	s_clause 0x1
	global_load_b64 v[108:109], v76, s[2:3] scale_offset
	global_load_b64 v[110:111], v78, s[2:3] scale_offset
	s_wait_loadcnt 0x10
	scratch_store_b128 off, v[114:117], off offset:160
	s_wait_loadcnt 0xe
	scratch_store_b128 off, v[118:121], off offset:176
	s_clause 0x3
	global_load_b64 v[112:113], v80, s[2:3] scale_offset
	global_load_b64 v[114:115], v82, s[2:3] scale_offset
	;; [unrolled: 1-line block ×4, first 2 shown]
	s_wait_loadcnt 0x10
	scratch_store_b128 off, v[122:125], off offset:192
	s_wait_loadcnt 0xe
	scratch_store_b128 off, v[126:129], off offset:208
	;; [unrolled: 2-line block ×3, first 2 shown]
	s_clause 0x3
	global_load_b64 v[120:121], v88, s[2:3] scale_offset
	global_load_b64 v[122:123], v90, s[2:3] scale_offset
	;; [unrolled: 1-line block ×4, first 2 shown]
	s_wait_loadcnt 0xe
	scratch_store_b128 off, v[134:137], off offset:240
	s_wait_loadcnt 0xc
	scratch_store_b128 off, v[138:141], off offset:256
	s_clause 0x3
	global_load_b64 v[128:129], v96, s[2:3] scale_offset
	global_load_b64 v[130:131], v98, s[2:3] scale_offset
	;; [unrolled: 1-line block ×4, first 2 shown]
	s_wait_loadcnt 0xe
	scratch_store_b128 off, v[142:145], off offset:272
	s_clause 0x1
	global_load_b64 v[136:137], v104, s[2:3] scale_offset
	global_load_b64 v[138:139], v106, s[2:3] scale_offset
	s_wait_loadcnt 0xe
	scratch_store_b128 off, v[108:111], off offset:288
	s_wait_loadcnt 0xc
	scratch_store_b128 off, v[112:115], off offset:304
	;; [unrolled: 2-line block ×8, first 2 shown]
	s_cbranch_scc1 .LBB51_216
; %bb.4:
	v_cmp_eq_u32_e64 s0, 0, v0
	s_wait_xcnt 0x0
	s_and_saveexec_b32 s1, s0
; %bb.5:
	v_mov_b32_e32 v1, 0
	ds_store_b32 v1, v1 offset:832
; %bb.6:
	s_or_b32 exec_lo, exec_lo, s1
	s_wait_storecnt_dscnt 0x0
	s_barrier_signal -1
	s_barrier_wait -1
	scratch_load_b64 v[108:109], v0, off scale_offset
	s_mov_b32 s4, exec_lo
	s_wait_loadcnt 0x0
	v_cmpx_eq_f64_e32 0, v[108:109]
	s_cbranch_execz .LBB51_10
; %bb.7:
	v_mov_b32_e32 v1, 0
	s_mov_b32 s5, 0
	ds_load_b32 v3, v1 offset:832
	s_wait_dscnt 0x0
	v_readfirstlane_b32 s1, v3
	v_add_nc_u32_e32 v3, 1, v0
	s_cmp_eq_u32 s1, 0
	s_delay_alu instid0(VALU_DEP_1) | instskip(SKIP_1) | instid1(SALU_CYCLE_1)
	v_cmp_gt_i32_e32 vcc_lo, s1, v3
	s_cselect_b32 s8, -1, 0
	s_or_b32 s8, s8, vcc_lo
	s_delay_alu instid0(SALU_CYCLE_1)
	s_and_b32 exec_lo, exec_lo, s8
	s_cbranch_execz .LBB51_10
; %bb.8:
	v_mov_b32_e32 v9, s1
.LBB51_9:                               ; =>This Inner Loop Header: Depth=1
	ds_cmpstore_rtn_b32 v9, v1, v3, v9 offset:832
	s_wait_dscnt 0x0
	v_cmp_ne_u32_e32 vcc_lo, 0, v9
	v_cmp_le_i32_e64 s1, v9, v3
	s_and_b32 s1, vcc_lo, s1
	s_delay_alu instid0(SALU_CYCLE_1) | instskip(NEXT) | instid1(SALU_CYCLE_1)
	s_and_b32 s1, exec_lo, s1
	s_or_b32 s5, s1, s5
	s_delay_alu instid0(SALU_CYCLE_1)
	s_and_not1_b32 exec_lo, exec_lo, s5
	s_cbranch_execnz .LBB51_9
.LBB51_10:
	s_or_b32 exec_lo, exec_lo, s4
	v_mov_b32_e32 v1, 0
	s_barrier_signal -1
	s_barrier_wait -1
	ds_load_b32 v3, v1 offset:832
	s_and_saveexec_b32 s1, s0
	s_cbranch_execz .LBB51_12
; %bb.11:
	s_lshl_b64 s[4:5], s[18:19], 2
	s_delay_alu instid0(SALU_CYCLE_1)
	s_add_nc_u64 s[4:5], s[6:7], s[4:5]
	s_wait_dscnt 0x0
	global_store_b32 v1, v3, s[4:5]
.LBB51_12:
	s_wait_xcnt 0x0
	s_or_b32 exec_lo, exec_lo, s1
	s_wait_dscnt 0x0
	v_cmp_ne_u32_e32 vcc_lo, 0, v3
	s_mov_b32 s1, 0
	s_cbranch_vccnz .LBB51_216
; %bb.13:
	v_lshl_add_u32 v3, v0, 3, 0
	v_add_nc_u32_e32 v1, 0x1a0, v2
	scratch_load_b64 v[108:109], v3, off
	s_wait_loadcnt 0x0
	v_div_scale_f64 v[110:111], null, v[108:109], v[108:109], 1.0
	v_div_scale_f64 v[116:117], vcc_lo, 1.0, v[108:109], 1.0
	s_delay_alu instid0(VALU_DEP_2) | instskip(SKIP_1) | instid1(TRANS32_DEP_1)
	v_rcp_f64_e32 v[112:113], v[110:111]
	v_nop
	v_fma_f64 v[114:115], -v[110:111], v[112:113], 1.0
	s_delay_alu instid0(VALU_DEP_1) | instskip(NEXT) | instid1(VALU_DEP_1)
	v_fmac_f64_e32 v[112:113], v[112:113], v[114:115]
	v_fma_f64 v[114:115], -v[110:111], v[112:113], 1.0
	s_delay_alu instid0(VALU_DEP_1) | instskip(NEXT) | instid1(VALU_DEP_1)
	v_fmac_f64_e32 v[112:113], v[112:113], v[114:115]
	v_mul_f64_e32 v[114:115], v[116:117], v[112:113]
	s_delay_alu instid0(VALU_DEP_1) | instskip(NEXT) | instid1(VALU_DEP_1)
	v_fma_f64 v[110:111], -v[110:111], v[114:115], v[116:117]
	v_div_fmas_f64 v[110:111], v[110:111], v[112:113], v[114:115]
	s_delay_alu instid0(VALU_DEP_1)
	v_div_fixup_f64 v[108:109], v[110:111], v[108:109], 1.0
	scratch_store_b64 v3, v[108:109], off
	scratch_load_b64 v[110:111], off, off offset:8
	s_wait_xcnt 0x1
	v_xor_b32_e32 v109, 0x80000000, v109
	s_wait_loadcnt 0x0
	ds_store_2addr_b64 v2, v[108:109], v[110:111] offset1:52
	s_wait_storecnt_dscnt 0x0
	s_barrier_signal -1
	s_barrier_wait -1
	s_wait_xcnt 0x0
	s_and_saveexec_b32 s1, s0
	s_cbranch_execz .LBB51_15
; %bb.14:
	scratch_load_b64 v[108:109], v3, off
	ds_load_b64 v[110:111], v1
	s_wait_loadcnt_dscnt 0x0
	v_fma_f64 v[108:109], v[108:109], v[110:111], 0
	v_mov_b32_e32 v9, 0
	ds_load_b64 v[112:113], v9 offset:8
	s_wait_dscnt 0x0
	v_mul_f64_e32 v[108:109], v[108:109], v[112:113]
	scratch_store_b64 off, v[108:109], off offset:8
.LBB51_15:
	s_wait_xcnt 0x0
	s_or_b32 exec_lo, exec_lo, s1
	s_wait_storecnt 0x0
	s_barrier_signal -1
	s_barrier_wait -1
	scratch_load_b64 v[108:109], off, off offset:16
	s_mov_b32 s1, exec_lo
	s_wait_loadcnt 0x0
	ds_store_b64 v1, v[108:109]
	s_wait_dscnt 0x0
	s_barrier_signal -1
	s_barrier_wait -1
	v_cmpx_gt_u32_e32 2, v0
	s_cbranch_execz .LBB51_19
; %bb.16:
	scratch_load_b64 v[108:109], v3, off
	ds_load_b64 v[110:111], v1
	s_wait_loadcnt_dscnt 0x0
	v_fma_f64 v[108:109], v[108:109], v[110:111], 0
	s_and_saveexec_b32 s4, s0
	s_cbranch_execz .LBB51_18
; %bb.17:
	scratch_load_b64 v[110:111], off, off offset:8
	v_mov_b32_e32 v3, 0
	ds_load_b64 v[112:113], v3 offset:424
	s_wait_loadcnt_dscnt 0x0
	v_fmac_f64_e32 v[108:109], v[110:111], v[112:113]
.LBB51_18:
	s_or_b32 exec_lo, exec_lo, s4
	v_mov_b32_e32 v3, 0
	ds_load_b64 v[110:111], v3 offset:16
	s_wait_dscnt 0x0
	v_mul_f64_e32 v[108:109], v[108:109], v[110:111]
	scratch_store_b64 off, v[108:109], off offset:16
.LBB51_19:
	s_wait_xcnt 0x0
	s_or_b32 exec_lo, exec_lo, s1
	s_wait_storecnt 0x0
	s_barrier_signal -1
	s_barrier_wait -1
	scratch_load_b64 v[108:109], off, off offset:24
	v_add_nc_u32_e32 v3, -1, v0
	s_mov_b32 s0, exec_lo
	s_wait_loadcnt 0x0
	ds_store_b64 v1, v[108:109]
	s_wait_dscnt 0x0
	s_barrier_signal -1
	s_barrier_wait -1
	v_cmpx_gt_u32_e32 3, v0
	s_cbranch_execz .LBB51_23
; %bb.20:
	v_mov_b64_e32 v[108:109], 0
	v_dual_add_nc_u32 v9, -1, v0 :: v_dual_mov_b32 v13, v2
	v_add_nc_u32_e32 v11, 0x1a0, v2
	s_mov_b32 s1, 0
.LBB51_21:                              ; =>This Inner Loop Header: Depth=1
	scratch_load_b64 v[110:111], v13, off
	ds_load_b64 v[112:113], v11
	v_dual_add_nc_u32 v9, 1, v9 :: v_dual_add_nc_u32 v11, 8, v11
	s_wait_xcnt 0x0
	v_add_nc_u32_e32 v13, 8, v13
	s_delay_alu instid0(VALU_DEP_2)
	v_cmp_lt_u32_e32 vcc_lo, 1, v9
	s_or_b32 s1, vcc_lo, s1
	s_wait_loadcnt_dscnt 0x0
	v_fmac_f64_e32 v[108:109], v[110:111], v[112:113]
	s_and_not1_b32 exec_lo, exec_lo, s1
	s_cbranch_execnz .LBB51_21
; %bb.22:
	s_or_b32 exec_lo, exec_lo, s1
	v_mov_b32_e32 v9, 0
	ds_load_b64 v[110:111], v9 offset:24
	s_wait_dscnt 0x0
	v_mul_f64_e32 v[108:109], v[108:109], v[110:111]
	scratch_store_b64 off, v[108:109], off offset:24
.LBB51_23:
	s_wait_xcnt 0x0
	s_or_b32 exec_lo, exec_lo, s0
	s_wait_storecnt 0x0
	s_barrier_signal -1
	s_barrier_wait -1
	scratch_load_b64 v[108:109], off, off offset:32
	s_mov_b32 s0, exec_lo
	s_wait_loadcnt 0x0
	ds_store_b64 v1, v[108:109]
	s_wait_dscnt 0x0
	s_barrier_signal -1
	s_barrier_wait -1
	v_cmpx_gt_u32_e32 4, v0
	s_cbranch_execz .LBB51_27
; %bb.24:
	v_mov_b64_e32 v[108:109], 0
	v_dual_add_nc_u32 v9, -1, v0 :: v_dual_mov_b32 v13, v2
	v_add_nc_u32_e32 v11, 0x1a0, v2
	s_mov_b32 s1, 0
.LBB51_25:                              ; =>This Inner Loop Header: Depth=1
	scratch_load_b64 v[110:111], v13, off
	ds_load_b64 v[112:113], v11
	v_dual_add_nc_u32 v9, 1, v9 :: v_dual_add_nc_u32 v11, 8, v11
	s_wait_xcnt 0x0
	v_add_nc_u32_e32 v13, 8, v13
	s_delay_alu instid0(VALU_DEP_2)
	v_cmp_lt_u32_e32 vcc_lo, 2, v9
	s_or_b32 s1, vcc_lo, s1
	s_wait_loadcnt_dscnt 0x0
	v_fmac_f64_e32 v[108:109], v[110:111], v[112:113]
	s_and_not1_b32 exec_lo, exec_lo, s1
	s_cbranch_execnz .LBB51_25
; %bb.26:
	s_or_b32 exec_lo, exec_lo, s1
	v_mov_b32_e32 v9, 0
	ds_load_b64 v[110:111], v9 offset:32
	s_wait_dscnt 0x0
	v_mul_f64_e32 v[108:109], v[108:109], v[110:111]
	scratch_store_b64 off, v[108:109], off offset:32
.LBB51_27:
	s_wait_xcnt 0x0
	s_or_b32 exec_lo, exec_lo, s0
	s_wait_storecnt 0x0
	s_barrier_signal -1
	s_barrier_wait -1
	scratch_load_b64 v[108:109], off, off offset:40
	;; [unrolled: 40-line block ×20, first 2 shown]
	s_mov_b32 s0, exec_lo
	s_wait_loadcnt 0x0
	ds_store_b64 v1, v[108:109]
	s_wait_dscnt 0x0
	s_barrier_signal -1
	s_barrier_wait -1
	v_cmpx_gt_u32_e32 23, v0
	s_cbranch_execz .LBB51_103
; %bb.100:
	v_mov_b64_e32 v[108:109], 0
	v_dual_add_nc_u32 v9, -1, v0 :: v_dual_mov_b32 v13, v2
	v_add_nc_u32_e32 v11, 0x1a0, v2
	s_mov_b32 s1, 0
.LBB51_101:                             ; =>This Inner Loop Header: Depth=1
	scratch_load_b64 v[110:111], v13, off
	ds_load_b64 v[112:113], v11
	v_dual_add_nc_u32 v9, 1, v9 :: v_dual_add_nc_u32 v11, 8, v11
	s_wait_xcnt 0x0
	v_add_nc_u32_e32 v13, 8, v13
	s_delay_alu instid0(VALU_DEP_2)
	v_cmp_lt_u32_e32 vcc_lo, 21, v9
	s_or_b32 s1, vcc_lo, s1
	s_wait_loadcnt_dscnt 0x0
	v_fmac_f64_e32 v[108:109], v[110:111], v[112:113]
	s_and_not1_b32 exec_lo, exec_lo, s1
	s_cbranch_execnz .LBB51_101
; %bb.102:
	s_or_b32 exec_lo, exec_lo, s1
	v_mov_b32_e32 v9, 0
	ds_load_b64 v[110:111], v9 offset:184
	s_wait_dscnt 0x0
	v_mul_f64_e32 v[108:109], v[108:109], v[110:111]
	scratch_store_b64 off, v[108:109], off offset:184
.LBB51_103:
	s_wait_xcnt 0x0
	s_or_b32 exec_lo, exec_lo, s0
	s_wait_storecnt 0x0
	s_barrier_signal -1
	s_barrier_wait -1
	scratch_load_b64 v[108:109], off, off offset:192
	s_mov_b32 s0, exec_lo
	s_wait_loadcnt 0x0
	ds_store_b64 v1, v[108:109]
	s_wait_dscnt 0x0
	s_barrier_signal -1
	s_barrier_wait -1
	v_cmpx_gt_u32_e32 24, v0
	s_cbranch_execz .LBB51_107
; %bb.104:
	v_mov_b64_e32 v[108:109], 0
	v_dual_add_nc_u32 v9, -1, v0 :: v_dual_mov_b32 v13, v2
	v_add_nc_u32_e32 v11, 0x1a0, v2
	s_mov_b32 s1, 0
.LBB51_105:                             ; =>This Inner Loop Header: Depth=1
	scratch_load_b64 v[110:111], v13, off
	ds_load_b64 v[112:113], v11
	v_dual_add_nc_u32 v9, 1, v9 :: v_dual_add_nc_u32 v11, 8, v11
	s_wait_xcnt 0x0
	v_add_nc_u32_e32 v13, 8, v13
	s_delay_alu instid0(VALU_DEP_2)
	v_cmp_lt_u32_e32 vcc_lo, 22, v9
	s_or_b32 s1, vcc_lo, s1
	s_wait_loadcnt_dscnt 0x0
	v_fmac_f64_e32 v[108:109], v[110:111], v[112:113]
	s_and_not1_b32 exec_lo, exec_lo, s1
	s_cbranch_execnz .LBB51_105
; %bb.106:
	s_or_b32 exec_lo, exec_lo, s1
	v_mov_b32_e32 v9, 0
	ds_load_b64 v[110:111], v9 offset:192
	s_wait_dscnt 0x0
	v_mul_f64_e32 v[108:109], v[108:109], v[110:111]
	scratch_store_b64 off, v[108:109], off offset:192
.LBB51_107:
	s_wait_xcnt 0x0
	s_or_b32 exec_lo, exec_lo, s0
	s_wait_storecnt 0x0
	s_barrier_signal -1
	s_barrier_wait -1
	scratch_load_b64 v[108:109], off, off offset:200
	;; [unrolled: 40-line block ×28, first 2 shown]
	s_mov_b32 s0, exec_lo
	s_wait_loadcnt 0x0
	ds_store_b64 v1, v[108:109]
	s_wait_dscnt 0x0
	s_barrier_signal -1
	s_barrier_wait -1
	v_cmpx_ne_u32_e32 51, v0
	s_cbranch_execz .LBB51_215
; %bb.212:
	v_mov_b64_e32 v[108:109], 0
	s_mov_b32 s1, 0
.LBB51_213:                             ; =>This Inner Loop Header: Depth=1
	scratch_load_b64 v[110:111], v2, off
	ds_load_b64 v[112:113], v1
	v_dual_add_nc_u32 v3, 1, v3 :: v_dual_add_nc_u32 v1, 8, v1
	s_wait_xcnt 0x0
	v_add_nc_u32_e32 v2, 8, v2
	s_delay_alu instid0(VALU_DEP_2)
	v_cmp_lt_u32_e32 vcc_lo, 49, v3
	s_or_b32 s1, vcc_lo, s1
	s_wait_loadcnt_dscnt 0x0
	v_fmac_f64_e32 v[108:109], v[110:111], v[112:113]
	s_and_not1_b32 exec_lo, exec_lo, s1
	s_cbranch_execnz .LBB51_213
; %bb.214:
	s_or_b32 exec_lo, exec_lo, s1
	v_mov_b32_e32 v1, 0
	ds_load_b64 v[2:3], v1 offset:408
	s_wait_dscnt 0x0
	v_mul_f64_e32 v[2:3], v[108:109], v[2:3]
	scratch_store_b64 off, v[2:3], off offset:408
.LBB51_215:
	s_wait_xcnt 0x0
	s_or_b32 exec_lo, exec_lo, s0
	s_mov_b32 s1, -1
	s_wait_storecnt 0x0
	s_barrier_signal -1
	s_barrier_wait -1
.LBB51_216:
	s_and_b32 vcc_lo, exec_lo, s1
	s_cbranch_vccz .LBB51_218
; %bb.217:
	v_mov_b32_e32 v1, 0
	s_lshl_b64 s[0:1], s[18:19], 2
	s_delay_alu instid0(SALU_CYCLE_1)
	s_add_nc_u64 s[0:1], s[6:7], s[0:1]
	global_load_b32 v1, v1, s[0:1]
	s_wait_loadcnt 0x0
	v_cmp_ne_u32_e32 vcc_lo, 0, v1
	s_cbranch_vccz .LBB51_219
.LBB51_218:
	s_sendmsg sendmsg(MSG_DEALLOC_VGPRS)
	s_endpgm
.LBB51_219:
	s_wait_xcnt 0x0
	v_lshl_add_u32 v1, v0, 3, 0x1a0
	s_mov_b32 s0, exec_lo
	v_cmpx_eq_u32_e32 51, v0
	s_cbranch_execz .LBB51_221
; %bb.220:
	scratch_load_b64 v[2:3], off, off offset:400
	v_mov_b64_e32 v[108:109], 0
	scratch_store_b64 off, v[108:109], off offset:400
	s_wait_loadcnt 0x0
	ds_store_b64 v1, v[2:3]
.LBB51_221:
	s_wait_xcnt 0x0
	s_or_b32 exec_lo, exec_lo, s0
	s_wait_storecnt_dscnt 0x0
	s_barrier_signal -1
	s_barrier_wait -1
	scratch_load_b128 v[108:111], off, off offset:400
	v_mov_b32_e32 v2, 0
	s_mov_b32 s0, exec_lo
	ds_load_b64 v[112:113], v2 offset:824
	s_wait_loadcnt_dscnt 0x0
	v_fma_f64 v[110:111], v[110:111], v[112:113], 0
	s_delay_alu instid0(VALU_DEP_1)
	v_add_f64_e64 v[108:109], v[108:109], -v[110:111]
	scratch_store_b64 off, v[108:109], off offset:400
	s_wait_xcnt 0x0
	v_cmpx_lt_u32_e32 49, v0
	s_cbranch_execz .LBB51_223
; %bb.222:
	scratch_load_b64 v[108:109], off, off offset:392
	v_mov_b64_e32 v[110:111], 0
	scratch_store_b64 off, v[110:111], off offset:392
	s_wait_loadcnt 0x0
	ds_store_b64 v1, v[108:109]
.LBB51_223:
	s_wait_xcnt 0x0
	s_or_b32 exec_lo, exec_lo, s0
	s_wait_storecnt_dscnt 0x0
	s_barrier_signal -1
	s_barrier_wait -1
	s_clause 0x1
	scratch_load_b128 v[108:111], off, off offset:392
	scratch_load_b64 v[116:117], off, off offset:408
	ds_load_b128 v[112:115], v2 offset:816
	s_mov_b32 s0, exec_lo
	s_wait_loadcnt_dscnt 0x100
	v_fma_f64 v[2:3], v[110:111], v[112:113], 0
	s_wait_loadcnt 0x0
	s_delay_alu instid0(VALU_DEP_1) | instskip(NEXT) | instid1(VALU_DEP_1)
	v_fmac_f64_e32 v[2:3], v[116:117], v[114:115]
	v_add_f64_e64 v[2:3], v[108:109], -v[2:3]
	scratch_store_b64 off, v[2:3], off offset:392
	s_wait_xcnt 0x0
	v_cmpx_lt_u32_e32 48, v0
	s_cbranch_execz .LBB51_225
; %bb.224:
	scratch_load_b64 v[2:3], off, off offset:384
	v_mov_b64_e32 v[108:109], 0
	scratch_store_b64 off, v[108:109], off offset:384
	s_wait_loadcnt 0x0
	ds_store_b64 v1, v[2:3]
.LBB51_225:
	s_wait_xcnt 0x0
	s_or_b32 exec_lo, exec_lo, s0
	s_wait_storecnt_dscnt 0x0
	s_barrier_signal -1
	s_barrier_wait -1
	s_clause 0x1
	scratch_load_b128 v[108:111], off, off offset:384
	scratch_load_b128 v[112:115], off, off offset:400
	v_mov_b32_e32 v2, 0
	ds_load_2addr_b64 v[116:119], v2 offset0:101 offset1:102
	ds_load_b64 v[120:121], v2 offset:824
	s_mov_b32 s0, exec_lo
	s_wait_loadcnt_dscnt 0x101
	v_fma_f64 v[110:111], v[110:111], v[116:117], 0
	s_wait_loadcnt 0x0
	s_delay_alu instid0(VALU_DEP_1) | instskip(SKIP_1) | instid1(VALU_DEP_1)
	v_fmac_f64_e32 v[110:111], v[112:113], v[118:119]
	s_wait_dscnt 0x0
	v_fmac_f64_e32 v[110:111], v[114:115], v[120:121]
	s_delay_alu instid0(VALU_DEP_1)
	v_add_f64_e64 v[108:109], v[108:109], -v[110:111]
	scratch_store_b64 off, v[108:109], off offset:384
	s_wait_xcnt 0x0
	v_cmpx_lt_u32_e32 47, v0
	s_cbranch_execz .LBB51_227
; %bb.226:
	scratch_load_b64 v[108:109], off, off offset:376
	v_mov_b64_e32 v[110:111], 0
	scratch_store_b64 off, v[110:111], off offset:376
	s_wait_loadcnt 0x0
	ds_store_b64 v1, v[108:109]
.LBB51_227:
	s_wait_xcnt 0x0
	s_or_b32 exec_lo, exec_lo, s0
	s_wait_storecnt_dscnt 0x0
	s_barrier_signal -1
	s_barrier_wait -1
	s_clause 0x2
	scratch_load_b128 v[108:111], off, off offset:376
	scratch_load_b128 v[112:115], off, off offset:392
	scratch_load_b64 v[124:125], off, off offset:408
	ds_load_b128 v[116:119], v2 offset:800
	ds_load_b128 v[120:123], v2 offset:816
	s_mov_b32 s0, exec_lo
	s_wait_loadcnt_dscnt 0x201
	v_fma_f64 v[2:3], v[110:111], v[116:117], 0
	s_wait_loadcnt 0x1
	s_delay_alu instid0(VALU_DEP_1) | instskip(SKIP_1) | instid1(VALU_DEP_1)
	v_fmac_f64_e32 v[2:3], v[112:113], v[118:119]
	s_wait_dscnt 0x0
	v_fmac_f64_e32 v[2:3], v[114:115], v[120:121]
	s_wait_loadcnt 0x0
	s_delay_alu instid0(VALU_DEP_1) | instskip(NEXT) | instid1(VALU_DEP_1)
	v_fmac_f64_e32 v[2:3], v[124:125], v[122:123]
	v_add_f64_e64 v[2:3], v[108:109], -v[2:3]
	scratch_store_b64 off, v[2:3], off offset:376
	s_wait_xcnt 0x0
	v_cmpx_lt_u32_e32 46, v0
	s_cbranch_execz .LBB51_229
; %bb.228:
	scratch_load_b64 v[2:3], off, off offset:368
	v_mov_b64_e32 v[108:109], 0
	scratch_store_b64 off, v[108:109], off offset:368
	s_wait_loadcnt 0x0
	ds_store_b64 v1, v[2:3]
.LBB51_229:
	s_wait_xcnt 0x0
	s_or_b32 exec_lo, exec_lo, s0
	s_wait_storecnt_dscnt 0x0
	s_barrier_signal -1
	s_barrier_wait -1
	s_clause 0x2
	scratch_load_b128 v[108:111], off, off offset:368
	scratch_load_b128 v[112:115], off, off offset:384
	;; [unrolled: 1-line block ×3, first 2 shown]
	v_mov_b32_e32 v2, 0
	ds_load_2addr_b64 v[120:123], v2 offset0:99 offset1:100
	ds_load_2addr_b64 v[124:127], v2 offset0:101 offset1:102
	s_mov_b32 s0, exec_lo
	s_wait_loadcnt_dscnt 0x201
	v_fma_f64 v[110:111], v[110:111], v[120:121], 0
	s_wait_loadcnt 0x1
	s_delay_alu instid0(VALU_DEP_1) | instskip(SKIP_4) | instid1(VALU_DEP_1)
	v_fmac_f64_e32 v[110:111], v[112:113], v[122:123]
	ds_load_b64 v[112:113], v2 offset:824
	s_wait_dscnt 0x1
	v_fmac_f64_e32 v[110:111], v[114:115], v[124:125]
	s_wait_loadcnt 0x0
	v_fmac_f64_e32 v[110:111], v[116:117], v[126:127]
	s_wait_dscnt 0x0
	s_delay_alu instid0(VALU_DEP_1) | instskip(NEXT) | instid1(VALU_DEP_1)
	v_fmac_f64_e32 v[110:111], v[118:119], v[112:113]
	v_add_f64_e64 v[108:109], v[108:109], -v[110:111]
	scratch_store_b64 off, v[108:109], off offset:368
	s_wait_xcnt 0x0
	v_cmpx_lt_u32_e32 45, v0
	s_cbranch_execz .LBB51_231
; %bb.230:
	scratch_load_b64 v[108:109], off, off offset:360
	v_mov_b64_e32 v[110:111], 0
	scratch_store_b64 off, v[110:111], off offset:360
	s_wait_loadcnt 0x0
	ds_store_b64 v1, v[108:109]
.LBB51_231:
	s_wait_xcnt 0x0
	s_or_b32 exec_lo, exec_lo, s0
	s_wait_storecnt_dscnt 0x0
	s_barrier_signal -1
	s_barrier_wait -1
	s_clause 0x3
	scratch_load_b128 v[108:111], off, off offset:360
	scratch_load_b128 v[112:115], off, off offset:376
	;; [unrolled: 1-line block ×3, first 2 shown]
	scratch_load_b64 v[128:129], off, off offset:408
	ds_load_b128 v[120:123], v2 offset:784
	ds_load_b128 v[124:127], v2 offset:800
	s_mov_b32 s0, exec_lo
	s_wait_loadcnt_dscnt 0x301
	v_fma_f64 v[120:121], v[110:111], v[120:121], 0
	s_wait_loadcnt 0x2
	s_delay_alu instid0(VALU_DEP_1) | instskip(SKIP_4) | instid1(VALU_DEP_1)
	v_fmac_f64_e32 v[120:121], v[112:113], v[122:123]
	ds_load_b128 v[110:113], v2 offset:816
	s_wait_dscnt 0x1
	v_fmac_f64_e32 v[120:121], v[114:115], v[124:125]
	s_wait_loadcnt 0x1
	v_fmac_f64_e32 v[120:121], v[116:117], v[126:127]
	s_wait_dscnt 0x0
	s_delay_alu instid0(VALU_DEP_1) | instskip(SKIP_1) | instid1(VALU_DEP_1)
	v_fmac_f64_e32 v[120:121], v[118:119], v[110:111]
	s_wait_loadcnt 0x0
	v_fmac_f64_e32 v[120:121], v[128:129], v[112:113]
	s_delay_alu instid0(VALU_DEP_1)
	v_add_f64_e64 v[2:3], v[108:109], -v[120:121]
	scratch_store_b64 off, v[2:3], off offset:360
	s_wait_xcnt 0x0
	v_cmpx_lt_u32_e32 44, v0
	s_cbranch_execz .LBB51_233
; %bb.232:
	scratch_load_b64 v[2:3], off, off offset:352
	v_mov_b64_e32 v[108:109], 0
	scratch_store_b64 off, v[108:109], off offset:352
	s_wait_loadcnt 0x0
	ds_store_b64 v1, v[2:3]
.LBB51_233:
	s_wait_xcnt 0x0
	s_or_b32 exec_lo, exec_lo, s0
	s_wait_storecnt_dscnt 0x0
	s_barrier_signal -1
	s_barrier_wait -1
	s_clause 0x3
	scratch_load_b128 v[108:111], off, off offset:352
	scratch_load_b128 v[112:115], off, off offset:368
	;; [unrolled: 1-line block ×4, first 2 shown]
	v_mov_b32_e32 v2, 0
	ds_load_2addr_b64 v[124:127], v2 offset0:97 offset1:98
	ds_load_2addr_b64 v[128:131], v2 offset0:99 offset1:100
	s_mov_b32 s0, exec_lo
	s_wait_loadcnt_dscnt 0x301
	v_fma_f64 v[124:125], v[110:111], v[124:125], 0
	s_wait_loadcnt 0x2
	s_delay_alu instid0(VALU_DEP_1) | instskip(SKIP_1) | instid1(VALU_DEP_1)
	v_fmac_f64_e32 v[124:125], v[112:113], v[126:127]
	s_wait_dscnt 0x0
	v_fmac_f64_e32 v[124:125], v[114:115], v[128:129]
	ds_load_2addr_b64 v[110:113], v2 offset0:101 offset1:102
	ds_load_b64 v[114:115], v2 offset:824
	s_wait_loadcnt 0x1
	v_fmac_f64_e32 v[124:125], v[116:117], v[130:131]
	s_wait_dscnt 0x1
	s_delay_alu instid0(VALU_DEP_1) | instskip(SKIP_1) | instid1(VALU_DEP_1)
	v_fmac_f64_e32 v[124:125], v[118:119], v[110:111]
	s_wait_loadcnt 0x0
	v_fmac_f64_e32 v[124:125], v[120:121], v[112:113]
	s_wait_dscnt 0x0
	s_delay_alu instid0(VALU_DEP_1) | instskip(NEXT) | instid1(VALU_DEP_1)
	v_fmac_f64_e32 v[124:125], v[122:123], v[114:115]
	v_add_f64_e64 v[108:109], v[108:109], -v[124:125]
	scratch_store_b64 off, v[108:109], off offset:352
	s_wait_xcnt 0x0
	v_cmpx_lt_u32_e32 43, v0
	s_cbranch_execz .LBB51_235
; %bb.234:
	scratch_load_b64 v[108:109], off, off offset:344
	v_mov_b64_e32 v[110:111], 0
	scratch_store_b64 off, v[110:111], off offset:344
	s_wait_loadcnt 0x0
	ds_store_b64 v1, v[108:109]
.LBB51_235:
	s_wait_xcnt 0x0
	s_or_b32 exec_lo, exec_lo, s0
	s_wait_storecnt_dscnt 0x0
	s_barrier_signal -1
	s_barrier_wait -1
	s_clause 0x4
	scratch_load_b128 v[108:111], off, off offset:344
	scratch_load_b128 v[112:115], off, off offset:360
	;; [unrolled: 1-line block ×4, first 2 shown]
	scratch_load_b64 v[132:133], off, off offset:408
	ds_load_b128 v[124:127], v2 offset:768
	ds_load_b128 v[128:131], v2 offset:784
	s_mov_b32 s0, exec_lo
	s_wait_loadcnt_dscnt 0x401
	v_fma_f64 v[124:125], v[110:111], v[124:125], 0
	s_wait_loadcnt 0x3
	s_delay_alu instid0(VALU_DEP_1) | instskip(SKIP_1) | instid1(VALU_DEP_1)
	v_fmac_f64_e32 v[124:125], v[112:113], v[126:127]
	s_wait_dscnt 0x0
	v_fmac_f64_e32 v[124:125], v[114:115], v[128:129]
	s_wait_loadcnt 0x2
	s_delay_alu instid0(VALU_DEP_1)
	v_fmac_f64_e32 v[124:125], v[116:117], v[130:131]
	ds_load_b128 v[110:113], v2 offset:800
	ds_load_b128 v[114:117], v2 offset:816
	s_wait_dscnt 0x1
	v_fmac_f64_e32 v[124:125], v[118:119], v[110:111]
	s_wait_loadcnt 0x1
	s_delay_alu instid0(VALU_DEP_1) | instskip(SKIP_1) | instid1(VALU_DEP_1)
	v_fmac_f64_e32 v[124:125], v[120:121], v[112:113]
	s_wait_dscnt 0x0
	v_fmac_f64_e32 v[124:125], v[122:123], v[114:115]
	s_wait_loadcnt 0x0
	s_delay_alu instid0(VALU_DEP_1) | instskip(NEXT) | instid1(VALU_DEP_1)
	v_fmac_f64_e32 v[124:125], v[132:133], v[116:117]
	v_add_f64_e64 v[2:3], v[108:109], -v[124:125]
	scratch_store_b64 off, v[2:3], off offset:344
	s_wait_xcnt 0x0
	v_cmpx_lt_u32_e32 42, v0
	s_cbranch_execz .LBB51_237
; %bb.236:
	scratch_load_b64 v[2:3], off, off offset:336
	v_mov_b64_e32 v[108:109], 0
	scratch_store_b64 off, v[108:109], off offset:336
	s_wait_loadcnt 0x0
	ds_store_b64 v1, v[2:3]
.LBB51_237:
	s_wait_xcnt 0x0
	s_or_b32 exec_lo, exec_lo, s0
	s_wait_storecnt_dscnt 0x0
	s_barrier_signal -1
	s_barrier_wait -1
	s_clause 0x4
	scratch_load_b128 v[108:111], off, off offset:336
	scratch_load_b128 v[112:115], off, off offset:352
	;; [unrolled: 1-line block ×5, first 2 shown]
	v_mov_b32_e32 v2, 0
	ds_load_2addr_b64 v[128:131], v2 offset0:95 offset1:96
	ds_load_2addr_b64 v[132:135], v2 offset0:97 offset1:98
	s_mov_b32 s0, exec_lo
	s_wait_loadcnt_dscnt 0x401
	v_fma_f64 v[128:129], v[110:111], v[128:129], 0
	s_wait_loadcnt 0x3
	s_delay_alu instid0(VALU_DEP_1) | instskip(SKIP_1) | instid1(VALU_DEP_1)
	v_fmac_f64_e32 v[128:129], v[112:113], v[130:131]
	s_wait_dscnt 0x0
	v_fmac_f64_e32 v[128:129], v[114:115], v[132:133]
	s_wait_loadcnt 0x2
	s_delay_alu instid0(VALU_DEP_1)
	v_fmac_f64_e32 v[128:129], v[116:117], v[134:135]
	ds_load_2addr_b64 v[110:113], v2 offset0:99 offset1:100
	ds_load_2addr_b64 v[114:117], v2 offset0:101 offset1:102
	s_wait_dscnt 0x1
	v_fmac_f64_e32 v[128:129], v[118:119], v[110:111]
	ds_load_b64 v[110:111], v2 offset:824
	s_wait_loadcnt 0x1
	v_fmac_f64_e32 v[128:129], v[120:121], v[112:113]
	s_wait_dscnt 0x1
	s_delay_alu instid0(VALU_DEP_1) | instskip(SKIP_1) | instid1(VALU_DEP_1)
	v_fmac_f64_e32 v[128:129], v[122:123], v[114:115]
	s_wait_loadcnt 0x0
	v_fmac_f64_e32 v[128:129], v[124:125], v[116:117]
	s_wait_dscnt 0x0
	s_delay_alu instid0(VALU_DEP_1) | instskip(NEXT) | instid1(VALU_DEP_1)
	v_fmac_f64_e32 v[128:129], v[126:127], v[110:111]
	v_add_f64_e64 v[108:109], v[108:109], -v[128:129]
	scratch_store_b64 off, v[108:109], off offset:336
	s_wait_xcnt 0x0
	v_cmpx_lt_u32_e32 41, v0
	s_cbranch_execz .LBB51_239
; %bb.238:
	scratch_load_b64 v[108:109], off, off offset:328
	v_mov_b64_e32 v[110:111], 0
	scratch_store_b64 off, v[110:111], off offset:328
	s_wait_loadcnt 0x0
	ds_store_b64 v1, v[108:109]
.LBB51_239:
	s_wait_xcnt 0x0
	s_or_b32 exec_lo, exec_lo, s0
	s_wait_storecnt_dscnt 0x0
	s_barrier_signal -1
	s_barrier_wait -1
	s_clause 0x5
	scratch_load_b128 v[108:111], off, off offset:328
	scratch_load_b128 v[112:115], off, off offset:344
	;; [unrolled: 1-line block ×5, first 2 shown]
	scratch_load_b64 v[136:137], off, off offset:408
	ds_load_b128 v[128:131], v2 offset:752
	ds_load_b128 v[132:135], v2 offset:768
	s_mov_b32 s0, exec_lo
	s_wait_loadcnt_dscnt 0x501
	v_fma_f64 v[128:129], v[110:111], v[128:129], 0
	s_wait_loadcnt 0x4
	s_delay_alu instid0(VALU_DEP_1) | instskip(SKIP_1) | instid1(VALU_DEP_1)
	v_fmac_f64_e32 v[128:129], v[112:113], v[130:131]
	s_wait_dscnt 0x0
	v_fmac_f64_e32 v[128:129], v[114:115], v[132:133]
	s_wait_loadcnt 0x3
	s_delay_alu instid0(VALU_DEP_1)
	v_fmac_f64_e32 v[128:129], v[116:117], v[134:135]
	ds_load_b128 v[110:113], v2 offset:784
	ds_load_b128 v[114:117], v2 offset:800
	s_wait_dscnt 0x1
	v_fmac_f64_e32 v[128:129], v[118:119], v[110:111]
	s_wait_loadcnt 0x2
	s_delay_alu instid0(VALU_DEP_1) | instskip(SKIP_4) | instid1(VALU_DEP_1)
	v_fmac_f64_e32 v[128:129], v[120:121], v[112:113]
	ds_load_b128 v[110:113], v2 offset:816
	s_wait_dscnt 0x1
	v_fmac_f64_e32 v[128:129], v[122:123], v[114:115]
	s_wait_loadcnt 0x1
	v_fmac_f64_e32 v[128:129], v[124:125], v[116:117]
	s_wait_dscnt 0x0
	s_delay_alu instid0(VALU_DEP_1) | instskip(SKIP_1) | instid1(VALU_DEP_1)
	v_fmac_f64_e32 v[128:129], v[126:127], v[110:111]
	s_wait_loadcnt 0x0
	v_fmac_f64_e32 v[128:129], v[136:137], v[112:113]
	s_delay_alu instid0(VALU_DEP_1)
	v_add_f64_e64 v[2:3], v[108:109], -v[128:129]
	scratch_store_b64 off, v[2:3], off offset:328
	s_wait_xcnt 0x0
	v_cmpx_lt_u32_e32 40, v0
	s_cbranch_execz .LBB51_241
; %bb.240:
	scratch_load_b64 v[2:3], off, off offset:320
	v_mov_b64_e32 v[108:109], 0
	scratch_store_b64 off, v[108:109], off offset:320
	s_wait_loadcnt 0x0
	ds_store_b64 v1, v[2:3]
.LBB51_241:
	s_wait_xcnt 0x0
	s_or_b32 exec_lo, exec_lo, s0
	s_wait_storecnt_dscnt 0x0
	s_barrier_signal -1
	s_barrier_wait -1
	s_clause 0x5
	scratch_load_b128 v[108:111], off, off offset:320
	scratch_load_b128 v[112:115], off, off offset:336
	;; [unrolled: 1-line block ×6, first 2 shown]
	v_mov_b32_e32 v2, 0
	ds_load_2addr_b64 v[132:135], v2 offset0:93 offset1:94
	ds_load_2addr_b64 v[136:139], v2 offset0:95 offset1:96
	s_mov_b32 s0, exec_lo
	s_wait_loadcnt_dscnt 0x501
	v_fma_f64 v[132:133], v[110:111], v[132:133], 0
	s_wait_loadcnt 0x4
	s_delay_alu instid0(VALU_DEP_1) | instskip(SKIP_1) | instid1(VALU_DEP_1)
	v_fmac_f64_e32 v[132:133], v[112:113], v[134:135]
	s_wait_dscnt 0x0
	v_fmac_f64_e32 v[132:133], v[114:115], v[136:137]
	s_wait_loadcnt 0x3
	s_delay_alu instid0(VALU_DEP_1)
	v_fmac_f64_e32 v[132:133], v[116:117], v[138:139]
	ds_load_2addr_b64 v[110:113], v2 offset0:97 offset1:98
	ds_load_2addr_b64 v[114:117], v2 offset0:99 offset1:100
	s_wait_dscnt 0x1
	v_fmac_f64_e32 v[132:133], v[118:119], v[110:111]
	s_wait_loadcnt 0x2
	s_delay_alu instid0(VALU_DEP_1) | instskip(SKIP_1) | instid1(VALU_DEP_1)
	v_fmac_f64_e32 v[132:133], v[120:121], v[112:113]
	s_wait_dscnt 0x0
	v_fmac_f64_e32 v[132:133], v[122:123], v[114:115]
	ds_load_2addr_b64 v[110:113], v2 offset0:101 offset1:102
	ds_load_b64 v[114:115], v2 offset:824
	s_wait_loadcnt 0x1
	v_fmac_f64_e32 v[132:133], v[124:125], v[116:117]
	s_wait_dscnt 0x1
	s_delay_alu instid0(VALU_DEP_1) | instskip(SKIP_1) | instid1(VALU_DEP_1)
	v_fmac_f64_e32 v[132:133], v[126:127], v[110:111]
	s_wait_loadcnt 0x0
	v_fmac_f64_e32 v[132:133], v[128:129], v[112:113]
	s_wait_dscnt 0x0
	s_delay_alu instid0(VALU_DEP_1) | instskip(NEXT) | instid1(VALU_DEP_1)
	v_fmac_f64_e32 v[132:133], v[130:131], v[114:115]
	v_add_f64_e64 v[108:109], v[108:109], -v[132:133]
	scratch_store_b64 off, v[108:109], off offset:320
	s_wait_xcnt 0x0
	v_cmpx_lt_u32_e32 39, v0
	s_cbranch_execz .LBB51_243
; %bb.242:
	scratch_load_b64 v[108:109], off, off offset:312
	v_mov_b64_e32 v[110:111], 0
	scratch_store_b64 off, v[110:111], off offset:312
	s_wait_loadcnt 0x0
	ds_store_b64 v1, v[108:109]
.LBB51_243:
	s_wait_xcnt 0x0
	s_or_b32 exec_lo, exec_lo, s0
	s_wait_storecnt_dscnt 0x0
	s_barrier_signal -1
	s_barrier_wait -1
	s_clause 0x5
	scratch_load_b128 v[108:111], off, off offset:312
	scratch_load_b128 v[112:115], off, off offset:328
	;; [unrolled: 1-line block ×6, first 2 shown]
	ds_load_b128 v[132:135], v2 offset:736
	ds_load_b128 v[136:139], v2 offset:752
	s_mov_b32 s0, exec_lo
	s_wait_loadcnt_dscnt 0x501
	v_fma_f64 v[132:133], v[110:111], v[132:133], 0
	s_wait_loadcnt 0x4
	s_delay_alu instid0(VALU_DEP_1) | instskip(SKIP_4) | instid1(VALU_DEP_1)
	v_fmac_f64_e32 v[132:133], v[112:113], v[134:135]
	scratch_load_b64 v[134:135], off, off offset:408
	s_wait_dscnt 0x0
	v_fmac_f64_e32 v[132:133], v[114:115], v[136:137]
	s_wait_loadcnt 0x4
	v_fmac_f64_e32 v[132:133], v[116:117], v[138:139]
	ds_load_b128 v[110:113], v2 offset:768
	ds_load_b128 v[114:117], v2 offset:784
	s_wait_dscnt 0x1
	v_fmac_f64_e32 v[132:133], v[118:119], v[110:111]
	s_wait_loadcnt 0x3
	s_delay_alu instid0(VALU_DEP_1) | instskip(SKIP_1) | instid1(VALU_DEP_1)
	v_fmac_f64_e32 v[132:133], v[120:121], v[112:113]
	s_wait_dscnt 0x0
	v_fmac_f64_e32 v[132:133], v[122:123], v[114:115]
	s_wait_loadcnt 0x2
	s_delay_alu instid0(VALU_DEP_1)
	v_fmac_f64_e32 v[132:133], v[124:125], v[116:117]
	ds_load_b128 v[110:113], v2 offset:800
	ds_load_b128 v[114:117], v2 offset:816
	s_wait_dscnt 0x1
	v_fmac_f64_e32 v[132:133], v[126:127], v[110:111]
	s_wait_loadcnt 0x1
	s_delay_alu instid0(VALU_DEP_1) | instskip(SKIP_1) | instid1(VALU_DEP_1)
	v_fmac_f64_e32 v[132:133], v[128:129], v[112:113]
	s_wait_dscnt 0x0
	v_fmac_f64_e32 v[132:133], v[130:131], v[114:115]
	s_wait_loadcnt 0x0
	s_delay_alu instid0(VALU_DEP_1) | instskip(NEXT) | instid1(VALU_DEP_1)
	v_fmac_f64_e32 v[132:133], v[134:135], v[116:117]
	v_add_f64_e64 v[2:3], v[108:109], -v[132:133]
	scratch_store_b64 off, v[2:3], off offset:312
	s_wait_xcnt 0x0
	v_cmpx_lt_u32_e32 38, v0
	s_cbranch_execz .LBB51_245
; %bb.244:
	scratch_load_b64 v[2:3], off, off offset:304
	v_mov_b64_e32 v[108:109], 0
	scratch_store_b64 off, v[108:109], off offset:304
	s_wait_loadcnt 0x0
	ds_store_b64 v1, v[2:3]
.LBB51_245:
	s_wait_xcnt 0x0
	s_or_b32 exec_lo, exec_lo, s0
	s_wait_storecnt_dscnt 0x0
	s_barrier_signal -1
	s_barrier_wait -1
	s_clause 0x5
	scratch_load_b128 v[108:111], off, off offset:304
	scratch_load_b128 v[112:115], off, off offset:320
	;; [unrolled: 1-line block ×6, first 2 shown]
	v_mov_b32_e32 v2, 0
	ds_load_2addr_b64 v[132:135], v2 offset0:91 offset1:92
	ds_load_2addr_b64 v[136:139], v2 offset0:93 offset1:94
	s_mov_b32 s0, exec_lo
	s_wait_loadcnt_dscnt 0x501
	v_fma_f64 v[140:141], v[110:111], v[132:133], 0
	s_wait_loadcnt 0x4
	s_delay_alu instid0(VALU_DEP_1) | instskip(SKIP_4) | instid1(VALU_DEP_1)
	v_fmac_f64_e32 v[140:141], v[112:113], v[134:135]
	scratch_load_b128 v[110:113], off, off offset:400
	s_wait_dscnt 0x0
	v_fmac_f64_e32 v[140:141], v[114:115], v[136:137]
	s_wait_loadcnt 0x4
	v_fmac_f64_e32 v[140:141], v[116:117], v[138:139]
	ds_load_2addr_b64 v[114:117], v2 offset0:95 offset1:96
	ds_load_2addr_b64 v[132:135], v2 offset0:97 offset1:98
	s_wait_dscnt 0x1
	v_fmac_f64_e32 v[140:141], v[118:119], v[114:115]
	s_wait_loadcnt 0x3
	s_delay_alu instid0(VALU_DEP_1)
	v_fmac_f64_e32 v[140:141], v[120:121], v[116:117]
	ds_load_2addr_b64 v[114:117], v2 offset0:99 offset1:100
	ds_load_2addr_b64 v[118:121], v2 offset0:101 offset1:102
	s_wait_dscnt 0x2
	v_fmac_f64_e32 v[140:141], v[122:123], v[132:133]
	s_wait_loadcnt 0x2
	s_delay_alu instid0(VALU_DEP_1) | instskip(SKIP_1) | instid1(VALU_DEP_1)
	v_fmac_f64_e32 v[140:141], v[124:125], v[134:135]
	s_wait_dscnt 0x1
	v_fmac_f64_e32 v[140:141], v[126:127], v[114:115]
	s_wait_loadcnt 0x1
	s_delay_alu instid0(VALU_DEP_1) | instskip(SKIP_1) | instid1(VALU_DEP_1)
	v_fmac_f64_e32 v[140:141], v[128:129], v[116:117]
	s_wait_dscnt 0x0
	v_fmac_f64_e32 v[140:141], v[130:131], v[118:119]
	s_wait_loadcnt 0x0
	s_delay_alu instid0(VALU_DEP_1) | instskip(SKIP_3) | instid1(VALU_DEP_1)
	v_fmac_f64_e32 v[140:141], v[110:111], v[120:121]
	ds_load_b64 v[110:111], v2 offset:824
	s_wait_dscnt 0x0
	v_fmac_f64_e32 v[140:141], v[112:113], v[110:111]
	v_add_f64_e64 v[108:109], v[108:109], -v[140:141]
	scratch_store_b64 off, v[108:109], off offset:304
	s_wait_xcnt 0x0
	v_cmpx_lt_u32_e32 37, v0
	s_cbranch_execz .LBB51_247
; %bb.246:
	scratch_load_b64 v[108:109], off, off offset:296
	v_mov_b64_e32 v[110:111], 0
	scratch_store_b64 off, v[110:111], off offset:296
	s_wait_loadcnt 0x0
	ds_store_b64 v1, v[108:109]
.LBB51_247:
	s_wait_xcnt 0x0
	s_or_b32 exec_lo, exec_lo, s0
	s_wait_storecnt_dscnt 0x0
	s_barrier_signal -1
	s_barrier_wait -1
	s_clause 0x5
	scratch_load_b128 v[108:111], off, off offset:296
	scratch_load_b128 v[112:115], off, off offset:312
	;; [unrolled: 1-line block ×6, first 2 shown]
	ds_load_b128 v[132:135], v2 offset:720
	ds_load_b128 v[136:139], v2 offset:736
	s_mov_b32 s0, exec_lo
	s_wait_loadcnt_dscnt 0x501
	v_fma_f64 v[140:141], v[110:111], v[132:133], 0
	s_wait_loadcnt 0x4
	s_delay_alu instid0(VALU_DEP_1)
	v_fmac_f64_e32 v[140:141], v[112:113], v[134:135]
	scratch_load_b128 v[110:113], off, off offset:392
	s_wait_dscnt 0x0
	v_fmac_f64_e32 v[140:141], v[114:115], v[136:137]
	scratch_load_b64 v[136:137], off, off offset:408
	s_wait_loadcnt 0x5
	v_fmac_f64_e32 v[140:141], v[116:117], v[138:139]
	ds_load_b128 v[114:117], v2 offset:752
	ds_load_b128 v[132:135], v2 offset:768
	s_wait_dscnt 0x1
	v_fmac_f64_e32 v[140:141], v[118:119], v[114:115]
	s_wait_loadcnt 0x4
	s_delay_alu instid0(VALU_DEP_1)
	v_fmac_f64_e32 v[140:141], v[120:121], v[116:117]
	ds_load_b128 v[114:117], v2 offset:784
	ds_load_b128 v[118:121], v2 offset:800
	s_wait_dscnt 0x2
	v_fmac_f64_e32 v[140:141], v[122:123], v[132:133]
	s_wait_loadcnt 0x3
	s_delay_alu instid0(VALU_DEP_1) | instskip(SKIP_1) | instid1(VALU_DEP_1)
	v_fmac_f64_e32 v[140:141], v[124:125], v[134:135]
	s_wait_dscnt 0x1
	v_fmac_f64_e32 v[140:141], v[126:127], v[114:115]
	s_wait_loadcnt 0x2
	s_delay_alu instid0(VALU_DEP_1) | instskip(SKIP_4) | instid1(VALU_DEP_1)
	v_fmac_f64_e32 v[140:141], v[128:129], v[116:117]
	ds_load_b128 v[114:117], v2 offset:816
	s_wait_dscnt 0x1
	v_fmac_f64_e32 v[140:141], v[130:131], v[118:119]
	s_wait_loadcnt 0x1
	v_fmac_f64_e32 v[140:141], v[110:111], v[120:121]
	s_wait_dscnt 0x0
	s_delay_alu instid0(VALU_DEP_1) | instskip(SKIP_1) | instid1(VALU_DEP_1)
	v_fmac_f64_e32 v[140:141], v[112:113], v[114:115]
	s_wait_loadcnt 0x0
	v_fmac_f64_e32 v[140:141], v[136:137], v[116:117]
	s_delay_alu instid0(VALU_DEP_1)
	v_add_f64_e64 v[2:3], v[108:109], -v[140:141]
	scratch_store_b64 off, v[2:3], off offset:296
	s_wait_xcnt 0x0
	v_cmpx_lt_u32_e32 36, v0
	s_cbranch_execz .LBB51_249
; %bb.248:
	scratch_load_b64 v[2:3], off, off offset:288
	v_mov_b64_e32 v[108:109], 0
	scratch_store_b64 off, v[108:109], off offset:288
	s_wait_loadcnt 0x0
	ds_store_b64 v1, v[2:3]
.LBB51_249:
	s_wait_xcnt 0x0
	s_or_b32 exec_lo, exec_lo, s0
	s_wait_storecnt_dscnt 0x0
	s_barrier_signal -1
	s_barrier_wait -1
	s_clause 0x5
	scratch_load_b128 v[108:111], off, off offset:288
	scratch_load_b128 v[112:115], off, off offset:304
	;; [unrolled: 1-line block ×6, first 2 shown]
	v_mov_b32_e32 v2, 0
	ds_load_2addr_b64 v[132:135], v2 offset0:89 offset1:90
	ds_load_2addr_b64 v[136:139], v2 offset0:91 offset1:92
	s_mov_b32 s0, exec_lo
	s_wait_loadcnt_dscnt 0x501
	v_fma_f64 v[140:141], v[110:111], v[132:133], 0
	s_wait_loadcnt 0x4
	s_delay_alu instid0(VALU_DEP_1) | instskip(SKIP_4) | instid1(VALU_DEP_1)
	v_fmac_f64_e32 v[140:141], v[112:113], v[134:135]
	scratch_load_b128 v[110:113], off, off offset:384
	s_wait_dscnt 0x0
	v_fmac_f64_e32 v[140:141], v[114:115], v[136:137]
	s_wait_loadcnt 0x4
	v_fmac_f64_e32 v[140:141], v[116:117], v[138:139]
	scratch_load_b128 v[114:117], off, off offset:400
	ds_load_2addr_b64 v[132:135], v2 offset0:93 offset1:94
	ds_load_2addr_b64 v[136:139], v2 offset0:95 offset1:96
	s_wait_dscnt 0x1
	v_fmac_f64_e32 v[140:141], v[118:119], v[132:133]
	s_wait_loadcnt 0x4
	s_delay_alu instid0(VALU_DEP_1) | instskip(SKIP_1) | instid1(VALU_DEP_1)
	v_fmac_f64_e32 v[140:141], v[120:121], v[134:135]
	s_wait_dscnt 0x0
	v_fmac_f64_e32 v[140:141], v[122:123], v[136:137]
	s_wait_loadcnt 0x3
	s_delay_alu instid0(VALU_DEP_1)
	v_fmac_f64_e32 v[140:141], v[124:125], v[138:139]
	ds_load_2addr_b64 v[118:121], v2 offset0:97 offset1:98
	ds_load_2addr_b64 v[122:125], v2 offset0:99 offset1:100
	s_wait_dscnt 0x1
	v_fmac_f64_e32 v[140:141], v[126:127], v[118:119]
	s_wait_loadcnt 0x2
	s_delay_alu instid0(VALU_DEP_1) | instskip(SKIP_1) | instid1(VALU_DEP_1)
	v_fmac_f64_e32 v[140:141], v[128:129], v[120:121]
	s_wait_dscnt 0x0
	v_fmac_f64_e32 v[140:141], v[130:131], v[122:123]
	s_wait_loadcnt 0x1
	s_delay_alu instid0(VALU_DEP_1)
	v_fmac_f64_e32 v[140:141], v[110:111], v[124:125]
	ds_load_2addr_b64 v[118:121], v2 offset0:101 offset1:102
	ds_load_b64 v[110:111], v2 offset:824
	s_wait_dscnt 0x1
	v_fmac_f64_e32 v[140:141], v[112:113], v[118:119]
	s_wait_loadcnt 0x0
	s_delay_alu instid0(VALU_DEP_1) | instskip(SKIP_1) | instid1(VALU_DEP_1)
	v_fmac_f64_e32 v[140:141], v[114:115], v[120:121]
	s_wait_dscnt 0x0
	v_fmac_f64_e32 v[140:141], v[116:117], v[110:111]
	s_delay_alu instid0(VALU_DEP_1)
	v_add_f64_e64 v[108:109], v[108:109], -v[140:141]
	scratch_store_b64 off, v[108:109], off offset:288
	s_wait_xcnt 0x0
	v_cmpx_lt_u32_e32 35, v0
	s_cbranch_execz .LBB51_251
; %bb.250:
	scratch_load_b64 v[108:109], off, off offset:280
	v_mov_b64_e32 v[110:111], 0
	scratch_store_b64 off, v[110:111], off offset:280
	s_wait_loadcnt 0x0
	ds_store_b64 v1, v[108:109]
.LBB51_251:
	s_wait_xcnt 0x0
	s_or_b32 exec_lo, exec_lo, s0
	s_wait_storecnt_dscnt 0x0
	s_barrier_signal -1
	s_barrier_wait -1
	s_clause 0x5
	scratch_load_b128 v[108:111], off, off offset:280
	scratch_load_b128 v[112:115], off, off offset:296
	;; [unrolled: 1-line block ×6, first 2 shown]
	ds_load_b128 v[132:135], v2 offset:704
	ds_load_b128 v[136:139], v2 offset:720
	s_mov_b32 s0, exec_lo
	s_wait_loadcnt_dscnt 0x501
	v_fma_f64 v[140:141], v[110:111], v[132:133], 0
	s_wait_loadcnt 0x4
	s_delay_alu instid0(VALU_DEP_1) | instskip(SKIP_4) | instid1(VALU_DEP_1)
	v_fmac_f64_e32 v[140:141], v[112:113], v[134:135]
	scratch_load_b128 v[110:113], off, off offset:376
	s_wait_dscnt 0x0
	v_fmac_f64_e32 v[140:141], v[114:115], v[136:137]
	s_wait_loadcnt 0x4
	v_fmac_f64_e32 v[140:141], v[116:117], v[138:139]
	scratch_load_b128 v[114:117], off, off offset:392
	ds_load_b128 v[132:135], v2 offset:736
	ds_load_b128 v[136:139], v2 offset:752
	s_wait_dscnt 0x1
	v_fmac_f64_e32 v[140:141], v[118:119], v[132:133]
	scratch_load_b64 v[132:133], off, off offset:408
	s_wait_loadcnt 0x5
	v_fmac_f64_e32 v[140:141], v[120:121], v[134:135]
	s_wait_dscnt 0x0
	s_delay_alu instid0(VALU_DEP_1) | instskip(SKIP_1) | instid1(VALU_DEP_1)
	v_fmac_f64_e32 v[140:141], v[122:123], v[136:137]
	s_wait_loadcnt 0x4
	v_fmac_f64_e32 v[140:141], v[124:125], v[138:139]
	ds_load_b128 v[118:121], v2 offset:768
	ds_load_b128 v[122:125], v2 offset:784
	s_wait_dscnt 0x1
	v_fmac_f64_e32 v[140:141], v[126:127], v[118:119]
	s_wait_loadcnt 0x3
	s_delay_alu instid0(VALU_DEP_1) | instskip(SKIP_1) | instid1(VALU_DEP_1)
	v_fmac_f64_e32 v[140:141], v[128:129], v[120:121]
	s_wait_dscnt 0x0
	v_fmac_f64_e32 v[140:141], v[130:131], v[122:123]
	s_wait_loadcnt 0x2
	s_delay_alu instid0(VALU_DEP_1)
	v_fmac_f64_e32 v[140:141], v[110:111], v[124:125]
	ds_load_b128 v[118:121], v2 offset:800
	ds_load_b128 v[122:125], v2 offset:816
	s_wait_dscnt 0x1
	v_fmac_f64_e32 v[140:141], v[112:113], v[118:119]
	s_wait_loadcnt 0x1
	s_delay_alu instid0(VALU_DEP_1) | instskip(SKIP_1) | instid1(VALU_DEP_1)
	v_fmac_f64_e32 v[140:141], v[114:115], v[120:121]
	s_wait_dscnt 0x0
	v_fmac_f64_e32 v[140:141], v[116:117], v[122:123]
	s_wait_loadcnt 0x0
	s_delay_alu instid0(VALU_DEP_1) | instskip(NEXT) | instid1(VALU_DEP_1)
	v_fmac_f64_e32 v[140:141], v[132:133], v[124:125]
	v_add_f64_e64 v[2:3], v[108:109], -v[140:141]
	scratch_store_b64 off, v[2:3], off offset:280
	s_wait_xcnt 0x0
	v_cmpx_lt_u32_e32 34, v0
	s_cbranch_execz .LBB51_253
; %bb.252:
	scratch_load_b64 v[2:3], off, off offset:272
	v_mov_b64_e32 v[108:109], 0
	scratch_store_b64 off, v[108:109], off offset:272
	s_wait_loadcnt 0x0
	ds_store_b64 v1, v[2:3]
.LBB51_253:
	s_wait_xcnt 0x0
	s_or_b32 exec_lo, exec_lo, s0
	s_wait_storecnt_dscnt 0x0
	s_barrier_signal -1
	s_barrier_wait -1
	s_clause 0x5
	scratch_load_b128 v[108:111], off, off offset:272
	scratch_load_b128 v[112:115], off, off offset:288
	;; [unrolled: 1-line block ×6, first 2 shown]
	v_mov_b32_e32 v2, 0
	ds_load_2addr_b64 v[132:135], v2 offset0:87 offset1:88
	ds_load_2addr_b64 v[136:139], v2 offset0:89 offset1:90
	s_mov_b32 s0, exec_lo
	s_wait_loadcnt_dscnt 0x501
	v_fma_f64 v[140:141], v[110:111], v[132:133], 0
	s_wait_loadcnt 0x4
	s_delay_alu instid0(VALU_DEP_1) | instskip(SKIP_4) | instid1(VALU_DEP_1)
	v_fmac_f64_e32 v[140:141], v[112:113], v[134:135]
	scratch_load_b128 v[110:113], off, off offset:368
	s_wait_dscnt 0x0
	v_fmac_f64_e32 v[140:141], v[114:115], v[136:137]
	s_wait_loadcnt 0x4
	v_fmac_f64_e32 v[140:141], v[116:117], v[138:139]
	scratch_load_b128 v[114:117], off, off offset:384
	ds_load_2addr_b64 v[132:135], v2 offset0:91 offset1:92
	ds_load_2addr_b64 v[136:139], v2 offset0:93 offset1:94
	s_wait_dscnt 0x1
	v_fmac_f64_e32 v[140:141], v[118:119], v[132:133]
	s_wait_loadcnt 0x4
	s_delay_alu instid0(VALU_DEP_1) | instskip(SKIP_4) | instid1(VALU_DEP_1)
	v_fmac_f64_e32 v[140:141], v[120:121], v[134:135]
	scratch_load_b128 v[118:121], off, off offset:400
	s_wait_dscnt 0x0
	v_fmac_f64_e32 v[140:141], v[122:123], v[136:137]
	s_wait_loadcnt 0x4
	v_fmac_f64_e32 v[140:141], v[124:125], v[138:139]
	ds_load_2addr_b64 v[122:125], v2 offset0:95 offset1:96
	ds_load_2addr_b64 v[132:135], v2 offset0:97 offset1:98
	s_wait_dscnt 0x1
	v_fmac_f64_e32 v[140:141], v[126:127], v[122:123]
	s_wait_loadcnt 0x3
	s_delay_alu instid0(VALU_DEP_1)
	v_fmac_f64_e32 v[140:141], v[128:129], v[124:125]
	ds_load_2addr_b64 v[122:125], v2 offset0:99 offset1:100
	ds_load_2addr_b64 v[126:129], v2 offset0:101 offset1:102
	s_wait_dscnt 0x2
	v_fmac_f64_e32 v[140:141], v[130:131], v[132:133]
	s_wait_loadcnt 0x2
	s_delay_alu instid0(VALU_DEP_1) | instskip(SKIP_4) | instid1(VALU_DEP_1)
	v_fmac_f64_e32 v[140:141], v[110:111], v[134:135]
	ds_load_b64 v[110:111], v2 offset:824
	s_wait_dscnt 0x2
	v_fmac_f64_e32 v[140:141], v[112:113], v[122:123]
	s_wait_loadcnt 0x1
	v_fmac_f64_e32 v[140:141], v[114:115], v[124:125]
	s_wait_dscnt 0x1
	s_delay_alu instid0(VALU_DEP_1) | instskip(SKIP_1) | instid1(VALU_DEP_1)
	v_fmac_f64_e32 v[140:141], v[116:117], v[126:127]
	s_wait_loadcnt 0x0
	v_fmac_f64_e32 v[140:141], v[118:119], v[128:129]
	s_wait_dscnt 0x0
	s_delay_alu instid0(VALU_DEP_1) | instskip(NEXT) | instid1(VALU_DEP_1)
	v_fmac_f64_e32 v[140:141], v[120:121], v[110:111]
	v_add_f64_e64 v[108:109], v[108:109], -v[140:141]
	scratch_store_b64 off, v[108:109], off offset:272
	s_wait_xcnt 0x0
	v_cmpx_lt_u32_e32 33, v0
	s_cbranch_execz .LBB51_255
; %bb.254:
	scratch_load_b64 v[108:109], off, off offset:264
	v_mov_b64_e32 v[110:111], 0
	scratch_store_b64 off, v[110:111], off offset:264
	s_wait_loadcnt 0x0
	ds_store_b64 v1, v[108:109]
.LBB51_255:
	s_wait_xcnt 0x0
	s_or_b32 exec_lo, exec_lo, s0
	s_wait_storecnt_dscnt 0x0
	s_barrier_signal -1
	s_barrier_wait -1
	s_clause 0x5
	scratch_load_b128 v[108:111], off, off offset:264
	scratch_load_b128 v[112:115], off, off offset:280
	;; [unrolled: 1-line block ×6, first 2 shown]
	ds_load_b128 v[132:135], v2 offset:688
	ds_load_b128 v[136:139], v2 offset:704
	s_mov_b32 s0, exec_lo
	s_wait_loadcnt_dscnt 0x501
	v_fma_f64 v[140:141], v[110:111], v[132:133], 0
	s_wait_loadcnt 0x4
	s_delay_alu instid0(VALU_DEP_1) | instskip(SKIP_4) | instid1(VALU_DEP_1)
	v_fmac_f64_e32 v[140:141], v[112:113], v[134:135]
	scratch_load_b128 v[110:113], off, off offset:360
	s_wait_dscnt 0x0
	v_fmac_f64_e32 v[140:141], v[114:115], v[136:137]
	s_wait_loadcnt 0x4
	v_fmac_f64_e32 v[140:141], v[116:117], v[138:139]
	scratch_load_b128 v[114:117], off, off offset:376
	ds_load_b128 v[132:135], v2 offset:720
	ds_load_b128 v[136:139], v2 offset:736
	s_wait_dscnt 0x1
	v_fmac_f64_e32 v[140:141], v[118:119], v[132:133]
	s_wait_loadcnt 0x4
	s_delay_alu instid0(VALU_DEP_1)
	v_fmac_f64_e32 v[140:141], v[120:121], v[134:135]
	scratch_load_b128 v[118:121], off, off offset:392
	s_wait_dscnt 0x0
	v_fmac_f64_e32 v[140:141], v[122:123], v[136:137]
	scratch_load_b64 v[136:137], off, off offset:408
	s_wait_loadcnt 0x5
	v_fmac_f64_e32 v[140:141], v[124:125], v[138:139]
	ds_load_b128 v[122:125], v2 offset:752
	ds_load_b128 v[132:135], v2 offset:768
	s_wait_dscnt 0x1
	v_fmac_f64_e32 v[140:141], v[126:127], v[122:123]
	s_wait_loadcnt 0x4
	s_delay_alu instid0(VALU_DEP_1)
	v_fmac_f64_e32 v[140:141], v[128:129], v[124:125]
	ds_load_b128 v[122:125], v2 offset:784
	ds_load_b128 v[126:129], v2 offset:800
	s_wait_dscnt 0x2
	v_fmac_f64_e32 v[140:141], v[130:131], v[132:133]
	s_wait_loadcnt 0x3
	s_delay_alu instid0(VALU_DEP_1) | instskip(SKIP_1) | instid1(VALU_DEP_1)
	v_fmac_f64_e32 v[140:141], v[110:111], v[134:135]
	s_wait_dscnt 0x1
	v_fmac_f64_e32 v[140:141], v[112:113], v[122:123]
	ds_load_b128 v[110:113], v2 offset:816
	s_wait_loadcnt 0x2
	v_fmac_f64_e32 v[140:141], v[114:115], v[124:125]
	s_wait_dscnt 0x1
	s_delay_alu instid0(VALU_DEP_1) | instskip(SKIP_1) | instid1(VALU_DEP_1)
	v_fmac_f64_e32 v[140:141], v[116:117], v[126:127]
	s_wait_loadcnt 0x1
	v_fmac_f64_e32 v[140:141], v[118:119], v[128:129]
	s_wait_dscnt 0x0
	s_delay_alu instid0(VALU_DEP_1) | instskip(SKIP_1) | instid1(VALU_DEP_1)
	v_fmac_f64_e32 v[140:141], v[120:121], v[110:111]
	s_wait_loadcnt 0x0
	v_fmac_f64_e32 v[140:141], v[136:137], v[112:113]
	s_delay_alu instid0(VALU_DEP_1)
	v_add_f64_e64 v[2:3], v[108:109], -v[140:141]
	scratch_store_b64 off, v[2:3], off offset:264
	s_wait_xcnt 0x0
	v_cmpx_lt_u32_e32 32, v0
	s_cbranch_execz .LBB51_257
; %bb.256:
	scratch_load_b64 v[2:3], off, off offset:256
	v_mov_b64_e32 v[108:109], 0
	scratch_store_b64 off, v[108:109], off offset:256
	s_wait_loadcnt 0x0
	ds_store_b64 v1, v[2:3]
.LBB51_257:
	s_wait_xcnt 0x0
	s_or_b32 exec_lo, exec_lo, s0
	s_wait_storecnt_dscnt 0x0
	s_barrier_signal -1
	s_barrier_wait -1
	s_clause 0x5
	scratch_load_b128 v[108:111], off, off offset:256
	scratch_load_b128 v[112:115], off, off offset:272
	;; [unrolled: 1-line block ×6, first 2 shown]
	v_mov_b32_e32 v2, 0
	ds_load_2addr_b64 v[132:135], v2 offset0:85 offset1:86
	ds_load_2addr_b64 v[136:139], v2 offset0:87 offset1:88
	s_mov_b32 s0, exec_lo
	s_wait_loadcnt_dscnt 0x501
	v_fma_f64 v[140:141], v[110:111], v[132:133], 0
	s_wait_loadcnt 0x4
	s_delay_alu instid0(VALU_DEP_1) | instskip(SKIP_4) | instid1(VALU_DEP_1)
	v_fmac_f64_e32 v[140:141], v[112:113], v[134:135]
	scratch_load_b128 v[110:113], off, off offset:352
	s_wait_dscnt 0x0
	v_fmac_f64_e32 v[140:141], v[114:115], v[136:137]
	s_wait_loadcnt 0x4
	v_fmac_f64_e32 v[140:141], v[116:117], v[138:139]
	scratch_load_b128 v[114:117], off, off offset:368
	ds_load_2addr_b64 v[132:135], v2 offset0:89 offset1:90
	ds_load_2addr_b64 v[136:139], v2 offset0:91 offset1:92
	s_wait_dscnt 0x1
	v_fmac_f64_e32 v[140:141], v[118:119], v[132:133]
	s_wait_loadcnt 0x4
	s_delay_alu instid0(VALU_DEP_1) | instskip(SKIP_4) | instid1(VALU_DEP_1)
	v_fmac_f64_e32 v[140:141], v[120:121], v[134:135]
	scratch_load_b128 v[118:121], off, off offset:384
	s_wait_dscnt 0x0
	v_fmac_f64_e32 v[140:141], v[122:123], v[136:137]
	s_wait_loadcnt 0x4
	v_fmac_f64_e32 v[140:141], v[124:125], v[138:139]
	scratch_load_b128 v[122:125], off, off offset:400
	ds_load_2addr_b64 v[132:135], v2 offset0:93 offset1:94
	ds_load_2addr_b64 v[136:139], v2 offset0:95 offset1:96
	s_wait_dscnt 0x1
	v_fmac_f64_e32 v[140:141], v[126:127], v[132:133]
	s_wait_loadcnt 0x4
	s_delay_alu instid0(VALU_DEP_1) | instskip(SKIP_1) | instid1(VALU_DEP_1)
	v_fmac_f64_e32 v[140:141], v[128:129], v[134:135]
	s_wait_dscnt 0x0
	v_fmac_f64_e32 v[140:141], v[130:131], v[136:137]
	ds_load_2addr_b64 v[126:129], v2 offset0:97 offset1:98
	ds_load_2addr_b64 v[130:133], v2 offset0:99 offset1:100
	s_wait_loadcnt 0x3
	v_fmac_f64_e32 v[140:141], v[110:111], v[138:139]
	s_wait_dscnt 0x1
	s_delay_alu instid0(VALU_DEP_1) | instskip(SKIP_1) | instid1(VALU_DEP_1)
	v_fmac_f64_e32 v[140:141], v[112:113], v[126:127]
	s_wait_loadcnt 0x2
	v_fmac_f64_e32 v[140:141], v[114:115], v[128:129]
	ds_load_2addr_b64 v[110:113], v2 offset0:101 offset1:102
	ds_load_b64 v[114:115], v2 offset:824
	s_wait_dscnt 0x2
	v_fmac_f64_e32 v[140:141], v[116:117], v[130:131]
	s_wait_loadcnt 0x1
	s_delay_alu instid0(VALU_DEP_1) | instskip(SKIP_1) | instid1(VALU_DEP_1)
	v_fmac_f64_e32 v[140:141], v[118:119], v[132:133]
	s_wait_dscnt 0x1
	v_fmac_f64_e32 v[140:141], v[120:121], v[110:111]
	s_wait_loadcnt 0x0
	s_delay_alu instid0(VALU_DEP_1) | instskip(SKIP_1) | instid1(VALU_DEP_1)
	v_fmac_f64_e32 v[140:141], v[122:123], v[112:113]
	s_wait_dscnt 0x0
	v_fmac_f64_e32 v[140:141], v[124:125], v[114:115]
	s_delay_alu instid0(VALU_DEP_1)
	v_add_f64_e64 v[108:109], v[108:109], -v[140:141]
	scratch_store_b64 off, v[108:109], off offset:256
	s_wait_xcnt 0x0
	v_cmpx_lt_u32_e32 31, v0
	s_cbranch_execz .LBB51_259
; %bb.258:
	scratch_load_b64 v[108:109], off, off offset:248
	v_mov_b64_e32 v[110:111], 0
	scratch_store_b64 off, v[110:111], off offset:248
	s_wait_loadcnt 0x0
	ds_store_b64 v1, v[108:109]
.LBB51_259:
	s_wait_xcnt 0x0
	s_or_b32 exec_lo, exec_lo, s0
	s_wait_storecnt_dscnt 0x0
	s_barrier_signal -1
	s_barrier_wait -1
	s_clause 0x5
	scratch_load_b128 v[108:111], off, off offset:248
	scratch_load_b128 v[112:115], off, off offset:264
	;; [unrolled: 1-line block ×6, first 2 shown]
	ds_load_b128 v[132:135], v2 offset:672
	ds_load_b128 v[136:139], v2 offset:688
	s_mov_b32 s0, exec_lo
	s_wait_loadcnt_dscnt 0x501
	v_fma_f64 v[140:141], v[110:111], v[132:133], 0
	s_wait_loadcnt 0x4
	s_delay_alu instid0(VALU_DEP_1) | instskip(SKIP_4) | instid1(VALU_DEP_1)
	v_fmac_f64_e32 v[140:141], v[112:113], v[134:135]
	scratch_load_b128 v[110:113], off, off offset:344
	s_wait_dscnt 0x0
	v_fmac_f64_e32 v[140:141], v[114:115], v[136:137]
	s_wait_loadcnt 0x4
	v_fmac_f64_e32 v[140:141], v[116:117], v[138:139]
	scratch_load_b128 v[114:117], off, off offset:360
	ds_load_b128 v[132:135], v2 offset:704
	ds_load_b128 v[136:139], v2 offset:720
	s_wait_dscnt 0x1
	v_fmac_f64_e32 v[140:141], v[118:119], v[132:133]
	s_wait_loadcnt 0x4
	s_delay_alu instid0(VALU_DEP_1) | instskip(SKIP_4) | instid1(VALU_DEP_1)
	v_fmac_f64_e32 v[140:141], v[120:121], v[134:135]
	scratch_load_b128 v[118:121], off, off offset:376
	s_wait_dscnt 0x0
	v_fmac_f64_e32 v[140:141], v[122:123], v[136:137]
	s_wait_loadcnt 0x4
	v_fmac_f64_e32 v[140:141], v[124:125], v[138:139]
	scratch_load_b128 v[122:125], off, off offset:392
	ds_load_b128 v[132:135], v2 offset:736
	ds_load_b128 v[136:139], v2 offset:752
	s_wait_dscnt 0x1
	v_fmac_f64_e32 v[140:141], v[126:127], v[132:133]
	s_wait_loadcnt 0x4
	s_delay_alu instid0(VALU_DEP_1)
	v_fmac_f64_e32 v[140:141], v[128:129], v[134:135]
	scratch_load_b64 v[134:135], off, off offset:408
	s_wait_dscnt 0x0
	v_fmac_f64_e32 v[140:141], v[130:131], v[136:137]
	ds_load_b128 v[126:129], v2 offset:768
	ds_load_b128 v[130:133], v2 offset:784
	s_wait_loadcnt 0x4
	v_fmac_f64_e32 v[140:141], v[110:111], v[138:139]
	s_wait_dscnt 0x1
	s_delay_alu instid0(VALU_DEP_1) | instskip(SKIP_1) | instid1(VALU_DEP_1)
	v_fmac_f64_e32 v[140:141], v[112:113], v[126:127]
	s_wait_loadcnt 0x3
	v_fmac_f64_e32 v[140:141], v[114:115], v[128:129]
	s_wait_dscnt 0x0
	s_delay_alu instid0(VALU_DEP_1)
	v_fmac_f64_e32 v[140:141], v[116:117], v[130:131]
	ds_load_b128 v[110:113], v2 offset:800
	ds_load_b128 v[114:117], v2 offset:816
	s_wait_loadcnt 0x2
	v_fmac_f64_e32 v[140:141], v[118:119], v[132:133]
	s_wait_dscnt 0x1
	s_delay_alu instid0(VALU_DEP_1) | instskip(SKIP_1) | instid1(VALU_DEP_1)
	v_fmac_f64_e32 v[140:141], v[120:121], v[110:111]
	s_wait_loadcnt 0x1
	v_fmac_f64_e32 v[140:141], v[122:123], v[112:113]
	s_wait_dscnt 0x0
	s_delay_alu instid0(VALU_DEP_1) | instskip(SKIP_1) | instid1(VALU_DEP_1)
	v_fmac_f64_e32 v[140:141], v[124:125], v[114:115]
	s_wait_loadcnt 0x0
	v_fmac_f64_e32 v[140:141], v[134:135], v[116:117]
	s_delay_alu instid0(VALU_DEP_1)
	v_add_f64_e64 v[2:3], v[108:109], -v[140:141]
	scratch_store_b64 off, v[2:3], off offset:248
	s_wait_xcnt 0x0
	v_cmpx_lt_u32_e32 30, v0
	s_cbranch_execz .LBB51_261
; %bb.260:
	scratch_load_b64 v[2:3], off, off offset:240
	v_mov_b64_e32 v[108:109], 0
	scratch_store_b64 off, v[108:109], off offset:240
	s_wait_loadcnt 0x0
	ds_store_b64 v1, v[2:3]
.LBB51_261:
	s_wait_xcnt 0x0
	s_or_b32 exec_lo, exec_lo, s0
	s_wait_storecnt_dscnt 0x0
	s_barrier_signal -1
	s_barrier_wait -1
	s_clause 0x5
	scratch_load_b128 v[108:111], off, off offset:240
	scratch_load_b128 v[112:115], off, off offset:256
	;; [unrolled: 1-line block ×6, first 2 shown]
	v_mov_b32_e32 v2, 0
	ds_load_2addr_b64 v[132:135], v2 offset0:83 offset1:84
	ds_load_2addr_b64 v[136:139], v2 offset0:85 offset1:86
	s_mov_b32 s0, exec_lo
	s_wait_loadcnt_dscnt 0x501
	v_fma_f64 v[140:141], v[110:111], v[132:133], 0
	s_wait_loadcnt 0x4
	s_delay_alu instid0(VALU_DEP_1) | instskip(SKIP_4) | instid1(VALU_DEP_1)
	v_fmac_f64_e32 v[140:141], v[112:113], v[134:135]
	scratch_load_b128 v[110:113], off, off offset:336
	s_wait_dscnt 0x0
	v_fmac_f64_e32 v[140:141], v[114:115], v[136:137]
	s_wait_loadcnt 0x4
	v_fmac_f64_e32 v[140:141], v[116:117], v[138:139]
	scratch_load_b128 v[114:117], off, off offset:352
	ds_load_2addr_b64 v[132:135], v2 offset0:87 offset1:88
	ds_load_2addr_b64 v[136:139], v2 offset0:89 offset1:90
	s_wait_dscnt 0x1
	v_fmac_f64_e32 v[140:141], v[118:119], v[132:133]
	s_wait_loadcnt 0x4
	s_delay_alu instid0(VALU_DEP_1) | instskip(SKIP_4) | instid1(VALU_DEP_1)
	v_fmac_f64_e32 v[140:141], v[120:121], v[134:135]
	scratch_load_b128 v[118:121], off, off offset:368
	s_wait_dscnt 0x0
	v_fmac_f64_e32 v[140:141], v[122:123], v[136:137]
	s_wait_loadcnt 0x4
	v_fmac_f64_e32 v[140:141], v[124:125], v[138:139]
	scratch_load_b128 v[122:125], off, off offset:384
	ds_load_2addr_b64 v[132:135], v2 offset0:91 offset1:92
	ds_load_2addr_b64 v[136:139], v2 offset0:93 offset1:94
	s_wait_dscnt 0x1
	v_fmac_f64_e32 v[140:141], v[126:127], v[132:133]
	s_wait_loadcnt 0x4
	s_delay_alu instid0(VALU_DEP_1)
	v_fmac_f64_e32 v[140:141], v[128:129], v[134:135]
	scratch_load_b128 v[126:129], off, off offset:400
	s_wait_dscnt 0x0
	v_fmac_f64_e32 v[140:141], v[130:131], v[136:137]
	ds_load_2addr_b64 v[130:133], v2 offset0:95 offset1:96
	ds_load_2addr_b64 v[134:137], v2 offset0:97 offset1:98
	s_wait_loadcnt 0x4
	v_fmac_f64_e32 v[140:141], v[110:111], v[138:139]
	s_wait_dscnt 0x1
	s_delay_alu instid0(VALU_DEP_1) | instskip(SKIP_1) | instid1(VALU_DEP_1)
	v_fmac_f64_e32 v[140:141], v[112:113], v[130:131]
	s_wait_loadcnt 0x3
	v_fmac_f64_e32 v[140:141], v[114:115], v[132:133]
	s_wait_dscnt 0x0
	s_delay_alu instid0(VALU_DEP_1)
	v_fmac_f64_e32 v[140:141], v[116:117], v[134:135]
	ds_load_2addr_b64 v[110:113], v2 offset0:99 offset1:100
	ds_load_2addr_b64 v[114:117], v2 offset0:101 offset1:102
	s_wait_loadcnt 0x2
	v_fmac_f64_e32 v[140:141], v[118:119], v[136:137]
	s_wait_dscnt 0x1
	s_delay_alu instid0(VALU_DEP_1) | instskip(SKIP_4) | instid1(VALU_DEP_1)
	v_fmac_f64_e32 v[140:141], v[120:121], v[110:111]
	ds_load_b64 v[110:111], v2 offset:824
	s_wait_loadcnt 0x1
	v_fmac_f64_e32 v[140:141], v[122:123], v[112:113]
	s_wait_dscnt 0x1
	v_fmac_f64_e32 v[140:141], v[124:125], v[114:115]
	s_wait_loadcnt 0x0
	s_delay_alu instid0(VALU_DEP_1) | instskip(SKIP_1) | instid1(VALU_DEP_1)
	v_fmac_f64_e32 v[140:141], v[126:127], v[116:117]
	s_wait_dscnt 0x0
	v_fmac_f64_e32 v[140:141], v[128:129], v[110:111]
	s_delay_alu instid0(VALU_DEP_1)
	v_add_f64_e64 v[108:109], v[108:109], -v[140:141]
	scratch_store_b64 off, v[108:109], off offset:240
	s_wait_xcnt 0x0
	v_cmpx_lt_u32_e32 29, v0
	s_cbranch_execz .LBB51_263
; %bb.262:
	scratch_load_b64 v[108:109], off, off offset:232
	v_mov_b64_e32 v[110:111], 0
	scratch_store_b64 off, v[110:111], off offset:232
	s_wait_loadcnt 0x0
	ds_store_b64 v1, v[108:109]
.LBB51_263:
	s_wait_xcnt 0x0
	s_or_b32 exec_lo, exec_lo, s0
	s_wait_storecnt_dscnt 0x0
	s_barrier_signal -1
	s_barrier_wait -1
	s_clause 0x5
	scratch_load_b128 v[108:111], off, off offset:232
	scratch_load_b128 v[112:115], off, off offset:248
	;; [unrolled: 1-line block ×6, first 2 shown]
	ds_load_b128 v[132:135], v2 offset:656
	ds_load_b128 v[136:139], v2 offset:672
	scratch_load_b128 v[140:143], off, off offset:328
	s_mov_b32 s0, exec_lo
	s_wait_loadcnt_dscnt 0x601
	v_fma_f64 v[144:145], v[110:111], v[132:133], 0
	s_wait_loadcnt 0x5
	s_delay_alu instid0(VALU_DEP_1) | instskip(SKIP_4) | instid1(VALU_DEP_1)
	v_fmac_f64_e32 v[144:145], v[112:113], v[134:135]
	scratch_load_b128 v[110:113], off, off offset:344
	s_wait_dscnt 0x0
	v_fmac_f64_e32 v[144:145], v[114:115], v[136:137]
	s_wait_loadcnt 0x5
	v_fmac_f64_e32 v[144:145], v[116:117], v[138:139]
	ds_load_b128 v[114:117], v2 offset:688
	ds_load_b128 v[132:135], v2 offset:704
	s_wait_dscnt 0x1
	v_fmac_f64_e32 v[144:145], v[118:119], v[114:115]
	s_wait_loadcnt 0x4
	s_delay_alu instid0(VALU_DEP_1)
	v_fmac_f64_e32 v[144:145], v[120:121], v[116:117]
	s_clause 0x1
	scratch_load_b128 v[114:117], off, off offset:360
	scratch_load_b128 v[118:121], off, off offset:376
	s_wait_dscnt 0x0
	v_fmac_f64_e32 v[144:145], v[122:123], v[132:133]
	s_wait_loadcnt 0x5
	s_delay_alu instid0(VALU_DEP_1)
	v_fmac_f64_e32 v[144:145], v[124:125], v[134:135]
	ds_load_b128 v[122:125], v2 offset:720
	ds_load_b128 v[132:135], v2 offset:736
	s_wait_dscnt 0x1
	v_fmac_f64_e32 v[144:145], v[126:127], v[122:123]
	s_wait_loadcnt 0x4
	s_delay_alu instid0(VALU_DEP_1) | instskip(SKIP_4) | instid1(VALU_DEP_1)
	v_fmac_f64_e32 v[144:145], v[128:129], v[124:125]
	scratch_load_b128 v[122:125], off, off offset:392
	s_wait_dscnt 0x0
	v_fmac_f64_e32 v[144:145], v[130:131], v[132:133]
	s_wait_loadcnt 0x4
	v_fmac_f64_e32 v[144:145], v[140:141], v[134:135]
	scratch_load_b64 v[134:135], off, off offset:408
	ds_load_b128 v[126:129], v2 offset:752
	ds_load_b128 v[130:133], v2 offset:768
	s_wait_dscnt 0x1
	v_fmac_f64_e32 v[144:145], v[142:143], v[126:127]
	s_wait_loadcnt 0x4
	s_delay_alu instid0(VALU_DEP_1) | instskip(SKIP_1) | instid1(VALU_DEP_1)
	v_fmac_f64_e32 v[144:145], v[110:111], v[128:129]
	s_wait_dscnt 0x0
	v_fmac_f64_e32 v[144:145], v[112:113], v[130:131]
	ds_load_b128 v[110:113], v2 offset:784
	ds_load_b128 v[126:129], v2 offset:800
	s_wait_loadcnt 0x3
	v_fmac_f64_e32 v[144:145], v[114:115], v[132:133]
	s_wait_dscnt 0x1
	s_delay_alu instid0(VALU_DEP_1) | instskip(SKIP_1) | instid1(VALU_DEP_1)
	v_fmac_f64_e32 v[144:145], v[116:117], v[110:111]
	s_wait_loadcnt 0x2
	v_fmac_f64_e32 v[144:145], v[118:119], v[112:113]
	ds_load_b128 v[110:113], v2 offset:816
	s_wait_dscnt 0x1
	v_fmac_f64_e32 v[144:145], v[120:121], v[126:127]
	s_wait_loadcnt 0x1
	s_delay_alu instid0(VALU_DEP_1) | instskip(SKIP_1) | instid1(VALU_DEP_1)
	v_fmac_f64_e32 v[144:145], v[122:123], v[128:129]
	s_wait_dscnt 0x0
	v_fmac_f64_e32 v[144:145], v[124:125], v[110:111]
	s_wait_loadcnt 0x0
	s_delay_alu instid0(VALU_DEP_1) | instskip(NEXT) | instid1(VALU_DEP_1)
	v_fmac_f64_e32 v[144:145], v[134:135], v[112:113]
	v_add_f64_e64 v[2:3], v[108:109], -v[144:145]
	scratch_store_b64 off, v[2:3], off offset:232
	s_wait_xcnt 0x0
	v_cmpx_lt_u32_e32 28, v0
	s_cbranch_execz .LBB51_265
; %bb.264:
	scratch_load_b64 v[2:3], off, off offset:224
	v_mov_b64_e32 v[108:109], 0
	scratch_store_b64 off, v[108:109], off offset:224
	s_wait_loadcnt 0x0
	ds_store_b64 v1, v[2:3]
.LBB51_265:
	s_wait_xcnt 0x0
	s_or_b32 exec_lo, exec_lo, s0
	s_wait_storecnt_dscnt 0x0
	s_barrier_signal -1
	s_barrier_wait -1
	s_clause 0x5
	scratch_load_b128 v[108:111], off, off offset:224
	scratch_load_b128 v[112:115], off, off offset:240
	;; [unrolled: 1-line block ×6, first 2 shown]
	v_mov_b32_e32 v2, 0
	ds_load_2addr_b64 v[132:135], v2 offset0:81 offset1:82
	ds_load_2addr_b64 v[136:139], v2 offset0:83 offset1:84
	scratch_load_b128 v[140:143], off, off offset:320
	s_mov_b32 s0, exec_lo
	s_wait_loadcnt_dscnt 0x601
	v_fma_f64 v[144:145], v[110:111], v[132:133], 0
	s_wait_loadcnt 0x5
	s_delay_alu instid0(VALU_DEP_1) | instskip(SKIP_4) | instid1(VALU_DEP_1)
	v_fmac_f64_e32 v[144:145], v[112:113], v[134:135]
	scratch_load_b128 v[110:113], off, off offset:336
	s_wait_dscnt 0x0
	v_fmac_f64_e32 v[144:145], v[114:115], v[136:137]
	s_wait_loadcnt 0x5
	v_fmac_f64_e32 v[144:145], v[116:117], v[138:139]
	ds_load_2addr_b64 v[114:117], v2 offset0:85 offset1:86
	ds_load_2addr_b64 v[132:135], v2 offset0:87 offset1:88
	s_wait_dscnt 0x1
	v_fmac_f64_e32 v[144:145], v[118:119], v[114:115]
	s_wait_loadcnt 0x4
	s_delay_alu instid0(VALU_DEP_1)
	v_fmac_f64_e32 v[144:145], v[120:121], v[116:117]
	s_clause 0x1
	scratch_load_b128 v[114:117], off, off offset:352
	scratch_load_b128 v[118:121], off, off offset:368
	s_wait_dscnt 0x0
	v_fmac_f64_e32 v[144:145], v[122:123], v[132:133]
	s_wait_loadcnt 0x5
	s_delay_alu instid0(VALU_DEP_1)
	v_fmac_f64_e32 v[144:145], v[124:125], v[134:135]
	ds_load_2addr_b64 v[122:125], v2 offset0:89 offset1:90
	ds_load_2addr_b64 v[132:135], v2 offset0:91 offset1:92
	s_wait_dscnt 0x1
	v_fmac_f64_e32 v[144:145], v[126:127], v[122:123]
	s_wait_loadcnt 0x4
	s_delay_alu instid0(VALU_DEP_1)
	v_fmac_f64_e32 v[144:145], v[128:129], v[124:125]
	s_clause 0x1
	scratch_load_b128 v[122:125], off, off offset:384
	scratch_load_b128 v[126:129], off, off offset:400
	s_wait_dscnt 0x0
	v_fmac_f64_e32 v[144:145], v[130:131], v[132:133]
	s_wait_loadcnt 0x5
	s_delay_alu instid0(VALU_DEP_1)
	v_fmac_f64_e32 v[144:145], v[140:141], v[134:135]
	ds_load_2addr_b64 v[130:133], v2 offset0:93 offset1:94
	ds_load_2addr_b64 v[134:137], v2 offset0:95 offset1:96
	s_wait_dscnt 0x1
	v_fmac_f64_e32 v[144:145], v[142:143], v[130:131]
	s_wait_loadcnt 0x4
	s_delay_alu instid0(VALU_DEP_1) | instskip(SKIP_1) | instid1(VALU_DEP_1)
	v_fmac_f64_e32 v[144:145], v[110:111], v[132:133]
	s_wait_dscnt 0x0
	v_fmac_f64_e32 v[144:145], v[112:113], v[134:135]
	ds_load_2addr_b64 v[110:113], v2 offset0:97 offset1:98
	ds_load_2addr_b64 v[130:133], v2 offset0:99 offset1:100
	s_wait_loadcnt 0x3
	v_fmac_f64_e32 v[144:145], v[114:115], v[136:137]
	s_wait_dscnt 0x1
	s_delay_alu instid0(VALU_DEP_1) | instskip(SKIP_1) | instid1(VALU_DEP_1)
	v_fmac_f64_e32 v[144:145], v[116:117], v[110:111]
	s_wait_loadcnt 0x2
	v_fmac_f64_e32 v[144:145], v[118:119], v[112:113]
	ds_load_2addr_b64 v[110:113], v2 offset0:101 offset1:102
	ds_load_b64 v[114:115], v2 offset:824
	s_wait_dscnt 0x2
	v_fmac_f64_e32 v[144:145], v[120:121], v[130:131]
	s_wait_loadcnt 0x1
	s_delay_alu instid0(VALU_DEP_1) | instskip(SKIP_1) | instid1(VALU_DEP_1)
	v_fmac_f64_e32 v[144:145], v[122:123], v[132:133]
	s_wait_dscnt 0x1
	v_fmac_f64_e32 v[144:145], v[124:125], v[110:111]
	s_wait_loadcnt 0x0
	s_delay_alu instid0(VALU_DEP_1) | instskip(SKIP_1) | instid1(VALU_DEP_1)
	v_fmac_f64_e32 v[144:145], v[126:127], v[112:113]
	s_wait_dscnt 0x0
	v_fmac_f64_e32 v[144:145], v[128:129], v[114:115]
	s_delay_alu instid0(VALU_DEP_1)
	v_add_f64_e64 v[108:109], v[108:109], -v[144:145]
	scratch_store_b64 off, v[108:109], off offset:224
	s_wait_xcnt 0x0
	v_cmpx_lt_u32_e32 27, v0
	s_cbranch_execz .LBB51_267
; %bb.266:
	scratch_load_b64 v[108:109], off, off offset:216
	v_mov_b64_e32 v[110:111], 0
	scratch_store_b64 off, v[110:111], off offset:216
	s_wait_loadcnt 0x0
	ds_store_b64 v1, v[108:109]
.LBB51_267:
	s_wait_xcnt 0x0
	s_or_b32 exec_lo, exec_lo, s0
	s_wait_storecnt_dscnt 0x0
	s_barrier_signal -1
	s_barrier_wait -1
	s_clause 0x5
	scratch_load_b128 v[108:111], off, off offset:216
	scratch_load_b128 v[112:115], off, off offset:232
	;; [unrolled: 1-line block ×6, first 2 shown]
	ds_load_b128 v[132:135], v2 offset:640
	ds_load_b128 v[136:139], v2 offset:656
	scratch_load_b128 v[140:143], off, off offset:312
	s_mov_b32 s0, exec_lo
	s_wait_loadcnt_dscnt 0x601
	v_fma_f64 v[144:145], v[110:111], v[132:133], 0
	s_wait_loadcnt 0x5
	s_delay_alu instid0(VALU_DEP_1) | instskip(SKIP_4) | instid1(VALU_DEP_1)
	v_fmac_f64_e32 v[144:145], v[112:113], v[134:135]
	scratch_load_b128 v[110:113], off, off offset:328
	s_wait_dscnt 0x0
	v_fmac_f64_e32 v[144:145], v[114:115], v[136:137]
	s_wait_loadcnt 0x5
	v_fmac_f64_e32 v[144:145], v[116:117], v[138:139]
	ds_load_b128 v[114:117], v2 offset:672
	ds_load_b128 v[132:135], v2 offset:688
	s_wait_dscnt 0x1
	v_fmac_f64_e32 v[144:145], v[118:119], v[114:115]
	s_wait_loadcnt 0x4
	s_delay_alu instid0(VALU_DEP_1)
	v_fmac_f64_e32 v[144:145], v[120:121], v[116:117]
	s_clause 0x1
	scratch_load_b128 v[114:117], off, off offset:344
	scratch_load_b128 v[118:121], off, off offset:360
	s_wait_dscnt 0x0
	v_fmac_f64_e32 v[144:145], v[122:123], v[132:133]
	s_wait_loadcnt 0x5
	s_delay_alu instid0(VALU_DEP_1)
	v_fmac_f64_e32 v[144:145], v[124:125], v[134:135]
	ds_load_b128 v[122:125], v2 offset:704
	ds_load_b128 v[132:135], v2 offset:720
	s_wait_dscnt 0x1
	v_fmac_f64_e32 v[144:145], v[126:127], v[122:123]
	s_wait_loadcnt 0x4
	s_delay_alu instid0(VALU_DEP_1)
	v_fmac_f64_e32 v[144:145], v[128:129], v[124:125]
	s_clause 0x1
	scratch_load_b128 v[122:125], off, off offset:376
	scratch_load_b128 v[126:129], off, off offset:392
	s_wait_dscnt 0x0
	v_fmac_f64_e32 v[144:145], v[130:131], v[132:133]
	s_wait_loadcnt 0x5
	s_delay_alu instid0(VALU_DEP_1)
	v_fmac_f64_e32 v[144:145], v[140:141], v[134:135]
	ds_load_b128 v[130:133], v2 offset:736
	ds_load_b128 v[134:137], v2 offset:752
	scratch_load_b64 v[138:139], off, off offset:408
	s_wait_dscnt 0x1
	v_fmac_f64_e32 v[144:145], v[142:143], v[130:131]
	s_wait_loadcnt 0x5
	s_delay_alu instid0(VALU_DEP_1) | instskip(SKIP_1) | instid1(VALU_DEP_1)
	v_fmac_f64_e32 v[144:145], v[110:111], v[132:133]
	s_wait_dscnt 0x0
	v_fmac_f64_e32 v[144:145], v[112:113], v[134:135]
	ds_load_b128 v[110:113], v2 offset:768
	ds_load_b128 v[130:133], v2 offset:784
	s_wait_loadcnt 0x4
	v_fmac_f64_e32 v[144:145], v[114:115], v[136:137]
	s_wait_dscnt 0x1
	s_delay_alu instid0(VALU_DEP_1) | instskip(SKIP_1) | instid1(VALU_DEP_1)
	v_fmac_f64_e32 v[144:145], v[116:117], v[110:111]
	s_wait_loadcnt 0x3
	v_fmac_f64_e32 v[144:145], v[118:119], v[112:113]
	ds_load_b128 v[110:113], v2 offset:800
	ds_load_b128 v[114:117], v2 offset:816
	s_wait_dscnt 0x2
	v_fmac_f64_e32 v[144:145], v[120:121], v[130:131]
	s_wait_loadcnt 0x2
	s_delay_alu instid0(VALU_DEP_1) | instskip(SKIP_1) | instid1(VALU_DEP_1)
	v_fmac_f64_e32 v[144:145], v[122:123], v[132:133]
	s_wait_dscnt 0x1
	v_fmac_f64_e32 v[144:145], v[124:125], v[110:111]
	s_wait_loadcnt 0x1
	s_delay_alu instid0(VALU_DEP_1) | instskip(SKIP_1) | instid1(VALU_DEP_1)
	v_fmac_f64_e32 v[144:145], v[126:127], v[112:113]
	s_wait_dscnt 0x0
	v_fmac_f64_e32 v[144:145], v[128:129], v[114:115]
	s_wait_loadcnt 0x0
	s_delay_alu instid0(VALU_DEP_1) | instskip(NEXT) | instid1(VALU_DEP_1)
	v_fmac_f64_e32 v[144:145], v[138:139], v[116:117]
	v_add_f64_e64 v[2:3], v[108:109], -v[144:145]
	scratch_store_b64 off, v[2:3], off offset:216
	s_wait_xcnt 0x0
	v_cmpx_lt_u32_e32 26, v0
	s_cbranch_execz .LBB51_269
; %bb.268:
	scratch_load_b64 v[2:3], off, off offset:208
	v_mov_b64_e32 v[108:109], 0
	scratch_store_b64 off, v[108:109], off offset:208
	s_wait_loadcnt 0x0
	ds_store_b64 v1, v[2:3]
.LBB51_269:
	s_wait_xcnt 0x0
	s_or_b32 exec_lo, exec_lo, s0
	s_wait_storecnt_dscnt 0x0
	s_barrier_signal -1
	s_barrier_wait -1
	s_clause 0x5
	scratch_load_b128 v[108:111], off, off offset:208
	scratch_load_b128 v[112:115], off, off offset:224
	;; [unrolled: 1-line block ×6, first 2 shown]
	v_mov_b32_e32 v2, 0
	ds_load_2addr_b64 v[132:135], v2 offset0:79 offset1:80
	ds_load_2addr_b64 v[136:139], v2 offset0:81 offset1:82
	scratch_load_b128 v[140:143], off, off offset:304
	s_mov_b32 s0, exec_lo
	s_wait_loadcnt_dscnt 0x601
	v_fma_f64 v[144:145], v[110:111], v[132:133], 0
	s_wait_loadcnt 0x5
	s_delay_alu instid0(VALU_DEP_1) | instskip(SKIP_4) | instid1(VALU_DEP_1)
	v_fmac_f64_e32 v[144:145], v[112:113], v[134:135]
	scratch_load_b128 v[110:113], off, off offset:320
	s_wait_dscnt 0x0
	v_fmac_f64_e32 v[144:145], v[114:115], v[136:137]
	s_wait_loadcnt 0x5
	v_fmac_f64_e32 v[144:145], v[116:117], v[138:139]
	ds_load_2addr_b64 v[114:117], v2 offset0:83 offset1:84
	ds_load_2addr_b64 v[132:135], v2 offset0:85 offset1:86
	s_wait_dscnt 0x1
	v_fmac_f64_e32 v[144:145], v[118:119], v[114:115]
	s_wait_loadcnt 0x4
	s_delay_alu instid0(VALU_DEP_1)
	v_fmac_f64_e32 v[144:145], v[120:121], v[116:117]
	s_clause 0x1
	scratch_load_b128 v[114:117], off, off offset:336
	scratch_load_b128 v[118:121], off, off offset:352
	s_wait_dscnt 0x0
	v_fmac_f64_e32 v[144:145], v[122:123], v[132:133]
	s_wait_loadcnt 0x5
	s_delay_alu instid0(VALU_DEP_1)
	v_fmac_f64_e32 v[144:145], v[124:125], v[134:135]
	ds_load_2addr_b64 v[122:125], v2 offset0:87 offset1:88
	ds_load_2addr_b64 v[132:135], v2 offset0:89 offset1:90
	s_wait_dscnt 0x1
	v_fmac_f64_e32 v[144:145], v[126:127], v[122:123]
	s_wait_loadcnt 0x4
	s_delay_alu instid0(VALU_DEP_1)
	v_fmac_f64_e32 v[144:145], v[128:129], v[124:125]
	s_clause 0x1
	scratch_load_b128 v[122:125], off, off offset:368
	scratch_load_b128 v[126:129], off, off offset:384
	s_wait_dscnt 0x0
	v_fmac_f64_e32 v[144:145], v[130:131], v[132:133]
	s_wait_loadcnt 0x5
	s_delay_alu instid0(VALU_DEP_1)
	v_fmac_f64_e32 v[144:145], v[140:141], v[134:135]
	ds_load_2addr_b64 v[130:133], v2 offset0:91 offset1:92
	ds_load_2addr_b64 v[134:137], v2 offset0:93 offset1:94
	s_wait_dscnt 0x1
	v_fmac_f64_e32 v[144:145], v[142:143], v[130:131]
	s_wait_loadcnt 0x4
	s_delay_alu instid0(VALU_DEP_1) | instskip(SKIP_4) | instid1(VALU_DEP_1)
	v_fmac_f64_e32 v[144:145], v[110:111], v[132:133]
	scratch_load_b128 v[130:133], off, off offset:400
	s_wait_dscnt 0x0
	v_fmac_f64_e32 v[144:145], v[112:113], v[134:135]
	s_wait_loadcnt 0x4
	v_fmac_f64_e32 v[144:145], v[114:115], v[136:137]
	ds_load_2addr_b64 v[110:113], v2 offset0:95 offset1:96
	ds_load_2addr_b64 v[134:137], v2 offset0:97 offset1:98
	s_wait_dscnt 0x1
	v_fmac_f64_e32 v[144:145], v[116:117], v[110:111]
	s_wait_loadcnt 0x3
	s_delay_alu instid0(VALU_DEP_1)
	v_fmac_f64_e32 v[144:145], v[118:119], v[112:113]
	ds_load_2addr_b64 v[110:113], v2 offset0:99 offset1:100
	ds_load_2addr_b64 v[114:117], v2 offset0:101 offset1:102
	s_wait_dscnt 0x2
	v_fmac_f64_e32 v[144:145], v[120:121], v[134:135]
	s_wait_loadcnt 0x2
	s_delay_alu instid0(VALU_DEP_1) | instskip(SKIP_1) | instid1(VALU_DEP_1)
	v_fmac_f64_e32 v[144:145], v[122:123], v[136:137]
	s_wait_dscnt 0x1
	v_fmac_f64_e32 v[144:145], v[124:125], v[110:111]
	ds_load_b64 v[110:111], v2 offset:824
	s_wait_loadcnt 0x1
	v_fmac_f64_e32 v[144:145], v[126:127], v[112:113]
	s_wait_dscnt 0x1
	s_delay_alu instid0(VALU_DEP_1) | instskip(SKIP_1) | instid1(VALU_DEP_1)
	v_fmac_f64_e32 v[144:145], v[128:129], v[114:115]
	s_wait_loadcnt 0x0
	v_fmac_f64_e32 v[144:145], v[130:131], v[116:117]
	s_wait_dscnt 0x0
	s_delay_alu instid0(VALU_DEP_1) | instskip(NEXT) | instid1(VALU_DEP_1)
	v_fmac_f64_e32 v[144:145], v[132:133], v[110:111]
	v_add_f64_e64 v[108:109], v[108:109], -v[144:145]
	scratch_store_b64 off, v[108:109], off offset:208
	s_wait_xcnt 0x0
	v_cmpx_lt_u32_e32 25, v0
	s_cbranch_execz .LBB51_271
; %bb.270:
	scratch_load_b64 v[108:109], off, off offset:200
	v_mov_b64_e32 v[110:111], 0
	scratch_store_b64 off, v[110:111], off offset:200
	s_wait_loadcnt 0x0
	ds_store_b64 v1, v[108:109]
.LBB51_271:
	s_wait_xcnt 0x0
	s_or_b32 exec_lo, exec_lo, s0
	s_wait_storecnt_dscnt 0x0
	s_barrier_signal -1
	s_barrier_wait -1
	s_clause 0x5
	scratch_load_b128 v[108:111], off, off offset:200
	scratch_load_b128 v[112:115], off, off offset:216
	scratch_load_b128 v[116:119], off, off offset:232
	scratch_load_b128 v[120:123], off, off offset:248
	scratch_load_b128 v[124:127], off, off offset:264
	scratch_load_b128 v[128:131], off, off offset:280
	ds_load_b128 v[132:135], v2 offset:624
	ds_load_b128 v[136:139], v2 offset:640
	scratch_load_b128 v[140:143], off, off offset:296
	s_mov_b32 s0, exec_lo
	s_wait_loadcnt_dscnt 0x601
	v_fma_f64 v[144:145], v[110:111], v[132:133], 0
	s_wait_loadcnt 0x5
	s_delay_alu instid0(VALU_DEP_1) | instskip(SKIP_4) | instid1(VALU_DEP_1)
	v_fmac_f64_e32 v[144:145], v[112:113], v[134:135]
	scratch_load_b128 v[110:113], off, off offset:312
	s_wait_dscnt 0x0
	v_fmac_f64_e32 v[144:145], v[114:115], v[136:137]
	s_wait_loadcnt 0x5
	v_fmac_f64_e32 v[144:145], v[116:117], v[138:139]
	ds_load_b128 v[114:117], v2 offset:656
	ds_load_b128 v[132:135], v2 offset:672
	scratch_load_b128 v[136:139], off, off offset:328
	s_wait_dscnt 0x1
	v_fmac_f64_e32 v[144:145], v[118:119], v[114:115]
	s_wait_loadcnt 0x5
	s_delay_alu instid0(VALU_DEP_1) | instskip(SKIP_4) | instid1(VALU_DEP_1)
	v_fmac_f64_e32 v[144:145], v[120:121], v[116:117]
	scratch_load_b128 v[114:117], off, off offset:344
	s_wait_dscnt 0x0
	v_fmac_f64_e32 v[144:145], v[122:123], v[132:133]
	s_wait_loadcnt 0x5
	v_fmac_f64_e32 v[144:145], v[124:125], v[134:135]
	ds_load_b128 v[118:121], v2 offset:688
	ds_load_b128 v[122:125], v2 offset:704
	s_wait_dscnt 0x1
	v_fmac_f64_e32 v[144:145], v[126:127], v[118:119]
	s_wait_loadcnt 0x4
	s_delay_alu instid0(VALU_DEP_1) | instskip(SKIP_4) | instid1(VALU_DEP_1)
	v_fmac_f64_e32 v[144:145], v[128:129], v[120:121]
	scratch_load_b128 v[118:121], off, off offset:360
	s_wait_dscnt 0x0
	v_fmac_f64_e32 v[144:145], v[130:131], v[122:123]
	s_wait_loadcnt 0x4
	v_fmac_f64_e32 v[144:145], v[140:141], v[124:125]
	scratch_load_b128 v[122:125], off, off offset:376
	ds_load_b128 v[126:129], v2 offset:720
	ds_load_b128 v[130:133], v2 offset:736
	scratch_load_b64 v[134:135], off, off offset:408
	s_wait_dscnt 0x1
	v_fmac_f64_e32 v[144:145], v[142:143], v[126:127]
	s_wait_loadcnt 0x5
	s_delay_alu instid0(VALU_DEP_1) | instskip(SKIP_4) | instid1(VALU_DEP_1)
	v_fmac_f64_e32 v[144:145], v[110:111], v[128:129]
	scratch_load_b128 v[126:129], off, off offset:392
	s_wait_dscnt 0x0
	v_fmac_f64_e32 v[144:145], v[112:113], v[130:131]
	s_wait_loadcnt 0x5
	v_fmac_f64_e32 v[144:145], v[136:137], v[132:133]
	ds_load_b128 v[110:113], v2 offset:752
	ds_load_b128 v[130:133], v2 offset:768
	s_wait_dscnt 0x1
	v_fmac_f64_e32 v[144:145], v[138:139], v[110:111]
	s_wait_loadcnt 0x4
	s_delay_alu instid0(VALU_DEP_1) | instskip(SKIP_1) | instid1(VALU_DEP_1)
	v_fmac_f64_e32 v[144:145], v[114:115], v[112:113]
	s_wait_dscnt 0x0
	v_fmac_f64_e32 v[144:145], v[116:117], v[130:131]
	ds_load_b128 v[110:113], v2 offset:784
	ds_load_b128 v[114:117], v2 offset:800
	s_wait_loadcnt 0x3
	v_fmac_f64_e32 v[144:145], v[118:119], v[132:133]
	s_wait_dscnt 0x1
	s_delay_alu instid0(VALU_DEP_1) | instskip(SKIP_1) | instid1(VALU_DEP_1)
	v_fmac_f64_e32 v[144:145], v[120:121], v[110:111]
	s_wait_loadcnt 0x2
	v_fmac_f64_e32 v[144:145], v[122:123], v[112:113]
	ds_load_b128 v[110:113], v2 offset:816
	s_wait_dscnt 0x1
	v_fmac_f64_e32 v[144:145], v[124:125], v[114:115]
	s_wait_loadcnt 0x0
	s_delay_alu instid0(VALU_DEP_1) | instskip(SKIP_1) | instid1(VALU_DEP_1)
	v_fmac_f64_e32 v[144:145], v[126:127], v[116:117]
	s_wait_dscnt 0x0
	v_fmac_f64_e32 v[144:145], v[128:129], v[110:111]
	s_delay_alu instid0(VALU_DEP_1) | instskip(NEXT) | instid1(VALU_DEP_1)
	v_fmac_f64_e32 v[144:145], v[134:135], v[112:113]
	v_add_f64_e64 v[2:3], v[108:109], -v[144:145]
	scratch_store_b64 off, v[2:3], off offset:200
	s_wait_xcnt 0x0
	v_cmpx_lt_u32_e32 24, v0
	s_cbranch_execz .LBB51_273
; %bb.272:
	scratch_load_b64 v[2:3], off, off offset:192
	v_mov_b64_e32 v[108:109], 0
	scratch_store_b64 off, v[108:109], off offset:192
	s_wait_loadcnt 0x0
	ds_store_b64 v1, v[2:3]
.LBB51_273:
	s_wait_xcnt 0x0
	s_or_b32 exec_lo, exec_lo, s0
	s_wait_storecnt_dscnt 0x0
	s_barrier_signal -1
	s_barrier_wait -1
	s_clause 0x5
	scratch_load_b128 v[108:111], off, off offset:192
	scratch_load_b128 v[112:115], off, off offset:208
	;; [unrolled: 1-line block ×6, first 2 shown]
	v_mov_b32_e32 v2, 0
	ds_load_2addr_b64 v[132:135], v2 offset0:77 offset1:78
	ds_load_2addr_b64 v[136:139], v2 offset0:79 offset1:80
	scratch_load_b128 v[140:143], off, off offset:288
	s_mov_b32 s0, exec_lo
	s_wait_loadcnt_dscnt 0x601
	v_fma_f64 v[144:145], v[110:111], v[132:133], 0
	s_wait_loadcnt 0x5
	s_delay_alu instid0(VALU_DEP_1) | instskip(SKIP_4) | instid1(VALU_DEP_1)
	v_fmac_f64_e32 v[144:145], v[112:113], v[134:135]
	scratch_load_b128 v[110:113], off, off offset:304
	s_wait_dscnt 0x0
	v_fmac_f64_e32 v[144:145], v[114:115], v[136:137]
	s_wait_loadcnt 0x5
	v_fmac_f64_e32 v[144:145], v[116:117], v[138:139]
	ds_load_2addr_b64 v[114:117], v2 offset0:81 offset1:82
	ds_load_2addr_b64 v[132:135], v2 offset0:83 offset1:84
	scratch_load_b128 v[136:139], off, off offset:320
	s_wait_dscnt 0x1
	v_fmac_f64_e32 v[144:145], v[118:119], v[114:115]
	s_wait_loadcnt 0x5
	s_delay_alu instid0(VALU_DEP_1) | instskip(SKIP_4) | instid1(VALU_DEP_1)
	v_fmac_f64_e32 v[144:145], v[120:121], v[116:117]
	scratch_load_b128 v[114:117], off, off offset:336
	s_wait_dscnt 0x0
	v_fmac_f64_e32 v[144:145], v[122:123], v[132:133]
	s_wait_loadcnt 0x5
	v_fmac_f64_e32 v[144:145], v[124:125], v[134:135]
	ds_load_2addr_b64 v[118:121], v2 offset0:85 offset1:86
	ds_load_2addr_b64 v[122:125], v2 offset0:87 offset1:88
	s_wait_dscnt 0x1
	v_fmac_f64_e32 v[144:145], v[126:127], v[118:119]
	s_wait_loadcnt 0x4
	s_delay_alu instid0(VALU_DEP_1) | instskip(SKIP_4) | instid1(VALU_DEP_1)
	v_fmac_f64_e32 v[144:145], v[128:129], v[120:121]
	scratch_load_b128 v[118:121], off, off offset:352
	s_wait_dscnt 0x0
	v_fmac_f64_e32 v[144:145], v[130:131], v[122:123]
	s_wait_loadcnt 0x4
	v_fmac_f64_e32 v[144:145], v[140:141], v[124:125]
	scratch_load_b128 v[122:125], off, off offset:368
	ds_load_2addr_b64 v[126:129], v2 offset0:89 offset1:90
	ds_load_2addr_b64 v[130:133], v2 offset0:91 offset1:92
	s_wait_dscnt 0x1
	v_fmac_f64_e32 v[144:145], v[142:143], v[126:127]
	s_wait_loadcnt 0x4
	s_delay_alu instid0(VALU_DEP_1)
	v_fmac_f64_e32 v[144:145], v[110:111], v[128:129]
	scratch_load_b128 v[126:129], off, off offset:384
	s_wait_dscnt 0x0
	v_fmac_f64_e32 v[144:145], v[112:113], v[130:131]
	scratch_load_b128 v[110:113], off, off offset:400
	s_wait_loadcnt 0x5
	v_fmac_f64_e32 v[144:145], v[136:137], v[132:133]
	ds_load_2addr_b64 v[130:133], v2 offset0:93 offset1:94
	ds_load_2addr_b64 v[134:137], v2 offset0:95 offset1:96
	s_wait_dscnt 0x1
	v_fmac_f64_e32 v[144:145], v[138:139], v[130:131]
	s_wait_loadcnt 0x4
	s_delay_alu instid0(VALU_DEP_1) | instskip(SKIP_1) | instid1(VALU_DEP_1)
	v_fmac_f64_e32 v[144:145], v[114:115], v[132:133]
	s_wait_dscnt 0x0
	v_fmac_f64_e32 v[144:145], v[116:117], v[134:135]
	ds_load_2addr_b64 v[114:117], v2 offset0:97 offset1:98
	ds_load_2addr_b64 v[130:133], v2 offset0:99 offset1:100
	s_wait_loadcnt 0x3
	v_fmac_f64_e32 v[144:145], v[118:119], v[136:137]
	s_wait_dscnt 0x1
	s_delay_alu instid0(VALU_DEP_1) | instskip(SKIP_1) | instid1(VALU_DEP_1)
	v_fmac_f64_e32 v[144:145], v[120:121], v[114:115]
	s_wait_loadcnt 0x2
	v_fmac_f64_e32 v[144:145], v[122:123], v[116:117]
	ds_load_2addr_b64 v[114:117], v2 offset0:101 offset1:102
	ds_load_b64 v[118:119], v2 offset:824
	s_wait_dscnt 0x2
	v_fmac_f64_e32 v[144:145], v[124:125], v[130:131]
	s_wait_loadcnt 0x1
	s_delay_alu instid0(VALU_DEP_1) | instskip(SKIP_1) | instid1(VALU_DEP_1)
	v_fmac_f64_e32 v[144:145], v[126:127], v[132:133]
	s_wait_dscnt 0x1
	v_fmac_f64_e32 v[144:145], v[128:129], v[114:115]
	s_wait_loadcnt 0x0
	s_delay_alu instid0(VALU_DEP_1) | instskip(SKIP_1) | instid1(VALU_DEP_1)
	v_fmac_f64_e32 v[144:145], v[110:111], v[116:117]
	s_wait_dscnt 0x0
	v_fmac_f64_e32 v[144:145], v[112:113], v[118:119]
	s_delay_alu instid0(VALU_DEP_1)
	v_add_f64_e64 v[108:109], v[108:109], -v[144:145]
	scratch_store_b64 off, v[108:109], off offset:192
	s_wait_xcnt 0x0
	v_cmpx_lt_u32_e32 23, v0
	s_cbranch_execz .LBB51_275
; %bb.274:
	scratch_load_b64 v[108:109], off, off offset:184
	v_mov_b64_e32 v[110:111], 0
	scratch_store_b64 off, v[110:111], off offset:184
	s_wait_loadcnt 0x0
	ds_store_b64 v1, v[108:109]
.LBB51_275:
	s_wait_xcnt 0x0
	s_or_b32 exec_lo, exec_lo, s0
	s_wait_storecnt_dscnt 0x0
	s_barrier_signal -1
	s_barrier_wait -1
	s_clause 0x5
	scratch_load_b128 v[108:111], off, off offset:184
	scratch_load_b128 v[112:115], off, off offset:200
	;; [unrolled: 1-line block ×6, first 2 shown]
	ds_load_b128 v[132:135], v2 offset:608
	ds_load_b128 v[136:139], v2 offset:624
	scratch_load_b128 v[140:143], off, off offset:280
	s_mov_b32 s0, exec_lo
	s_wait_loadcnt_dscnt 0x601
	v_fma_f64 v[144:145], v[110:111], v[132:133], 0
	s_wait_loadcnt 0x5
	s_delay_alu instid0(VALU_DEP_1) | instskip(SKIP_4) | instid1(VALU_DEP_1)
	v_fmac_f64_e32 v[144:145], v[112:113], v[134:135]
	scratch_load_b128 v[110:113], off, off offset:296
	s_wait_dscnt 0x0
	v_fmac_f64_e32 v[144:145], v[114:115], v[136:137]
	s_wait_loadcnt 0x5
	v_fmac_f64_e32 v[144:145], v[116:117], v[138:139]
	ds_load_b128 v[114:117], v2 offset:640
	ds_load_b128 v[132:135], v2 offset:656
	scratch_load_b128 v[136:139], off, off offset:312
	s_wait_dscnt 0x1
	v_fmac_f64_e32 v[144:145], v[118:119], v[114:115]
	s_wait_loadcnt 0x5
	s_delay_alu instid0(VALU_DEP_1) | instskip(SKIP_4) | instid1(VALU_DEP_1)
	v_fmac_f64_e32 v[144:145], v[120:121], v[116:117]
	scratch_load_b128 v[114:117], off, off offset:328
	s_wait_dscnt 0x0
	v_fmac_f64_e32 v[144:145], v[122:123], v[132:133]
	s_wait_loadcnt 0x5
	v_fmac_f64_e32 v[144:145], v[124:125], v[134:135]
	ds_load_b128 v[118:121], v2 offset:672
	ds_load_b128 v[122:125], v2 offset:688
	s_wait_dscnt 0x1
	v_fmac_f64_e32 v[144:145], v[126:127], v[118:119]
	s_wait_loadcnt 0x4
	s_delay_alu instid0(VALU_DEP_1) | instskip(SKIP_4) | instid1(VALU_DEP_1)
	v_fmac_f64_e32 v[144:145], v[128:129], v[120:121]
	scratch_load_b128 v[118:121], off, off offset:344
	s_wait_dscnt 0x0
	v_fmac_f64_e32 v[144:145], v[130:131], v[122:123]
	s_wait_loadcnt 0x4
	v_fmac_f64_e32 v[144:145], v[140:141], v[124:125]
	scratch_load_b128 v[122:125], off, off offset:360
	ds_load_b128 v[126:129], v2 offset:704
	ds_load_b128 v[130:133], v2 offset:720
	s_wait_dscnt 0x1
	v_fmac_f64_e32 v[144:145], v[142:143], v[126:127]
	s_wait_loadcnt 0x4
	s_delay_alu instid0(VALU_DEP_1)
	v_fmac_f64_e32 v[144:145], v[110:111], v[128:129]
	scratch_load_b128 v[126:129], off, off offset:376
	s_wait_dscnt 0x0
	v_fmac_f64_e32 v[144:145], v[112:113], v[130:131]
	scratch_load_b128 v[110:113], off, off offset:392
	s_wait_loadcnt 0x5
	v_fmac_f64_e32 v[144:145], v[136:137], v[132:133]
	ds_load_b128 v[130:133], v2 offset:736
	ds_load_b128 v[134:137], v2 offset:752
	s_wait_dscnt 0x1
	v_fmac_f64_e32 v[144:145], v[138:139], v[130:131]
	scratch_load_b64 v[138:139], off, off offset:408
	s_wait_loadcnt 0x5
	v_fmac_f64_e32 v[144:145], v[114:115], v[132:133]
	s_wait_dscnt 0x0
	s_delay_alu instid0(VALU_DEP_1)
	v_fmac_f64_e32 v[144:145], v[116:117], v[134:135]
	ds_load_b128 v[114:117], v2 offset:768
	ds_load_b128 v[130:133], v2 offset:784
	s_wait_loadcnt 0x4
	v_fmac_f64_e32 v[144:145], v[118:119], v[136:137]
	s_wait_dscnt 0x1
	s_delay_alu instid0(VALU_DEP_1) | instskip(SKIP_1) | instid1(VALU_DEP_1)
	v_fmac_f64_e32 v[144:145], v[120:121], v[114:115]
	s_wait_loadcnt 0x3
	v_fmac_f64_e32 v[144:145], v[122:123], v[116:117]
	ds_load_b128 v[114:117], v2 offset:800
	ds_load_b128 v[118:121], v2 offset:816
	s_wait_dscnt 0x2
	v_fmac_f64_e32 v[144:145], v[124:125], v[130:131]
	s_wait_loadcnt 0x2
	s_delay_alu instid0(VALU_DEP_1) | instskip(SKIP_1) | instid1(VALU_DEP_1)
	v_fmac_f64_e32 v[144:145], v[126:127], v[132:133]
	s_wait_dscnt 0x1
	v_fmac_f64_e32 v[144:145], v[128:129], v[114:115]
	s_wait_loadcnt 0x1
	s_delay_alu instid0(VALU_DEP_1) | instskip(SKIP_1) | instid1(VALU_DEP_1)
	v_fmac_f64_e32 v[144:145], v[110:111], v[116:117]
	s_wait_dscnt 0x0
	v_fmac_f64_e32 v[144:145], v[112:113], v[118:119]
	s_wait_loadcnt 0x0
	s_delay_alu instid0(VALU_DEP_1) | instskip(NEXT) | instid1(VALU_DEP_1)
	v_fmac_f64_e32 v[144:145], v[138:139], v[120:121]
	v_add_f64_e64 v[2:3], v[108:109], -v[144:145]
	scratch_store_b64 off, v[2:3], off offset:184
	s_wait_xcnt 0x0
	v_cmpx_lt_u32_e32 22, v0
	s_cbranch_execz .LBB51_277
; %bb.276:
	scratch_load_b64 v[2:3], off, off offset:176
	v_mov_b64_e32 v[108:109], 0
	scratch_store_b64 off, v[108:109], off offset:176
	s_wait_loadcnt 0x0
	ds_store_b64 v1, v[2:3]
.LBB51_277:
	s_wait_xcnt 0x0
	s_or_b32 exec_lo, exec_lo, s0
	s_wait_storecnt_dscnt 0x0
	s_barrier_signal -1
	s_barrier_wait -1
	s_clause 0x5
	scratch_load_b128 v[108:111], off, off offset:176
	scratch_load_b128 v[112:115], off, off offset:192
	;; [unrolled: 1-line block ×6, first 2 shown]
	v_mov_b32_e32 v2, 0
	ds_load_2addr_b64 v[132:135], v2 offset0:75 offset1:76
	ds_load_2addr_b64 v[136:139], v2 offset0:77 offset1:78
	scratch_load_b128 v[140:143], off, off offset:272
	s_mov_b32 s0, exec_lo
	s_wait_loadcnt_dscnt 0x601
	v_fma_f64 v[144:145], v[110:111], v[132:133], 0
	s_wait_loadcnt 0x5
	s_delay_alu instid0(VALU_DEP_1) | instskip(SKIP_4) | instid1(VALU_DEP_1)
	v_fmac_f64_e32 v[144:145], v[112:113], v[134:135]
	scratch_load_b128 v[110:113], off, off offset:288
	s_wait_dscnt 0x0
	v_fmac_f64_e32 v[144:145], v[114:115], v[136:137]
	s_wait_loadcnt 0x5
	v_fmac_f64_e32 v[144:145], v[116:117], v[138:139]
	ds_load_2addr_b64 v[114:117], v2 offset0:79 offset1:80
	ds_load_2addr_b64 v[132:135], v2 offset0:81 offset1:82
	scratch_load_b128 v[136:139], off, off offset:304
	s_wait_dscnt 0x1
	v_fmac_f64_e32 v[144:145], v[118:119], v[114:115]
	s_wait_loadcnt 0x5
	s_delay_alu instid0(VALU_DEP_1) | instskip(SKIP_4) | instid1(VALU_DEP_1)
	v_fmac_f64_e32 v[144:145], v[120:121], v[116:117]
	scratch_load_b128 v[114:117], off, off offset:320
	s_wait_dscnt 0x0
	v_fmac_f64_e32 v[144:145], v[122:123], v[132:133]
	s_wait_loadcnt 0x5
	v_fmac_f64_e32 v[144:145], v[124:125], v[134:135]
	ds_load_2addr_b64 v[118:121], v2 offset0:83 offset1:84
	ds_load_2addr_b64 v[122:125], v2 offset0:85 offset1:86
	s_wait_dscnt 0x1
	v_fmac_f64_e32 v[144:145], v[126:127], v[118:119]
	s_wait_loadcnt 0x4
	s_delay_alu instid0(VALU_DEP_1) | instskip(SKIP_4) | instid1(VALU_DEP_1)
	v_fmac_f64_e32 v[144:145], v[128:129], v[120:121]
	scratch_load_b128 v[118:121], off, off offset:336
	s_wait_dscnt 0x0
	v_fmac_f64_e32 v[144:145], v[130:131], v[122:123]
	s_wait_loadcnt 0x4
	v_fmac_f64_e32 v[144:145], v[140:141], v[124:125]
	scratch_load_b128 v[122:125], off, off offset:352
	ds_load_2addr_b64 v[126:129], v2 offset0:87 offset1:88
	ds_load_2addr_b64 v[130:133], v2 offset0:89 offset1:90
	s_wait_dscnt 0x1
	v_fmac_f64_e32 v[144:145], v[142:143], v[126:127]
	s_wait_loadcnt 0x4
	s_delay_alu instid0(VALU_DEP_1)
	v_fmac_f64_e32 v[144:145], v[110:111], v[128:129]
	scratch_load_b128 v[126:129], off, off offset:368
	s_wait_dscnt 0x0
	v_fmac_f64_e32 v[144:145], v[112:113], v[130:131]
	scratch_load_b128 v[110:113], off, off offset:384
	s_wait_loadcnt 0x5
	v_fmac_f64_e32 v[144:145], v[136:137], v[132:133]
	ds_load_2addr_b64 v[130:133], v2 offset0:91 offset1:92
	ds_load_2addr_b64 v[134:137], v2 offset0:93 offset1:94
	s_wait_dscnt 0x1
	v_fmac_f64_e32 v[144:145], v[138:139], v[130:131]
	s_wait_loadcnt 0x4
	s_delay_alu instid0(VALU_DEP_1) | instskip(SKIP_4) | instid1(VALU_DEP_1)
	v_fmac_f64_e32 v[144:145], v[114:115], v[132:133]
	scratch_load_b128 v[130:133], off, off offset:400
	s_wait_dscnt 0x0
	v_fmac_f64_e32 v[144:145], v[116:117], v[134:135]
	s_wait_loadcnt 0x4
	v_fmac_f64_e32 v[144:145], v[118:119], v[136:137]
	ds_load_2addr_b64 v[114:117], v2 offset0:95 offset1:96
	ds_load_2addr_b64 v[134:137], v2 offset0:97 offset1:98
	s_wait_dscnt 0x1
	v_fmac_f64_e32 v[144:145], v[120:121], v[114:115]
	s_wait_loadcnt 0x3
	s_delay_alu instid0(VALU_DEP_1)
	v_fmac_f64_e32 v[144:145], v[122:123], v[116:117]
	ds_load_2addr_b64 v[114:117], v2 offset0:99 offset1:100
	ds_load_2addr_b64 v[118:121], v2 offset0:101 offset1:102
	s_wait_dscnt 0x2
	v_fmac_f64_e32 v[144:145], v[124:125], v[134:135]
	s_wait_loadcnt 0x2
	s_delay_alu instid0(VALU_DEP_1) | instskip(SKIP_1) | instid1(VALU_DEP_1)
	v_fmac_f64_e32 v[144:145], v[126:127], v[136:137]
	s_wait_dscnt 0x1
	v_fmac_f64_e32 v[144:145], v[128:129], v[114:115]
	s_wait_loadcnt 0x1
	s_delay_alu instid0(VALU_DEP_1) | instskip(SKIP_4) | instid1(VALU_DEP_1)
	v_fmac_f64_e32 v[144:145], v[110:111], v[116:117]
	ds_load_b64 v[110:111], v2 offset:824
	s_wait_dscnt 0x1
	v_fmac_f64_e32 v[144:145], v[112:113], v[118:119]
	s_wait_loadcnt 0x0
	v_fmac_f64_e32 v[144:145], v[130:131], v[120:121]
	s_wait_dscnt 0x0
	s_delay_alu instid0(VALU_DEP_1) | instskip(NEXT) | instid1(VALU_DEP_1)
	v_fmac_f64_e32 v[144:145], v[132:133], v[110:111]
	v_add_f64_e64 v[108:109], v[108:109], -v[144:145]
	scratch_store_b64 off, v[108:109], off offset:176
	s_wait_xcnt 0x0
	v_cmpx_lt_u32_e32 21, v0
	s_cbranch_execz .LBB51_279
; %bb.278:
	scratch_load_b64 v[108:109], off, off offset:168
	v_mov_b64_e32 v[110:111], 0
	scratch_store_b64 off, v[110:111], off offset:168
	s_wait_loadcnt 0x0
	ds_store_b64 v1, v[108:109]
.LBB51_279:
	s_wait_xcnt 0x0
	s_or_b32 exec_lo, exec_lo, s0
	s_wait_storecnt_dscnt 0x0
	s_barrier_signal -1
	s_barrier_wait -1
	s_clause 0x5
	scratch_load_b128 v[108:111], off, off offset:168
	scratch_load_b128 v[112:115], off, off offset:184
	;; [unrolled: 1-line block ×6, first 2 shown]
	ds_load_b128 v[132:135], v2 offset:592
	ds_load_b128 v[136:139], v2 offset:608
	scratch_load_b128 v[140:143], off, off offset:264
	s_mov_b32 s0, exec_lo
	s_wait_loadcnt_dscnt 0x601
	v_fma_f64 v[144:145], v[110:111], v[132:133], 0
	s_wait_loadcnt 0x5
	s_delay_alu instid0(VALU_DEP_1) | instskip(SKIP_4) | instid1(VALU_DEP_1)
	v_fmac_f64_e32 v[144:145], v[112:113], v[134:135]
	scratch_load_b128 v[110:113], off, off offset:280
	s_wait_dscnt 0x0
	v_fmac_f64_e32 v[144:145], v[114:115], v[136:137]
	s_wait_loadcnt 0x5
	v_fmac_f64_e32 v[144:145], v[116:117], v[138:139]
	ds_load_b128 v[114:117], v2 offset:624
	ds_load_b128 v[132:135], v2 offset:640
	scratch_load_b128 v[136:139], off, off offset:296
	s_wait_dscnt 0x1
	v_fmac_f64_e32 v[144:145], v[118:119], v[114:115]
	s_wait_loadcnt 0x5
	s_delay_alu instid0(VALU_DEP_1) | instskip(SKIP_4) | instid1(VALU_DEP_1)
	v_fmac_f64_e32 v[144:145], v[120:121], v[116:117]
	scratch_load_b128 v[114:117], off, off offset:312
	s_wait_dscnt 0x0
	v_fmac_f64_e32 v[144:145], v[122:123], v[132:133]
	s_wait_loadcnt 0x5
	v_fmac_f64_e32 v[144:145], v[124:125], v[134:135]
	ds_load_b128 v[118:121], v2 offset:656
	ds_load_b128 v[122:125], v2 offset:672
	scratch_load_b128 v[132:135], off, off offset:328
	s_wait_dscnt 0x1
	v_fmac_f64_e32 v[144:145], v[126:127], v[118:119]
	s_wait_loadcnt 0x5
	s_delay_alu instid0(VALU_DEP_1) | instskip(SKIP_4) | instid1(VALU_DEP_1)
	v_fmac_f64_e32 v[144:145], v[128:129], v[120:121]
	scratch_load_b128 v[118:121], off, off offset:344
	s_wait_dscnt 0x0
	v_fmac_f64_e32 v[144:145], v[130:131], v[122:123]
	s_wait_loadcnt 0x5
	v_fmac_f64_e32 v[144:145], v[140:141], v[124:125]
	ds_load_b128 v[122:125], v2 offset:688
	ds_load_b128 v[126:129], v2 offset:704
	s_wait_dscnt 0x1
	v_fmac_f64_e32 v[144:145], v[142:143], v[122:123]
	s_wait_loadcnt 0x4
	s_delay_alu instid0(VALU_DEP_1)
	v_fmac_f64_e32 v[144:145], v[110:111], v[124:125]
	scratch_load_b128 v[122:125], off, off offset:360
	s_wait_dscnt 0x0
	v_fmac_f64_e32 v[144:145], v[112:113], v[126:127]
	scratch_load_b128 v[110:113], off, off offset:376
	s_wait_loadcnt 0x5
	v_fmac_f64_e32 v[144:145], v[136:137], v[128:129]
	ds_load_b128 v[126:129], v2 offset:720
	ds_load_b128 v[140:143], v2 offset:736
	scratch_load_b64 v[136:137], off, off offset:408
	s_wait_dscnt 0x1
	v_fmac_f64_e32 v[144:145], v[138:139], v[126:127]
	s_wait_loadcnt 0x5
	s_delay_alu instid0(VALU_DEP_1) | instskip(SKIP_4) | instid1(VALU_DEP_1)
	v_fmac_f64_e32 v[144:145], v[114:115], v[128:129]
	scratch_load_b128 v[126:129], off, off offset:392
	s_wait_dscnt 0x0
	v_fmac_f64_e32 v[144:145], v[116:117], v[140:141]
	s_wait_loadcnt 0x5
	v_fmac_f64_e32 v[144:145], v[132:133], v[142:143]
	ds_load_b128 v[114:117], v2 offset:752
	ds_load_b128 v[130:133], v2 offset:768
	s_wait_dscnt 0x1
	v_fmac_f64_e32 v[144:145], v[134:135], v[114:115]
	s_wait_loadcnt 0x4
	s_delay_alu instid0(VALU_DEP_1) | instskip(SKIP_1) | instid1(VALU_DEP_1)
	v_fmac_f64_e32 v[144:145], v[118:119], v[116:117]
	s_wait_dscnt 0x0
	v_fmac_f64_e32 v[144:145], v[120:121], v[130:131]
	ds_load_b128 v[114:117], v2 offset:784
	ds_load_b128 v[118:121], v2 offset:800
	s_wait_loadcnt 0x3
	v_fmac_f64_e32 v[144:145], v[122:123], v[132:133]
	s_wait_dscnt 0x1
	s_delay_alu instid0(VALU_DEP_1) | instskip(SKIP_1) | instid1(VALU_DEP_1)
	v_fmac_f64_e32 v[144:145], v[124:125], v[114:115]
	s_wait_loadcnt 0x2
	v_fmac_f64_e32 v[144:145], v[110:111], v[116:117]
	s_wait_dscnt 0x0
	s_delay_alu instid0(VALU_DEP_1) | instskip(SKIP_4) | instid1(VALU_DEP_1)
	v_fmac_f64_e32 v[144:145], v[112:113], v[118:119]
	ds_load_b128 v[110:113], v2 offset:816
	s_wait_loadcnt 0x0
	v_fmac_f64_e32 v[144:145], v[126:127], v[120:121]
	s_wait_dscnt 0x0
	v_fmac_f64_e32 v[144:145], v[128:129], v[110:111]
	s_delay_alu instid0(VALU_DEP_1) | instskip(NEXT) | instid1(VALU_DEP_1)
	v_fmac_f64_e32 v[144:145], v[136:137], v[112:113]
	v_add_f64_e64 v[2:3], v[108:109], -v[144:145]
	scratch_store_b64 off, v[2:3], off offset:168
	s_wait_xcnt 0x0
	v_cmpx_lt_u32_e32 20, v0
	s_cbranch_execz .LBB51_281
; %bb.280:
	scratch_load_b64 v[2:3], off, off offset:160
	v_mov_b64_e32 v[108:109], 0
	scratch_store_b64 off, v[108:109], off offset:160
	s_wait_loadcnt 0x0
	ds_store_b64 v1, v[2:3]
.LBB51_281:
	s_wait_xcnt 0x0
	s_or_b32 exec_lo, exec_lo, s0
	s_wait_storecnt_dscnt 0x0
	s_barrier_signal -1
	s_barrier_wait -1
	s_clause 0x5
	scratch_load_b128 v[108:111], off, off offset:160
	scratch_load_b128 v[112:115], off, off offset:176
	;; [unrolled: 1-line block ×6, first 2 shown]
	v_mov_b32_e32 v2, 0
	ds_load_2addr_b64 v[132:135], v2 offset0:73 offset1:74
	ds_load_2addr_b64 v[136:139], v2 offset0:75 offset1:76
	scratch_load_b128 v[140:143], off, off offset:256
	s_mov_b32 s0, exec_lo
	s_wait_loadcnt_dscnt 0x601
	v_fma_f64 v[144:145], v[110:111], v[132:133], 0
	s_wait_loadcnt 0x5
	s_delay_alu instid0(VALU_DEP_1) | instskip(SKIP_4) | instid1(VALU_DEP_1)
	v_fmac_f64_e32 v[144:145], v[112:113], v[134:135]
	scratch_load_b128 v[110:113], off, off offset:272
	s_wait_dscnt 0x0
	v_fmac_f64_e32 v[144:145], v[114:115], v[136:137]
	s_wait_loadcnt 0x5
	v_fmac_f64_e32 v[144:145], v[116:117], v[138:139]
	ds_load_2addr_b64 v[114:117], v2 offset0:77 offset1:78
	ds_load_2addr_b64 v[132:135], v2 offset0:79 offset1:80
	scratch_load_b128 v[136:139], off, off offset:288
	s_wait_dscnt 0x1
	v_fmac_f64_e32 v[144:145], v[118:119], v[114:115]
	s_wait_loadcnt 0x5
	s_delay_alu instid0(VALU_DEP_1) | instskip(SKIP_4) | instid1(VALU_DEP_1)
	v_fmac_f64_e32 v[144:145], v[120:121], v[116:117]
	scratch_load_b128 v[114:117], off, off offset:304
	s_wait_dscnt 0x0
	v_fmac_f64_e32 v[144:145], v[122:123], v[132:133]
	s_wait_loadcnt 0x5
	v_fmac_f64_e32 v[144:145], v[124:125], v[134:135]
	ds_load_2addr_b64 v[118:121], v2 offset0:81 offset1:82
	ds_load_2addr_b64 v[122:125], v2 offset0:83 offset1:84
	scratch_load_b128 v[132:135], off, off offset:320
	s_wait_dscnt 0x1
	v_fmac_f64_e32 v[144:145], v[126:127], v[118:119]
	s_wait_loadcnt 0x5
	s_delay_alu instid0(VALU_DEP_1) | instskip(SKIP_4) | instid1(VALU_DEP_1)
	v_fmac_f64_e32 v[144:145], v[128:129], v[120:121]
	scratch_load_b128 v[118:121], off, off offset:336
	s_wait_dscnt 0x0
	v_fmac_f64_e32 v[144:145], v[130:131], v[122:123]
	s_wait_loadcnt 0x5
	v_fmac_f64_e32 v[144:145], v[140:141], v[124:125]
	ds_load_2addr_b64 v[122:125], v2 offset0:85 offset1:86
	ds_load_2addr_b64 v[126:129], v2 offset0:87 offset1:88
	s_wait_dscnt 0x1
	v_fmac_f64_e32 v[144:145], v[142:143], v[122:123]
	s_wait_loadcnt 0x4
	s_delay_alu instid0(VALU_DEP_1)
	v_fmac_f64_e32 v[144:145], v[110:111], v[124:125]
	scratch_load_b128 v[122:125], off, off offset:352
	s_wait_dscnt 0x0
	v_fmac_f64_e32 v[144:145], v[112:113], v[126:127]
	scratch_load_b128 v[110:113], off, off offset:368
	s_wait_loadcnt 0x5
	v_fmac_f64_e32 v[144:145], v[136:137], v[128:129]
	ds_load_2addr_b64 v[126:129], v2 offset0:89 offset1:90
	ds_load_2addr_b64 v[140:143], v2 offset0:91 offset1:92
	s_wait_dscnt 0x1
	v_fmac_f64_e32 v[144:145], v[138:139], v[126:127]
	s_wait_loadcnt 0x4
	s_delay_alu instid0(VALU_DEP_1)
	v_fmac_f64_e32 v[144:145], v[114:115], v[128:129]
	scratch_load_b128 v[126:129], off, off offset:384
	s_wait_dscnt 0x0
	v_fmac_f64_e32 v[144:145], v[116:117], v[140:141]
	scratch_load_b128 v[114:117], off, off offset:400
	s_wait_loadcnt 0x5
	v_fmac_f64_e32 v[144:145], v[132:133], v[142:143]
	ds_load_2addr_b64 v[130:133], v2 offset0:93 offset1:94
	ds_load_2addr_b64 v[136:139], v2 offset0:95 offset1:96
	s_wait_dscnt 0x1
	v_fmac_f64_e32 v[144:145], v[134:135], v[130:131]
	s_wait_loadcnt 0x4
	s_delay_alu instid0(VALU_DEP_1) | instskip(SKIP_1) | instid1(VALU_DEP_1)
	v_fmac_f64_e32 v[144:145], v[118:119], v[132:133]
	s_wait_dscnt 0x0
	v_fmac_f64_e32 v[144:145], v[120:121], v[136:137]
	ds_load_2addr_b64 v[118:121], v2 offset0:97 offset1:98
	ds_load_2addr_b64 v[130:133], v2 offset0:99 offset1:100
	s_wait_loadcnt 0x3
	v_fmac_f64_e32 v[144:145], v[122:123], v[138:139]
	s_wait_dscnt 0x1
	s_delay_alu instid0(VALU_DEP_1) | instskip(SKIP_1) | instid1(VALU_DEP_1)
	v_fmac_f64_e32 v[144:145], v[124:125], v[118:119]
	s_wait_loadcnt 0x2
	v_fmac_f64_e32 v[144:145], v[110:111], v[120:121]
	s_wait_dscnt 0x0
	s_delay_alu instid0(VALU_DEP_1)
	v_fmac_f64_e32 v[144:145], v[112:113], v[130:131]
	ds_load_2addr_b64 v[110:113], v2 offset0:101 offset1:102
	ds_load_b64 v[118:119], v2 offset:824
	s_wait_loadcnt 0x1
	v_fmac_f64_e32 v[144:145], v[126:127], v[132:133]
	s_wait_dscnt 0x1
	s_delay_alu instid0(VALU_DEP_1) | instskip(SKIP_1) | instid1(VALU_DEP_1)
	v_fmac_f64_e32 v[144:145], v[128:129], v[110:111]
	s_wait_loadcnt 0x0
	v_fmac_f64_e32 v[144:145], v[114:115], v[112:113]
	s_wait_dscnt 0x0
	s_delay_alu instid0(VALU_DEP_1) | instskip(NEXT) | instid1(VALU_DEP_1)
	v_fmac_f64_e32 v[144:145], v[116:117], v[118:119]
	v_add_f64_e64 v[108:109], v[108:109], -v[144:145]
	scratch_store_b64 off, v[108:109], off offset:160
	s_wait_xcnt 0x0
	v_cmpx_lt_u32_e32 19, v0
	s_cbranch_execz .LBB51_283
; %bb.282:
	scratch_load_b64 v[108:109], off, off offset:152
	v_mov_b64_e32 v[110:111], 0
	scratch_store_b64 off, v[110:111], off offset:152
	s_wait_loadcnt 0x0
	ds_store_b64 v1, v[108:109]
.LBB51_283:
	s_wait_xcnt 0x0
	s_or_b32 exec_lo, exec_lo, s0
	s_wait_storecnt_dscnt 0x0
	s_barrier_signal -1
	s_barrier_wait -1
	s_clause 0x5
	scratch_load_b128 v[108:111], off, off offset:152
	scratch_load_b128 v[112:115], off, off offset:168
	;; [unrolled: 1-line block ×6, first 2 shown]
	ds_load_b128 v[132:135], v2 offset:576
	ds_load_b128 v[136:139], v2 offset:592
	scratch_load_b128 v[140:143], off, off offset:248
	s_mov_b32 s0, exec_lo
	s_wait_loadcnt_dscnt 0x601
	v_fma_f64 v[144:145], v[110:111], v[132:133], 0
	s_wait_loadcnt 0x5
	s_delay_alu instid0(VALU_DEP_1) | instskip(SKIP_4) | instid1(VALU_DEP_1)
	v_fmac_f64_e32 v[144:145], v[112:113], v[134:135]
	scratch_load_b128 v[110:113], off, off offset:264
	s_wait_dscnt 0x0
	v_fmac_f64_e32 v[144:145], v[114:115], v[136:137]
	s_wait_loadcnt 0x5
	v_fmac_f64_e32 v[144:145], v[116:117], v[138:139]
	ds_load_b128 v[114:117], v2 offset:608
	ds_load_b128 v[132:135], v2 offset:624
	scratch_load_b128 v[136:139], off, off offset:280
	s_wait_dscnt 0x1
	v_fmac_f64_e32 v[144:145], v[118:119], v[114:115]
	s_wait_loadcnt 0x5
	s_delay_alu instid0(VALU_DEP_1) | instskip(SKIP_4) | instid1(VALU_DEP_1)
	v_fmac_f64_e32 v[144:145], v[120:121], v[116:117]
	scratch_load_b128 v[114:117], off, off offset:296
	s_wait_dscnt 0x0
	v_fmac_f64_e32 v[144:145], v[122:123], v[132:133]
	s_wait_loadcnt 0x5
	v_fmac_f64_e32 v[144:145], v[124:125], v[134:135]
	ds_load_b128 v[118:121], v2 offset:640
	ds_load_b128 v[122:125], v2 offset:656
	scratch_load_b128 v[132:135], off, off offset:312
	s_wait_dscnt 0x1
	v_fmac_f64_e32 v[144:145], v[126:127], v[118:119]
	s_wait_loadcnt 0x5
	s_delay_alu instid0(VALU_DEP_1) | instskip(SKIP_4) | instid1(VALU_DEP_1)
	v_fmac_f64_e32 v[144:145], v[128:129], v[120:121]
	scratch_load_b128 v[118:121], off, off offset:328
	s_wait_dscnt 0x0
	v_fmac_f64_e32 v[144:145], v[130:131], v[122:123]
	s_wait_loadcnt 0x5
	v_fmac_f64_e32 v[144:145], v[140:141], v[124:125]
	ds_load_b128 v[122:125], v2 offset:672
	ds_load_b128 v[126:129], v2 offset:688
	s_wait_dscnt 0x1
	v_fmac_f64_e32 v[144:145], v[142:143], v[122:123]
	s_wait_loadcnt 0x4
	s_delay_alu instid0(VALU_DEP_1)
	v_fmac_f64_e32 v[144:145], v[110:111], v[124:125]
	scratch_load_b128 v[122:125], off, off offset:344
	s_wait_dscnt 0x0
	v_fmac_f64_e32 v[144:145], v[112:113], v[126:127]
	scratch_load_b128 v[110:113], off, off offset:360
	s_wait_loadcnt 0x5
	v_fmac_f64_e32 v[144:145], v[136:137], v[128:129]
	ds_load_b128 v[126:129], v2 offset:704
	ds_load_b128 v[140:143], v2 offset:720
	s_wait_dscnt 0x1
	v_fmac_f64_e32 v[144:145], v[138:139], v[126:127]
	s_wait_loadcnt 0x4
	s_delay_alu instid0(VALU_DEP_1)
	v_fmac_f64_e32 v[144:145], v[114:115], v[128:129]
	scratch_load_b128 v[126:129], off, off offset:376
	s_wait_dscnt 0x0
	v_fmac_f64_e32 v[144:145], v[116:117], v[140:141]
	scratch_load_b128 v[114:117], off, off offset:392
	s_wait_loadcnt 0x5
	v_fmac_f64_e32 v[144:145], v[132:133], v[142:143]
	ds_load_b128 v[130:133], v2 offset:736
	ds_load_b128 v[136:139], v2 offset:752
	s_wait_dscnt 0x1
	v_fmac_f64_e32 v[144:145], v[134:135], v[130:131]
	scratch_load_b64 v[134:135], off, off offset:408
	s_wait_loadcnt 0x5
	v_fmac_f64_e32 v[144:145], v[118:119], v[132:133]
	s_wait_dscnt 0x0
	s_delay_alu instid0(VALU_DEP_1)
	v_fmac_f64_e32 v[144:145], v[120:121], v[136:137]
	ds_load_b128 v[118:121], v2 offset:768
	ds_load_b128 v[130:133], v2 offset:784
	s_wait_loadcnt 0x4
	v_fmac_f64_e32 v[144:145], v[122:123], v[138:139]
	s_wait_dscnt 0x1
	s_delay_alu instid0(VALU_DEP_1) | instskip(SKIP_1) | instid1(VALU_DEP_1)
	v_fmac_f64_e32 v[144:145], v[124:125], v[118:119]
	s_wait_loadcnt 0x3
	v_fmac_f64_e32 v[144:145], v[110:111], v[120:121]
	s_wait_dscnt 0x0
	s_delay_alu instid0(VALU_DEP_1)
	v_fmac_f64_e32 v[144:145], v[112:113], v[130:131]
	ds_load_b128 v[110:113], v2 offset:800
	ds_load_b128 v[118:121], v2 offset:816
	s_wait_loadcnt 0x2
	v_fmac_f64_e32 v[144:145], v[126:127], v[132:133]
	s_wait_dscnt 0x1
	s_delay_alu instid0(VALU_DEP_1) | instskip(SKIP_1) | instid1(VALU_DEP_1)
	v_fmac_f64_e32 v[144:145], v[128:129], v[110:111]
	s_wait_loadcnt 0x1
	v_fmac_f64_e32 v[144:145], v[114:115], v[112:113]
	s_wait_dscnt 0x0
	s_delay_alu instid0(VALU_DEP_1) | instskip(SKIP_1) | instid1(VALU_DEP_1)
	v_fmac_f64_e32 v[144:145], v[116:117], v[118:119]
	s_wait_loadcnt 0x0
	v_fmac_f64_e32 v[144:145], v[134:135], v[120:121]
	s_delay_alu instid0(VALU_DEP_1)
	v_add_f64_e64 v[2:3], v[108:109], -v[144:145]
	scratch_store_b64 off, v[2:3], off offset:152
	s_wait_xcnt 0x0
	v_cmpx_lt_u32_e32 18, v0
	s_cbranch_execz .LBB51_285
; %bb.284:
	scratch_load_b64 v[2:3], off, off offset:144
	v_mov_b64_e32 v[108:109], 0
	scratch_store_b64 off, v[108:109], off offset:144
	s_wait_loadcnt 0x0
	ds_store_b64 v1, v[2:3]
.LBB51_285:
	s_wait_xcnt 0x0
	s_or_b32 exec_lo, exec_lo, s0
	s_wait_storecnt_dscnt 0x0
	s_barrier_signal -1
	s_barrier_wait -1
	s_clause 0x5
	scratch_load_b128 v[108:111], off, off offset:144
	scratch_load_b128 v[112:115], off, off offset:160
	;; [unrolled: 1-line block ×6, first 2 shown]
	v_mov_b32_e32 v2, 0
	ds_load_2addr_b64 v[132:135], v2 offset0:71 offset1:72
	ds_load_2addr_b64 v[136:139], v2 offset0:73 offset1:74
	scratch_load_b128 v[140:143], off, off offset:240
	s_mov_b32 s0, exec_lo
	s_wait_loadcnt_dscnt 0x601
	v_fma_f64 v[144:145], v[110:111], v[132:133], 0
	s_wait_loadcnt 0x5
	s_delay_alu instid0(VALU_DEP_1) | instskip(SKIP_4) | instid1(VALU_DEP_1)
	v_fmac_f64_e32 v[144:145], v[112:113], v[134:135]
	scratch_load_b128 v[110:113], off, off offset:256
	s_wait_dscnt 0x0
	v_fmac_f64_e32 v[144:145], v[114:115], v[136:137]
	s_wait_loadcnt 0x5
	v_fmac_f64_e32 v[144:145], v[116:117], v[138:139]
	ds_load_2addr_b64 v[114:117], v2 offset0:75 offset1:76
	ds_load_2addr_b64 v[132:135], v2 offset0:77 offset1:78
	scratch_load_b128 v[136:139], off, off offset:272
	s_wait_dscnt 0x1
	v_fmac_f64_e32 v[144:145], v[118:119], v[114:115]
	s_wait_loadcnt 0x5
	s_delay_alu instid0(VALU_DEP_1) | instskip(SKIP_4) | instid1(VALU_DEP_1)
	v_fmac_f64_e32 v[144:145], v[120:121], v[116:117]
	scratch_load_b128 v[114:117], off, off offset:288
	s_wait_dscnt 0x0
	v_fmac_f64_e32 v[144:145], v[122:123], v[132:133]
	s_wait_loadcnt 0x5
	v_fmac_f64_e32 v[144:145], v[124:125], v[134:135]
	ds_load_2addr_b64 v[118:121], v2 offset0:79 offset1:80
	ds_load_2addr_b64 v[122:125], v2 offset0:81 offset1:82
	scratch_load_b128 v[132:135], off, off offset:304
	s_wait_dscnt 0x1
	v_fmac_f64_e32 v[144:145], v[126:127], v[118:119]
	s_wait_loadcnt 0x5
	s_delay_alu instid0(VALU_DEP_1) | instskip(SKIP_4) | instid1(VALU_DEP_1)
	v_fmac_f64_e32 v[144:145], v[128:129], v[120:121]
	scratch_load_b128 v[118:121], off, off offset:320
	s_wait_dscnt 0x0
	v_fmac_f64_e32 v[144:145], v[130:131], v[122:123]
	s_wait_loadcnt 0x5
	v_fmac_f64_e32 v[144:145], v[140:141], v[124:125]
	ds_load_2addr_b64 v[122:125], v2 offset0:83 offset1:84
	ds_load_2addr_b64 v[126:129], v2 offset0:85 offset1:86
	s_wait_dscnt 0x1
	v_fmac_f64_e32 v[144:145], v[142:143], v[122:123]
	s_wait_loadcnt 0x4
	s_delay_alu instid0(VALU_DEP_1)
	v_fmac_f64_e32 v[144:145], v[110:111], v[124:125]
	scratch_load_b128 v[122:125], off, off offset:336
	s_wait_dscnt 0x0
	v_fmac_f64_e32 v[144:145], v[112:113], v[126:127]
	scratch_load_b128 v[110:113], off, off offset:352
	s_wait_loadcnt 0x5
	v_fmac_f64_e32 v[144:145], v[136:137], v[128:129]
	ds_load_2addr_b64 v[126:129], v2 offset0:87 offset1:88
	ds_load_2addr_b64 v[140:143], v2 offset0:89 offset1:90
	s_wait_dscnt 0x1
	v_fmac_f64_e32 v[144:145], v[138:139], v[126:127]
	s_wait_loadcnt 0x4
	s_delay_alu instid0(VALU_DEP_1)
	v_fmac_f64_e32 v[144:145], v[114:115], v[128:129]
	scratch_load_b128 v[126:129], off, off offset:368
	s_wait_dscnt 0x0
	v_fmac_f64_e32 v[144:145], v[116:117], v[140:141]
	scratch_load_b128 v[114:117], off, off offset:384
	s_wait_loadcnt 0x5
	v_fmac_f64_e32 v[144:145], v[132:133], v[142:143]
	ds_load_2addr_b64 v[130:133], v2 offset0:91 offset1:92
	ds_load_2addr_b64 v[136:139], v2 offset0:93 offset1:94
	s_wait_dscnt 0x1
	v_fmac_f64_e32 v[144:145], v[134:135], v[130:131]
	s_wait_loadcnt 0x4
	s_delay_alu instid0(VALU_DEP_1)
	v_fmac_f64_e32 v[144:145], v[118:119], v[132:133]
	scratch_load_b128 v[130:133], off, off offset:400
	s_wait_dscnt 0x0
	v_fmac_f64_e32 v[144:145], v[120:121], v[136:137]
	ds_load_2addr_b64 v[118:121], v2 offset0:95 offset1:96
	ds_load_2addr_b64 v[134:137], v2 offset0:97 offset1:98
	s_wait_loadcnt 0x4
	v_fmac_f64_e32 v[144:145], v[122:123], v[138:139]
	s_wait_dscnt 0x1
	s_delay_alu instid0(VALU_DEP_1) | instskip(SKIP_1) | instid1(VALU_DEP_1)
	v_fmac_f64_e32 v[144:145], v[124:125], v[118:119]
	s_wait_loadcnt 0x3
	v_fmac_f64_e32 v[144:145], v[110:111], v[120:121]
	s_wait_dscnt 0x0
	s_delay_alu instid0(VALU_DEP_1)
	v_fmac_f64_e32 v[144:145], v[112:113], v[134:135]
	ds_load_2addr_b64 v[110:113], v2 offset0:99 offset1:100
	ds_load_2addr_b64 v[118:121], v2 offset0:101 offset1:102
	s_wait_loadcnt 0x2
	v_fmac_f64_e32 v[144:145], v[126:127], v[136:137]
	s_wait_dscnt 0x1
	s_delay_alu instid0(VALU_DEP_1) | instskip(SKIP_4) | instid1(VALU_DEP_1)
	v_fmac_f64_e32 v[144:145], v[128:129], v[110:111]
	ds_load_b64 v[110:111], v2 offset:824
	s_wait_loadcnt 0x1
	v_fmac_f64_e32 v[144:145], v[114:115], v[112:113]
	s_wait_dscnt 0x1
	v_fmac_f64_e32 v[144:145], v[116:117], v[118:119]
	s_wait_loadcnt 0x0
	s_delay_alu instid0(VALU_DEP_1) | instskip(SKIP_1) | instid1(VALU_DEP_1)
	v_fmac_f64_e32 v[144:145], v[130:131], v[120:121]
	s_wait_dscnt 0x0
	v_fmac_f64_e32 v[144:145], v[132:133], v[110:111]
	s_delay_alu instid0(VALU_DEP_1)
	v_add_f64_e64 v[108:109], v[108:109], -v[144:145]
	scratch_store_b64 off, v[108:109], off offset:144
	s_wait_xcnt 0x0
	v_cmpx_lt_u32_e32 17, v0
	s_cbranch_execz .LBB51_287
; %bb.286:
	scratch_load_b64 v[108:109], off, off offset:136
	v_mov_b64_e32 v[110:111], 0
	scratch_store_b64 off, v[110:111], off offset:136
	s_wait_loadcnt 0x0
	ds_store_b64 v1, v[108:109]
.LBB51_287:
	s_wait_xcnt 0x0
	s_or_b32 exec_lo, exec_lo, s0
	s_wait_storecnt_dscnt 0x0
	s_barrier_signal -1
	s_barrier_wait -1
	s_clause 0x5
	scratch_load_b128 v[108:111], off, off offset:136
	scratch_load_b128 v[112:115], off, off offset:152
	scratch_load_b128 v[116:119], off, off offset:168
	scratch_load_b128 v[120:123], off, off offset:184
	scratch_load_b128 v[124:127], off, off offset:200
	scratch_load_b128 v[128:131], off, off offset:216
	ds_load_b128 v[132:135], v2 offset:560
	ds_load_b128 v[136:139], v2 offset:576
	scratch_load_b128 v[140:143], off, off offset:232
	s_mov_b32 s0, exec_lo
	s_wait_loadcnt_dscnt 0x601
	v_fma_f64 v[144:145], v[110:111], v[132:133], 0
	s_wait_loadcnt 0x5
	s_delay_alu instid0(VALU_DEP_1) | instskip(SKIP_4) | instid1(VALU_DEP_1)
	v_fmac_f64_e32 v[144:145], v[112:113], v[134:135]
	scratch_load_b128 v[110:113], off, off offset:248
	s_wait_dscnt 0x0
	v_fmac_f64_e32 v[144:145], v[114:115], v[136:137]
	s_wait_loadcnt 0x5
	v_fmac_f64_e32 v[144:145], v[116:117], v[138:139]
	ds_load_b128 v[114:117], v2 offset:592
	ds_load_b128 v[132:135], v2 offset:608
	scratch_load_b128 v[136:139], off, off offset:264
	s_wait_dscnt 0x1
	v_fmac_f64_e32 v[144:145], v[118:119], v[114:115]
	s_wait_loadcnt 0x5
	s_delay_alu instid0(VALU_DEP_1) | instskip(SKIP_4) | instid1(VALU_DEP_1)
	v_fmac_f64_e32 v[144:145], v[120:121], v[116:117]
	scratch_load_b128 v[114:117], off, off offset:280
	s_wait_dscnt 0x0
	v_fmac_f64_e32 v[144:145], v[122:123], v[132:133]
	s_wait_loadcnt 0x5
	v_fmac_f64_e32 v[144:145], v[124:125], v[134:135]
	ds_load_b128 v[118:121], v2 offset:624
	ds_load_b128 v[122:125], v2 offset:640
	scratch_load_b128 v[132:135], off, off offset:296
	s_wait_dscnt 0x1
	v_fmac_f64_e32 v[144:145], v[126:127], v[118:119]
	s_wait_loadcnt 0x5
	s_delay_alu instid0(VALU_DEP_1) | instskip(SKIP_4) | instid1(VALU_DEP_1)
	v_fmac_f64_e32 v[144:145], v[128:129], v[120:121]
	scratch_load_b128 v[118:121], off, off offset:312
	s_wait_dscnt 0x0
	v_fmac_f64_e32 v[144:145], v[130:131], v[122:123]
	s_wait_loadcnt 0x5
	v_fmac_f64_e32 v[144:145], v[140:141], v[124:125]
	ds_load_b128 v[122:125], v2 offset:656
	ds_load_b128 v[126:129], v2 offset:672
	s_wait_dscnt 0x1
	v_fmac_f64_e32 v[144:145], v[142:143], v[122:123]
	scratch_load_b128 v[140:143], off, off offset:328
	s_wait_loadcnt 0x5
	v_fmac_f64_e32 v[144:145], v[110:111], v[124:125]
	s_wait_dscnt 0x0
	s_delay_alu instid0(VALU_DEP_1)
	v_fmac_f64_e32 v[144:145], v[112:113], v[126:127]
	scratch_load_b128 v[110:113], off, off offset:344
	s_wait_loadcnt 0x5
	v_fmac_f64_e32 v[144:145], v[136:137], v[128:129]
	ds_load_b128 v[122:125], v2 offset:688
	ds_load_b128 v[126:129], v2 offset:704
	s_wait_dscnt 0x1
	v_fmac_f64_e32 v[144:145], v[138:139], v[122:123]
	s_wait_loadcnt 0x4
	s_delay_alu instid0(VALU_DEP_1)
	v_fmac_f64_e32 v[144:145], v[114:115], v[124:125]
	scratch_load_b128 v[122:125], off, off offset:360
	s_wait_dscnt 0x0
	v_fmac_f64_e32 v[144:145], v[116:117], v[126:127]
	scratch_load_b128 v[114:117], off, off offset:376
	s_wait_loadcnt 0x5
	v_fmac_f64_e32 v[144:145], v[132:133], v[128:129]
	ds_load_b128 v[126:129], v2 offset:720
	ds_load_b128 v[130:133], v2 offset:736
	s_wait_dscnt 0x1
	v_fmac_f64_e32 v[144:145], v[134:135], v[126:127]
	scratch_load_b64 v[134:135], off, off offset:408
	s_wait_loadcnt 0x5
	v_fmac_f64_e32 v[144:145], v[118:119], v[128:129]
	scratch_load_b128 v[126:129], off, off offset:392
	s_wait_dscnt 0x0
	v_fmac_f64_e32 v[144:145], v[120:121], v[130:131]
	s_wait_loadcnt 0x5
	s_delay_alu instid0(VALU_DEP_1)
	v_fmac_f64_e32 v[144:145], v[140:141], v[132:133]
	ds_load_b128 v[118:121], v2 offset:752
	ds_load_b128 v[130:133], v2 offset:768
	s_wait_dscnt 0x1
	v_fmac_f64_e32 v[144:145], v[142:143], v[118:119]
	s_wait_loadcnt 0x4
	s_delay_alu instid0(VALU_DEP_1) | instskip(SKIP_1) | instid1(VALU_DEP_1)
	v_fmac_f64_e32 v[144:145], v[110:111], v[120:121]
	s_wait_dscnt 0x0
	v_fmac_f64_e32 v[144:145], v[112:113], v[130:131]
	ds_load_b128 v[110:113], v2 offset:784
	ds_load_b128 v[118:121], v2 offset:800
	s_wait_loadcnt 0x3
	v_fmac_f64_e32 v[144:145], v[122:123], v[132:133]
	s_wait_dscnt 0x1
	s_delay_alu instid0(VALU_DEP_1) | instskip(SKIP_1) | instid1(VALU_DEP_1)
	v_fmac_f64_e32 v[144:145], v[124:125], v[110:111]
	s_wait_loadcnt 0x2
	v_fmac_f64_e32 v[144:145], v[114:115], v[112:113]
	ds_load_b128 v[110:113], v2 offset:816
	s_wait_dscnt 0x1
	v_fmac_f64_e32 v[144:145], v[116:117], v[118:119]
	s_wait_loadcnt 0x0
	s_delay_alu instid0(VALU_DEP_1) | instskip(SKIP_1) | instid1(VALU_DEP_1)
	v_fmac_f64_e32 v[144:145], v[126:127], v[120:121]
	s_wait_dscnt 0x0
	v_fmac_f64_e32 v[144:145], v[128:129], v[110:111]
	s_delay_alu instid0(VALU_DEP_1) | instskip(NEXT) | instid1(VALU_DEP_1)
	v_fmac_f64_e32 v[144:145], v[134:135], v[112:113]
	v_add_f64_e64 v[2:3], v[108:109], -v[144:145]
	scratch_store_b64 off, v[2:3], off offset:136
	s_wait_xcnt 0x0
	v_cmpx_lt_u32_e32 16, v0
	s_cbranch_execz .LBB51_289
; %bb.288:
	scratch_load_b64 v[2:3], off, off offset:128
	v_mov_b64_e32 v[108:109], 0
	scratch_store_b64 off, v[108:109], off offset:128
	s_wait_loadcnt 0x0
	ds_store_b64 v1, v[2:3]
.LBB51_289:
	s_wait_xcnt 0x0
	s_or_b32 exec_lo, exec_lo, s0
	s_wait_storecnt_dscnt 0x0
	s_barrier_signal -1
	s_barrier_wait -1
	s_clause 0x5
	scratch_load_b128 v[108:111], off, off offset:128
	scratch_load_b128 v[112:115], off, off offset:144
	;; [unrolled: 1-line block ×6, first 2 shown]
	v_mov_b32_e32 v2, 0
	ds_load_2addr_b64 v[132:135], v2 offset0:69 offset1:70
	ds_load_2addr_b64 v[136:139], v2 offset0:71 offset1:72
	scratch_load_b128 v[140:143], off, off offset:224
	s_mov_b32 s0, exec_lo
	s_wait_loadcnt_dscnt 0x601
	v_fma_f64 v[144:145], v[110:111], v[132:133], 0
	s_wait_loadcnt 0x5
	s_delay_alu instid0(VALU_DEP_1) | instskip(SKIP_4) | instid1(VALU_DEP_1)
	v_fmac_f64_e32 v[144:145], v[112:113], v[134:135]
	scratch_load_b128 v[110:113], off, off offset:240
	s_wait_dscnt 0x0
	v_fmac_f64_e32 v[144:145], v[114:115], v[136:137]
	s_wait_loadcnt 0x5
	v_fmac_f64_e32 v[144:145], v[116:117], v[138:139]
	ds_load_2addr_b64 v[114:117], v2 offset0:73 offset1:74
	ds_load_2addr_b64 v[132:135], v2 offset0:75 offset1:76
	scratch_load_b128 v[136:139], off, off offset:256
	s_wait_dscnt 0x1
	v_fmac_f64_e32 v[144:145], v[118:119], v[114:115]
	s_wait_loadcnt 0x5
	s_delay_alu instid0(VALU_DEP_1) | instskip(SKIP_4) | instid1(VALU_DEP_1)
	v_fmac_f64_e32 v[144:145], v[120:121], v[116:117]
	scratch_load_b128 v[114:117], off, off offset:272
	s_wait_dscnt 0x0
	v_fmac_f64_e32 v[144:145], v[122:123], v[132:133]
	s_wait_loadcnt 0x5
	v_fmac_f64_e32 v[144:145], v[124:125], v[134:135]
	ds_load_2addr_b64 v[118:121], v2 offset0:77 offset1:78
	ds_load_2addr_b64 v[122:125], v2 offset0:79 offset1:80
	scratch_load_b128 v[132:135], off, off offset:288
	s_wait_dscnt 0x1
	v_fmac_f64_e32 v[144:145], v[126:127], v[118:119]
	s_wait_loadcnt 0x5
	s_delay_alu instid0(VALU_DEP_1) | instskip(SKIP_4) | instid1(VALU_DEP_1)
	v_fmac_f64_e32 v[144:145], v[128:129], v[120:121]
	scratch_load_b128 v[118:121], off, off offset:304
	s_wait_dscnt 0x0
	v_fmac_f64_e32 v[144:145], v[130:131], v[122:123]
	s_wait_loadcnt 0x5
	v_fmac_f64_e32 v[144:145], v[140:141], v[124:125]
	ds_load_2addr_b64 v[122:125], v2 offset0:81 offset1:82
	ds_load_2addr_b64 v[126:129], v2 offset0:83 offset1:84
	s_wait_dscnt 0x1
	v_fmac_f64_e32 v[144:145], v[142:143], v[122:123]
	scratch_load_b128 v[140:143], off, off offset:320
	s_wait_loadcnt 0x5
	v_fmac_f64_e32 v[144:145], v[110:111], v[124:125]
	s_wait_dscnt 0x0
	s_delay_alu instid0(VALU_DEP_1)
	v_fmac_f64_e32 v[144:145], v[112:113], v[126:127]
	scratch_load_b128 v[110:113], off, off offset:336
	s_wait_loadcnt 0x5
	v_fmac_f64_e32 v[144:145], v[136:137], v[128:129]
	ds_load_2addr_b64 v[122:125], v2 offset0:85 offset1:86
	ds_load_2addr_b64 v[126:129], v2 offset0:87 offset1:88
	s_wait_dscnt 0x1
	v_fmac_f64_e32 v[144:145], v[138:139], v[122:123]
	s_wait_loadcnt 0x4
	s_delay_alu instid0(VALU_DEP_1)
	v_fmac_f64_e32 v[144:145], v[114:115], v[124:125]
	scratch_load_b128 v[122:125], off, off offset:352
	s_wait_dscnt 0x0
	v_fmac_f64_e32 v[144:145], v[116:117], v[126:127]
	scratch_load_b128 v[114:117], off, off offset:368
	s_wait_loadcnt 0x5
	v_fmac_f64_e32 v[144:145], v[132:133], v[128:129]
	ds_load_2addr_b64 v[126:129], v2 offset0:89 offset1:90
	ds_load_2addr_b64 v[130:133], v2 offset0:91 offset1:92
	s_wait_dscnt 0x1
	v_fmac_f64_e32 v[144:145], v[134:135], v[126:127]
	s_wait_loadcnt 0x4
	s_delay_alu instid0(VALU_DEP_1)
	v_fmac_f64_e32 v[144:145], v[118:119], v[128:129]
	scratch_load_b128 v[126:129], off, off offset:384
	s_wait_dscnt 0x0
	v_fmac_f64_e32 v[144:145], v[120:121], v[130:131]
	scratch_load_b128 v[118:121], off, off offset:400
	s_wait_loadcnt 0x5
	v_fmac_f64_e32 v[144:145], v[140:141], v[132:133]
	ds_load_2addr_b64 v[130:133], v2 offset0:93 offset1:94
	ds_load_2addr_b64 v[134:137], v2 offset0:95 offset1:96
	s_wait_dscnt 0x1
	v_fmac_f64_e32 v[144:145], v[142:143], v[130:131]
	s_wait_loadcnt 0x4
	s_delay_alu instid0(VALU_DEP_1) | instskip(SKIP_1) | instid1(VALU_DEP_1)
	v_fmac_f64_e32 v[144:145], v[110:111], v[132:133]
	s_wait_dscnt 0x0
	v_fmac_f64_e32 v[144:145], v[112:113], v[134:135]
	ds_load_2addr_b64 v[110:113], v2 offset0:97 offset1:98
	ds_load_2addr_b64 v[130:133], v2 offset0:99 offset1:100
	s_wait_loadcnt 0x3
	v_fmac_f64_e32 v[144:145], v[122:123], v[136:137]
	s_wait_dscnt 0x1
	s_delay_alu instid0(VALU_DEP_1) | instskip(SKIP_1) | instid1(VALU_DEP_1)
	v_fmac_f64_e32 v[144:145], v[124:125], v[110:111]
	s_wait_loadcnt 0x2
	v_fmac_f64_e32 v[144:145], v[114:115], v[112:113]
	ds_load_2addr_b64 v[110:113], v2 offset0:101 offset1:102
	ds_load_b64 v[114:115], v2 offset:824
	s_wait_dscnt 0x2
	v_fmac_f64_e32 v[144:145], v[116:117], v[130:131]
	s_wait_loadcnt 0x1
	s_delay_alu instid0(VALU_DEP_1) | instskip(SKIP_1) | instid1(VALU_DEP_1)
	v_fmac_f64_e32 v[144:145], v[126:127], v[132:133]
	s_wait_dscnt 0x1
	v_fmac_f64_e32 v[144:145], v[128:129], v[110:111]
	s_wait_loadcnt 0x0
	s_delay_alu instid0(VALU_DEP_1) | instskip(SKIP_1) | instid1(VALU_DEP_1)
	v_fmac_f64_e32 v[144:145], v[118:119], v[112:113]
	s_wait_dscnt 0x0
	v_fmac_f64_e32 v[144:145], v[120:121], v[114:115]
	s_delay_alu instid0(VALU_DEP_1)
	v_add_f64_e64 v[108:109], v[108:109], -v[144:145]
	scratch_store_b64 off, v[108:109], off offset:128
	s_wait_xcnt 0x0
	v_cmpx_lt_u32_e32 15, v0
	s_cbranch_execz .LBB51_291
; %bb.290:
	scratch_load_b64 v[108:109], off, off offset:120
	v_mov_b64_e32 v[110:111], 0
	scratch_store_b64 off, v[110:111], off offset:120
	s_wait_loadcnt 0x0
	ds_store_b64 v1, v[108:109]
.LBB51_291:
	s_wait_xcnt 0x0
	s_or_b32 exec_lo, exec_lo, s0
	s_wait_storecnt_dscnt 0x0
	s_barrier_signal -1
	s_barrier_wait -1
	s_clause 0x5
	scratch_load_b128 v[108:111], off, off offset:120
	scratch_load_b128 v[112:115], off, off offset:136
	;; [unrolled: 1-line block ×6, first 2 shown]
	ds_load_b128 v[132:135], v2 offset:544
	ds_load_b128 v[136:139], v2 offset:560
	scratch_load_b128 v[140:143], off, off offset:216
	s_mov_b32 s0, exec_lo
	s_wait_loadcnt_dscnt 0x601
	v_fma_f64 v[144:145], v[110:111], v[132:133], 0
	s_wait_loadcnt 0x5
	s_delay_alu instid0(VALU_DEP_1) | instskip(SKIP_4) | instid1(VALU_DEP_1)
	v_fmac_f64_e32 v[144:145], v[112:113], v[134:135]
	scratch_load_b128 v[110:113], off, off offset:232
	s_wait_dscnt 0x0
	v_fmac_f64_e32 v[144:145], v[114:115], v[136:137]
	s_wait_loadcnt 0x5
	v_fmac_f64_e32 v[144:145], v[116:117], v[138:139]
	ds_load_b128 v[114:117], v2 offset:576
	ds_load_b128 v[132:135], v2 offset:592
	scratch_load_b128 v[136:139], off, off offset:248
	s_wait_dscnt 0x1
	v_fmac_f64_e32 v[144:145], v[118:119], v[114:115]
	s_wait_loadcnt 0x5
	s_delay_alu instid0(VALU_DEP_1) | instskip(SKIP_4) | instid1(VALU_DEP_1)
	v_fmac_f64_e32 v[144:145], v[120:121], v[116:117]
	scratch_load_b128 v[114:117], off, off offset:264
	s_wait_dscnt 0x0
	v_fmac_f64_e32 v[144:145], v[122:123], v[132:133]
	s_wait_loadcnt 0x5
	v_fmac_f64_e32 v[144:145], v[124:125], v[134:135]
	ds_load_b128 v[118:121], v2 offset:608
	ds_load_b128 v[122:125], v2 offset:624
	scratch_load_b128 v[132:135], off, off offset:280
	s_wait_dscnt 0x1
	v_fmac_f64_e32 v[144:145], v[126:127], v[118:119]
	s_wait_loadcnt 0x5
	s_delay_alu instid0(VALU_DEP_1) | instskip(SKIP_4) | instid1(VALU_DEP_1)
	v_fmac_f64_e32 v[144:145], v[128:129], v[120:121]
	scratch_load_b128 v[118:121], off, off offset:296
	s_wait_dscnt 0x0
	v_fmac_f64_e32 v[144:145], v[130:131], v[122:123]
	s_wait_loadcnt 0x5
	v_fmac_f64_e32 v[144:145], v[140:141], v[124:125]
	ds_load_b128 v[122:125], v2 offset:640
	ds_load_b128 v[126:129], v2 offset:656
	s_wait_dscnt 0x1
	v_fmac_f64_e32 v[144:145], v[142:143], v[122:123]
	scratch_load_b128 v[140:143], off, off offset:312
	s_wait_loadcnt 0x5
	v_fmac_f64_e32 v[144:145], v[110:111], v[124:125]
	s_wait_dscnt 0x0
	s_delay_alu instid0(VALU_DEP_1)
	v_fmac_f64_e32 v[144:145], v[112:113], v[126:127]
	scratch_load_b128 v[110:113], off, off offset:328
	s_wait_loadcnt 0x5
	v_fmac_f64_e32 v[144:145], v[136:137], v[128:129]
	ds_load_b128 v[122:125], v2 offset:672
	ds_load_b128 v[126:129], v2 offset:688
	s_wait_dscnt 0x1
	v_fmac_f64_e32 v[144:145], v[138:139], v[122:123]
	s_wait_loadcnt 0x4
	s_delay_alu instid0(VALU_DEP_1)
	v_fmac_f64_e32 v[144:145], v[114:115], v[124:125]
	scratch_load_b128 v[122:125], off, off offset:344
	s_wait_dscnt 0x0
	v_fmac_f64_e32 v[144:145], v[116:117], v[126:127]
	scratch_load_b128 v[114:117], off, off offset:360
	s_wait_loadcnt 0x5
	v_fmac_f64_e32 v[144:145], v[132:133], v[128:129]
	ds_load_b128 v[126:129], v2 offset:704
	ds_load_b128 v[130:133], v2 offset:720
	s_wait_dscnt 0x1
	v_fmac_f64_e32 v[144:145], v[134:135], v[126:127]
	s_wait_loadcnt 0x4
	s_delay_alu instid0(VALU_DEP_1)
	v_fmac_f64_e32 v[144:145], v[118:119], v[128:129]
	scratch_load_b128 v[126:129], off, off offset:376
	s_wait_dscnt 0x0
	v_fmac_f64_e32 v[144:145], v[120:121], v[130:131]
	scratch_load_b128 v[118:121], off, off offset:392
	s_wait_loadcnt 0x5
	v_fmac_f64_e32 v[144:145], v[140:141], v[132:133]
	ds_load_b128 v[130:133], v2 offset:736
	ds_load_b128 v[134:137], v2 offset:752
	scratch_load_b64 v[138:139], off, off offset:408
	s_wait_dscnt 0x1
	v_fmac_f64_e32 v[144:145], v[142:143], v[130:131]
	s_wait_loadcnt 0x5
	s_delay_alu instid0(VALU_DEP_1) | instskip(SKIP_1) | instid1(VALU_DEP_1)
	v_fmac_f64_e32 v[144:145], v[110:111], v[132:133]
	s_wait_dscnt 0x0
	v_fmac_f64_e32 v[144:145], v[112:113], v[134:135]
	ds_load_b128 v[110:113], v2 offset:768
	ds_load_b128 v[130:133], v2 offset:784
	s_wait_loadcnt 0x4
	v_fmac_f64_e32 v[144:145], v[122:123], v[136:137]
	s_wait_dscnt 0x1
	s_delay_alu instid0(VALU_DEP_1) | instskip(SKIP_1) | instid1(VALU_DEP_1)
	v_fmac_f64_e32 v[144:145], v[124:125], v[110:111]
	s_wait_loadcnt 0x3
	v_fmac_f64_e32 v[144:145], v[114:115], v[112:113]
	s_wait_dscnt 0x0
	s_delay_alu instid0(VALU_DEP_1)
	v_fmac_f64_e32 v[144:145], v[116:117], v[130:131]
	ds_load_b128 v[110:113], v2 offset:800
	ds_load_b128 v[114:117], v2 offset:816
	s_wait_loadcnt 0x2
	v_fmac_f64_e32 v[144:145], v[126:127], v[132:133]
	s_wait_dscnt 0x1
	s_delay_alu instid0(VALU_DEP_1) | instskip(SKIP_1) | instid1(VALU_DEP_1)
	v_fmac_f64_e32 v[144:145], v[128:129], v[110:111]
	s_wait_loadcnt 0x1
	v_fmac_f64_e32 v[144:145], v[118:119], v[112:113]
	s_wait_dscnt 0x0
	s_delay_alu instid0(VALU_DEP_1) | instskip(SKIP_1) | instid1(VALU_DEP_1)
	v_fmac_f64_e32 v[144:145], v[120:121], v[114:115]
	s_wait_loadcnt 0x0
	v_fmac_f64_e32 v[144:145], v[138:139], v[116:117]
	s_delay_alu instid0(VALU_DEP_1)
	v_add_f64_e64 v[2:3], v[108:109], -v[144:145]
	scratch_store_b64 off, v[2:3], off offset:120
	s_wait_xcnt 0x0
	v_cmpx_lt_u32_e32 14, v0
	s_cbranch_execz .LBB51_293
; %bb.292:
	scratch_load_b64 v[2:3], off, off offset:112
	v_mov_b64_e32 v[108:109], 0
	scratch_store_b64 off, v[108:109], off offset:112
	s_wait_loadcnt 0x0
	ds_store_b64 v1, v[2:3]
.LBB51_293:
	s_wait_xcnt 0x0
	s_or_b32 exec_lo, exec_lo, s0
	s_wait_storecnt_dscnt 0x0
	s_barrier_signal -1
	s_barrier_wait -1
	s_clause 0x5
	scratch_load_b128 v[108:111], off, off offset:112
	scratch_load_b128 v[112:115], off, off offset:128
	;; [unrolled: 1-line block ×6, first 2 shown]
	v_mov_b32_e32 v2, 0
	ds_load_2addr_b64 v[132:135], v2 offset0:67 offset1:68
	ds_load_2addr_b64 v[136:139], v2 offset0:69 offset1:70
	scratch_load_b128 v[140:143], off, off offset:208
	s_mov_b32 s0, exec_lo
	s_wait_loadcnt_dscnt 0x601
	v_fma_f64 v[144:145], v[110:111], v[132:133], 0
	s_wait_loadcnt 0x5
	s_delay_alu instid0(VALU_DEP_1) | instskip(SKIP_4) | instid1(VALU_DEP_1)
	v_fmac_f64_e32 v[144:145], v[112:113], v[134:135]
	scratch_load_b128 v[110:113], off, off offset:224
	s_wait_dscnt 0x0
	v_fmac_f64_e32 v[144:145], v[114:115], v[136:137]
	s_wait_loadcnt 0x5
	v_fmac_f64_e32 v[144:145], v[116:117], v[138:139]
	ds_load_2addr_b64 v[114:117], v2 offset0:71 offset1:72
	ds_load_2addr_b64 v[132:135], v2 offset0:73 offset1:74
	scratch_load_b128 v[136:139], off, off offset:240
	s_wait_dscnt 0x1
	v_fmac_f64_e32 v[144:145], v[118:119], v[114:115]
	s_wait_loadcnt 0x5
	s_delay_alu instid0(VALU_DEP_1) | instskip(SKIP_4) | instid1(VALU_DEP_1)
	v_fmac_f64_e32 v[144:145], v[120:121], v[116:117]
	scratch_load_b128 v[114:117], off, off offset:256
	s_wait_dscnt 0x0
	v_fmac_f64_e32 v[144:145], v[122:123], v[132:133]
	s_wait_loadcnt 0x5
	v_fmac_f64_e32 v[144:145], v[124:125], v[134:135]
	ds_load_2addr_b64 v[118:121], v2 offset0:75 offset1:76
	ds_load_2addr_b64 v[122:125], v2 offset0:77 offset1:78
	scratch_load_b128 v[132:135], off, off offset:272
	s_wait_dscnt 0x1
	v_fmac_f64_e32 v[144:145], v[126:127], v[118:119]
	s_wait_loadcnt 0x5
	s_delay_alu instid0(VALU_DEP_1) | instskip(SKIP_4) | instid1(VALU_DEP_1)
	v_fmac_f64_e32 v[144:145], v[128:129], v[120:121]
	scratch_load_b128 v[118:121], off, off offset:288
	s_wait_dscnt 0x0
	v_fmac_f64_e32 v[144:145], v[130:131], v[122:123]
	s_wait_loadcnt 0x5
	v_fmac_f64_e32 v[144:145], v[140:141], v[124:125]
	ds_load_2addr_b64 v[122:125], v2 offset0:79 offset1:80
	ds_load_2addr_b64 v[126:129], v2 offset0:81 offset1:82
	s_wait_dscnt 0x1
	v_fmac_f64_e32 v[144:145], v[142:143], v[122:123]
	scratch_load_b128 v[140:143], off, off offset:304
	s_wait_loadcnt 0x5
	v_fmac_f64_e32 v[144:145], v[110:111], v[124:125]
	s_wait_dscnt 0x0
	s_delay_alu instid0(VALU_DEP_1)
	v_fmac_f64_e32 v[144:145], v[112:113], v[126:127]
	scratch_load_b128 v[110:113], off, off offset:320
	s_wait_loadcnt 0x5
	v_fmac_f64_e32 v[144:145], v[136:137], v[128:129]
	ds_load_2addr_b64 v[122:125], v2 offset0:83 offset1:84
	ds_load_2addr_b64 v[126:129], v2 offset0:85 offset1:86
	s_wait_dscnt 0x1
	v_fmac_f64_e32 v[144:145], v[138:139], v[122:123]
	s_wait_loadcnt 0x4
	s_delay_alu instid0(VALU_DEP_1)
	v_fmac_f64_e32 v[144:145], v[114:115], v[124:125]
	scratch_load_b128 v[122:125], off, off offset:336
	s_wait_dscnt 0x0
	v_fmac_f64_e32 v[144:145], v[116:117], v[126:127]
	scratch_load_b128 v[114:117], off, off offset:352
	s_wait_loadcnt 0x5
	v_fmac_f64_e32 v[144:145], v[132:133], v[128:129]
	ds_load_2addr_b64 v[126:129], v2 offset0:87 offset1:88
	ds_load_2addr_b64 v[130:133], v2 offset0:89 offset1:90
	s_wait_dscnt 0x1
	v_fmac_f64_e32 v[144:145], v[134:135], v[126:127]
	s_wait_loadcnt 0x4
	s_delay_alu instid0(VALU_DEP_1)
	v_fmac_f64_e32 v[144:145], v[118:119], v[128:129]
	scratch_load_b128 v[126:129], off, off offset:368
	s_wait_dscnt 0x0
	v_fmac_f64_e32 v[144:145], v[120:121], v[130:131]
	scratch_load_b128 v[118:121], off, off offset:384
	s_wait_loadcnt 0x5
	v_fmac_f64_e32 v[144:145], v[140:141], v[132:133]
	ds_load_2addr_b64 v[130:133], v2 offset0:91 offset1:92
	ds_load_2addr_b64 v[134:137], v2 offset0:93 offset1:94
	s_wait_dscnt 0x1
	v_fmac_f64_e32 v[144:145], v[142:143], v[130:131]
	s_wait_loadcnt 0x4
	s_delay_alu instid0(VALU_DEP_1) | instskip(SKIP_4) | instid1(VALU_DEP_1)
	v_fmac_f64_e32 v[144:145], v[110:111], v[132:133]
	scratch_load_b128 v[130:133], off, off offset:400
	s_wait_dscnt 0x0
	v_fmac_f64_e32 v[144:145], v[112:113], v[134:135]
	s_wait_loadcnt 0x4
	v_fmac_f64_e32 v[144:145], v[122:123], v[136:137]
	ds_load_2addr_b64 v[110:113], v2 offset0:95 offset1:96
	ds_load_2addr_b64 v[134:137], v2 offset0:97 offset1:98
	s_wait_dscnt 0x1
	v_fmac_f64_e32 v[144:145], v[124:125], v[110:111]
	s_wait_loadcnt 0x3
	s_delay_alu instid0(VALU_DEP_1) | instskip(SKIP_1) | instid1(VALU_DEP_1)
	v_fmac_f64_e32 v[144:145], v[114:115], v[112:113]
	s_wait_dscnt 0x0
	v_fmac_f64_e32 v[144:145], v[116:117], v[134:135]
	ds_load_2addr_b64 v[110:113], v2 offset0:99 offset1:100
	ds_load_2addr_b64 v[114:117], v2 offset0:101 offset1:102
	s_wait_loadcnt 0x2
	v_fmac_f64_e32 v[144:145], v[126:127], v[136:137]
	s_wait_dscnt 0x1
	s_delay_alu instid0(VALU_DEP_1) | instskip(SKIP_4) | instid1(VALU_DEP_1)
	v_fmac_f64_e32 v[144:145], v[128:129], v[110:111]
	ds_load_b64 v[110:111], v2 offset:824
	s_wait_loadcnt 0x1
	v_fmac_f64_e32 v[144:145], v[118:119], v[112:113]
	s_wait_dscnt 0x1
	v_fmac_f64_e32 v[144:145], v[120:121], v[114:115]
	s_wait_loadcnt 0x0
	s_delay_alu instid0(VALU_DEP_1) | instskip(SKIP_1) | instid1(VALU_DEP_1)
	v_fmac_f64_e32 v[144:145], v[130:131], v[116:117]
	s_wait_dscnt 0x0
	v_fmac_f64_e32 v[144:145], v[132:133], v[110:111]
	s_delay_alu instid0(VALU_DEP_1)
	v_add_f64_e64 v[108:109], v[108:109], -v[144:145]
	scratch_store_b64 off, v[108:109], off offset:112
	s_wait_xcnt 0x0
	v_cmpx_lt_u32_e32 13, v0
	s_cbranch_execz .LBB51_295
; %bb.294:
	scratch_load_b64 v[108:109], off, off offset:104
	v_mov_b64_e32 v[110:111], 0
	scratch_store_b64 off, v[110:111], off offset:104
	s_wait_loadcnt 0x0
	ds_store_b64 v1, v[108:109]
.LBB51_295:
	s_wait_xcnt 0x0
	s_or_b32 exec_lo, exec_lo, s0
	s_wait_storecnt_dscnt 0x0
	s_barrier_signal -1
	s_barrier_wait -1
	s_clause 0x5
	scratch_load_b128 v[108:111], off, off offset:104
	scratch_load_b128 v[112:115], off, off offset:120
	;; [unrolled: 1-line block ×6, first 2 shown]
	ds_load_b128 v[132:135], v2 offset:528
	ds_load_b128 v[136:139], v2 offset:544
	scratch_load_b128 v[140:143], off, off offset:200
	s_mov_b32 s0, exec_lo
	s_wait_loadcnt_dscnt 0x601
	v_fma_f64 v[144:145], v[110:111], v[132:133], 0
	s_wait_loadcnt 0x5
	s_delay_alu instid0(VALU_DEP_1) | instskip(SKIP_4) | instid1(VALU_DEP_1)
	v_fmac_f64_e32 v[144:145], v[112:113], v[134:135]
	scratch_load_b128 v[110:113], off, off offset:216
	s_wait_dscnt 0x0
	v_fmac_f64_e32 v[144:145], v[114:115], v[136:137]
	s_wait_loadcnt 0x5
	v_fmac_f64_e32 v[144:145], v[116:117], v[138:139]
	ds_load_b128 v[114:117], v2 offset:560
	ds_load_b128 v[132:135], v2 offset:576
	scratch_load_b128 v[136:139], off, off offset:232
	s_wait_dscnt 0x1
	v_fmac_f64_e32 v[144:145], v[118:119], v[114:115]
	s_wait_loadcnt 0x5
	s_delay_alu instid0(VALU_DEP_1) | instskip(SKIP_4) | instid1(VALU_DEP_1)
	v_fmac_f64_e32 v[144:145], v[120:121], v[116:117]
	scratch_load_b128 v[114:117], off, off offset:248
	s_wait_dscnt 0x0
	v_fmac_f64_e32 v[144:145], v[122:123], v[132:133]
	s_wait_loadcnt 0x5
	v_fmac_f64_e32 v[144:145], v[124:125], v[134:135]
	ds_load_b128 v[118:121], v2 offset:592
	ds_load_b128 v[122:125], v2 offset:608
	scratch_load_b128 v[132:135], off, off offset:264
	s_wait_dscnt 0x1
	v_fmac_f64_e32 v[144:145], v[126:127], v[118:119]
	s_wait_loadcnt 0x5
	s_delay_alu instid0(VALU_DEP_1) | instskip(SKIP_4) | instid1(VALU_DEP_1)
	v_fmac_f64_e32 v[144:145], v[128:129], v[120:121]
	scratch_load_b128 v[118:121], off, off offset:280
	s_wait_dscnt 0x0
	v_fmac_f64_e32 v[144:145], v[130:131], v[122:123]
	s_wait_loadcnt 0x5
	v_fmac_f64_e32 v[144:145], v[140:141], v[124:125]
	ds_load_b128 v[122:125], v2 offset:624
	ds_load_b128 v[126:129], v2 offset:640
	s_wait_dscnt 0x1
	v_fmac_f64_e32 v[144:145], v[142:143], v[122:123]
	scratch_load_b128 v[140:143], off, off offset:296
	s_wait_loadcnt 0x5
	v_fmac_f64_e32 v[144:145], v[110:111], v[124:125]
	s_wait_dscnt 0x0
	s_delay_alu instid0(VALU_DEP_1)
	v_fmac_f64_e32 v[144:145], v[112:113], v[126:127]
	scratch_load_b128 v[110:113], off, off offset:312
	s_wait_loadcnt 0x5
	v_fmac_f64_e32 v[144:145], v[136:137], v[128:129]
	ds_load_b128 v[122:125], v2 offset:656
	ds_load_b128 v[126:129], v2 offset:672
	s_wait_dscnt 0x1
	v_fmac_f64_e32 v[144:145], v[138:139], v[122:123]
	scratch_load_b128 v[136:139], off, off offset:328
	s_wait_loadcnt 0x5
	v_fmac_f64_e32 v[144:145], v[114:115], v[124:125]
	s_wait_dscnt 0x0
	s_delay_alu instid0(VALU_DEP_1)
	v_fmac_f64_e32 v[144:145], v[116:117], v[126:127]
	scratch_load_b128 v[114:117], off, off offset:344
	s_wait_loadcnt 0x5
	v_fmac_f64_e32 v[144:145], v[132:133], v[128:129]
	ds_load_b128 v[122:125], v2 offset:688
	ds_load_b128 v[126:129], v2 offset:704
	s_wait_dscnt 0x1
	v_fmac_f64_e32 v[144:145], v[134:135], v[122:123]
	s_wait_loadcnt 0x4
	s_delay_alu instid0(VALU_DEP_1)
	v_fmac_f64_e32 v[144:145], v[118:119], v[124:125]
	scratch_load_b128 v[122:125], off, off offset:360
	s_wait_dscnt 0x0
	v_fmac_f64_e32 v[144:145], v[120:121], v[126:127]
	scratch_load_b128 v[118:121], off, off offset:376
	s_wait_loadcnt 0x5
	v_fmac_f64_e32 v[144:145], v[140:141], v[128:129]
	ds_load_b128 v[126:129], v2 offset:720
	ds_load_b128 v[130:133], v2 offset:736
	scratch_load_b64 v[134:135], off, off offset:408
	s_wait_dscnt 0x1
	v_fmac_f64_e32 v[144:145], v[142:143], v[126:127]
	s_wait_loadcnt 0x5
	s_delay_alu instid0(VALU_DEP_1) | instskip(SKIP_4) | instid1(VALU_DEP_1)
	v_fmac_f64_e32 v[144:145], v[110:111], v[128:129]
	scratch_load_b128 v[126:129], off, off offset:392
	s_wait_dscnt 0x0
	v_fmac_f64_e32 v[144:145], v[112:113], v[130:131]
	s_wait_loadcnt 0x5
	v_fmac_f64_e32 v[144:145], v[136:137], v[132:133]
	ds_load_b128 v[110:113], v2 offset:752
	ds_load_b128 v[130:133], v2 offset:768
	s_wait_dscnt 0x1
	v_fmac_f64_e32 v[144:145], v[138:139], v[110:111]
	s_wait_loadcnt 0x4
	s_delay_alu instid0(VALU_DEP_1) | instskip(SKIP_1) | instid1(VALU_DEP_1)
	v_fmac_f64_e32 v[144:145], v[114:115], v[112:113]
	s_wait_dscnt 0x0
	v_fmac_f64_e32 v[144:145], v[116:117], v[130:131]
	ds_load_b128 v[110:113], v2 offset:784
	ds_load_b128 v[114:117], v2 offset:800
	s_wait_loadcnt 0x3
	v_fmac_f64_e32 v[144:145], v[122:123], v[132:133]
	s_wait_dscnt 0x1
	s_delay_alu instid0(VALU_DEP_1) | instskip(SKIP_1) | instid1(VALU_DEP_1)
	v_fmac_f64_e32 v[144:145], v[124:125], v[110:111]
	s_wait_loadcnt 0x2
	v_fmac_f64_e32 v[144:145], v[118:119], v[112:113]
	ds_load_b128 v[110:113], v2 offset:816
	s_wait_dscnt 0x1
	v_fmac_f64_e32 v[144:145], v[120:121], v[114:115]
	s_wait_loadcnt 0x0
	s_delay_alu instid0(VALU_DEP_1) | instskip(SKIP_1) | instid1(VALU_DEP_1)
	v_fmac_f64_e32 v[144:145], v[126:127], v[116:117]
	s_wait_dscnt 0x0
	v_fmac_f64_e32 v[144:145], v[128:129], v[110:111]
	s_delay_alu instid0(VALU_DEP_1) | instskip(NEXT) | instid1(VALU_DEP_1)
	v_fmac_f64_e32 v[144:145], v[134:135], v[112:113]
	v_add_f64_e64 v[2:3], v[108:109], -v[144:145]
	scratch_store_b64 off, v[2:3], off offset:104
	s_wait_xcnt 0x0
	v_cmpx_lt_u32_e32 12, v0
	s_cbranch_execz .LBB51_297
; %bb.296:
	scratch_load_b64 v[2:3], off, off offset:96
	v_mov_b64_e32 v[108:109], 0
	scratch_store_b64 off, v[108:109], off offset:96
	s_wait_loadcnt 0x0
	ds_store_b64 v1, v[2:3]
.LBB51_297:
	s_wait_xcnt 0x0
	s_or_b32 exec_lo, exec_lo, s0
	s_wait_storecnt_dscnt 0x0
	s_barrier_signal -1
	s_barrier_wait -1
	s_clause 0x5
	scratch_load_b128 v[108:111], off, off offset:96
	scratch_load_b128 v[112:115], off, off offset:112
	;; [unrolled: 1-line block ×6, first 2 shown]
	v_mov_b32_e32 v2, 0
	ds_load_2addr_b64 v[132:135], v2 offset0:65 offset1:66
	ds_load_2addr_b64 v[136:139], v2 offset0:67 offset1:68
	scratch_load_b128 v[140:143], off, off offset:192
	s_mov_b32 s0, exec_lo
	s_wait_loadcnt_dscnt 0x601
	v_fma_f64 v[144:145], v[110:111], v[132:133], 0
	s_wait_loadcnt 0x5
	s_delay_alu instid0(VALU_DEP_1) | instskip(SKIP_4) | instid1(VALU_DEP_1)
	v_fmac_f64_e32 v[144:145], v[112:113], v[134:135]
	scratch_load_b128 v[110:113], off, off offset:208
	s_wait_dscnt 0x0
	v_fmac_f64_e32 v[144:145], v[114:115], v[136:137]
	s_wait_loadcnt 0x5
	v_fmac_f64_e32 v[144:145], v[116:117], v[138:139]
	ds_load_2addr_b64 v[114:117], v2 offset0:69 offset1:70
	ds_load_2addr_b64 v[132:135], v2 offset0:71 offset1:72
	scratch_load_b128 v[136:139], off, off offset:224
	s_wait_dscnt 0x1
	v_fmac_f64_e32 v[144:145], v[118:119], v[114:115]
	s_wait_loadcnt 0x5
	s_delay_alu instid0(VALU_DEP_1) | instskip(SKIP_4) | instid1(VALU_DEP_1)
	v_fmac_f64_e32 v[144:145], v[120:121], v[116:117]
	scratch_load_b128 v[114:117], off, off offset:240
	s_wait_dscnt 0x0
	v_fmac_f64_e32 v[144:145], v[122:123], v[132:133]
	s_wait_loadcnt 0x5
	v_fmac_f64_e32 v[144:145], v[124:125], v[134:135]
	ds_load_2addr_b64 v[118:121], v2 offset0:73 offset1:74
	ds_load_2addr_b64 v[122:125], v2 offset0:75 offset1:76
	scratch_load_b128 v[132:135], off, off offset:256
	s_wait_dscnt 0x1
	v_fmac_f64_e32 v[144:145], v[126:127], v[118:119]
	s_wait_loadcnt 0x5
	s_delay_alu instid0(VALU_DEP_1) | instskip(SKIP_4) | instid1(VALU_DEP_1)
	v_fmac_f64_e32 v[144:145], v[128:129], v[120:121]
	scratch_load_b128 v[118:121], off, off offset:272
	s_wait_dscnt 0x0
	v_fmac_f64_e32 v[144:145], v[130:131], v[122:123]
	s_wait_loadcnt 0x5
	v_fmac_f64_e32 v[144:145], v[140:141], v[124:125]
	ds_load_2addr_b64 v[122:125], v2 offset0:77 offset1:78
	ds_load_2addr_b64 v[126:129], v2 offset0:79 offset1:80
	s_wait_dscnt 0x1
	v_fmac_f64_e32 v[144:145], v[142:143], v[122:123]
	scratch_load_b128 v[140:143], off, off offset:288
	s_wait_loadcnt 0x5
	v_fmac_f64_e32 v[144:145], v[110:111], v[124:125]
	s_wait_dscnt 0x0
	s_delay_alu instid0(VALU_DEP_1)
	v_fmac_f64_e32 v[144:145], v[112:113], v[126:127]
	scratch_load_b128 v[110:113], off, off offset:304
	s_wait_loadcnt 0x5
	v_fmac_f64_e32 v[144:145], v[136:137], v[128:129]
	ds_load_2addr_b64 v[122:125], v2 offset0:81 offset1:82
	ds_load_2addr_b64 v[126:129], v2 offset0:83 offset1:84
	s_wait_dscnt 0x1
	v_fmac_f64_e32 v[144:145], v[138:139], v[122:123]
	scratch_load_b128 v[136:139], off, off offset:320
	s_wait_loadcnt 0x5
	v_fmac_f64_e32 v[144:145], v[114:115], v[124:125]
	s_wait_dscnt 0x0
	s_delay_alu instid0(VALU_DEP_1)
	v_fmac_f64_e32 v[144:145], v[116:117], v[126:127]
	scratch_load_b128 v[114:117], off, off offset:336
	s_wait_loadcnt 0x5
	v_fmac_f64_e32 v[144:145], v[132:133], v[128:129]
	ds_load_2addr_b64 v[122:125], v2 offset0:85 offset1:86
	ds_load_2addr_b64 v[126:129], v2 offset0:87 offset1:88
	s_wait_dscnt 0x1
	v_fmac_f64_e32 v[144:145], v[134:135], v[122:123]
	s_wait_loadcnt 0x4
	s_delay_alu instid0(VALU_DEP_1)
	v_fmac_f64_e32 v[144:145], v[118:119], v[124:125]
	scratch_load_b128 v[122:125], off, off offset:352
	s_wait_dscnt 0x0
	v_fmac_f64_e32 v[144:145], v[120:121], v[126:127]
	scratch_load_b128 v[118:121], off, off offset:368
	s_wait_loadcnt 0x5
	v_fmac_f64_e32 v[144:145], v[140:141], v[128:129]
	ds_load_2addr_b64 v[126:129], v2 offset0:89 offset1:90
	ds_load_2addr_b64 v[130:133], v2 offset0:91 offset1:92
	s_wait_dscnt 0x1
	v_fmac_f64_e32 v[144:145], v[142:143], v[126:127]
	s_wait_loadcnt 0x4
	s_delay_alu instid0(VALU_DEP_1)
	v_fmac_f64_e32 v[144:145], v[110:111], v[128:129]
	scratch_load_b128 v[126:129], off, off offset:384
	s_wait_dscnt 0x0
	v_fmac_f64_e32 v[144:145], v[112:113], v[130:131]
	scratch_load_b128 v[110:113], off, off offset:400
	s_wait_loadcnt 0x5
	v_fmac_f64_e32 v[144:145], v[136:137], v[132:133]
	ds_load_2addr_b64 v[130:133], v2 offset0:93 offset1:94
	ds_load_2addr_b64 v[134:137], v2 offset0:95 offset1:96
	s_wait_dscnt 0x1
	v_fmac_f64_e32 v[144:145], v[138:139], v[130:131]
	s_wait_loadcnt 0x4
	s_delay_alu instid0(VALU_DEP_1) | instskip(SKIP_1) | instid1(VALU_DEP_1)
	v_fmac_f64_e32 v[144:145], v[114:115], v[132:133]
	s_wait_dscnt 0x0
	v_fmac_f64_e32 v[144:145], v[116:117], v[134:135]
	ds_load_2addr_b64 v[114:117], v2 offset0:97 offset1:98
	ds_load_2addr_b64 v[130:133], v2 offset0:99 offset1:100
	s_wait_loadcnt 0x3
	v_fmac_f64_e32 v[144:145], v[122:123], v[136:137]
	s_wait_dscnt 0x1
	s_delay_alu instid0(VALU_DEP_1) | instskip(SKIP_1) | instid1(VALU_DEP_1)
	v_fmac_f64_e32 v[144:145], v[124:125], v[114:115]
	s_wait_loadcnt 0x2
	v_fmac_f64_e32 v[144:145], v[118:119], v[116:117]
	ds_load_2addr_b64 v[114:117], v2 offset0:101 offset1:102
	ds_load_b64 v[118:119], v2 offset:824
	s_wait_dscnt 0x2
	v_fmac_f64_e32 v[144:145], v[120:121], v[130:131]
	s_wait_loadcnt 0x1
	s_delay_alu instid0(VALU_DEP_1) | instskip(SKIP_1) | instid1(VALU_DEP_1)
	v_fmac_f64_e32 v[144:145], v[126:127], v[132:133]
	s_wait_dscnt 0x1
	v_fmac_f64_e32 v[144:145], v[128:129], v[114:115]
	s_wait_loadcnt 0x0
	s_delay_alu instid0(VALU_DEP_1) | instskip(SKIP_1) | instid1(VALU_DEP_1)
	v_fmac_f64_e32 v[144:145], v[110:111], v[116:117]
	s_wait_dscnt 0x0
	v_fmac_f64_e32 v[144:145], v[112:113], v[118:119]
	s_delay_alu instid0(VALU_DEP_1)
	v_add_f64_e64 v[108:109], v[108:109], -v[144:145]
	scratch_store_b64 off, v[108:109], off offset:96
	s_wait_xcnt 0x0
	v_cmpx_lt_u32_e32 11, v0
	s_cbranch_execz .LBB51_299
; %bb.298:
	scratch_load_b64 v[108:109], off, off offset:88
	v_mov_b64_e32 v[110:111], 0
	scratch_store_b64 off, v[110:111], off offset:88
	s_wait_loadcnt 0x0
	ds_store_b64 v1, v[108:109]
.LBB51_299:
	s_wait_xcnt 0x0
	s_or_b32 exec_lo, exec_lo, s0
	s_wait_storecnt_dscnt 0x0
	s_barrier_signal -1
	s_barrier_wait -1
	s_clause 0x5
	scratch_load_b128 v[108:111], off, off offset:88
	scratch_load_b128 v[112:115], off, off offset:104
	;; [unrolled: 1-line block ×6, first 2 shown]
	ds_load_b128 v[132:135], v2 offset:512
	ds_load_b128 v[136:139], v2 offset:528
	scratch_load_b128 v[140:143], off, off offset:184
	s_mov_b32 s0, exec_lo
	s_wait_loadcnt_dscnt 0x601
	v_fma_f64 v[144:145], v[110:111], v[132:133], 0
	s_wait_loadcnt 0x5
	s_delay_alu instid0(VALU_DEP_1) | instskip(SKIP_4) | instid1(VALU_DEP_1)
	v_fmac_f64_e32 v[144:145], v[112:113], v[134:135]
	scratch_load_b128 v[110:113], off, off offset:200
	s_wait_dscnt 0x0
	v_fmac_f64_e32 v[144:145], v[114:115], v[136:137]
	s_wait_loadcnt 0x5
	v_fmac_f64_e32 v[144:145], v[116:117], v[138:139]
	ds_load_b128 v[114:117], v2 offset:544
	ds_load_b128 v[132:135], v2 offset:560
	scratch_load_b128 v[136:139], off, off offset:216
	s_wait_dscnt 0x1
	v_fmac_f64_e32 v[144:145], v[118:119], v[114:115]
	s_wait_loadcnt 0x5
	s_delay_alu instid0(VALU_DEP_1) | instskip(SKIP_4) | instid1(VALU_DEP_1)
	v_fmac_f64_e32 v[144:145], v[120:121], v[116:117]
	scratch_load_b128 v[114:117], off, off offset:232
	s_wait_dscnt 0x0
	v_fmac_f64_e32 v[144:145], v[122:123], v[132:133]
	s_wait_loadcnt 0x5
	v_fmac_f64_e32 v[144:145], v[124:125], v[134:135]
	ds_load_b128 v[118:121], v2 offset:576
	ds_load_b128 v[122:125], v2 offset:592
	scratch_load_b128 v[132:135], off, off offset:248
	s_wait_dscnt 0x1
	v_fmac_f64_e32 v[144:145], v[126:127], v[118:119]
	s_wait_loadcnt 0x5
	s_delay_alu instid0(VALU_DEP_1) | instskip(SKIP_4) | instid1(VALU_DEP_1)
	v_fmac_f64_e32 v[144:145], v[128:129], v[120:121]
	scratch_load_b128 v[118:121], off, off offset:264
	s_wait_dscnt 0x0
	v_fmac_f64_e32 v[144:145], v[130:131], v[122:123]
	s_wait_loadcnt 0x5
	v_fmac_f64_e32 v[144:145], v[140:141], v[124:125]
	ds_load_b128 v[122:125], v2 offset:608
	ds_load_b128 v[126:129], v2 offset:624
	s_wait_dscnt 0x1
	v_fmac_f64_e32 v[144:145], v[142:143], v[122:123]
	scratch_load_b128 v[140:143], off, off offset:280
	s_wait_loadcnt 0x5
	v_fmac_f64_e32 v[144:145], v[110:111], v[124:125]
	s_wait_dscnt 0x0
	s_delay_alu instid0(VALU_DEP_1)
	v_fmac_f64_e32 v[144:145], v[112:113], v[126:127]
	scratch_load_b128 v[110:113], off, off offset:296
	s_wait_loadcnt 0x5
	v_fmac_f64_e32 v[144:145], v[136:137], v[128:129]
	ds_load_b128 v[122:125], v2 offset:640
	ds_load_b128 v[126:129], v2 offset:656
	s_wait_dscnt 0x1
	v_fmac_f64_e32 v[144:145], v[138:139], v[122:123]
	scratch_load_b128 v[136:139], off, off offset:312
	s_wait_loadcnt 0x5
	v_fmac_f64_e32 v[144:145], v[114:115], v[124:125]
	s_wait_dscnt 0x0
	s_delay_alu instid0(VALU_DEP_1)
	v_fmac_f64_e32 v[144:145], v[116:117], v[126:127]
	scratch_load_b128 v[114:117], off, off offset:328
	s_wait_loadcnt 0x5
	v_fmac_f64_e32 v[144:145], v[132:133], v[128:129]
	ds_load_b128 v[122:125], v2 offset:672
	ds_load_b128 v[126:129], v2 offset:688
	s_wait_dscnt 0x1
	v_fmac_f64_e32 v[144:145], v[134:135], v[122:123]
	s_wait_loadcnt 0x4
	s_delay_alu instid0(VALU_DEP_1)
	v_fmac_f64_e32 v[144:145], v[118:119], v[124:125]
	scratch_load_b128 v[122:125], off, off offset:344
	s_wait_dscnt 0x0
	v_fmac_f64_e32 v[144:145], v[120:121], v[126:127]
	scratch_load_b128 v[118:121], off, off offset:360
	s_wait_loadcnt 0x5
	v_fmac_f64_e32 v[144:145], v[140:141], v[128:129]
	ds_load_b128 v[126:129], v2 offset:704
	ds_load_b128 v[130:133], v2 offset:720
	s_wait_dscnt 0x1
	v_fmac_f64_e32 v[144:145], v[142:143], v[126:127]
	s_wait_loadcnt 0x4
	s_delay_alu instid0(VALU_DEP_1)
	v_fmac_f64_e32 v[144:145], v[110:111], v[128:129]
	scratch_load_b128 v[126:129], off, off offset:376
	s_wait_dscnt 0x0
	v_fmac_f64_e32 v[144:145], v[112:113], v[130:131]
	scratch_load_b128 v[110:113], off, off offset:392
	s_wait_loadcnt 0x5
	v_fmac_f64_e32 v[144:145], v[136:137], v[132:133]
	ds_load_b128 v[130:133], v2 offset:736
	ds_load_b128 v[134:137], v2 offset:752
	s_wait_dscnt 0x1
	v_fmac_f64_e32 v[144:145], v[138:139], v[130:131]
	scratch_load_b64 v[138:139], off, off offset:408
	s_wait_loadcnt 0x5
	v_fmac_f64_e32 v[144:145], v[114:115], v[132:133]
	s_wait_dscnt 0x0
	s_delay_alu instid0(VALU_DEP_1)
	v_fmac_f64_e32 v[144:145], v[116:117], v[134:135]
	ds_load_b128 v[114:117], v2 offset:768
	ds_load_b128 v[130:133], v2 offset:784
	s_wait_loadcnt 0x4
	v_fmac_f64_e32 v[144:145], v[122:123], v[136:137]
	s_wait_dscnt 0x1
	s_delay_alu instid0(VALU_DEP_1) | instskip(SKIP_1) | instid1(VALU_DEP_1)
	v_fmac_f64_e32 v[144:145], v[124:125], v[114:115]
	s_wait_loadcnt 0x3
	v_fmac_f64_e32 v[144:145], v[118:119], v[116:117]
	s_wait_dscnt 0x0
	s_delay_alu instid0(VALU_DEP_1)
	v_fmac_f64_e32 v[144:145], v[120:121], v[130:131]
	ds_load_b128 v[114:117], v2 offset:800
	ds_load_b128 v[118:121], v2 offset:816
	s_wait_loadcnt 0x2
	v_fmac_f64_e32 v[144:145], v[126:127], v[132:133]
	s_wait_dscnt 0x1
	s_delay_alu instid0(VALU_DEP_1) | instskip(SKIP_1) | instid1(VALU_DEP_1)
	v_fmac_f64_e32 v[144:145], v[128:129], v[114:115]
	s_wait_loadcnt 0x1
	v_fmac_f64_e32 v[144:145], v[110:111], v[116:117]
	s_wait_dscnt 0x0
	s_delay_alu instid0(VALU_DEP_1) | instskip(SKIP_1) | instid1(VALU_DEP_1)
	v_fmac_f64_e32 v[144:145], v[112:113], v[118:119]
	s_wait_loadcnt 0x0
	v_fmac_f64_e32 v[144:145], v[138:139], v[120:121]
	s_delay_alu instid0(VALU_DEP_1)
	v_add_f64_e64 v[2:3], v[108:109], -v[144:145]
	scratch_store_b64 off, v[2:3], off offset:88
	s_wait_xcnt 0x0
	v_cmpx_lt_u32_e32 10, v0
	s_cbranch_execz .LBB51_301
; %bb.300:
	scratch_load_b64 v[2:3], off, off offset:80
	v_mov_b64_e32 v[108:109], 0
	scratch_store_b64 off, v[108:109], off offset:80
	s_wait_loadcnt 0x0
	ds_store_b64 v1, v[2:3]
.LBB51_301:
	s_wait_xcnt 0x0
	s_or_b32 exec_lo, exec_lo, s0
	s_wait_storecnt_dscnt 0x0
	s_barrier_signal -1
	s_barrier_wait -1
	s_clause 0x5
	scratch_load_b128 v[108:111], off, off offset:80
	scratch_load_b128 v[112:115], off, off offset:96
	;; [unrolled: 1-line block ×6, first 2 shown]
	v_mov_b32_e32 v2, 0
	ds_load_2addr_b64 v[132:135], v2 offset0:63 offset1:64
	ds_load_2addr_b64 v[136:139], v2 offset0:65 offset1:66
	scratch_load_b128 v[140:143], off, off offset:176
	s_mov_b32 s0, exec_lo
	s_wait_loadcnt_dscnt 0x601
	v_fma_f64 v[144:145], v[110:111], v[132:133], 0
	s_wait_loadcnt 0x5
	s_delay_alu instid0(VALU_DEP_1) | instskip(SKIP_4) | instid1(VALU_DEP_1)
	v_fmac_f64_e32 v[144:145], v[112:113], v[134:135]
	scratch_load_b128 v[110:113], off, off offset:192
	s_wait_dscnt 0x0
	v_fmac_f64_e32 v[144:145], v[114:115], v[136:137]
	s_wait_loadcnt 0x5
	v_fmac_f64_e32 v[144:145], v[116:117], v[138:139]
	ds_load_2addr_b64 v[114:117], v2 offset0:67 offset1:68
	ds_load_2addr_b64 v[132:135], v2 offset0:69 offset1:70
	scratch_load_b128 v[136:139], off, off offset:208
	s_wait_dscnt 0x1
	v_fmac_f64_e32 v[144:145], v[118:119], v[114:115]
	s_wait_loadcnt 0x5
	s_delay_alu instid0(VALU_DEP_1) | instskip(SKIP_4) | instid1(VALU_DEP_1)
	v_fmac_f64_e32 v[144:145], v[120:121], v[116:117]
	scratch_load_b128 v[114:117], off, off offset:224
	s_wait_dscnt 0x0
	v_fmac_f64_e32 v[144:145], v[122:123], v[132:133]
	s_wait_loadcnt 0x5
	v_fmac_f64_e32 v[144:145], v[124:125], v[134:135]
	ds_load_2addr_b64 v[118:121], v2 offset0:71 offset1:72
	ds_load_2addr_b64 v[122:125], v2 offset0:73 offset1:74
	scratch_load_b128 v[132:135], off, off offset:240
	s_wait_dscnt 0x1
	v_fmac_f64_e32 v[144:145], v[126:127], v[118:119]
	s_wait_loadcnt 0x5
	s_delay_alu instid0(VALU_DEP_1) | instskip(SKIP_4) | instid1(VALU_DEP_1)
	v_fmac_f64_e32 v[144:145], v[128:129], v[120:121]
	scratch_load_b128 v[118:121], off, off offset:256
	s_wait_dscnt 0x0
	v_fmac_f64_e32 v[144:145], v[130:131], v[122:123]
	s_wait_loadcnt 0x5
	v_fmac_f64_e32 v[144:145], v[140:141], v[124:125]
	ds_load_2addr_b64 v[122:125], v2 offset0:75 offset1:76
	ds_load_2addr_b64 v[126:129], v2 offset0:77 offset1:78
	s_wait_dscnt 0x1
	v_fmac_f64_e32 v[144:145], v[142:143], v[122:123]
	scratch_load_b128 v[140:143], off, off offset:272
	s_wait_loadcnt 0x5
	v_fmac_f64_e32 v[144:145], v[110:111], v[124:125]
	s_wait_dscnt 0x0
	s_delay_alu instid0(VALU_DEP_1)
	v_fmac_f64_e32 v[144:145], v[112:113], v[126:127]
	scratch_load_b128 v[110:113], off, off offset:288
	s_wait_loadcnt 0x5
	v_fmac_f64_e32 v[144:145], v[136:137], v[128:129]
	ds_load_2addr_b64 v[122:125], v2 offset0:79 offset1:80
	ds_load_2addr_b64 v[126:129], v2 offset0:81 offset1:82
	s_wait_dscnt 0x1
	v_fmac_f64_e32 v[144:145], v[138:139], v[122:123]
	scratch_load_b128 v[136:139], off, off offset:304
	s_wait_loadcnt 0x5
	v_fmac_f64_e32 v[144:145], v[114:115], v[124:125]
	s_wait_dscnt 0x0
	s_delay_alu instid0(VALU_DEP_1)
	v_fmac_f64_e32 v[144:145], v[116:117], v[126:127]
	scratch_load_b128 v[114:117], off, off offset:320
	s_wait_loadcnt 0x5
	v_fmac_f64_e32 v[144:145], v[132:133], v[128:129]
	ds_load_2addr_b64 v[122:125], v2 offset0:83 offset1:84
	ds_load_2addr_b64 v[126:129], v2 offset0:85 offset1:86
	s_wait_dscnt 0x1
	v_fmac_f64_e32 v[144:145], v[134:135], v[122:123]
	s_wait_loadcnt 0x4
	s_delay_alu instid0(VALU_DEP_1)
	v_fmac_f64_e32 v[144:145], v[118:119], v[124:125]
	scratch_load_b128 v[122:125], off, off offset:336
	s_wait_dscnt 0x0
	v_fmac_f64_e32 v[144:145], v[120:121], v[126:127]
	scratch_load_b128 v[118:121], off, off offset:352
	s_wait_loadcnt 0x5
	v_fmac_f64_e32 v[144:145], v[140:141], v[128:129]
	ds_load_2addr_b64 v[126:129], v2 offset0:87 offset1:88
	ds_load_2addr_b64 v[130:133], v2 offset0:89 offset1:90
	s_wait_dscnt 0x1
	v_fmac_f64_e32 v[144:145], v[142:143], v[126:127]
	s_wait_loadcnt 0x4
	s_delay_alu instid0(VALU_DEP_1)
	v_fmac_f64_e32 v[144:145], v[110:111], v[128:129]
	scratch_load_b128 v[126:129], off, off offset:368
	s_wait_dscnt 0x0
	v_fmac_f64_e32 v[144:145], v[112:113], v[130:131]
	scratch_load_b128 v[110:113], off, off offset:384
	s_wait_loadcnt 0x5
	v_fmac_f64_e32 v[144:145], v[136:137], v[132:133]
	ds_load_2addr_b64 v[130:133], v2 offset0:91 offset1:92
	ds_load_2addr_b64 v[134:137], v2 offset0:93 offset1:94
	s_wait_dscnt 0x1
	v_fmac_f64_e32 v[144:145], v[138:139], v[130:131]
	s_wait_loadcnt 0x4
	s_delay_alu instid0(VALU_DEP_1) | instskip(SKIP_4) | instid1(VALU_DEP_1)
	v_fmac_f64_e32 v[144:145], v[114:115], v[132:133]
	scratch_load_b128 v[130:133], off, off offset:400
	s_wait_dscnt 0x0
	v_fmac_f64_e32 v[144:145], v[116:117], v[134:135]
	s_wait_loadcnt 0x4
	v_fmac_f64_e32 v[144:145], v[122:123], v[136:137]
	ds_load_2addr_b64 v[114:117], v2 offset0:95 offset1:96
	ds_load_2addr_b64 v[134:137], v2 offset0:97 offset1:98
	s_wait_dscnt 0x1
	v_fmac_f64_e32 v[144:145], v[124:125], v[114:115]
	s_wait_loadcnt 0x3
	s_delay_alu instid0(VALU_DEP_1) | instskip(SKIP_1) | instid1(VALU_DEP_1)
	v_fmac_f64_e32 v[144:145], v[118:119], v[116:117]
	s_wait_dscnt 0x0
	v_fmac_f64_e32 v[144:145], v[120:121], v[134:135]
	ds_load_2addr_b64 v[114:117], v2 offset0:99 offset1:100
	ds_load_2addr_b64 v[118:121], v2 offset0:101 offset1:102
	s_wait_loadcnt 0x2
	v_fmac_f64_e32 v[144:145], v[126:127], v[136:137]
	s_wait_dscnt 0x1
	s_delay_alu instid0(VALU_DEP_1) | instskip(SKIP_1) | instid1(VALU_DEP_1)
	v_fmac_f64_e32 v[144:145], v[128:129], v[114:115]
	s_wait_loadcnt 0x1
	v_fmac_f64_e32 v[144:145], v[110:111], v[116:117]
	ds_load_b64 v[110:111], v2 offset:824
	s_wait_dscnt 0x1
	v_fmac_f64_e32 v[144:145], v[112:113], v[118:119]
	s_wait_loadcnt 0x0
	s_delay_alu instid0(VALU_DEP_1) | instskip(SKIP_1) | instid1(VALU_DEP_1)
	v_fmac_f64_e32 v[144:145], v[130:131], v[120:121]
	s_wait_dscnt 0x0
	v_fmac_f64_e32 v[144:145], v[132:133], v[110:111]
	s_delay_alu instid0(VALU_DEP_1)
	v_add_f64_e64 v[108:109], v[108:109], -v[144:145]
	scratch_store_b64 off, v[108:109], off offset:80
	s_wait_xcnt 0x0
	v_cmpx_lt_u32_e32 9, v0
	s_cbranch_execz .LBB51_303
; %bb.302:
	scratch_load_b64 v[108:109], off, off offset:72
	v_mov_b64_e32 v[110:111], 0
	scratch_store_b64 off, v[110:111], off offset:72
	s_wait_loadcnt 0x0
	ds_store_b64 v1, v[108:109]
.LBB51_303:
	s_wait_xcnt 0x0
	s_or_b32 exec_lo, exec_lo, s0
	s_wait_storecnt_dscnt 0x0
	s_barrier_signal -1
	s_barrier_wait -1
	s_clause 0x5
	scratch_load_b128 v[108:111], off, off offset:72
	scratch_load_b128 v[112:115], off, off offset:88
	;; [unrolled: 1-line block ×6, first 2 shown]
	ds_load_b128 v[132:135], v2 offset:496
	ds_load_b128 v[136:139], v2 offset:512
	scratch_load_b128 v[140:143], off, off offset:168
	s_mov_b32 s0, exec_lo
	s_wait_loadcnt_dscnt 0x601
	v_fma_f64 v[144:145], v[110:111], v[132:133], 0
	s_wait_loadcnt 0x5
	s_delay_alu instid0(VALU_DEP_1) | instskip(SKIP_4) | instid1(VALU_DEP_1)
	v_fmac_f64_e32 v[144:145], v[112:113], v[134:135]
	scratch_load_b128 v[110:113], off, off offset:184
	s_wait_dscnt 0x0
	v_fmac_f64_e32 v[144:145], v[114:115], v[136:137]
	s_wait_loadcnt 0x5
	v_fmac_f64_e32 v[144:145], v[116:117], v[138:139]
	ds_load_b128 v[114:117], v2 offset:528
	ds_load_b128 v[132:135], v2 offset:544
	scratch_load_b128 v[136:139], off, off offset:200
	s_wait_dscnt 0x1
	v_fmac_f64_e32 v[144:145], v[118:119], v[114:115]
	s_wait_loadcnt 0x5
	s_delay_alu instid0(VALU_DEP_1) | instskip(SKIP_4) | instid1(VALU_DEP_1)
	v_fmac_f64_e32 v[144:145], v[120:121], v[116:117]
	scratch_load_b128 v[114:117], off, off offset:216
	s_wait_dscnt 0x0
	v_fmac_f64_e32 v[144:145], v[122:123], v[132:133]
	s_wait_loadcnt 0x5
	v_fmac_f64_e32 v[144:145], v[124:125], v[134:135]
	ds_load_b128 v[118:121], v2 offset:560
	ds_load_b128 v[122:125], v2 offset:576
	scratch_load_b128 v[132:135], off, off offset:232
	s_wait_dscnt 0x1
	v_fmac_f64_e32 v[144:145], v[126:127], v[118:119]
	s_wait_loadcnt 0x5
	s_delay_alu instid0(VALU_DEP_1) | instskip(SKIP_4) | instid1(VALU_DEP_1)
	v_fmac_f64_e32 v[144:145], v[128:129], v[120:121]
	scratch_load_b128 v[118:121], off, off offset:248
	s_wait_dscnt 0x0
	v_fmac_f64_e32 v[144:145], v[130:131], v[122:123]
	s_wait_loadcnt 0x5
	v_fmac_f64_e32 v[144:145], v[140:141], v[124:125]
	ds_load_b128 v[122:125], v2 offset:592
	ds_load_b128 v[126:129], v2 offset:608
	s_wait_dscnt 0x1
	v_fmac_f64_e32 v[144:145], v[142:143], v[122:123]
	scratch_load_b128 v[140:143], off, off offset:264
	s_wait_loadcnt 0x5
	v_fmac_f64_e32 v[144:145], v[110:111], v[124:125]
	s_wait_dscnt 0x0
	s_delay_alu instid0(VALU_DEP_1)
	v_fmac_f64_e32 v[144:145], v[112:113], v[126:127]
	scratch_load_b128 v[110:113], off, off offset:280
	s_wait_loadcnt 0x5
	v_fmac_f64_e32 v[144:145], v[136:137], v[128:129]
	ds_load_b128 v[122:125], v2 offset:624
	ds_load_b128 v[126:129], v2 offset:640
	s_wait_dscnt 0x1
	v_fmac_f64_e32 v[144:145], v[138:139], v[122:123]
	scratch_load_b128 v[136:139], off, off offset:296
	s_wait_loadcnt 0x5
	v_fmac_f64_e32 v[144:145], v[114:115], v[124:125]
	s_wait_dscnt 0x0
	s_delay_alu instid0(VALU_DEP_1)
	v_fmac_f64_e32 v[144:145], v[116:117], v[126:127]
	scratch_load_b128 v[114:117], off, off offset:312
	s_wait_loadcnt 0x5
	v_fmac_f64_e32 v[144:145], v[132:133], v[128:129]
	ds_load_b128 v[122:125], v2 offset:656
	ds_load_b128 v[126:129], v2 offset:672
	scratch_load_b128 v[130:133], off, off offset:328
	s_wait_dscnt 0x1
	v_fmac_f64_e32 v[144:145], v[134:135], v[122:123]
	s_wait_loadcnt 0x5
	s_delay_alu instid0(VALU_DEP_1) | instskip(SKIP_1) | instid1(VALU_DEP_1)
	v_fmac_f64_e32 v[144:145], v[118:119], v[124:125]
	s_wait_dscnt 0x0
	v_fmac_f64_e32 v[144:145], v[120:121], v[126:127]
	scratch_load_b128 v[118:121], off, off offset:344
	s_wait_loadcnt 0x5
	v_fmac_f64_e32 v[144:145], v[140:141], v[128:129]
	ds_load_b128 v[122:125], v2 offset:688
	ds_load_b128 v[126:129], v2 offset:704
	s_wait_dscnt 0x1
	v_fmac_f64_e32 v[144:145], v[142:143], v[122:123]
	s_wait_loadcnt 0x4
	s_delay_alu instid0(VALU_DEP_1)
	v_fmac_f64_e32 v[144:145], v[110:111], v[124:125]
	scratch_load_b128 v[122:125], off, off offset:360
	s_wait_dscnt 0x0
	v_fmac_f64_e32 v[144:145], v[112:113], v[126:127]
	scratch_load_b128 v[110:113], off, off offset:376
	s_wait_loadcnt 0x5
	v_fmac_f64_e32 v[144:145], v[136:137], v[128:129]
	ds_load_b128 v[126:129], v2 offset:720
	ds_load_b128 v[134:137], v2 offset:736
	s_wait_dscnt 0x1
	v_fmac_f64_e32 v[144:145], v[138:139], v[126:127]
	s_wait_loadcnt 0x4
	s_delay_alu instid0(VALU_DEP_1) | instskip(SKIP_4) | instid1(VALU_DEP_1)
	v_fmac_f64_e32 v[144:145], v[114:115], v[128:129]
	scratch_load_b128 v[126:129], off, off offset:392
	s_wait_dscnt 0x0
	v_fmac_f64_e32 v[144:145], v[116:117], v[134:135]
	s_wait_loadcnt 0x4
	v_fmac_f64_e32 v[144:145], v[130:131], v[136:137]
	scratch_load_b64 v[130:131], off, off offset:408
	ds_load_b128 v[114:117], v2 offset:752
	ds_load_b128 v[134:137], v2 offset:768
	s_wait_dscnt 0x1
	v_fmac_f64_e32 v[144:145], v[132:133], v[114:115]
	s_wait_loadcnt 0x4
	s_delay_alu instid0(VALU_DEP_1) | instskip(SKIP_1) | instid1(VALU_DEP_1)
	v_fmac_f64_e32 v[144:145], v[118:119], v[116:117]
	s_wait_dscnt 0x0
	v_fmac_f64_e32 v[144:145], v[120:121], v[134:135]
	ds_load_b128 v[114:117], v2 offset:784
	ds_load_b128 v[118:121], v2 offset:800
	s_wait_loadcnt 0x3
	v_fmac_f64_e32 v[144:145], v[122:123], v[136:137]
	s_wait_dscnt 0x1
	s_delay_alu instid0(VALU_DEP_1) | instskip(SKIP_1) | instid1(VALU_DEP_1)
	v_fmac_f64_e32 v[144:145], v[124:125], v[114:115]
	s_wait_loadcnt 0x2
	v_fmac_f64_e32 v[144:145], v[110:111], v[116:117]
	s_wait_dscnt 0x0
	s_delay_alu instid0(VALU_DEP_1) | instskip(SKIP_4) | instid1(VALU_DEP_1)
	v_fmac_f64_e32 v[144:145], v[112:113], v[118:119]
	ds_load_b128 v[110:113], v2 offset:816
	s_wait_loadcnt 0x1
	v_fmac_f64_e32 v[144:145], v[126:127], v[120:121]
	s_wait_dscnt 0x0
	v_fmac_f64_e32 v[144:145], v[128:129], v[110:111]
	s_wait_loadcnt 0x0
	s_delay_alu instid0(VALU_DEP_1) | instskip(NEXT) | instid1(VALU_DEP_1)
	v_fmac_f64_e32 v[144:145], v[130:131], v[112:113]
	v_add_f64_e64 v[2:3], v[108:109], -v[144:145]
	scratch_store_b64 off, v[2:3], off offset:72
	s_wait_xcnt 0x0
	v_cmpx_lt_u32_e32 8, v0
	s_cbranch_execz .LBB51_305
; %bb.304:
	scratch_load_b64 v[2:3], off, off offset:64
	v_mov_b64_e32 v[108:109], 0
	scratch_store_b64 off, v[108:109], off offset:64
	s_wait_loadcnt 0x0
	ds_store_b64 v1, v[2:3]
.LBB51_305:
	s_wait_xcnt 0x0
	s_or_b32 exec_lo, exec_lo, s0
	s_wait_storecnt_dscnt 0x0
	s_barrier_signal -1
	s_barrier_wait -1
	s_clause 0x5
	scratch_load_b128 v[108:111], off, off offset:64
	scratch_load_b128 v[112:115], off, off offset:80
	;; [unrolled: 1-line block ×6, first 2 shown]
	v_mov_b32_e32 v2, 0
	ds_load_2addr_b64 v[132:135], v2 offset0:61 offset1:62
	ds_load_2addr_b64 v[136:139], v2 offset0:63 offset1:64
	scratch_load_b128 v[140:143], off, off offset:160
	s_mov_b32 s0, exec_lo
	s_wait_loadcnt_dscnt 0x601
	v_fma_f64 v[144:145], v[110:111], v[132:133], 0
	s_wait_loadcnt 0x5
	s_delay_alu instid0(VALU_DEP_1) | instskip(SKIP_4) | instid1(VALU_DEP_1)
	v_fmac_f64_e32 v[144:145], v[112:113], v[134:135]
	scratch_load_b128 v[110:113], off, off offset:176
	s_wait_dscnt 0x0
	v_fmac_f64_e32 v[144:145], v[114:115], v[136:137]
	s_wait_loadcnt 0x5
	v_fmac_f64_e32 v[144:145], v[116:117], v[138:139]
	ds_load_2addr_b64 v[114:117], v2 offset0:65 offset1:66
	ds_load_2addr_b64 v[132:135], v2 offset0:67 offset1:68
	scratch_load_b128 v[136:139], off, off offset:192
	s_wait_dscnt 0x1
	v_fmac_f64_e32 v[144:145], v[118:119], v[114:115]
	s_wait_loadcnt 0x5
	s_delay_alu instid0(VALU_DEP_1) | instskip(SKIP_4) | instid1(VALU_DEP_1)
	v_fmac_f64_e32 v[144:145], v[120:121], v[116:117]
	scratch_load_b128 v[114:117], off, off offset:208
	s_wait_dscnt 0x0
	v_fmac_f64_e32 v[144:145], v[122:123], v[132:133]
	s_wait_loadcnt 0x5
	v_fmac_f64_e32 v[144:145], v[124:125], v[134:135]
	ds_load_2addr_b64 v[118:121], v2 offset0:69 offset1:70
	ds_load_2addr_b64 v[122:125], v2 offset0:71 offset1:72
	scratch_load_b128 v[132:135], off, off offset:224
	s_wait_dscnt 0x1
	v_fmac_f64_e32 v[144:145], v[126:127], v[118:119]
	s_wait_loadcnt 0x5
	s_delay_alu instid0(VALU_DEP_1) | instskip(SKIP_4) | instid1(VALU_DEP_1)
	v_fmac_f64_e32 v[144:145], v[128:129], v[120:121]
	scratch_load_b128 v[118:121], off, off offset:240
	s_wait_dscnt 0x0
	v_fmac_f64_e32 v[144:145], v[130:131], v[122:123]
	s_wait_loadcnt 0x5
	v_fmac_f64_e32 v[144:145], v[140:141], v[124:125]
	ds_load_2addr_b64 v[122:125], v2 offset0:73 offset1:74
	ds_load_2addr_b64 v[126:129], v2 offset0:75 offset1:76
	s_wait_dscnt 0x1
	v_fmac_f64_e32 v[144:145], v[142:143], v[122:123]
	scratch_load_b128 v[140:143], off, off offset:256
	s_wait_loadcnt 0x5
	v_fmac_f64_e32 v[144:145], v[110:111], v[124:125]
	s_wait_dscnt 0x0
	s_delay_alu instid0(VALU_DEP_1)
	v_fmac_f64_e32 v[144:145], v[112:113], v[126:127]
	scratch_load_b128 v[110:113], off, off offset:272
	s_wait_loadcnt 0x5
	v_fmac_f64_e32 v[144:145], v[136:137], v[128:129]
	ds_load_2addr_b64 v[122:125], v2 offset0:77 offset1:78
	ds_load_2addr_b64 v[126:129], v2 offset0:79 offset1:80
	s_wait_dscnt 0x1
	v_fmac_f64_e32 v[144:145], v[138:139], v[122:123]
	scratch_load_b128 v[136:139], off, off offset:288
	s_wait_loadcnt 0x5
	v_fmac_f64_e32 v[144:145], v[114:115], v[124:125]
	s_wait_dscnt 0x0
	s_delay_alu instid0(VALU_DEP_1)
	v_fmac_f64_e32 v[144:145], v[116:117], v[126:127]
	scratch_load_b128 v[114:117], off, off offset:304
	s_wait_loadcnt 0x5
	v_fmac_f64_e32 v[144:145], v[132:133], v[128:129]
	ds_load_2addr_b64 v[122:125], v2 offset0:81 offset1:82
	ds_load_2addr_b64 v[126:129], v2 offset0:83 offset1:84
	scratch_load_b128 v[130:133], off, off offset:320
	s_wait_dscnt 0x1
	v_fmac_f64_e32 v[144:145], v[134:135], v[122:123]
	s_wait_loadcnt 0x5
	s_delay_alu instid0(VALU_DEP_1) | instskip(SKIP_1) | instid1(VALU_DEP_1)
	v_fmac_f64_e32 v[144:145], v[118:119], v[124:125]
	s_wait_dscnt 0x0
	v_fmac_f64_e32 v[144:145], v[120:121], v[126:127]
	scratch_load_b128 v[118:121], off, off offset:336
	s_wait_loadcnt 0x5
	v_fmac_f64_e32 v[144:145], v[140:141], v[128:129]
	ds_load_2addr_b64 v[122:125], v2 offset0:85 offset1:86
	ds_load_2addr_b64 v[126:129], v2 offset0:87 offset1:88
	s_wait_dscnt 0x1
	v_fmac_f64_e32 v[144:145], v[142:143], v[122:123]
	s_wait_loadcnt 0x4
	s_delay_alu instid0(VALU_DEP_1)
	v_fmac_f64_e32 v[144:145], v[110:111], v[124:125]
	scratch_load_b128 v[122:125], off, off offset:352
	s_wait_dscnt 0x0
	v_fmac_f64_e32 v[144:145], v[112:113], v[126:127]
	scratch_load_b128 v[110:113], off, off offset:368
	s_wait_loadcnt 0x5
	v_fmac_f64_e32 v[144:145], v[136:137], v[128:129]
	ds_load_2addr_b64 v[126:129], v2 offset0:89 offset1:90
	ds_load_2addr_b64 v[134:137], v2 offset0:91 offset1:92
	s_wait_dscnt 0x1
	v_fmac_f64_e32 v[144:145], v[138:139], v[126:127]
	s_wait_loadcnt 0x4
	s_delay_alu instid0(VALU_DEP_1)
	v_fmac_f64_e32 v[144:145], v[114:115], v[128:129]
	scratch_load_b128 v[126:129], off, off offset:384
	s_wait_dscnt 0x0
	v_fmac_f64_e32 v[144:145], v[116:117], v[134:135]
	scratch_load_b128 v[114:117], off, off offset:400
	s_wait_loadcnt 0x5
	v_fmac_f64_e32 v[144:145], v[130:131], v[136:137]
	ds_load_2addr_b64 v[134:137], v2 offset0:93 offset1:94
	ds_load_2addr_b64 v[138:141], v2 offset0:95 offset1:96
	s_wait_dscnt 0x1
	v_fmac_f64_e32 v[144:145], v[132:133], v[134:135]
	s_wait_loadcnt 0x4
	s_delay_alu instid0(VALU_DEP_1) | instskip(SKIP_1) | instid1(VALU_DEP_1)
	v_fmac_f64_e32 v[144:145], v[118:119], v[136:137]
	s_wait_dscnt 0x0
	v_fmac_f64_e32 v[144:145], v[120:121], v[138:139]
	ds_load_2addr_b64 v[118:121], v2 offset0:97 offset1:98
	ds_load_2addr_b64 v[130:133], v2 offset0:99 offset1:100
	s_wait_loadcnt 0x3
	v_fmac_f64_e32 v[144:145], v[122:123], v[140:141]
	s_wait_dscnt 0x1
	s_delay_alu instid0(VALU_DEP_1) | instskip(SKIP_1) | instid1(VALU_DEP_1)
	v_fmac_f64_e32 v[144:145], v[124:125], v[118:119]
	s_wait_loadcnt 0x2
	v_fmac_f64_e32 v[144:145], v[110:111], v[120:121]
	s_wait_dscnt 0x0
	s_delay_alu instid0(VALU_DEP_1)
	v_fmac_f64_e32 v[144:145], v[112:113], v[130:131]
	ds_load_2addr_b64 v[110:113], v2 offset0:101 offset1:102
	ds_load_b64 v[118:119], v2 offset:824
	s_wait_loadcnt 0x1
	v_fmac_f64_e32 v[144:145], v[126:127], v[132:133]
	s_wait_dscnt 0x1
	s_delay_alu instid0(VALU_DEP_1) | instskip(SKIP_1) | instid1(VALU_DEP_1)
	v_fmac_f64_e32 v[144:145], v[128:129], v[110:111]
	s_wait_loadcnt 0x0
	v_fmac_f64_e32 v[144:145], v[114:115], v[112:113]
	s_wait_dscnt 0x0
	s_delay_alu instid0(VALU_DEP_1) | instskip(NEXT) | instid1(VALU_DEP_1)
	v_fmac_f64_e32 v[144:145], v[116:117], v[118:119]
	v_add_f64_e64 v[108:109], v[108:109], -v[144:145]
	scratch_store_b64 off, v[108:109], off offset:64
	s_wait_xcnt 0x0
	v_cmpx_lt_u32_e32 7, v0
	s_cbranch_execz .LBB51_307
; %bb.306:
	scratch_load_b64 v[108:109], off, off offset:56
	v_mov_b64_e32 v[110:111], 0
	scratch_store_b64 off, v[110:111], off offset:56
	s_wait_loadcnt 0x0
	ds_store_b64 v1, v[108:109]
.LBB51_307:
	s_wait_xcnt 0x0
	s_or_b32 exec_lo, exec_lo, s0
	s_wait_storecnt_dscnt 0x0
	s_barrier_signal -1
	s_barrier_wait -1
	s_clause 0x5
	scratch_load_b128 v[108:111], off, off offset:56
	scratch_load_b128 v[112:115], off, off offset:72
	scratch_load_b128 v[116:119], off, off offset:88
	scratch_load_b128 v[120:123], off, off offset:104
	scratch_load_b128 v[124:127], off, off offset:120
	scratch_load_b128 v[128:131], off, off offset:136
	ds_load_b128 v[132:135], v2 offset:480
	ds_load_b128 v[136:139], v2 offset:496
	scratch_load_b128 v[140:143], off, off offset:152
	s_mov_b32 s0, exec_lo
	s_wait_loadcnt_dscnt 0x601
	v_fma_f64 v[144:145], v[110:111], v[132:133], 0
	s_wait_loadcnt 0x5
	s_delay_alu instid0(VALU_DEP_1) | instskip(SKIP_4) | instid1(VALU_DEP_1)
	v_fmac_f64_e32 v[144:145], v[112:113], v[134:135]
	scratch_load_b128 v[110:113], off, off offset:168
	s_wait_dscnt 0x0
	v_fmac_f64_e32 v[144:145], v[114:115], v[136:137]
	s_wait_loadcnt 0x5
	v_fmac_f64_e32 v[144:145], v[116:117], v[138:139]
	ds_load_b128 v[114:117], v2 offset:512
	ds_load_b128 v[132:135], v2 offset:528
	scratch_load_b128 v[136:139], off, off offset:184
	s_wait_dscnt 0x1
	v_fmac_f64_e32 v[144:145], v[118:119], v[114:115]
	s_wait_loadcnt 0x5
	s_delay_alu instid0(VALU_DEP_1) | instskip(SKIP_4) | instid1(VALU_DEP_1)
	v_fmac_f64_e32 v[144:145], v[120:121], v[116:117]
	scratch_load_b128 v[114:117], off, off offset:200
	s_wait_dscnt 0x0
	v_fmac_f64_e32 v[144:145], v[122:123], v[132:133]
	s_wait_loadcnt 0x5
	v_fmac_f64_e32 v[144:145], v[124:125], v[134:135]
	ds_load_b128 v[118:121], v2 offset:544
	ds_load_b128 v[122:125], v2 offset:560
	scratch_load_b128 v[132:135], off, off offset:216
	s_wait_dscnt 0x1
	v_fmac_f64_e32 v[144:145], v[126:127], v[118:119]
	s_wait_loadcnt 0x5
	s_delay_alu instid0(VALU_DEP_1) | instskip(SKIP_4) | instid1(VALU_DEP_1)
	v_fmac_f64_e32 v[144:145], v[128:129], v[120:121]
	scratch_load_b128 v[118:121], off, off offset:232
	s_wait_dscnt 0x0
	v_fmac_f64_e32 v[144:145], v[130:131], v[122:123]
	s_wait_loadcnt 0x5
	v_fmac_f64_e32 v[144:145], v[140:141], v[124:125]
	ds_load_b128 v[122:125], v2 offset:576
	ds_load_b128 v[126:129], v2 offset:592
	s_wait_dscnt 0x1
	v_fmac_f64_e32 v[144:145], v[142:143], v[122:123]
	scratch_load_b128 v[140:143], off, off offset:248
	s_wait_loadcnt 0x5
	v_fmac_f64_e32 v[144:145], v[110:111], v[124:125]
	s_wait_dscnt 0x0
	s_delay_alu instid0(VALU_DEP_1)
	v_fmac_f64_e32 v[144:145], v[112:113], v[126:127]
	scratch_load_b128 v[110:113], off, off offset:264
	s_wait_loadcnt 0x5
	v_fmac_f64_e32 v[144:145], v[136:137], v[128:129]
	ds_load_b128 v[122:125], v2 offset:608
	ds_load_b128 v[126:129], v2 offset:624
	s_wait_dscnt 0x1
	v_fmac_f64_e32 v[144:145], v[138:139], v[122:123]
	scratch_load_b128 v[136:139], off, off offset:280
	s_wait_loadcnt 0x5
	v_fmac_f64_e32 v[144:145], v[114:115], v[124:125]
	s_wait_dscnt 0x0
	s_delay_alu instid0(VALU_DEP_1)
	v_fmac_f64_e32 v[144:145], v[116:117], v[126:127]
	scratch_load_b128 v[114:117], off, off offset:296
	s_wait_loadcnt 0x5
	v_fmac_f64_e32 v[144:145], v[132:133], v[128:129]
	ds_load_b128 v[122:125], v2 offset:640
	ds_load_b128 v[126:129], v2 offset:656
	scratch_load_b128 v[130:133], off, off offset:312
	s_wait_dscnt 0x1
	v_fmac_f64_e32 v[144:145], v[134:135], v[122:123]
	s_wait_loadcnt 0x5
	s_delay_alu instid0(VALU_DEP_1) | instskip(SKIP_1) | instid1(VALU_DEP_1)
	v_fmac_f64_e32 v[144:145], v[118:119], v[124:125]
	s_wait_dscnt 0x0
	v_fmac_f64_e32 v[144:145], v[120:121], v[126:127]
	scratch_load_b128 v[118:121], off, off offset:328
	s_wait_loadcnt 0x5
	v_fmac_f64_e32 v[144:145], v[140:141], v[128:129]
	ds_load_b128 v[122:125], v2 offset:672
	ds_load_b128 v[126:129], v2 offset:688
	s_wait_dscnt 0x1
	v_fmac_f64_e32 v[144:145], v[142:143], v[122:123]
	s_wait_loadcnt 0x4
	s_delay_alu instid0(VALU_DEP_1)
	v_fmac_f64_e32 v[144:145], v[110:111], v[124:125]
	scratch_load_b128 v[122:125], off, off offset:344
	s_wait_dscnt 0x0
	v_fmac_f64_e32 v[144:145], v[112:113], v[126:127]
	scratch_load_b128 v[110:113], off, off offset:360
	s_wait_loadcnt 0x5
	v_fmac_f64_e32 v[144:145], v[136:137], v[128:129]
	ds_load_b128 v[126:129], v2 offset:704
	ds_load_b128 v[134:137], v2 offset:720
	s_wait_dscnt 0x1
	v_fmac_f64_e32 v[144:145], v[138:139], v[126:127]
	s_wait_loadcnt 0x4
	s_delay_alu instid0(VALU_DEP_1)
	v_fmac_f64_e32 v[144:145], v[114:115], v[128:129]
	scratch_load_b128 v[126:129], off, off offset:376
	s_wait_dscnt 0x0
	v_fmac_f64_e32 v[144:145], v[116:117], v[134:135]
	scratch_load_b128 v[114:117], off, off offset:392
	s_wait_loadcnt 0x5
	v_fmac_f64_e32 v[144:145], v[130:131], v[136:137]
	ds_load_b128 v[134:137], v2 offset:736
	ds_load_b128 v[138:141], v2 offset:752
	s_wait_dscnt 0x1
	v_fmac_f64_e32 v[144:145], v[132:133], v[134:135]
	scratch_load_b64 v[134:135], off, off offset:408
	s_wait_loadcnt 0x5
	v_fmac_f64_e32 v[144:145], v[118:119], v[136:137]
	s_wait_dscnt 0x0
	s_delay_alu instid0(VALU_DEP_1)
	v_fmac_f64_e32 v[144:145], v[120:121], v[138:139]
	ds_load_b128 v[118:121], v2 offset:768
	ds_load_b128 v[130:133], v2 offset:784
	s_wait_loadcnt 0x4
	v_fmac_f64_e32 v[144:145], v[122:123], v[140:141]
	s_wait_dscnt 0x1
	s_delay_alu instid0(VALU_DEP_1) | instskip(SKIP_1) | instid1(VALU_DEP_1)
	v_fmac_f64_e32 v[144:145], v[124:125], v[118:119]
	s_wait_loadcnt 0x3
	v_fmac_f64_e32 v[144:145], v[110:111], v[120:121]
	s_wait_dscnt 0x0
	s_delay_alu instid0(VALU_DEP_1)
	v_fmac_f64_e32 v[144:145], v[112:113], v[130:131]
	ds_load_b128 v[110:113], v2 offset:800
	ds_load_b128 v[118:121], v2 offset:816
	s_wait_loadcnt 0x2
	v_fmac_f64_e32 v[144:145], v[126:127], v[132:133]
	s_wait_dscnt 0x1
	s_delay_alu instid0(VALU_DEP_1) | instskip(SKIP_1) | instid1(VALU_DEP_1)
	v_fmac_f64_e32 v[144:145], v[128:129], v[110:111]
	s_wait_loadcnt 0x1
	v_fmac_f64_e32 v[144:145], v[114:115], v[112:113]
	s_wait_dscnt 0x0
	s_delay_alu instid0(VALU_DEP_1) | instskip(SKIP_1) | instid1(VALU_DEP_1)
	v_fmac_f64_e32 v[144:145], v[116:117], v[118:119]
	s_wait_loadcnt 0x0
	v_fmac_f64_e32 v[144:145], v[134:135], v[120:121]
	s_delay_alu instid0(VALU_DEP_1)
	v_add_f64_e64 v[2:3], v[108:109], -v[144:145]
	scratch_store_b64 off, v[2:3], off offset:56
	s_wait_xcnt 0x0
	v_cmpx_lt_u32_e32 6, v0
	s_cbranch_execz .LBB51_309
; %bb.308:
	scratch_load_b64 v[2:3], off, off offset:48
	v_mov_b64_e32 v[108:109], 0
	scratch_store_b64 off, v[108:109], off offset:48
	s_wait_loadcnt 0x0
	ds_store_b64 v1, v[2:3]
.LBB51_309:
	s_wait_xcnt 0x0
	s_or_b32 exec_lo, exec_lo, s0
	s_wait_storecnt_dscnt 0x0
	s_barrier_signal -1
	s_barrier_wait -1
	s_clause 0x5
	scratch_load_b128 v[108:111], off, off offset:48
	scratch_load_b128 v[112:115], off, off offset:64
	;; [unrolled: 1-line block ×6, first 2 shown]
	v_mov_b32_e32 v2, 0
	ds_load_2addr_b64 v[132:135], v2 offset0:59 offset1:60
	ds_load_2addr_b64 v[136:139], v2 offset0:61 offset1:62
	scratch_load_b128 v[140:143], off, off offset:144
	s_mov_b32 s0, exec_lo
	s_wait_loadcnt_dscnt 0x601
	v_fma_f64 v[144:145], v[110:111], v[132:133], 0
	s_wait_loadcnt 0x5
	s_delay_alu instid0(VALU_DEP_1) | instskip(SKIP_4) | instid1(VALU_DEP_1)
	v_fmac_f64_e32 v[144:145], v[112:113], v[134:135]
	scratch_load_b128 v[110:113], off, off offset:160
	s_wait_dscnt 0x0
	v_fmac_f64_e32 v[144:145], v[114:115], v[136:137]
	s_wait_loadcnt 0x5
	v_fmac_f64_e32 v[144:145], v[116:117], v[138:139]
	ds_load_2addr_b64 v[114:117], v2 offset0:63 offset1:64
	ds_load_2addr_b64 v[132:135], v2 offset0:65 offset1:66
	scratch_load_b128 v[136:139], off, off offset:176
	s_wait_dscnt 0x1
	v_fmac_f64_e32 v[144:145], v[118:119], v[114:115]
	s_wait_loadcnt 0x5
	s_delay_alu instid0(VALU_DEP_1) | instskip(SKIP_4) | instid1(VALU_DEP_1)
	v_fmac_f64_e32 v[144:145], v[120:121], v[116:117]
	scratch_load_b128 v[114:117], off, off offset:192
	s_wait_dscnt 0x0
	v_fmac_f64_e32 v[144:145], v[122:123], v[132:133]
	s_wait_loadcnt 0x5
	v_fmac_f64_e32 v[144:145], v[124:125], v[134:135]
	ds_load_2addr_b64 v[118:121], v2 offset0:67 offset1:68
	ds_load_2addr_b64 v[122:125], v2 offset0:69 offset1:70
	scratch_load_b128 v[132:135], off, off offset:208
	s_wait_dscnt 0x1
	v_fmac_f64_e32 v[144:145], v[126:127], v[118:119]
	s_wait_loadcnt 0x5
	s_delay_alu instid0(VALU_DEP_1) | instskip(SKIP_4) | instid1(VALU_DEP_1)
	v_fmac_f64_e32 v[144:145], v[128:129], v[120:121]
	scratch_load_b128 v[118:121], off, off offset:224
	s_wait_dscnt 0x0
	v_fmac_f64_e32 v[144:145], v[130:131], v[122:123]
	s_wait_loadcnt 0x5
	v_fmac_f64_e32 v[144:145], v[140:141], v[124:125]
	ds_load_2addr_b64 v[122:125], v2 offset0:71 offset1:72
	ds_load_2addr_b64 v[126:129], v2 offset0:73 offset1:74
	s_wait_dscnt 0x1
	v_fmac_f64_e32 v[144:145], v[142:143], v[122:123]
	scratch_load_b128 v[140:143], off, off offset:240
	s_wait_loadcnt 0x5
	v_fmac_f64_e32 v[144:145], v[110:111], v[124:125]
	s_wait_dscnt 0x0
	s_delay_alu instid0(VALU_DEP_1)
	v_fmac_f64_e32 v[144:145], v[112:113], v[126:127]
	scratch_load_b128 v[110:113], off, off offset:256
	s_wait_loadcnt 0x5
	v_fmac_f64_e32 v[144:145], v[136:137], v[128:129]
	ds_load_2addr_b64 v[122:125], v2 offset0:75 offset1:76
	ds_load_2addr_b64 v[126:129], v2 offset0:77 offset1:78
	s_wait_dscnt 0x1
	v_fmac_f64_e32 v[144:145], v[138:139], v[122:123]
	scratch_load_b128 v[136:139], off, off offset:272
	s_wait_loadcnt 0x5
	v_fmac_f64_e32 v[144:145], v[114:115], v[124:125]
	s_wait_dscnt 0x0
	s_delay_alu instid0(VALU_DEP_1)
	v_fmac_f64_e32 v[144:145], v[116:117], v[126:127]
	scratch_load_b128 v[114:117], off, off offset:288
	s_wait_loadcnt 0x5
	v_fmac_f64_e32 v[144:145], v[132:133], v[128:129]
	ds_load_2addr_b64 v[122:125], v2 offset0:79 offset1:80
	ds_load_2addr_b64 v[126:129], v2 offset0:81 offset1:82
	scratch_load_b128 v[130:133], off, off offset:304
	s_wait_dscnt 0x1
	v_fmac_f64_e32 v[144:145], v[134:135], v[122:123]
	s_wait_loadcnt 0x5
	s_delay_alu instid0(VALU_DEP_1) | instskip(SKIP_1) | instid1(VALU_DEP_1)
	v_fmac_f64_e32 v[144:145], v[118:119], v[124:125]
	s_wait_dscnt 0x0
	v_fmac_f64_e32 v[144:145], v[120:121], v[126:127]
	scratch_load_b128 v[118:121], off, off offset:320
	s_wait_loadcnt 0x5
	v_fmac_f64_e32 v[144:145], v[140:141], v[128:129]
	ds_load_2addr_b64 v[122:125], v2 offset0:83 offset1:84
	ds_load_2addr_b64 v[126:129], v2 offset0:85 offset1:86
	s_wait_dscnt 0x1
	v_fmac_f64_e32 v[144:145], v[142:143], v[122:123]
	s_wait_loadcnt 0x4
	s_delay_alu instid0(VALU_DEP_1)
	v_fmac_f64_e32 v[144:145], v[110:111], v[124:125]
	scratch_load_b128 v[122:125], off, off offset:336
	s_wait_dscnt 0x0
	v_fmac_f64_e32 v[144:145], v[112:113], v[126:127]
	scratch_load_b128 v[110:113], off, off offset:352
	s_wait_loadcnt 0x5
	v_fmac_f64_e32 v[144:145], v[136:137], v[128:129]
	ds_load_2addr_b64 v[126:129], v2 offset0:87 offset1:88
	ds_load_2addr_b64 v[134:137], v2 offset0:89 offset1:90
	s_wait_dscnt 0x1
	v_fmac_f64_e32 v[144:145], v[138:139], v[126:127]
	s_wait_loadcnt 0x4
	s_delay_alu instid0(VALU_DEP_1)
	v_fmac_f64_e32 v[144:145], v[114:115], v[128:129]
	scratch_load_b128 v[126:129], off, off offset:368
	s_wait_dscnt 0x0
	v_fmac_f64_e32 v[144:145], v[116:117], v[134:135]
	scratch_load_b128 v[114:117], off, off offset:384
	s_wait_loadcnt 0x5
	v_fmac_f64_e32 v[144:145], v[130:131], v[136:137]
	ds_load_2addr_b64 v[134:137], v2 offset0:91 offset1:92
	ds_load_2addr_b64 v[138:141], v2 offset0:93 offset1:94
	s_wait_dscnt 0x1
	v_fmac_f64_e32 v[144:145], v[132:133], v[134:135]
	scratch_load_b128 v[130:133], off, off offset:400
	s_wait_loadcnt 0x5
	v_fmac_f64_e32 v[144:145], v[118:119], v[136:137]
	s_wait_dscnt 0x0
	s_delay_alu instid0(VALU_DEP_1)
	v_fmac_f64_e32 v[144:145], v[120:121], v[138:139]
	ds_load_2addr_b64 v[118:121], v2 offset0:95 offset1:96
	ds_load_2addr_b64 v[134:137], v2 offset0:97 offset1:98
	s_wait_loadcnt 0x4
	v_fmac_f64_e32 v[144:145], v[122:123], v[140:141]
	s_wait_dscnt 0x1
	s_delay_alu instid0(VALU_DEP_1) | instskip(SKIP_1) | instid1(VALU_DEP_1)
	v_fmac_f64_e32 v[144:145], v[124:125], v[118:119]
	s_wait_loadcnt 0x3
	v_fmac_f64_e32 v[144:145], v[110:111], v[120:121]
	s_wait_dscnt 0x0
	s_delay_alu instid0(VALU_DEP_1)
	v_fmac_f64_e32 v[144:145], v[112:113], v[134:135]
	ds_load_2addr_b64 v[110:113], v2 offset0:99 offset1:100
	ds_load_2addr_b64 v[118:121], v2 offset0:101 offset1:102
	s_wait_loadcnt 0x2
	v_fmac_f64_e32 v[144:145], v[126:127], v[136:137]
	s_wait_dscnt 0x1
	s_delay_alu instid0(VALU_DEP_1) | instskip(SKIP_4) | instid1(VALU_DEP_1)
	v_fmac_f64_e32 v[144:145], v[128:129], v[110:111]
	ds_load_b64 v[110:111], v2 offset:824
	s_wait_loadcnt 0x1
	v_fmac_f64_e32 v[144:145], v[114:115], v[112:113]
	s_wait_dscnt 0x1
	v_fmac_f64_e32 v[144:145], v[116:117], v[118:119]
	s_wait_loadcnt 0x0
	s_delay_alu instid0(VALU_DEP_1) | instskip(SKIP_1) | instid1(VALU_DEP_1)
	v_fmac_f64_e32 v[144:145], v[130:131], v[120:121]
	s_wait_dscnt 0x0
	v_fmac_f64_e32 v[144:145], v[132:133], v[110:111]
	s_delay_alu instid0(VALU_DEP_1)
	v_add_f64_e64 v[108:109], v[108:109], -v[144:145]
	scratch_store_b64 off, v[108:109], off offset:48
	s_wait_xcnt 0x0
	v_cmpx_lt_u32_e32 5, v0
	s_cbranch_execz .LBB51_311
; %bb.310:
	scratch_load_b64 v[108:109], off, off offset:40
	v_mov_b64_e32 v[110:111], 0
	scratch_store_b64 off, v[110:111], off offset:40
	s_wait_loadcnt 0x0
	ds_store_b64 v1, v[108:109]
.LBB51_311:
	s_wait_xcnt 0x0
	s_or_b32 exec_lo, exec_lo, s0
	s_wait_storecnt_dscnt 0x0
	s_barrier_signal -1
	s_barrier_wait -1
	s_clause 0x5
	scratch_load_b128 v[108:111], off, off offset:40
	scratch_load_b128 v[112:115], off, off offset:56
	;; [unrolled: 1-line block ×6, first 2 shown]
	ds_load_b128 v[132:135], v2 offset:464
	ds_load_b128 v[136:139], v2 offset:480
	scratch_load_b128 v[140:143], off, off offset:136
	s_mov_b32 s0, exec_lo
	s_wait_loadcnt_dscnt 0x601
	v_fma_f64 v[144:145], v[110:111], v[132:133], 0
	s_wait_loadcnt 0x5
	s_delay_alu instid0(VALU_DEP_1) | instskip(SKIP_4) | instid1(VALU_DEP_1)
	v_fmac_f64_e32 v[144:145], v[112:113], v[134:135]
	scratch_load_b128 v[110:113], off, off offset:152
	s_wait_dscnt 0x0
	v_fmac_f64_e32 v[144:145], v[114:115], v[136:137]
	s_wait_loadcnt 0x5
	v_fmac_f64_e32 v[144:145], v[116:117], v[138:139]
	ds_load_b128 v[114:117], v2 offset:496
	ds_load_b128 v[132:135], v2 offset:512
	scratch_load_b128 v[136:139], off, off offset:168
	s_wait_dscnt 0x1
	v_fmac_f64_e32 v[144:145], v[118:119], v[114:115]
	s_wait_loadcnt 0x5
	s_delay_alu instid0(VALU_DEP_1) | instskip(SKIP_4) | instid1(VALU_DEP_1)
	v_fmac_f64_e32 v[144:145], v[120:121], v[116:117]
	scratch_load_b128 v[114:117], off, off offset:184
	s_wait_dscnt 0x0
	v_fmac_f64_e32 v[144:145], v[122:123], v[132:133]
	s_wait_loadcnt 0x5
	v_fmac_f64_e32 v[144:145], v[124:125], v[134:135]
	ds_load_b128 v[118:121], v2 offset:528
	ds_load_b128 v[122:125], v2 offset:544
	scratch_load_b128 v[132:135], off, off offset:200
	s_wait_dscnt 0x1
	v_fmac_f64_e32 v[144:145], v[126:127], v[118:119]
	s_wait_loadcnt 0x5
	s_delay_alu instid0(VALU_DEP_1) | instskip(SKIP_4) | instid1(VALU_DEP_1)
	v_fmac_f64_e32 v[144:145], v[128:129], v[120:121]
	scratch_load_b128 v[118:121], off, off offset:216
	s_wait_dscnt 0x0
	v_fmac_f64_e32 v[144:145], v[130:131], v[122:123]
	s_wait_loadcnt 0x5
	v_fmac_f64_e32 v[144:145], v[140:141], v[124:125]
	ds_load_b128 v[122:125], v2 offset:560
	ds_load_b128 v[126:129], v2 offset:576
	s_wait_dscnt 0x1
	v_fmac_f64_e32 v[144:145], v[142:143], v[122:123]
	scratch_load_b128 v[140:143], off, off offset:232
	s_wait_loadcnt 0x5
	v_fmac_f64_e32 v[144:145], v[110:111], v[124:125]
	s_wait_dscnt 0x0
	s_delay_alu instid0(VALU_DEP_1)
	v_fmac_f64_e32 v[144:145], v[112:113], v[126:127]
	scratch_load_b128 v[110:113], off, off offset:248
	s_wait_loadcnt 0x5
	v_fmac_f64_e32 v[144:145], v[136:137], v[128:129]
	ds_load_b128 v[122:125], v2 offset:592
	ds_load_b128 v[126:129], v2 offset:608
	s_wait_dscnt 0x1
	v_fmac_f64_e32 v[144:145], v[138:139], v[122:123]
	scratch_load_b128 v[136:139], off, off offset:264
	s_wait_loadcnt 0x5
	v_fmac_f64_e32 v[144:145], v[114:115], v[124:125]
	s_wait_dscnt 0x0
	s_delay_alu instid0(VALU_DEP_1)
	v_fmac_f64_e32 v[144:145], v[116:117], v[126:127]
	scratch_load_b128 v[114:117], off, off offset:280
	s_wait_loadcnt 0x5
	v_fmac_f64_e32 v[144:145], v[132:133], v[128:129]
	ds_load_b128 v[122:125], v2 offset:624
	ds_load_b128 v[126:129], v2 offset:640
	scratch_load_b128 v[130:133], off, off offset:296
	s_wait_dscnt 0x1
	v_fmac_f64_e32 v[144:145], v[134:135], v[122:123]
	s_wait_loadcnt 0x5
	s_delay_alu instid0(VALU_DEP_1) | instskip(SKIP_1) | instid1(VALU_DEP_1)
	v_fmac_f64_e32 v[144:145], v[118:119], v[124:125]
	s_wait_dscnt 0x0
	v_fmac_f64_e32 v[144:145], v[120:121], v[126:127]
	scratch_load_b128 v[118:121], off, off offset:312
	s_wait_loadcnt 0x5
	v_fmac_f64_e32 v[144:145], v[140:141], v[128:129]
	ds_load_b128 v[122:125], v2 offset:656
	ds_load_b128 v[126:129], v2 offset:672
	s_wait_dscnt 0x1
	v_fmac_f64_e32 v[144:145], v[142:143], v[122:123]
	scratch_load_b128 v[140:143], off, off offset:328
	s_wait_loadcnt 0x5
	v_fmac_f64_e32 v[144:145], v[110:111], v[124:125]
	s_wait_dscnt 0x0
	s_delay_alu instid0(VALU_DEP_1)
	v_fmac_f64_e32 v[144:145], v[112:113], v[126:127]
	scratch_load_b128 v[110:113], off, off offset:344
	s_wait_loadcnt 0x5
	v_fmac_f64_e32 v[144:145], v[136:137], v[128:129]
	ds_load_b128 v[122:125], v2 offset:688
	ds_load_b128 v[126:129], v2 offset:704
	s_wait_dscnt 0x1
	v_fmac_f64_e32 v[144:145], v[138:139], v[122:123]
	s_wait_loadcnt 0x4
	s_delay_alu instid0(VALU_DEP_1)
	v_fmac_f64_e32 v[144:145], v[114:115], v[124:125]
	scratch_load_b128 v[122:125], off, off offset:360
	s_wait_dscnt 0x0
	v_fmac_f64_e32 v[144:145], v[116:117], v[126:127]
	scratch_load_b128 v[114:117], off, off offset:376
	s_wait_loadcnt 0x5
	v_fmac_f64_e32 v[144:145], v[130:131], v[128:129]
	ds_load_b128 v[126:129], v2 offset:720
	ds_load_b128 v[134:137], v2 offset:736
	s_wait_dscnt 0x1
	v_fmac_f64_e32 v[144:145], v[132:133], v[126:127]
	s_wait_loadcnt 0x4
	s_delay_alu instid0(VALU_DEP_1)
	v_fmac_f64_e32 v[144:145], v[118:119], v[128:129]
	scratch_load_b128 v[126:129], off, off offset:392
	s_wait_dscnt 0x0
	v_fmac_f64_e32 v[144:145], v[120:121], v[134:135]
	scratch_load_b64 v[134:135], off, off offset:408
	ds_load_b128 v[118:121], v2 offset:752
	ds_load_b128 v[130:133], v2 offset:768
	s_wait_loadcnt 0x5
	v_fmac_f64_e32 v[144:145], v[140:141], v[136:137]
	s_wait_dscnt 0x1
	s_delay_alu instid0(VALU_DEP_1) | instskip(SKIP_1) | instid1(VALU_DEP_1)
	v_fmac_f64_e32 v[144:145], v[142:143], v[118:119]
	s_wait_loadcnt 0x4
	v_fmac_f64_e32 v[144:145], v[110:111], v[120:121]
	s_wait_dscnt 0x0
	s_delay_alu instid0(VALU_DEP_1)
	v_fmac_f64_e32 v[144:145], v[112:113], v[130:131]
	ds_load_b128 v[110:113], v2 offset:784
	ds_load_b128 v[118:121], v2 offset:800
	s_wait_loadcnt 0x3
	v_fmac_f64_e32 v[144:145], v[122:123], v[132:133]
	s_wait_dscnt 0x1
	s_delay_alu instid0(VALU_DEP_1) | instskip(SKIP_1) | instid1(VALU_DEP_1)
	v_fmac_f64_e32 v[144:145], v[124:125], v[110:111]
	s_wait_loadcnt 0x2
	v_fmac_f64_e32 v[144:145], v[114:115], v[112:113]
	ds_load_b128 v[110:113], v2 offset:816
	s_wait_dscnt 0x1
	v_fmac_f64_e32 v[144:145], v[116:117], v[118:119]
	s_wait_loadcnt 0x1
	s_delay_alu instid0(VALU_DEP_1) | instskip(SKIP_1) | instid1(VALU_DEP_1)
	v_fmac_f64_e32 v[144:145], v[126:127], v[120:121]
	s_wait_dscnt 0x0
	v_fmac_f64_e32 v[144:145], v[128:129], v[110:111]
	s_wait_loadcnt 0x0
	s_delay_alu instid0(VALU_DEP_1) | instskip(NEXT) | instid1(VALU_DEP_1)
	v_fmac_f64_e32 v[144:145], v[134:135], v[112:113]
	v_add_f64_e64 v[2:3], v[108:109], -v[144:145]
	scratch_store_b64 off, v[2:3], off offset:40
	s_wait_xcnt 0x0
	v_cmpx_lt_u32_e32 4, v0
	s_cbranch_execz .LBB51_313
; %bb.312:
	scratch_load_b64 v[2:3], off, off offset:32
	v_mov_b64_e32 v[108:109], 0
	scratch_store_b64 off, v[108:109], off offset:32
	s_wait_loadcnt 0x0
	ds_store_b64 v1, v[2:3]
.LBB51_313:
	s_wait_xcnt 0x0
	s_or_b32 exec_lo, exec_lo, s0
	s_wait_storecnt_dscnt 0x0
	s_barrier_signal -1
	s_barrier_wait -1
	s_clause 0x5
	scratch_load_b128 v[108:111], off, off offset:32
	scratch_load_b128 v[112:115], off, off offset:48
	;; [unrolled: 1-line block ×6, first 2 shown]
	v_mov_b32_e32 v2, 0
	ds_load_2addr_b64 v[132:135], v2 offset0:57 offset1:58
	ds_load_2addr_b64 v[136:139], v2 offset0:59 offset1:60
	scratch_load_b128 v[140:143], off, off offset:128
	s_mov_b32 s0, exec_lo
	s_wait_loadcnt_dscnt 0x601
	v_fma_f64 v[144:145], v[110:111], v[132:133], 0
	s_wait_loadcnt 0x5
	s_delay_alu instid0(VALU_DEP_1) | instskip(SKIP_4) | instid1(VALU_DEP_1)
	v_fmac_f64_e32 v[144:145], v[112:113], v[134:135]
	scratch_load_b128 v[110:113], off, off offset:144
	s_wait_dscnt 0x0
	v_fmac_f64_e32 v[144:145], v[114:115], v[136:137]
	s_wait_loadcnt 0x5
	v_fmac_f64_e32 v[144:145], v[116:117], v[138:139]
	ds_load_2addr_b64 v[114:117], v2 offset0:61 offset1:62
	ds_load_2addr_b64 v[132:135], v2 offset0:63 offset1:64
	scratch_load_b128 v[136:139], off, off offset:160
	s_wait_dscnt 0x1
	v_fmac_f64_e32 v[144:145], v[118:119], v[114:115]
	s_wait_loadcnt 0x5
	s_delay_alu instid0(VALU_DEP_1) | instskip(SKIP_4) | instid1(VALU_DEP_1)
	v_fmac_f64_e32 v[144:145], v[120:121], v[116:117]
	scratch_load_b128 v[114:117], off, off offset:176
	s_wait_dscnt 0x0
	v_fmac_f64_e32 v[144:145], v[122:123], v[132:133]
	s_wait_loadcnt 0x5
	v_fmac_f64_e32 v[144:145], v[124:125], v[134:135]
	ds_load_2addr_b64 v[118:121], v2 offset0:65 offset1:66
	ds_load_2addr_b64 v[122:125], v2 offset0:67 offset1:68
	scratch_load_b128 v[132:135], off, off offset:192
	s_wait_dscnt 0x1
	v_fmac_f64_e32 v[144:145], v[126:127], v[118:119]
	s_wait_loadcnt 0x5
	s_delay_alu instid0(VALU_DEP_1) | instskip(SKIP_4) | instid1(VALU_DEP_1)
	v_fmac_f64_e32 v[144:145], v[128:129], v[120:121]
	scratch_load_b128 v[118:121], off, off offset:208
	s_wait_dscnt 0x0
	v_fmac_f64_e32 v[144:145], v[130:131], v[122:123]
	s_wait_loadcnt 0x5
	v_fmac_f64_e32 v[144:145], v[140:141], v[124:125]
	ds_load_2addr_b64 v[122:125], v2 offset0:69 offset1:70
	ds_load_2addr_b64 v[126:129], v2 offset0:71 offset1:72
	s_wait_dscnt 0x1
	v_fmac_f64_e32 v[144:145], v[142:143], v[122:123]
	scratch_load_b128 v[140:143], off, off offset:224
	s_wait_loadcnt 0x5
	v_fmac_f64_e32 v[144:145], v[110:111], v[124:125]
	s_wait_dscnt 0x0
	s_delay_alu instid0(VALU_DEP_1)
	v_fmac_f64_e32 v[144:145], v[112:113], v[126:127]
	scratch_load_b128 v[110:113], off, off offset:240
	s_wait_loadcnt 0x5
	v_fmac_f64_e32 v[144:145], v[136:137], v[128:129]
	ds_load_2addr_b64 v[122:125], v2 offset0:73 offset1:74
	ds_load_2addr_b64 v[126:129], v2 offset0:75 offset1:76
	s_wait_dscnt 0x1
	v_fmac_f64_e32 v[144:145], v[138:139], v[122:123]
	scratch_load_b128 v[136:139], off, off offset:256
	s_wait_loadcnt 0x5
	v_fmac_f64_e32 v[144:145], v[114:115], v[124:125]
	s_wait_dscnt 0x0
	s_delay_alu instid0(VALU_DEP_1)
	v_fmac_f64_e32 v[144:145], v[116:117], v[126:127]
	scratch_load_b128 v[114:117], off, off offset:272
	s_wait_loadcnt 0x5
	v_fmac_f64_e32 v[144:145], v[132:133], v[128:129]
	ds_load_2addr_b64 v[122:125], v2 offset0:77 offset1:78
	ds_load_2addr_b64 v[126:129], v2 offset0:79 offset1:80
	scratch_load_b128 v[130:133], off, off offset:288
	s_wait_dscnt 0x1
	v_fmac_f64_e32 v[144:145], v[134:135], v[122:123]
	s_wait_loadcnt 0x5
	s_delay_alu instid0(VALU_DEP_1) | instskip(SKIP_1) | instid1(VALU_DEP_1)
	v_fmac_f64_e32 v[144:145], v[118:119], v[124:125]
	s_wait_dscnt 0x0
	v_fmac_f64_e32 v[144:145], v[120:121], v[126:127]
	scratch_load_b128 v[118:121], off, off offset:304
	s_wait_loadcnt 0x5
	v_fmac_f64_e32 v[144:145], v[140:141], v[128:129]
	ds_load_2addr_b64 v[122:125], v2 offset0:81 offset1:82
	ds_load_2addr_b64 v[126:129], v2 offset0:83 offset1:84
	s_wait_dscnt 0x1
	v_fmac_f64_e32 v[144:145], v[142:143], v[122:123]
	scratch_load_b128 v[140:143], off, off offset:320
	s_wait_loadcnt 0x5
	v_fmac_f64_e32 v[144:145], v[110:111], v[124:125]
	s_wait_dscnt 0x0
	s_delay_alu instid0(VALU_DEP_1)
	v_fmac_f64_e32 v[144:145], v[112:113], v[126:127]
	scratch_load_b128 v[110:113], off, off offset:336
	s_wait_loadcnt 0x5
	v_fmac_f64_e32 v[144:145], v[136:137], v[128:129]
	ds_load_2addr_b64 v[122:125], v2 offset0:85 offset1:86
	ds_load_2addr_b64 v[126:129], v2 offset0:87 offset1:88
	s_wait_dscnt 0x1
	v_fmac_f64_e32 v[144:145], v[138:139], v[122:123]
	s_wait_loadcnt 0x4
	s_delay_alu instid0(VALU_DEP_1)
	v_fmac_f64_e32 v[144:145], v[114:115], v[124:125]
	scratch_load_b128 v[122:125], off, off offset:352
	s_wait_dscnt 0x0
	v_fmac_f64_e32 v[144:145], v[116:117], v[126:127]
	scratch_load_b128 v[114:117], off, off offset:368
	s_wait_loadcnt 0x5
	v_fmac_f64_e32 v[144:145], v[130:131], v[128:129]
	ds_load_2addr_b64 v[126:129], v2 offset0:89 offset1:90
	ds_load_2addr_b64 v[134:137], v2 offset0:91 offset1:92
	s_wait_dscnt 0x1
	v_fmac_f64_e32 v[144:145], v[132:133], v[126:127]
	s_wait_loadcnt 0x4
	s_delay_alu instid0(VALU_DEP_1)
	v_fmac_f64_e32 v[144:145], v[118:119], v[128:129]
	scratch_load_b128 v[126:129], off, off offset:384
	s_wait_dscnt 0x0
	v_fmac_f64_e32 v[144:145], v[120:121], v[134:135]
	scratch_load_b128 v[118:121], off, off offset:400
	s_wait_loadcnt 0x5
	v_fmac_f64_e32 v[144:145], v[140:141], v[136:137]
	ds_load_2addr_b64 v[130:133], v2 offset0:93 offset1:94
	ds_load_2addr_b64 v[134:137], v2 offset0:95 offset1:96
	s_wait_dscnt 0x1
	v_fmac_f64_e32 v[144:145], v[142:143], v[130:131]
	s_wait_loadcnt 0x4
	s_delay_alu instid0(VALU_DEP_1) | instskip(SKIP_1) | instid1(VALU_DEP_1)
	v_fmac_f64_e32 v[144:145], v[110:111], v[132:133]
	s_wait_dscnt 0x0
	v_fmac_f64_e32 v[144:145], v[112:113], v[134:135]
	ds_load_2addr_b64 v[110:113], v2 offset0:97 offset1:98
	ds_load_2addr_b64 v[130:133], v2 offset0:99 offset1:100
	s_wait_loadcnt 0x3
	v_fmac_f64_e32 v[144:145], v[122:123], v[136:137]
	s_wait_dscnt 0x1
	s_delay_alu instid0(VALU_DEP_1) | instskip(SKIP_1) | instid1(VALU_DEP_1)
	v_fmac_f64_e32 v[144:145], v[124:125], v[110:111]
	s_wait_loadcnt 0x2
	v_fmac_f64_e32 v[144:145], v[114:115], v[112:113]
	ds_load_2addr_b64 v[110:113], v2 offset0:101 offset1:102
	ds_load_b64 v[114:115], v2 offset:824
	s_wait_dscnt 0x2
	v_fmac_f64_e32 v[144:145], v[116:117], v[130:131]
	s_wait_loadcnt 0x1
	s_delay_alu instid0(VALU_DEP_1) | instskip(SKIP_1) | instid1(VALU_DEP_1)
	v_fmac_f64_e32 v[144:145], v[126:127], v[132:133]
	s_wait_dscnt 0x1
	v_fmac_f64_e32 v[144:145], v[128:129], v[110:111]
	s_wait_loadcnt 0x0
	s_delay_alu instid0(VALU_DEP_1) | instskip(SKIP_1) | instid1(VALU_DEP_1)
	v_fmac_f64_e32 v[144:145], v[118:119], v[112:113]
	s_wait_dscnt 0x0
	v_fmac_f64_e32 v[144:145], v[120:121], v[114:115]
	s_delay_alu instid0(VALU_DEP_1)
	v_add_f64_e64 v[108:109], v[108:109], -v[144:145]
	scratch_store_b64 off, v[108:109], off offset:32
	s_wait_xcnt 0x0
	v_cmpx_lt_u32_e32 3, v0
	s_cbranch_execz .LBB51_315
; %bb.314:
	scratch_load_b64 v[108:109], off, off offset:24
	v_mov_b64_e32 v[110:111], 0
	scratch_store_b64 off, v[110:111], off offset:24
	s_wait_loadcnt 0x0
	ds_store_b64 v1, v[108:109]
.LBB51_315:
	s_wait_xcnt 0x0
	s_or_b32 exec_lo, exec_lo, s0
	s_wait_storecnt_dscnt 0x0
	s_barrier_signal -1
	s_barrier_wait -1
	s_clause 0x5
	scratch_load_b128 v[108:111], off, off offset:24
	scratch_load_b128 v[112:115], off, off offset:40
	;; [unrolled: 1-line block ×6, first 2 shown]
	ds_load_b128 v[132:135], v2 offset:448
	ds_load_b128 v[136:139], v2 offset:464
	scratch_load_b128 v[140:143], off, off offset:120
	s_mov_b32 s0, exec_lo
	s_wait_loadcnt_dscnt 0x601
	v_fma_f64 v[144:145], v[110:111], v[132:133], 0
	s_wait_loadcnt 0x5
	s_delay_alu instid0(VALU_DEP_1) | instskip(SKIP_4) | instid1(VALU_DEP_1)
	v_fmac_f64_e32 v[144:145], v[112:113], v[134:135]
	scratch_load_b128 v[110:113], off, off offset:136
	s_wait_dscnt 0x0
	v_fmac_f64_e32 v[144:145], v[114:115], v[136:137]
	s_wait_loadcnt 0x5
	v_fmac_f64_e32 v[144:145], v[116:117], v[138:139]
	ds_load_b128 v[114:117], v2 offset:480
	ds_load_b128 v[132:135], v2 offset:496
	scratch_load_b128 v[136:139], off, off offset:152
	s_wait_dscnt 0x1
	v_fmac_f64_e32 v[144:145], v[118:119], v[114:115]
	s_wait_loadcnt 0x5
	s_delay_alu instid0(VALU_DEP_1) | instskip(SKIP_4) | instid1(VALU_DEP_1)
	v_fmac_f64_e32 v[144:145], v[120:121], v[116:117]
	scratch_load_b128 v[114:117], off, off offset:168
	s_wait_dscnt 0x0
	v_fmac_f64_e32 v[144:145], v[122:123], v[132:133]
	s_wait_loadcnt 0x5
	v_fmac_f64_e32 v[144:145], v[124:125], v[134:135]
	ds_load_b128 v[118:121], v2 offset:512
	ds_load_b128 v[122:125], v2 offset:528
	scratch_load_b128 v[132:135], off, off offset:184
	s_wait_dscnt 0x1
	v_fmac_f64_e32 v[144:145], v[126:127], v[118:119]
	s_wait_loadcnt 0x5
	s_delay_alu instid0(VALU_DEP_1) | instskip(SKIP_4) | instid1(VALU_DEP_1)
	v_fmac_f64_e32 v[144:145], v[128:129], v[120:121]
	scratch_load_b128 v[118:121], off, off offset:200
	s_wait_dscnt 0x0
	v_fmac_f64_e32 v[144:145], v[130:131], v[122:123]
	s_wait_loadcnt 0x5
	v_fmac_f64_e32 v[144:145], v[140:141], v[124:125]
	ds_load_b128 v[122:125], v2 offset:544
	ds_load_b128 v[126:129], v2 offset:560
	s_wait_dscnt 0x1
	v_fmac_f64_e32 v[144:145], v[142:143], v[122:123]
	scratch_load_b128 v[140:143], off, off offset:216
	s_wait_loadcnt 0x5
	v_fmac_f64_e32 v[144:145], v[110:111], v[124:125]
	s_wait_dscnt 0x0
	s_delay_alu instid0(VALU_DEP_1)
	v_fmac_f64_e32 v[144:145], v[112:113], v[126:127]
	scratch_load_b128 v[110:113], off, off offset:232
	s_wait_loadcnt 0x5
	v_fmac_f64_e32 v[144:145], v[136:137], v[128:129]
	ds_load_b128 v[122:125], v2 offset:576
	ds_load_b128 v[126:129], v2 offset:592
	s_wait_dscnt 0x1
	v_fmac_f64_e32 v[144:145], v[138:139], v[122:123]
	scratch_load_b128 v[136:139], off, off offset:248
	s_wait_loadcnt 0x5
	v_fmac_f64_e32 v[144:145], v[114:115], v[124:125]
	s_wait_dscnt 0x0
	s_delay_alu instid0(VALU_DEP_1)
	v_fmac_f64_e32 v[144:145], v[116:117], v[126:127]
	scratch_load_b128 v[114:117], off, off offset:264
	s_wait_loadcnt 0x5
	v_fmac_f64_e32 v[144:145], v[132:133], v[128:129]
	ds_load_b128 v[122:125], v2 offset:608
	ds_load_b128 v[126:129], v2 offset:624
	scratch_load_b128 v[130:133], off, off offset:280
	s_wait_dscnt 0x1
	v_fmac_f64_e32 v[144:145], v[134:135], v[122:123]
	s_wait_loadcnt 0x5
	s_delay_alu instid0(VALU_DEP_1) | instskip(SKIP_1) | instid1(VALU_DEP_1)
	v_fmac_f64_e32 v[144:145], v[118:119], v[124:125]
	s_wait_dscnt 0x0
	v_fmac_f64_e32 v[144:145], v[120:121], v[126:127]
	scratch_load_b128 v[118:121], off, off offset:296
	s_wait_loadcnt 0x5
	v_fmac_f64_e32 v[144:145], v[140:141], v[128:129]
	ds_load_b128 v[122:125], v2 offset:640
	ds_load_b128 v[126:129], v2 offset:656
	s_wait_dscnt 0x1
	v_fmac_f64_e32 v[144:145], v[142:143], v[122:123]
	scratch_load_b128 v[140:143], off, off offset:312
	s_wait_loadcnt 0x5
	v_fmac_f64_e32 v[144:145], v[110:111], v[124:125]
	s_wait_dscnt 0x0
	s_delay_alu instid0(VALU_DEP_1)
	v_fmac_f64_e32 v[144:145], v[112:113], v[126:127]
	scratch_load_b128 v[110:113], off, off offset:328
	s_wait_loadcnt 0x5
	v_fmac_f64_e32 v[144:145], v[136:137], v[128:129]
	ds_load_b128 v[122:125], v2 offset:672
	ds_load_b128 v[126:129], v2 offset:688
	s_wait_dscnt 0x1
	v_fmac_f64_e32 v[144:145], v[138:139], v[122:123]
	s_wait_loadcnt 0x4
	s_delay_alu instid0(VALU_DEP_1)
	v_fmac_f64_e32 v[144:145], v[114:115], v[124:125]
	scratch_load_b128 v[122:125], off, off offset:344
	s_wait_dscnt 0x0
	v_fmac_f64_e32 v[144:145], v[116:117], v[126:127]
	scratch_load_b128 v[114:117], off, off offset:360
	s_wait_loadcnt 0x5
	v_fmac_f64_e32 v[144:145], v[130:131], v[128:129]
	ds_load_b128 v[126:129], v2 offset:704
	ds_load_b128 v[134:137], v2 offset:720
	s_wait_dscnt 0x1
	v_fmac_f64_e32 v[144:145], v[132:133], v[126:127]
	s_wait_loadcnt 0x4
	s_delay_alu instid0(VALU_DEP_1)
	v_fmac_f64_e32 v[144:145], v[118:119], v[128:129]
	scratch_load_b128 v[126:129], off, off offset:376
	s_wait_dscnt 0x0
	v_fmac_f64_e32 v[144:145], v[120:121], v[134:135]
	scratch_load_b128 v[118:121], off, off offset:392
	s_wait_loadcnt 0x5
	v_fmac_f64_e32 v[144:145], v[140:141], v[136:137]
	ds_load_b128 v[130:133], v2 offset:736
	ds_load_b128 v[134:137], v2 offset:752
	scratch_load_b64 v[138:139], off, off offset:408
	s_wait_dscnt 0x1
	v_fmac_f64_e32 v[144:145], v[142:143], v[130:131]
	s_wait_loadcnt 0x5
	s_delay_alu instid0(VALU_DEP_1) | instskip(SKIP_1) | instid1(VALU_DEP_1)
	v_fmac_f64_e32 v[144:145], v[110:111], v[132:133]
	s_wait_dscnt 0x0
	v_fmac_f64_e32 v[144:145], v[112:113], v[134:135]
	ds_load_b128 v[110:113], v2 offset:768
	ds_load_b128 v[130:133], v2 offset:784
	s_wait_loadcnt 0x4
	v_fmac_f64_e32 v[144:145], v[122:123], v[136:137]
	s_wait_dscnt 0x1
	s_delay_alu instid0(VALU_DEP_1) | instskip(SKIP_1) | instid1(VALU_DEP_1)
	v_fmac_f64_e32 v[144:145], v[124:125], v[110:111]
	s_wait_loadcnt 0x3
	v_fmac_f64_e32 v[144:145], v[114:115], v[112:113]
	s_wait_dscnt 0x0
	s_delay_alu instid0(VALU_DEP_1)
	v_fmac_f64_e32 v[144:145], v[116:117], v[130:131]
	ds_load_b128 v[110:113], v2 offset:800
	ds_load_b128 v[114:117], v2 offset:816
	s_wait_loadcnt 0x2
	v_fmac_f64_e32 v[144:145], v[126:127], v[132:133]
	s_wait_dscnt 0x1
	s_delay_alu instid0(VALU_DEP_1) | instskip(SKIP_1) | instid1(VALU_DEP_1)
	v_fmac_f64_e32 v[144:145], v[128:129], v[110:111]
	s_wait_loadcnt 0x1
	v_fmac_f64_e32 v[144:145], v[118:119], v[112:113]
	s_wait_dscnt 0x0
	s_delay_alu instid0(VALU_DEP_1) | instskip(SKIP_1) | instid1(VALU_DEP_1)
	v_fmac_f64_e32 v[144:145], v[120:121], v[114:115]
	s_wait_loadcnt 0x0
	v_fmac_f64_e32 v[144:145], v[138:139], v[116:117]
	s_delay_alu instid0(VALU_DEP_1)
	v_add_f64_e64 v[2:3], v[108:109], -v[144:145]
	scratch_store_b64 off, v[2:3], off offset:24
	s_wait_xcnt 0x0
	v_cmpx_lt_u32_e32 2, v0
	s_cbranch_execz .LBB51_317
; %bb.316:
	scratch_load_b64 v[2:3], off, off offset:16
	v_mov_b64_e32 v[108:109], 0
	scratch_store_b64 off, v[108:109], off offset:16
	s_wait_loadcnt 0x0
	ds_store_b64 v1, v[2:3]
.LBB51_317:
	s_wait_xcnt 0x0
	s_or_b32 exec_lo, exec_lo, s0
	s_wait_storecnt_dscnt 0x0
	s_barrier_signal -1
	s_barrier_wait -1
	s_clause 0x5
	scratch_load_b128 v[108:111], off, off offset:16
	scratch_load_b128 v[112:115], off, off offset:32
	;; [unrolled: 1-line block ×6, first 2 shown]
	v_mov_b32_e32 v2, 0
	ds_load_2addr_b64 v[132:135], v2 offset0:55 offset1:56
	ds_load_2addr_b64 v[136:139], v2 offset0:57 offset1:58
	scratch_load_b128 v[140:143], off, off offset:112
	s_mov_b32 s0, exec_lo
	s_wait_loadcnt_dscnt 0x601
	v_fma_f64 v[144:145], v[110:111], v[132:133], 0
	s_wait_loadcnt 0x5
	s_delay_alu instid0(VALU_DEP_1) | instskip(SKIP_4) | instid1(VALU_DEP_1)
	v_fmac_f64_e32 v[144:145], v[112:113], v[134:135]
	scratch_load_b128 v[110:113], off, off offset:128
	s_wait_dscnt 0x0
	v_fmac_f64_e32 v[144:145], v[114:115], v[136:137]
	s_wait_loadcnt 0x5
	v_fmac_f64_e32 v[144:145], v[116:117], v[138:139]
	ds_load_2addr_b64 v[114:117], v2 offset0:59 offset1:60
	ds_load_2addr_b64 v[132:135], v2 offset0:61 offset1:62
	scratch_load_b128 v[136:139], off, off offset:144
	s_wait_dscnt 0x1
	v_fmac_f64_e32 v[144:145], v[118:119], v[114:115]
	s_wait_loadcnt 0x5
	s_delay_alu instid0(VALU_DEP_1) | instskip(SKIP_4) | instid1(VALU_DEP_1)
	v_fmac_f64_e32 v[144:145], v[120:121], v[116:117]
	scratch_load_b128 v[114:117], off, off offset:160
	s_wait_dscnt 0x0
	v_fmac_f64_e32 v[144:145], v[122:123], v[132:133]
	s_wait_loadcnt 0x5
	v_fmac_f64_e32 v[144:145], v[124:125], v[134:135]
	ds_load_2addr_b64 v[118:121], v2 offset0:63 offset1:64
	ds_load_2addr_b64 v[122:125], v2 offset0:65 offset1:66
	scratch_load_b128 v[132:135], off, off offset:176
	s_wait_dscnt 0x1
	v_fmac_f64_e32 v[144:145], v[126:127], v[118:119]
	s_wait_loadcnt 0x5
	s_delay_alu instid0(VALU_DEP_1) | instskip(SKIP_4) | instid1(VALU_DEP_1)
	v_fmac_f64_e32 v[144:145], v[128:129], v[120:121]
	scratch_load_b128 v[118:121], off, off offset:192
	s_wait_dscnt 0x0
	v_fmac_f64_e32 v[144:145], v[130:131], v[122:123]
	s_wait_loadcnt 0x5
	v_fmac_f64_e32 v[144:145], v[140:141], v[124:125]
	ds_load_2addr_b64 v[122:125], v2 offset0:67 offset1:68
	ds_load_2addr_b64 v[126:129], v2 offset0:69 offset1:70
	s_wait_dscnt 0x1
	v_fmac_f64_e32 v[144:145], v[142:143], v[122:123]
	scratch_load_b128 v[140:143], off, off offset:208
	s_wait_loadcnt 0x5
	v_fmac_f64_e32 v[144:145], v[110:111], v[124:125]
	s_wait_dscnt 0x0
	s_delay_alu instid0(VALU_DEP_1)
	v_fmac_f64_e32 v[144:145], v[112:113], v[126:127]
	scratch_load_b128 v[110:113], off, off offset:224
	s_wait_loadcnt 0x5
	v_fmac_f64_e32 v[144:145], v[136:137], v[128:129]
	ds_load_2addr_b64 v[122:125], v2 offset0:71 offset1:72
	ds_load_2addr_b64 v[126:129], v2 offset0:73 offset1:74
	s_wait_dscnt 0x1
	v_fmac_f64_e32 v[144:145], v[138:139], v[122:123]
	scratch_load_b128 v[136:139], off, off offset:240
	s_wait_loadcnt 0x5
	v_fmac_f64_e32 v[144:145], v[114:115], v[124:125]
	s_wait_dscnt 0x0
	s_delay_alu instid0(VALU_DEP_1)
	v_fmac_f64_e32 v[144:145], v[116:117], v[126:127]
	scratch_load_b128 v[114:117], off, off offset:256
	s_wait_loadcnt 0x5
	v_fmac_f64_e32 v[144:145], v[132:133], v[128:129]
	ds_load_2addr_b64 v[122:125], v2 offset0:75 offset1:76
	ds_load_2addr_b64 v[126:129], v2 offset0:77 offset1:78
	scratch_load_b128 v[130:133], off, off offset:272
	s_wait_dscnt 0x1
	v_fmac_f64_e32 v[144:145], v[134:135], v[122:123]
	s_wait_loadcnt 0x5
	s_delay_alu instid0(VALU_DEP_1) | instskip(SKIP_1) | instid1(VALU_DEP_1)
	v_fmac_f64_e32 v[144:145], v[118:119], v[124:125]
	s_wait_dscnt 0x0
	v_fmac_f64_e32 v[144:145], v[120:121], v[126:127]
	scratch_load_b128 v[118:121], off, off offset:288
	s_wait_loadcnt 0x5
	v_fmac_f64_e32 v[144:145], v[140:141], v[128:129]
	ds_load_2addr_b64 v[122:125], v2 offset0:79 offset1:80
	ds_load_2addr_b64 v[126:129], v2 offset0:81 offset1:82
	s_wait_dscnt 0x1
	v_fmac_f64_e32 v[144:145], v[142:143], v[122:123]
	scratch_load_b128 v[140:143], off, off offset:304
	s_wait_loadcnt 0x5
	v_fmac_f64_e32 v[144:145], v[110:111], v[124:125]
	s_wait_dscnt 0x0
	s_delay_alu instid0(VALU_DEP_1)
	v_fmac_f64_e32 v[144:145], v[112:113], v[126:127]
	scratch_load_b128 v[110:113], off, off offset:320
	s_wait_loadcnt 0x5
	v_fmac_f64_e32 v[144:145], v[136:137], v[128:129]
	ds_load_2addr_b64 v[122:125], v2 offset0:83 offset1:84
	ds_load_2addr_b64 v[126:129], v2 offset0:85 offset1:86
	s_wait_dscnt 0x1
	v_fmac_f64_e32 v[144:145], v[138:139], v[122:123]
	s_wait_loadcnt 0x4
	s_delay_alu instid0(VALU_DEP_1)
	v_fmac_f64_e32 v[144:145], v[114:115], v[124:125]
	scratch_load_b128 v[122:125], off, off offset:336
	s_wait_dscnt 0x0
	v_fmac_f64_e32 v[144:145], v[116:117], v[126:127]
	scratch_load_b128 v[114:117], off, off offset:352
	s_wait_loadcnt 0x5
	v_fmac_f64_e32 v[144:145], v[130:131], v[128:129]
	ds_load_2addr_b64 v[126:129], v2 offset0:87 offset1:88
	ds_load_2addr_b64 v[134:137], v2 offset0:89 offset1:90
	s_wait_dscnt 0x1
	v_fmac_f64_e32 v[144:145], v[132:133], v[126:127]
	s_wait_loadcnt 0x4
	s_delay_alu instid0(VALU_DEP_1)
	v_fmac_f64_e32 v[144:145], v[118:119], v[128:129]
	scratch_load_b128 v[126:129], off, off offset:368
	s_wait_dscnt 0x0
	v_fmac_f64_e32 v[144:145], v[120:121], v[134:135]
	scratch_load_b128 v[118:121], off, off offset:384
	s_wait_loadcnt 0x5
	v_fmac_f64_e32 v[144:145], v[140:141], v[136:137]
	ds_load_2addr_b64 v[130:133], v2 offset0:91 offset1:92
	ds_load_2addr_b64 v[134:137], v2 offset0:93 offset1:94
	s_wait_dscnt 0x1
	v_fmac_f64_e32 v[144:145], v[142:143], v[130:131]
	s_wait_loadcnt 0x4
	s_delay_alu instid0(VALU_DEP_1) | instskip(SKIP_4) | instid1(VALU_DEP_1)
	v_fmac_f64_e32 v[144:145], v[110:111], v[132:133]
	scratch_load_b128 v[130:133], off, off offset:400
	s_wait_dscnt 0x0
	v_fmac_f64_e32 v[144:145], v[112:113], v[134:135]
	s_wait_loadcnt 0x4
	v_fmac_f64_e32 v[144:145], v[122:123], v[136:137]
	ds_load_2addr_b64 v[110:113], v2 offset0:95 offset1:96
	ds_load_2addr_b64 v[134:137], v2 offset0:97 offset1:98
	s_wait_dscnt 0x1
	v_fmac_f64_e32 v[144:145], v[124:125], v[110:111]
	s_wait_loadcnt 0x3
	s_delay_alu instid0(VALU_DEP_1) | instskip(SKIP_1) | instid1(VALU_DEP_1)
	v_fmac_f64_e32 v[144:145], v[114:115], v[112:113]
	s_wait_dscnt 0x0
	v_fmac_f64_e32 v[144:145], v[116:117], v[134:135]
	ds_load_2addr_b64 v[110:113], v2 offset0:99 offset1:100
	ds_load_2addr_b64 v[114:117], v2 offset0:101 offset1:102
	s_wait_loadcnt 0x2
	v_fmac_f64_e32 v[144:145], v[126:127], v[136:137]
	s_wait_dscnt 0x1
	s_delay_alu instid0(VALU_DEP_1) | instskip(SKIP_4) | instid1(VALU_DEP_1)
	v_fmac_f64_e32 v[144:145], v[128:129], v[110:111]
	ds_load_b64 v[110:111], v2 offset:824
	s_wait_loadcnt 0x1
	v_fmac_f64_e32 v[144:145], v[118:119], v[112:113]
	s_wait_dscnt 0x1
	v_fmac_f64_e32 v[144:145], v[120:121], v[114:115]
	s_wait_loadcnt 0x0
	s_delay_alu instid0(VALU_DEP_1) | instskip(SKIP_1) | instid1(VALU_DEP_1)
	v_fmac_f64_e32 v[144:145], v[130:131], v[116:117]
	s_wait_dscnt 0x0
	v_fmac_f64_e32 v[144:145], v[132:133], v[110:111]
	s_delay_alu instid0(VALU_DEP_1)
	v_add_f64_e64 v[108:109], v[108:109], -v[144:145]
	scratch_store_b64 off, v[108:109], off offset:16
	s_wait_xcnt 0x0
	v_cmpx_lt_u32_e32 1, v0
	s_cbranch_execz .LBB51_319
; %bb.318:
	scratch_load_b64 v[108:109], off, off offset:8
	v_mov_b64_e32 v[110:111], 0
	scratch_store_b64 off, v[110:111], off offset:8
	s_wait_loadcnt 0x0
	ds_store_b64 v1, v[108:109]
.LBB51_319:
	s_wait_xcnt 0x0
	s_or_b32 exec_lo, exec_lo, s0
	s_wait_storecnt_dscnt 0x0
	s_barrier_signal -1
	s_barrier_wait -1
	s_clause 0x5
	scratch_load_b128 v[108:111], off, off offset:8
	scratch_load_b128 v[112:115], off, off offset:24
	;; [unrolled: 1-line block ×6, first 2 shown]
	ds_load_b128 v[132:135], v2 offset:432
	ds_load_b128 v[136:139], v2 offset:448
	scratch_load_b128 v[140:143], off, off offset:104
	v_dual_ashrrev_i32 v9, 31, v8 :: v_dual_ashrrev_i32 v11, 31, v10
	v_dual_ashrrev_i32 v13, 31, v12 :: v_dual_ashrrev_i32 v15, 31, v14
	v_dual_ashrrev_i32 v17, 31, v16 :: v_dual_ashrrev_i32 v19, 31, v18
	v_dual_ashrrev_i32 v21, 31, v20 :: v_dual_ashrrev_i32 v23, 31, v22
	v_dual_ashrrev_i32 v25, 31, v24 :: v_dual_ashrrev_i32 v27, 31, v26
	v_dual_ashrrev_i32 v29, 31, v28 :: v_dual_ashrrev_i32 v31, 31, v30
	v_dual_ashrrev_i32 v33, 31, v32 :: v_dual_ashrrev_i32 v35, 31, v34
	v_dual_ashrrev_i32 v37, 31, v36 :: v_dual_ashrrev_i32 v39, 31, v38
	v_dual_ashrrev_i32 v41, 31, v40 :: v_dual_ashrrev_i32 v43, 31, v42
	v_dual_ashrrev_i32 v45, 31, v44 :: v_dual_ashrrev_i32 v47, 31, v46
	v_dual_ashrrev_i32 v49, 31, v48 :: v_dual_ashrrev_i32 v51, 31, v50
	v_dual_ashrrev_i32 v53, 31, v52 :: v_dual_ashrrev_i32 v55, 31, v54
	v_dual_ashrrev_i32 v57, 31, v56 :: v_dual_ashrrev_i32 v63, 31, v62
	v_dual_ashrrev_i32 v61, 31, v60 :: v_dual_ashrrev_i32 v67, 31, v66
	v_dual_ashrrev_i32 v65, 31, v64 :: v_dual_ashrrev_i32 v71, 31, v70
	v_dual_ashrrev_i32 v69, 31, v68 :: v_dual_ashrrev_i32 v75, 31, v74
	v_dual_ashrrev_i32 v73, 31, v72 :: v_dual_ashrrev_i32 v79, 31, v78
	v_dual_ashrrev_i32 v77, 31, v76 :: v_dual_ashrrev_i32 v83, 31, v82
	v_dual_ashrrev_i32 v81, 31, v80 :: v_dual_ashrrev_i32 v87, 31, v86
	v_dual_ashrrev_i32 v85, 31, v84 :: v_dual_ashrrev_i32 v91, 31, v90
	v_dual_ashrrev_i32 v89, 31, v88 :: v_dual_ashrrev_i32 v95, 31, v94
	v_dual_ashrrev_i32 v93, 31, v92 :: v_dual_ashrrev_i32 v99, 31, v98
	v_dual_ashrrev_i32 v97, 31, v96 :: v_dual_ashrrev_i32 v103, 31, v102
	v_dual_ashrrev_i32 v101, 31, v100 :: v_dual_ashrrev_i32 v107, 31, v106
	v_ashrrev_i32_e32 v105, 31, v104
	s_mov_b32 s0, exec_lo
	v_ashrrev_i32_e32 v59, 31, v58
	s_wait_loadcnt_dscnt 0x601
	v_fma_f64 v[144:145], v[110:111], v[132:133], 0
	s_wait_loadcnt 0x5
	s_delay_alu instid0(VALU_DEP_1) | instskip(SKIP_4) | instid1(VALU_DEP_1)
	v_fmac_f64_e32 v[144:145], v[112:113], v[134:135]
	scratch_load_b128 v[110:113], off, off offset:120
	s_wait_dscnt 0x0
	v_fmac_f64_e32 v[144:145], v[114:115], v[136:137]
	s_wait_loadcnt 0x5
	v_fmac_f64_e32 v[144:145], v[116:117], v[138:139]
	ds_load_b128 v[114:117], v2 offset:464
	ds_load_b128 v[132:135], v2 offset:480
	scratch_load_b128 v[136:139], off, off offset:136
	s_wait_dscnt 0x1
	v_fmac_f64_e32 v[144:145], v[118:119], v[114:115]
	s_wait_loadcnt 0x5
	s_delay_alu instid0(VALU_DEP_1) | instskip(SKIP_4) | instid1(VALU_DEP_1)
	v_fmac_f64_e32 v[144:145], v[120:121], v[116:117]
	scratch_load_b128 v[114:117], off, off offset:152
	s_wait_dscnt 0x0
	v_fmac_f64_e32 v[144:145], v[122:123], v[132:133]
	s_wait_loadcnt 0x5
	v_fmac_f64_e32 v[144:145], v[124:125], v[134:135]
	ds_load_b128 v[118:121], v2 offset:496
	ds_load_b128 v[122:125], v2 offset:512
	scratch_load_b128 v[132:135], off, off offset:168
	s_wait_dscnt 0x1
	v_fmac_f64_e32 v[144:145], v[126:127], v[118:119]
	s_wait_loadcnt 0x5
	s_delay_alu instid0(VALU_DEP_1) | instskip(SKIP_4) | instid1(VALU_DEP_1)
	v_fmac_f64_e32 v[144:145], v[128:129], v[120:121]
	scratch_load_b128 v[118:121], off, off offset:184
	s_wait_dscnt 0x0
	v_fmac_f64_e32 v[144:145], v[130:131], v[122:123]
	s_wait_loadcnt 0x5
	v_fmac_f64_e32 v[144:145], v[140:141], v[124:125]
	ds_load_b128 v[122:125], v2 offset:528
	ds_load_b128 v[126:129], v2 offset:544
	s_wait_dscnt 0x1
	v_fmac_f64_e32 v[144:145], v[142:143], v[122:123]
	scratch_load_b128 v[140:143], off, off offset:200
	s_wait_loadcnt 0x5
	v_fmac_f64_e32 v[144:145], v[110:111], v[124:125]
	s_wait_dscnt 0x0
	s_delay_alu instid0(VALU_DEP_1)
	v_fmac_f64_e32 v[144:145], v[112:113], v[126:127]
	scratch_load_b128 v[110:113], off, off offset:216
	s_wait_loadcnt 0x5
	v_fmac_f64_e32 v[144:145], v[136:137], v[128:129]
	ds_load_b128 v[122:125], v2 offset:560
	ds_load_b128 v[126:129], v2 offset:576
	s_wait_dscnt 0x1
	v_fmac_f64_e32 v[144:145], v[138:139], v[122:123]
	scratch_load_b128 v[136:139], off, off offset:232
	s_wait_loadcnt 0x5
	v_fmac_f64_e32 v[144:145], v[114:115], v[124:125]
	s_wait_dscnt 0x0
	s_delay_alu instid0(VALU_DEP_1)
	v_fmac_f64_e32 v[144:145], v[116:117], v[126:127]
	scratch_load_b128 v[114:117], off, off offset:248
	s_wait_loadcnt 0x5
	v_fmac_f64_e32 v[144:145], v[132:133], v[128:129]
	ds_load_b128 v[122:125], v2 offset:592
	ds_load_b128 v[126:129], v2 offset:608
	scratch_load_b128 v[130:133], off, off offset:264
	s_wait_dscnt 0x1
	v_fmac_f64_e32 v[144:145], v[134:135], v[122:123]
	s_wait_loadcnt 0x5
	s_delay_alu instid0(VALU_DEP_1) | instskip(SKIP_1) | instid1(VALU_DEP_1)
	v_fmac_f64_e32 v[144:145], v[118:119], v[124:125]
	s_wait_dscnt 0x0
	v_fmac_f64_e32 v[144:145], v[120:121], v[126:127]
	scratch_load_b128 v[118:121], off, off offset:280
	s_wait_loadcnt 0x5
	v_fmac_f64_e32 v[144:145], v[140:141], v[128:129]
	ds_load_b128 v[122:125], v2 offset:624
	ds_load_b128 v[126:129], v2 offset:640
	s_wait_dscnt 0x1
	v_fmac_f64_e32 v[144:145], v[142:143], v[122:123]
	scratch_load_b128 v[140:143], off, off offset:296
	s_wait_loadcnt 0x5
	v_fmac_f64_e32 v[144:145], v[110:111], v[124:125]
	s_wait_dscnt 0x0
	s_delay_alu instid0(VALU_DEP_1)
	v_fmac_f64_e32 v[144:145], v[112:113], v[126:127]
	scratch_load_b128 v[110:113], off, off offset:312
	s_wait_loadcnt 0x5
	v_fmac_f64_e32 v[144:145], v[136:137], v[128:129]
	ds_load_b128 v[122:125], v2 offset:656
	ds_load_b128 v[126:129], v2 offset:672
	s_wait_dscnt 0x1
	v_fmac_f64_e32 v[144:145], v[138:139], v[122:123]
	s_wait_loadcnt 0x4
	s_delay_alu instid0(VALU_DEP_1)
	v_fmac_f64_e32 v[144:145], v[114:115], v[124:125]
	scratch_load_b128 v[122:125], off, off offset:328
	s_wait_dscnt 0x0
	v_fmac_f64_e32 v[144:145], v[116:117], v[126:127]
	scratch_load_b128 v[114:117], off, off offset:344
	s_wait_loadcnt 0x5
	v_fmac_f64_e32 v[144:145], v[130:131], v[128:129]
	ds_load_b128 v[126:129], v2 offset:688
	ds_load_b128 v[134:137], v2 offset:704
	s_wait_dscnt 0x1
	v_fmac_f64_e32 v[144:145], v[132:133], v[126:127]
	s_wait_loadcnt 0x4
	s_delay_alu instid0(VALU_DEP_1)
	v_fmac_f64_e32 v[144:145], v[118:119], v[128:129]
	scratch_load_b128 v[126:129], off, off offset:360
	s_wait_dscnt 0x0
	v_fmac_f64_e32 v[144:145], v[120:121], v[134:135]
	scratch_load_b128 v[118:121], off, off offset:376
	s_wait_loadcnt 0x5
	v_fmac_f64_e32 v[144:145], v[140:141], v[136:137]
	ds_load_b128 v[130:133], v2 offset:720
	ds_load_b128 v[134:137], v2 offset:736
	scratch_load_b64 v[138:139], off, off offset:408
	s_wait_dscnt 0x1
	v_fmac_f64_e32 v[144:145], v[142:143], v[130:131]
	s_wait_loadcnt 0x5
	s_delay_alu instid0(VALU_DEP_1) | instskip(SKIP_4) | instid1(VALU_DEP_1)
	v_fmac_f64_e32 v[144:145], v[110:111], v[132:133]
	scratch_load_b128 v[130:133], off, off offset:392
	s_wait_dscnt 0x0
	v_fmac_f64_e32 v[144:145], v[112:113], v[134:135]
	s_wait_loadcnt 0x5
	v_fmac_f64_e32 v[144:145], v[122:123], v[136:137]
	ds_load_b128 v[110:113], v2 offset:752
	ds_load_b128 v[134:137], v2 offset:768
	s_wait_dscnt 0x1
	v_fmac_f64_e32 v[144:145], v[124:125], v[110:111]
	s_wait_loadcnt 0x4
	s_delay_alu instid0(VALU_DEP_1) | instskip(SKIP_1) | instid1(VALU_DEP_1)
	v_fmac_f64_e32 v[144:145], v[114:115], v[112:113]
	s_wait_dscnt 0x0
	v_fmac_f64_e32 v[144:145], v[116:117], v[134:135]
	ds_load_b128 v[110:113], v2 offset:784
	ds_load_b128 v[114:117], v2 offset:800
	s_wait_loadcnt 0x3
	v_fmac_f64_e32 v[144:145], v[126:127], v[136:137]
	s_wait_dscnt 0x1
	s_delay_alu instid0(VALU_DEP_1) | instskip(SKIP_1) | instid1(VALU_DEP_1)
	v_fmac_f64_e32 v[144:145], v[128:129], v[110:111]
	s_wait_loadcnt 0x2
	v_fmac_f64_e32 v[144:145], v[118:119], v[112:113]
	ds_load_b128 v[110:113], v2 offset:816
	s_wait_dscnt 0x1
	v_fmac_f64_e32 v[144:145], v[120:121], v[114:115]
	s_wait_loadcnt 0x0
	s_delay_alu instid0(VALU_DEP_1) | instskip(SKIP_1) | instid1(VALU_DEP_1)
	v_fmac_f64_e32 v[144:145], v[130:131], v[116:117]
	s_wait_dscnt 0x0
	v_fmac_f64_e32 v[144:145], v[132:133], v[110:111]
	s_delay_alu instid0(VALU_DEP_1) | instskip(NEXT) | instid1(VALU_DEP_1)
	v_fmac_f64_e32 v[144:145], v[138:139], v[112:113]
	v_add_f64_e64 v[2:3], v[108:109], -v[144:145]
	scratch_store_b64 off, v[2:3], off offset:8
	s_wait_xcnt 0x0
	v_cmpx_ne_u32_e32 0, v0
	s_cbranch_execz .LBB51_321
; %bb.320:
	scratch_load_b64 v[2:3], off, off
	v_mov_b64_e32 v[108:109], 0
	scratch_store_b64 off, v[108:109], off
	s_wait_loadcnt 0x0
	ds_store_b64 v1, v[2:3]
.LBB51_321:
	s_wait_xcnt 0x0
	s_or_b32 exec_lo, exec_lo, s0
	s_wait_storecnt_dscnt 0x0
	s_barrier_signal -1
	s_barrier_wait -1
	s_clause 0x5
	scratch_load_b128 v[110:113], off, off
	scratch_load_b128 v[0:3], off, off offset:16
	scratch_load_b128 v[114:117], off, off offset:32
	;; [unrolled: 1-line block ×5, first 2 shown]
	v_mov_b32_e32 v108, 0
	scratch_load_b128 v[134:137], off, off offset:96
	s_and_b32 vcc_lo, exec_lo, s20
	ds_load_2addr_b64 v[130:133], v108 offset0:53 offset1:54
	s_wait_loadcnt_dscnt 0x600
	v_fma_f64 v[138:139], v[112:113], v[130:131], 0
	s_wait_loadcnt 0x5
	s_delay_alu instid0(VALU_DEP_1)
	v_fmac_f64_e32 v[138:139], v[0:1], v[132:133]
	ds_load_2addr_b64 v[130:133], v108 offset0:55 offset1:56
	s_wait_dscnt 0x0
	v_fmac_f64_e32 v[138:139], v[2:3], v[130:131]
	scratch_load_b128 v[0:3], off, off offset:112
	s_wait_loadcnt 0x5
	v_fmac_f64_e32 v[138:139], v[114:115], v[132:133]
	ds_load_2addr_b64 v[112:115], v108 offset0:57 offset1:58
	scratch_load_b128 v[130:133], off, off offset:128
	s_wait_dscnt 0x0
	v_fmac_f64_e32 v[138:139], v[116:117], v[112:113]
	s_wait_loadcnt 0x5
	s_delay_alu instid0(VALU_DEP_1)
	v_fmac_f64_e32 v[138:139], v[118:119], v[114:115]
	ds_load_2addr_b64 v[112:115], v108 offset0:59 offset1:60
	scratch_load_b128 v[116:119], off, off offset:144
	s_wait_dscnt 0x0
	v_fmac_f64_e32 v[138:139], v[120:121], v[112:113]
	s_wait_loadcnt 0x5
	s_delay_alu instid0(VALU_DEP_1)
	;; [unrolled: 7-line block ×4, first 2 shown]
	v_fmac_f64_e32 v[138:139], v[134:135], v[114:115]
	ds_load_2addr_b64 v[112:115], v108 offset0:65 offset1:66
	s_wait_dscnt 0x0
	v_fmac_f64_e32 v[138:139], v[136:137], v[112:113]
	scratch_load_b128 v[134:137], off, off offset:192
	s_wait_loadcnt 0x5
	v_fmac_f64_e32 v[138:139], v[0:1], v[114:115]
	ds_load_2addr_b64 v[112:115], v108 offset0:67 offset1:68
	s_wait_dscnt 0x0
	v_fmac_f64_e32 v[138:139], v[2:3], v[112:113]
	scratch_load_b128 v[0:3], off, off offset:208
	s_wait_loadcnt 0x5
	v_fmac_f64_e32 v[138:139], v[130:131], v[114:115]
	ds_load_2addr_b64 v[112:115], v108 offset0:69 offset1:70
	scratch_load_b128 v[128:131], off, off offset:224
	s_wait_dscnt 0x0
	v_fmac_f64_e32 v[138:139], v[132:133], v[112:113]
	s_wait_loadcnt 0x5
	s_delay_alu instid0(VALU_DEP_1)
	v_fmac_f64_e32 v[138:139], v[116:117], v[114:115]
	ds_load_2addr_b64 v[112:115], v108 offset0:71 offset1:72
	s_wait_dscnt 0x0
	v_fmac_f64_e32 v[138:139], v[118:119], v[112:113]
	scratch_load_b128 v[116:119], off, off offset:240
	s_wait_loadcnt 0x5
	v_fmac_f64_e32 v[138:139], v[120:121], v[114:115]
	ds_load_2addr_b64 v[112:115], v108 offset0:73 offset1:74
	s_wait_dscnt 0x0
	v_fmac_f64_e32 v[138:139], v[122:123], v[112:113]
	scratch_load_b128 v[120:123], off, off offset:256
	s_wait_loadcnt 0x5
	;; [unrolled: 6-line block ×3, first 2 shown]
	v_fmac_f64_e32 v[138:139], v[134:135], v[114:115]
	ds_load_2addr_b64 v[112:115], v108 offset0:77 offset1:78
	scratch_load_b128 v[132:135], off, off offset:288
	s_wait_dscnt 0x0
	v_fmac_f64_e32 v[138:139], v[136:137], v[112:113]
	s_wait_loadcnt 0x5
	s_delay_alu instid0(VALU_DEP_1)
	v_fmac_f64_e32 v[138:139], v[0:1], v[114:115]
	ds_load_2addr_b64 v[112:115], v108 offset0:79 offset1:80
	s_wait_dscnt 0x0
	v_fmac_f64_e32 v[138:139], v[2:3], v[112:113]
	scratch_load_b128 v[0:3], off, off offset:304
	s_wait_loadcnt 0x5
	v_fmac_f64_e32 v[138:139], v[128:129], v[114:115]
	ds_load_2addr_b64 v[112:115], v108 offset0:81 offset1:82
	s_wait_dscnt 0x0
	v_fmac_f64_e32 v[138:139], v[130:131], v[112:113]
	scratch_load_b128 v[128:131], off, off offset:320
	s_wait_loadcnt 0x5
	;; [unrolled: 6-line block ×7, first 2 shown]
	v_fmac_f64_e32 v[138:139], v[128:129], v[114:115]
	ds_load_2addr_b64 v[112:115], v108 offset0:93 offset1:94
	s_wait_dscnt 0x0
	v_fmac_f64_e32 v[138:139], v[130:131], v[112:113]
	s_wait_loadcnt 0x4
	s_delay_alu instid0(VALU_DEP_1) | instskip(SKIP_4) | instid1(VALU_DEP_1)
	v_fmac_f64_e32 v[138:139], v[116:117], v[114:115]
	ds_load_2addr_b64 v[112:115], v108 offset0:95 offset1:96
	s_wait_dscnt 0x0
	v_fmac_f64_e32 v[138:139], v[118:119], v[112:113]
	s_wait_loadcnt 0x3
	v_fmac_f64_e32 v[138:139], v[120:121], v[114:115]
	ds_load_2addr_b64 v[112:115], v108 offset0:97 offset1:98
	s_wait_dscnt 0x0
	v_fmac_f64_e32 v[138:139], v[122:123], v[112:113]
	s_wait_loadcnt 0x2
	s_delay_alu instid0(VALU_DEP_1) | instskip(SKIP_4) | instid1(VALU_DEP_1)
	v_fmac_f64_e32 v[138:139], v[124:125], v[114:115]
	ds_load_2addr_b64 v[112:115], v108 offset0:99 offset1:100
	s_wait_dscnt 0x0
	v_fmac_f64_e32 v[138:139], v[126:127], v[112:113]
	s_wait_loadcnt 0x1
	v_fmac_f64_e32 v[138:139], v[132:133], v[114:115]
	ds_load_2addr_b64 v[112:115], v108 offset0:101 offset1:102
	s_wait_dscnt 0x0
	v_fmac_f64_e32 v[138:139], v[134:135], v[112:113]
	ds_load_b64 v[112:113], v108 offset:824
	s_wait_loadcnt 0x0
	v_fmac_f64_e32 v[138:139], v[0:1], v[114:115]
	s_wait_dscnt 0x0
	s_delay_alu instid0(VALU_DEP_1) | instskip(NEXT) | instid1(VALU_DEP_1)
	v_fmac_f64_e32 v[138:139], v[2:3], v[112:113]
	v_add_f64_e64 v[134:135], v[110:111], -v[138:139]
	scratch_store_b64 off, v[134:135], off
	s_cbranch_vccz .LBB51_424
; %bb.322:
	global_load_b32 v2, v108, s[16:17] offset:200
	s_wait_loadcnt 0x0
	v_cmp_ne_u32_e32 vcc_lo, 51, v2
	s_cbranch_vccz .LBB51_324
; %bb.323:
	v_lshlrev_b32_e32 v2, 3, v2
	s_wait_xcnt 0x0
	s_delay_alu instid0(VALU_DEP_1)
	v_mov_b32_e32 v108, v2
	scratch_load_b64 v[2:3], v108, off offset:-8
	s_wait_loadcnt 0x0
	scratch_store_b64 off, v[2:3], off offset:400
	scratch_store_b64 v108, v[0:1], off offset:-8
.LBB51_324:
	s_wait_xcnt 0x0
	v_mov_b32_e32 v0, 0
	global_load_b32 v1, v0, s[16:17] offset:196
	s_wait_loadcnt 0x0
	v_cmp_eq_u32_e32 vcc_lo, 50, v1
	s_cbranch_vccnz .LBB51_326
; %bb.325:
	v_lshlrev_b32_e32 v1, 3, v1
	scratch_load_b64 v[2:3], v1, off offset:-8
	scratch_load_b64 v[108:109], off, off offset:392
	s_wait_loadcnt 0x1
	scratch_store_b64 off, v[2:3], off offset:392
	s_wait_loadcnt 0x0
	scratch_store_b64 v1, v[108:109], off offset:-8
.LBB51_326:
	global_load_b32 v0, v0, s[16:17] offset:192
	s_wait_loadcnt 0x0
	v_cmp_eq_u32_e32 vcc_lo, 49, v0
	s_cbranch_vccnz .LBB51_328
; %bb.327:
	s_wait_xcnt 0x0
	v_lshlrev_b32_e32 v0, 3, v0
	s_delay_alu instid0(VALU_DEP_1)
	v_mov_b32_e32 v108, v0
	scratch_load_b64 v[0:1], v108, off offset:-8
	scratch_load_b64 v[2:3], off, off offset:384
	s_wait_loadcnt 0x1
	scratch_store_b64 off, v[0:1], off offset:384
	s_wait_loadcnt 0x0
	scratch_store_b64 v108, v[2:3], off offset:-8
.LBB51_328:
	s_wait_xcnt 0x0
	v_mov_b32_e32 v0, 0
	global_load_b32 v1, v0, s[16:17] offset:188
	s_wait_loadcnt 0x0
	v_cmp_eq_u32_e32 vcc_lo, 48, v1
	s_cbranch_vccnz .LBB51_330
; %bb.329:
	v_lshlrev_b32_e32 v1, 3, v1
	scratch_load_b64 v[2:3], v1, off offset:-8
	scratch_load_b64 v[108:109], off, off offset:376
	s_wait_loadcnt 0x1
	scratch_store_b64 off, v[2:3], off offset:376
	s_wait_loadcnt 0x0
	scratch_store_b64 v1, v[108:109], off offset:-8
.LBB51_330:
	global_load_b32 v0, v0, s[16:17] offset:184
	s_wait_loadcnt 0x0
	v_cmp_eq_u32_e32 vcc_lo, 47, v0
	s_cbranch_vccnz .LBB51_332
; %bb.331:
	s_wait_xcnt 0x0
	v_lshlrev_b32_e32 v0, 3, v0
	s_delay_alu instid0(VALU_DEP_1)
	v_mov_b32_e32 v108, v0
	scratch_load_b64 v[0:1], v108, off offset:-8
	scratch_load_b64 v[2:3], off, off offset:368
	s_wait_loadcnt 0x1
	scratch_store_b64 off, v[0:1], off offset:368
	s_wait_loadcnt 0x0
	scratch_store_b64 v108, v[2:3], off offset:-8
.LBB51_332:
	;; [unrolled: 31-line block ×24, first 2 shown]
	s_wait_xcnt 0x0
	v_mov_b32_e32 v0, 0
	global_load_b32 v1, v0, s[16:17] offset:4
	s_wait_loadcnt 0x0
	v_cmp_eq_u32_e32 vcc_lo, 2, v1
	s_cbranch_vccnz .LBB51_422
; %bb.421:
	v_lshlrev_b32_e32 v1, 3, v1
	scratch_load_b64 v[2:3], v1, off offset:-8
	scratch_load_b64 v[108:109], off, off offset:8
	s_wait_loadcnt 0x1
	scratch_store_b64 off, v[2:3], off offset:8
	s_wait_loadcnt 0x0
	scratch_store_b64 v1, v[108:109], off offset:-8
.LBB51_422:
	global_load_b32 v0, v0, s[16:17]
	scratch_load_b64 v[134:135], off, off
	s_wait_loadcnt 0x1
	v_cmp_eq_u32_e32 vcc_lo, 1, v0
	s_cbranch_vccnz .LBB51_424
; %bb.423:
	s_wait_xcnt 0x1
	v_lshlrev_b32_e32 v0, 3, v0
	s_delay_alu instid0(VALU_DEP_1)
	v_mov_b32_e32 v2, v0
	scratch_load_b64 v[0:1], v2, off offset:-8
	s_wait_loadcnt 0x0
	scratch_store_b64 off, v[0:1], off
	scratch_store_b64 v2, v[134:135], off offset:-8
	scratch_load_b64 v[134:135], off, off
.LBB51_424:
	v_lshl_add_u64 v[138:139], v[8:9], 3, s[2:3]
	v_lshl_add_u64 v[136:137], v[10:11], 3, s[2:3]
	;; [unrolled: 1-line block ×47, first 2 shown]
	s_clause 0x7
	scratch_load_b128 v[74:77], off, off offset:8
	scratch_load_b128 v[78:81], off, off offset:24
	;; [unrolled: 1-line block ×8, first 2 shown]
	s_wait_loadcnt 0x8
	global_store_b64 v[4:5], v[134:135], off
	s_wait_xcnt 0xa
	v_lshl_add_u64 v[0:1], v[38:39], 3, s[2:3]
	v_lshl_add_u64 v[38:39], v[72:73], 3, s[2:3]
	;; [unrolled: 1-line block ×3, first 2 shown]
	scratch_load_b128 v[140:143], off, off offset:136
	s_wait_loadcnt 0x8
	s_clause 0x1
	global_store_b64 v[6:7], v[74:75], off
	global_store_b64 v[138:139], v[76:77], off
	s_wait_loadcnt 0x7
	s_clause 0x1
	global_store_b64 v[136:137], v[78:79], off
	global_store_b64 v[132:133], v[80:81], off
	;; [unrolled: 4-line block ×8, first 2 shown]
	s_clause 0x10
	scratch_load_b128 v[4:7], off, off offset:152
	scratch_load_b128 v[74:77], off, off offset:168
	;; [unrolled: 1-line block ×16, first 2 shown]
	scratch_load_b64 v[106:107], off, off offset:408
	s_wait_loadcnt 0x11
	s_clause 0x1
	global_store_b64 v[0:1], v[140:141], off
	global_store_b64 v[2:3], v[142:143], off
	s_wait_loadcnt 0x10
	s_clause 0x1
	global_store_b64 v[8:9], v[4:5], off
	global_store_b64 v[10:11], v[6:7], off
	;; [unrolled: 4-line block ×17, first 2 shown]
	s_wait_loadcnt 0x0
	global_store_b64 v[72:73], v[106:107], off
	s_sendmsg sendmsg(MSG_DEALLOC_VGPRS)
	s_endpgm
	.section	.rodata,"a",@progbits
	.p2align	6, 0x0
	.amdhsa_kernel _ZN9rocsolver6v33100L18getri_kernel_smallILi52EdPdEEvT1_iilPiilS4_bb
		.amdhsa_group_segment_fixed_size 840
		.amdhsa_private_segment_fixed_size 432
		.amdhsa_kernarg_size 60
		.amdhsa_user_sgpr_count 2
		.amdhsa_user_sgpr_dispatch_ptr 0
		.amdhsa_user_sgpr_queue_ptr 0
		.amdhsa_user_sgpr_kernarg_segment_ptr 1
		.amdhsa_user_sgpr_dispatch_id 0
		.amdhsa_user_sgpr_kernarg_preload_length 0
		.amdhsa_user_sgpr_kernarg_preload_offset 0
		.amdhsa_user_sgpr_private_segment_size 0
		.amdhsa_wavefront_size32 1
		.amdhsa_uses_dynamic_stack 0
		.amdhsa_enable_private_segment 1
		.amdhsa_system_sgpr_workgroup_id_x 1
		.amdhsa_system_sgpr_workgroup_id_y 0
		.amdhsa_system_sgpr_workgroup_id_z 0
		.amdhsa_system_sgpr_workgroup_info 0
		.amdhsa_system_vgpr_workitem_id 0
		.amdhsa_next_free_vgpr 146
		.amdhsa_next_free_sgpr 21
		.amdhsa_named_barrier_count 0
		.amdhsa_reserve_vcc 1
		.amdhsa_float_round_mode_32 0
		.amdhsa_float_round_mode_16_64 0
		.amdhsa_float_denorm_mode_32 3
		.amdhsa_float_denorm_mode_16_64 3
		.amdhsa_fp16_overflow 0
		.amdhsa_memory_ordered 1
		.amdhsa_forward_progress 1
		.amdhsa_inst_pref_size 255
		.amdhsa_round_robin_scheduling 0
		.amdhsa_exception_fp_ieee_invalid_op 0
		.amdhsa_exception_fp_denorm_src 0
		.amdhsa_exception_fp_ieee_div_zero 0
		.amdhsa_exception_fp_ieee_overflow 0
		.amdhsa_exception_fp_ieee_underflow 0
		.amdhsa_exception_fp_ieee_inexact 0
		.amdhsa_exception_int_div_zero 0
	.end_amdhsa_kernel
	.section	.text._ZN9rocsolver6v33100L18getri_kernel_smallILi52EdPdEEvT1_iilPiilS4_bb,"axG",@progbits,_ZN9rocsolver6v33100L18getri_kernel_smallILi52EdPdEEvT1_iilPiilS4_bb,comdat
.Lfunc_end51:
	.size	_ZN9rocsolver6v33100L18getri_kernel_smallILi52EdPdEEvT1_iilPiilS4_bb, .Lfunc_end51-_ZN9rocsolver6v33100L18getri_kernel_smallILi52EdPdEEvT1_iilPiilS4_bb
                                        ; -- End function
	.set _ZN9rocsolver6v33100L18getri_kernel_smallILi52EdPdEEvT1_iilPiilS4_bb.num_vgpr, 146
	.set _ZN9rocsolver6v33100L18getri_kernel_smallILi52EdPdEEvT1_iilPiilS4_bb.num_agpr, 0
	.set _ZN9rocsolver6v33100L18getri_kernel_smallILi52EdPdEEvT1_iilPiilS4_bb.numbered_sgpr, 21
	.set _ZN9rocsolver6v33100L18getri_kernel_smallILi52EdPdEEvT1_iilPiilS4_bb.num_named_barrier, 0
	.set _ZN9rocsolver6v33100L18getri_kernel_smallILi52EdPdEEvT1_iilPiilS4_bb.private_seg_size, 432
	.set _ZN9rocsolver6v33100L18getri_kernel_smallILi52EdPdEEvT1_iilPiilS4_bb.uses_vcc, 1
	.set _ZN9rocsolver6v33100L18getri_kernel_smallILi52EdPdEEvT1_iilPiilS4_bb.uses_flat_scratch, 1
	.set _ZN9rocsolver6v33100L18getri_kernel_smallILi52EdPdEEvT1_iilPiilS4_bb.has_dyn_sized_stack, 0
	.set _ZN9rocsolver6v33100L18getri_kernel_smallILi52EdPdEEvT1_iilPiilS4_bb.has_recursion, 0
	.set _ZN9rocsolver6v33100L18getri_kernel_smallILi52EdPdEEvT1_iilPiilS4_bb.has_indirect_call, 0
	.section	.AMDGPU.csdata,"",@progbits
; Kernel info:
; codeLenInByte = 50504
; TotalNumSgprs: 23
; NumVgprs: 146
; ScratchSize: 432
; MemoryBound: 0
; FloatMode: 240
; IeeeMode: 1
; LDSByteSize: 840 bytes/workgroup (compile time only)
; SGPRBlocks: 0
; VGPRBlocks: 9
; NumSGPRsForWavesPerEU: 23
; NumVGPRsForWavesPerEU: 146
; NamedBarCnt: 0
; Occupancy: 6
; WaveLimiterHint : 1
; COMPUTE_PGM_RSRC2:SCRATCH_EN: 1
; COMPUTE_PGM_RSRC2:USER_SGPR: 2
; COMPUTE_PGM_RSRC2:TRAP_HANDLER: 0
; COMPUTE_PGM_RSRC2:TGID_X_EN: 1
; COMPUTE_PGM_RSRC2:TGID_Y_EN: 0
; COMPUTE_PGM_RSRC2:TGID_Z_EN: 0
; COMPUTE_PGM_RSRC2:TIDIG_COMP_CNT: 0
	.section	.text._ZN9rocsolver6v33100L18getri_kernel_smallILi53EdPdEEvT1_iilPiilS4_bb,"axG",@progbits,_ZN9rocsolver6v33100L18getri_kernel_smallILi53EdPdEEvT1_iilPiilS4_bb,comdat
	.globl	_ZN9rocsolver6v33100L18getri_kernel_smallILi53EdPdEEvT1_iilPiilS4_bb ; -- Begin function _ZN9rocsolver6v33100L18getri_kernel_smallILi53EdPdEEvT1_iilPiilS4_bb
	.p2align	8
	.type	_ZN9rocsolver6v33100L18getri_kernel_smallILi53EdPdEEvT1_iilPiilS4_bb,@function
_ZN9rocsolver6v33100L18getri_kernel_smallILi53EdPdEEvT1_iilPiilS4_bb: ; @_ZN9rocsolver6v33100L18getri_kernel_smallILi53EdPdEEvT1_iilPiilS4_bb
; %bb.0:
	s_mov_b32 s2, exec_lo
	v_cmpx_gt_u32_e32 53, v0
	s_cbranch_execz .LBB52_222
; %bb.1:
	s_clause 0x2
	s_load_b32 s2, s[0:1], 0x38
	s_load_b128 s[12:15], s[0:1], 0x10
	s_load_b128 s[4:7], s[0:1], 0x28
	s_getreg_b32 s9, hwreg(HW_REG_IB_STS2, 6, 4)
                                        ; implicit-def: $sgpr16_sgpr17
	s_wait_kmcnt 0x0
	s_bitcmp1_b32 s2, 8
	s_cselect_b32 s20, -1, 0
	s_bfe_u32 s3, ttmp6, 0x4000c
	s_and_b32 s8, ttmp6, 15
	s_add_co_i32 s3, s3, 1
	s_delay_alu instid0(SALU_CYCLE_1) | instskip(NEXT) | instid1(SALU_CYCLE_1)
	s_mul_i32 s3, ttmp9, s3
	s_add_co_i32 s8, s8, s3
	s_cmp_eq_u32 s9, 0
	s_cselect_b32 s18, ttmp9, s8
	s_bfe_u32 s2, s2, 0x10008
	s_ashr_i32 s19, s18, 31
	s_cmp_eq_u32 s2, 0
	s_cbranch_scc1 .LBB52_3
; %bb.2:
	s_load_b32 s2, s[0:1], 0x20
	s_mul_u64 s[4:5], s[4:5], s[18:19]
	s_delay_alu instid0(SALU_CYCLE_1) | instskip(NEXT) | instid1(SALU_CYCLE_1)
	s_lshl_b64 s[4:5], s[4:5], 2
	s_add_nc_u64 s[4:5], s[14:15], s[4:5]
	s_wait_kmcnt 0x0
	s_ashr_i32 s3, s2, 31
	s_delay_alu instid0(SALU_CYCLE_1) | instskip(NEXT) | instid1(SALU_CYCLE_1)
	s_lshl_b64 s[2:3], s[2:3], 2
	s_add_nc_u64 s[16:17], s[4:5], s[2:3]
.LBB52_3:
	s_clause 0x1
	s_load_b128 s[8:11], s[0:1], 0x0
	s_load_b32 s4, s[0:1], 0x38
	s_wait_xcnt 0x0
	s_mul_u64 s[0:1], s[12:13], s[18:19]
	v_dual_mov_b32 v3, 0 :: v_dual_lshlrev_b32 v2, 3, v0
	s_lshl_b64 s[0:1], s[0:1], 3
	s_wait_kmcnt 0x0
	v_add3_u32 v8, s11, s11, v0
	s_ashr_i32 s3, s10, 31
	s_mov_b32 s2, s10
	s_add_nc_u64 s[0:1], s[8:9], s[0:1]
	s_lshl_b64 s[2:3], s[2:3], 3
	v_add_nc_u32_e32 v10, s11, v8
	s_add_nc_u64 s[2:3], s[0:1], s[2:3]
	s_ashr_i32 s1, s11, 31
	v_add_nc_u64_e32 v[4:5], s[2:3], v[2:3]
	s_mov_b32 s0, s11
	v_add_nc_u32_e32 v12, s11, v10
	s_bitcmp0_b32 s4, 0
	s_delay_alu instid0(VALU_DEP_2) | instskip(NEXT) | instid1(VALU_DEP_2)
	v_lshl_add_u64 v[6:7], s[0:1], 3, v[4:5]
	v_add_nc_u32_e32 v14, s11, v12
	s_mov_b32 s1, -1
	s_delay_alu instid0(VALU_DEP_1)
	v_add_nc_u32_e32 v16, s11, v14
	s_clause 0x3
	global_load_b64 v[78:79], v0, s[2:3] scale_offset
	global_load_b64 v[80:81], v[6:7], off
	global_load_b64 v[82:83], v8, s[2:3] scale_offset
	global_load_b64 v[84:85], v10, s[2:3] scale_offset
	v_add_nc_u32_e32 v18, s11, v16
	s_delay_alu instid0(VALU_DEP_1)
	v_add_nc_u32_e32 v20, s11, v18
	s_clause 0x3
	global_load_b64 v[86:87], v12, s[2:3] scale_offset
	global_load_b64 v[88:89], v14, s[2:3] scale_offset
	global_load_b64 v[90:91], v16, s[2:3] scale_offset
	global_load_b64 v[92:93], v18, s[2:3] scale_offset
	v_add_nc_u32_e32 v22, s11, v20
	s_delay_alu instid0(VALU_DEP_1) | instskip(NEXT) | instid1(VALU_DEP_1)
	v_add_nc_u32_e32 v24, s11, v22
	v_add_nc_u32_e32 v26, s11, v24
	s_delay_alu instid0(VALU_DEP_1) | instskip(SKIP_4) | instid1(VALU_DEP_1)
	v_add_nc_u32_e32 v28, s11, v26
	s_clause 0x1
	global_load_b64 v[94:95], v20, s[2:3] scale_offset
	global_load_b64 v[96:97], v22, s[2:3] scale_offset
	v_add_nc_u32_e32 v30, s11, v28
	v_add_nc_u32_e32 v32, s11, v30
	s_clause 0x3
	global_load_b64 v[98:99], v24, s[2:3] scale_offset
	global_load_b64 v[100:101], v26, s[2:3] scale_offset
	global_load_b64 v[102:103], v28, s[2:3] scale_offset
	global_load_b64 v[104:105], v30, s[2:3] scale_offset
	v_add_nc_u32_e32 v34, s11, v32
	s_delay_alu instid0(VALU_DEP_1) | instskip(NEXT) | instid1(VALU_DEP_1)
	v_add_nc_u32_e32 v36, s11, v34
	v_add_nc_u32_e32 v38, s11, v36
	s_delay_alu instid0(VALU_DEP_1) | instskip(SKIP_4) | instid1(VALU_DEP_1)
	v_add_nc_u32_e32 v40, s11, v38
	s_clause 0x1
	global_load_b64 v[106:107], v32, s[2:3] scale_offset
	global_load_b64 v[108:109], v34, s[2:3] scale_offset
	v_add_nc_u32_e32 v42, s11, v40
	;; [unrolled: 16-line block ×3, first 2 shown]
	v_add_nc_u32_e32 v56, s11, v54
	s_clause 0x3
	global_load_b64 v[122:123], v48, s[2:3] scale_offset
	global_load_b64 v[124:125], v50, s[2:3] scale_offset
	;; [unrolled: 1-line block ×4, first 2 shown]
	v_add_nc_u32_e32 v58, s11, v56
	s_delay_alu instid0(VALU_DEP_1) | instskip(NEXT) | instid1(VALU_DEP_1)
	v_add_nc_u32_e32 v60, s11, v58
	v_add_nc_u32_e32 v62, s11, v60
	s_delay_alu instid0(VALU_DEP_1) | instskip(NEXT) | instid1(VALU_DEP_1)
	v_add_nc_u32_e32 v64, s11, v62
	v_add_nc_u32_e32 v66, s11, v64
	s_delay_alu instid0(VALU_DEP_1)
	v_add_nc_u32_e32 v68, s11, v66
	s_clause 0x3
	global_load_b64 v[130:131], v56, s[2:3] scale_offset
	global_load_b64 v[132:133], v58, s[2:3] scale_offset
	;; [unrolled: 1-line block ×4, first 2 shown]
	s_wait_loadcnt 0x1c
	scratch_store_b128 off, v[78:81], off
	s_wait_loadcnt 0x1a
	scratch_store_b128 off, v[82:85], off offset:16
	v_add_nc_u32_e32 v70, s11, v68
	s_delay_alu instid0(VALU_DEP_1) | instskip(NEXT) | instid1(VALU_DEP_1)
	v_add_nc_u32_e32 v72, s11, v70
	v_add_nc_u32_e32 v74, s11, v72
	s_delay_alu instid0(VALU_DEP_1)
	v_add_nc_u32_e32 v76, s11, v74
	s_clause 0x3
	global_load_b64 v[138:139], v64, s[2:3] scale_offset
	global_load_b64 v[140:141], v66, s[2:3] scale_offset
	;; [unrolled: 1-line block ×4, first 2 shown]
	s_wait_loadcnt 0x1c
	scratch_store_b128 off, v[86:89], off offset:32
	s_wait_loadcnt 0x1a
	scratch_store_b128 off, v[90:93], off offset:48
	s_wait_xcnt 0x7
	v_add_nc_u32_e32 v78, s11, v76
	s_delay_alu instid0(VALU_DEP_1)
	v_add_nc_u32_e32 v80, s11, v78
	s_clause 0x3
	global_load_b64 v[146:147], v72, s[2:3] scale_offset
	global_load_b64 v[148:149], v74, s[2:3] scale_offset
	;; [unrolled: 1-line block ×4, first 2 shown]
	s_wait_loadcnt 0x1c
	scratch_store_b128 off, v[94:97], off offset:64
	s_wait_xcnt 0xb
	v_add_nc_u32_e32 v82, s11, v80
	s_delay_alu instid0(VALU_DEP_1)
	v_add_nc_u32_e32 v84, s11, v82
	s_wait_loadcnt 0x1a
	scratch_store_b128 off, v[98:101], off offset:80
	s_wait_xcnt 0x7
	v_add_nc_u32_e32 v86, s11, v84
	s_wait_loadcnt 0x18
	scratch_store_b128 off, v[102:105], off offset:96
	v_add_nc_u32_e32 v88, s11, v86
	s_wait_xcnt 0x7
	s_delay_alu instid0(VALU_DEP_1) | instskip(NEXT) | instid1(VALU_DEP_1)
	v_add_nc_u32_e32 v90, s11, v88
	v_add_nc_u32_e32 v92, s11, v90
	s_wait_loadcnt 0x16
	scratch_store_b128 off, v[106:109], off offset:112
	s_wait_xcnt 0x3
	v_add_nc_u32_e32 v94, s11, v92
	s_delay_alu instid0(VALU_DEP_1)
	v_add_nc_u32_e32 v96, s11, v94
	s_wait_loadcnt 0x14
	scratch_store_b128 off, v[110:113], off offset:128
	s_wait_loadcnt 0x12
	scratch_store_b128 off, v[114:117], off offset:144
	s_wait_xcnt 0x4
	v_add_nc_u32_e32 v98, s11, v96
	s_wait_loadcnt 0x10
	scratch_store_b128 off, v[118:121], off offset:160
	s_wait_loadcnt 0xe
	scratch_store_b128 off, v[122:125], off offset:176
	v_add_nc_u32_e32 v100, s11, v98
	s_clause 0x3
	global_load_b64 v[110:111], v80, s[2:3] scale_offset
	global_load_b64 v[112:113], v82, s[2:3] scale_offset
	;; [unrolled: 1-line block ×4, first 2 shown]
	s_wait_loadcnt 0x10
	scratch_store_b128 off, v[126:129], off offset:192
	s_wait_loadcnt 0xe
	scratch_store_b128 off, v[130:133], off offset:208
	;; [unrolled: 2-line block ×3, first 2 shown]
	v_add_nc_u32_e32 v102, s11, v100
	s_clause 0x3
	global_load_b64 v[118:119], v88, s[2:3] scale_offset
	global_load_b64 v[120:121], v90, s[2:3] scale_offset
	;; [unrolled: 1-line block ×4, first 2 shown]
	s_wait_loadcnt 0xe
	scratch_store_b128 off, v[138:141], off offset:240
	s_wait_loadcnt 0xc
	scratch_store_b128 off, v[142:145], off offset:256
	v_add_nc_u32_e32 v104, s11, v102
	s_clause 0x3
	global_load_b64 v[126:127], v96, s[2:3] scale_offset
	global_load_b64 v[128:129], v98, s[2:3] scale_offset
	;; [unrolled: 1-line block ×4, first 2 shown]
	v_add_nc_u32_e32 v106, s11, v104
	s_wait_loadcnt 0xe
	scratch_store_b128 off, v[146:149], off offset:272
	s_wait_loadcnt 0xc
	scratch_store_b128 off, v[150:153], off offset:288
	v_add_nc_u32_e32 v108, s11, v106
	s_clause 0x2
	global_load_b64 v[134:135], v104, s[2:3] scale_offset
	global_load_b64 v[136:137], v106, s[2:3] scale_offset
	;; [unrolled: 1-line block ×3, first 2 shown]
	s_wait_loadcnt 0xd
	scratch_store_b128 off, v[110:113], off offset:304
	s_wait_loadcnt 0xb
	scratch_store_b128 off, v[114:117], off offset:320
	;; [unrolled: 2-line block ×7, first 2 shown]
	s_wait_loadcnt 0x0
	scratch_store_b64 off, v[138:139], off offset:416
	s_cbranch_scc1 .LBB52_220
; %bb.4:
	v_cmp_eq_u32_e64 s0, 0, v0
	s_wait_xcnt 0x0
	s_and_saveexec_b32 s1, s0
; %bb.5:
	v_mov_b32_e32 v1, 0
	ds_store_b32 v1, v1 offset:424
; %bb.6:
	s_or_b32 exec_lo, exec_lo, s1
	s_wait_storecnt_dscnt 0x0
	s_barrier_signal -1
	s_barrier_wait -1
	scratch_load_b64 v[110:111], v0, off scale_offset
	s_mov_b32 s4, exec_lo
	s_wait_loadcnt 0x0
	v_cmpx_eq_f64_e32 0, v[110:111]
	s_cbranch_execz .LBB52_10
; %bb.7:
	v_mov_b32_e32 v1, 0
	s_mov_b32 s5, 0
	ds_load_b32 v3, v1 offset:424
	s_wait_dscnt 0x0
	v_readfirstlane_b32 s1, v3
	v_add_nc_u32_e32 v3, 1, v0
	s_cmp_eq_u32 s1, 0
	s_delay_alu instid0(VALU_DEP_1) | instskip(SKIP_1) | instid1(SALU_CYCLE_1)
	v_cmp_gt_i32_e32 vcc_lo, s1, v3
	s_cselect_b32 s8, -1, 0
	s_or_b32 s8, s8, vcc_lo
	s_delay_alu instid0(SALU_CYCLE_1)
	s_and_b32 exec_lo, exec_lo, s8
	s_cbranch_execz .LBB52_10
; %bb.8:
	v_mov_b32_e32 v9, s1
.LBB52_9:                               ; =>This Inner Loop Header: Depth=1
	ds_cmpstore_rtn_b32 v9, v1, v3, v9 offset:424
	s_wait_dscnt 0x0
	v_cmp_ne_u32_e32 vcc_lo, 0, v9
	v_cmp_le_i32_e64 s1, v9, v3
	s_and_b32 s1, vcc_lo, s1
	s_delay_alu instid0(SALU_CYCLE_1) | instskip(NEXT) | instid1(SALU_CYCLE_1)
	s_and_b32 s1, exec_lo, s1
	s_or_b32 s5, s1, s5
	s_delay_alu instid0(SALU_CYCLE_1)
	s_and_not1_b32 exec_lo, exec_lo, s5
	s_cbranch_execnz .LBB52_9
.LBB52_10:
	s_or_b32 exec_lo, exec_lo, s4
	v_mov_b32_e32 v1, 0
	s_barrier_signal -1
	s_barrier_wait -1
	ds_load_b32 v3, v1 offset:424
	s_and_saveexec_b32 s1, s0
	s_cbranch_execz .LBB52_12
; %bb.11:
	s_lshl_b64 s[4:5], s[18:19], 2
	s_delay_alu instid0(SALU_CYCLE_1)
	s_add_nc_u64 s[4:5], s[6:7], s[4:5]
	s_wait_dscnt 0x0
	global_store_b32 v1, v3, s[4:5]
.LBB52_12:
	s_wait_xcnt 0x0
	s_or_b32 exec_lo, exec_lo, s1
	s_wait_dscnt 0x0
	v_cmp_ne_u32_e32 vcc_lo, 0, v3
	s_mov_b32 s1, 0
	s_cbranch_vccnz .LBB52_220
; %bb.13:
	v_lshl_add_u32 v3, v0, 3, 0
	v_add_nc_u32_e32 v1, 0x1b0, v2
	scratch_load_b64 v[110:111], v3, off
	s_wait_loadcnt 0x0
	v_div_scale_f64 v[112:113], null, v[110:111], v[110:111], 1.0
	v_div_scale_f64 v[118:119], vcc_lo, 1.0, v[110:111], 1.0
	s_delay_alu instid0(VALU_DEP_2) | instskip(SKIP_1) | instid1(TRANS32_DEP_1)
	v_rcp_f64_e32 v[114:115], v[112:113]
	v_nop
	v_fma_f64 v[116:117], -v[112:113], v[114:115], 1.0
	s_delay_alu instid0(VALU_DEP_1) | instskip(NEXT) | instid1(VALU_DEP_1)
	v_fmac_f64_e32 v[114:115], v[114:115], v[116:117]
	v_fma_f64 v[116:117], -v[112:113], v[114:115], 1.0
	s_delay_alu instid0(VALU_DEP_1) | instskip(NEXT) | instid1(VALU_DEP_1)
	v_fmac_f64_e32 v[114:115], v[114:115], v[116:117]
	v_mul_f64_e32 v[116:117], v[118:119], v[114:115]
	s_delay_alu instid0(VALU_DEP_1) | instskip(NEXT) | instid1(VALU_DEP_1)
	v_fma_f64 v[112:113], -v[112:113], v[116:117], v[118:119]
	v_div_fmas_f64 v[112:113], v[112:113], v[114:115], v[116:117]
	s_delay_alu instid0(VALU_DEP_1)
	v_div_fixup_f64 v[110:111], v[112:113], v[110:111], 1.0
	scratch_store_b64 v3, v[110:111], off
	scratch_load_b64 v[112:113], off, off offset:8
	s_wait_xcnt 0x1
	v_xor_b32_e32 v111, 0x80000000, v111
	s_wait_loadcnt 0x0
	ds_store_2addr_b64 v2, v[110:111], v[112:113] offset1:54
	s_wait_storecnt_dscnt 0x0
	s_barrier_signal -1
	s_barrier_wait -1
	s_wait_xcnt 0x0
	s_and_saveexec_b32 s1, s0
	s_cbranch_execz .LBB52_15
; %bb.14:
	scratch_load_b64 v[110:111], v3, off
	ds_load_b64 v[112:113], v1
	s_wait_loadcnt_dscnt 0x0
	v_fma_f64 v[110:111], v[110:111], v[112:113], 0
	v_mov_b32_e32 v9, 0
	ds_load_b64 v[114:115], v9 offset:8
	s_wait_dscnt 0x0
	v_mul_f64_e32 v[110:111], v[110:111], v[114:115]
	scratch_store_b64 off, v[110:111], off offset:8
.LBB52_15:
	s_wait_xcnt 0x0
	s_or_b32 exec_lo, exec_lo, s1
	s_wait_storecnt 0x0
	s_barrier_signal -1
	s_barrier_wait -1
	scratch_load_b64 v[110:111], off, off offset:16
	s_mov_b32 s1, exec_lo
	s_wait_loadcnt 0x0
	ds_store_b64 v1, v[110:111]
	s_wait_dscnt 0x0
	s_barrier_signal -1
	s_barrier_wait -1
	v_cmpx_gt_u32_e32 2, v0
	s_cbranch_execz .LBB52_19
; %bb.16:
	scratch_load_b64 v[110:111], v3, off
	ds_load_b64 v[112:113], v1
	s_wait_loadcnt_dscnt 0x0
	v_fma_f64 v[110:111], v[110:111], v[112:113], 0
	s_and_saveexec_b32 s4, s0
	s_cbranch_execz .LBB52_18
; %bb.17:
	scratch_load_b64 v[112:113], off, off offset:8
	v_mov_b32_e32 v3, 0
	ds_load_b64 v[114:115], v3 offset:440
	s_wait_loadcnt_dscnt 0x0
	v_fmac_f64_e32 v[110:111], v[112:113], v[114:115]
.LBB52_18:
	s_or_b32 exec_lo, exec_lo, s4
	v_mov_b32_e32 v3, 0
	ds_load_b64 v[112:113], v3 offset:16
	s_wait_dscnt 0x0
	v_mul_f64_e32 v[110:111], v[110:111], v[112:113]
	scratch_store_b64 off, v[110:111], off offset:16
.LBB52_19:
	s_wait_xcnt 0x0
	s_or_b32 exec_lo, exec_lo, s1
	s_wait_storecnt 0x0
	s_barrier_signal -1
	s_barrier_wait -1
	scratch_load_b64 v[110:111], off, off offset:24
	v_add_nc_u32_e32 v3, -1, v0
	s_mov_b32 s0, exec_lo
	s_wait_loadcnt 0x0
	ds_store_b64 v1, v[110:111]
	s_wait_dscnt 0x0
	s_barrier_signal -1
	s_barrier_wait -1
	v_cmpx_gt_u32_e32 3, v0
	s_cbranch_execz .LBB52_23
; %bb.20:
	v_mov_b64_e32 v[110:111], 0
	v_dual_add_nc_u32 v9, -1, v0 :: v_dual_mov_b32 v13, v2
	v_add_nc_u32_e32 v11, 0x1b0, v2
	s_mov_b32 s1, 0
.LBB52_21:                              ; =>This Inner Loop Header: Depth=1
	scratch_load_b64 v[112:113], v13, off
	ds_load_b64 v[114:115], v11
	v_dual_add_nc_u32 v9, 1, v9 :: v_dual_add_nc_u32 v11, 8, v11
	s_wait_xcnt 0x0
	v_add_nc_u32_e32 v13, 8, v13
	s_delay_alu instid0(VALU_DEP_2)
	v_cmp_lt_u32_e32 vcc_lo, 1, v9
	s_or_b32 s1, vcc_lo, s1
	s_wait_loadcnt_dscnt 0x0
	v_fmac_f64_e32 v[110:111], v[112:113], v[114:115]
	s_and_not1_b32 exec_lo, exec_lo, s1
	s_cbranch_execnz .LBB52_21
; %bb.22:
	s_or_b32 exec_lo, exec_lo, s1
	v_mov_b32_e32 v9, 0
	ds_load_b64 v[112:113], v9 offset:24
	s_wait_dscnt 0x0
	v_mul_f64_e32 v[110:111], v[110:111], v[112:113]
	scratch_store_b64 off, v[110:111], off offset:24
.LBB52_23:
	s_wait_xcnt 0x0
	s_or_b32 exec_lo, exec_lo, s0
	s_wait_storecnt 0x0
	s_barrier_signal -1
	s_barrier_wait -1
	scratch_load_b64 v[110:111], off, off offset:32
	s_mov_b32 s0, exec_lo
	s_wait_loadcnt 0x0
	ds_store_b64 v1, v[110:111]
	s_wait_dscnt 0x0
	s_barrier_signal -1
	s_barrier_wait -1
	v_cmpx_gt_u32_e32 4, v0
	s_cbranch_execz .LBB52_27
; %bb.24:
	v_mov_b64_e32 v[110:111], 0
	v_dual_add_nc_u32 v9, -1, v0 :: v_dual_mov_b32 v13, v2
	v_add_nc_u32_e32 v11, 0x1b0, v2
	s_mov_b32 s1, 0
.LBB52_25:                              ; =>This Inner Loop Header: Depth=1
	scratch_load_b64 v[112:113], v13, off
	ds_load_b64 v[114:115], v11
	v_dual_add_nc_u32 v9, 1, v9 :: v_dual_add_nc_u32 v11, 8, v11
	s_wait_xcnt 0x0
	v_add_nc_u32_e32 v13, 8, v13
	s_delay_alu instid0(VALU_DEP_2)
	v_cmp_lt_u32_e32 vcc_lo, 2, v9
	s_or_b32 s1, vcc_lo, s1
	s_wait_loadcnt_dscnt 0x0
	v_fmac_f64_e32 v[110:111], v[112:113], v[114:115]
	s_and_not1_b32 exec_lo, exec_lo, s1
	s_cbranch_execnz .LBB52_25
; %bb.26:
	s_or_b32 exec_lo, exec_lo, s1
	v_mov_b32_e32 v9, 0
	ds_load_b64 v[112:113], v9 offset:32
	s_wait_dscnt 0x0
	v_mul_f64_e32 v[110:111], v[110:111], v[112:113]
	scratch_store_b64 off, v[110:111], off offset:32
.LBB52_27:
	s_wait_xcnt 0x0
	s_or_b32 exec_lo, exec_lo, s0
	s_wait_storecnt 0x0
	s_barrier_signal -1
	s_barrier_wait -1
	scratch_load_b64 v[110:111], off, off offset:40
	;; [unrolled: 40-line block ×20, first 2 shown]
	s_mov_b32 s0, exec_lo
	s_wait_loadcnt 0x0
	ds_store_b64 v1, v[110:111]
	s_wait_dscnt 0x0
	s_barrier_signal -1
	s_barrier_wait -1
	v_cmpx_gt_u32_e32 23, v0
	s_cbranch_execz .LBB52_103
; %bb.100:
	v_mov_b64_e32 v[110:111], 0
	v_dual_add_nc_u32 v9, -1, v0 :: v_dual_mov_b32 v13, v2
	v_add_nc_u32_e32 v11, 0x1b0, v2
	s_mov_b32 s1, 0
.LBB52_101:                             ; =>This Inner Loop Header: Depth=1
	scratch_load_b64 v[112:113], v13, off
	ds_load_b64 v[114:115], v11
	v_dual_add_nc_u32 v9, 1, v9 :: v_dual_add_nc_u32 v11, 8, v11
	s_wait_xcnt 0x0
	v_add_nc_u32_e32 v13, 8, v13
	s_delay_alu instid0(VALU_DEP_2)
	v_cmp_lt_u32_e32 vcc_lo, 21, v9
	s_or_b32 s1, vcc_lo, s1
	s_wait_loadcnt_dscnt 0x0
	v_fmac_f64_e32 v[110:111], v[112:113], v[114:115]
	s_and_not1_b32 exec_lo, exec_lo, s1
	s_cbranch_execnz .LBB52_101
; %bb.102:
	s_or_b32 exec_lo, exec_lo, s1
	v_mov_b32_e32 v9, 0
	ds_load_b64 v[112:113], v9 offset:184
	s_wait_dscnt 0x0
	v_mul_f64_e32 v[110:111], v[110:111], v[112:113]
	scratch_store_b64 off, v[110:111], off offset:184
.LBB52_103:
	s_wait_xcnt 0x0
	s_or_b32 exec_lo, exec_lo, s0
	s_wait_storecnt 0x0
	s_barrier_signal -1
	s_barrier_wait -1
	scratch_load_b64 v[110:111], off, off offset:192
	s_mov_b32 s0, exec_lo
	s_wait_loadcnt 0x0
	ds_store_b64 v1, v[110:111]
	s_wait_dscnt 0x0
	s_barrier_signal -1
	s_barrier_wait -1
	v_cmpx_gt_u32_e32 24, v0
	s_cbranch_execz .LBB52_107
; %bb.104:
	v_mov_b64_e32 v[110:111], 0
	v_dual_add_nc_u32 v9, -1, v0 :: v_dual_mov_b32 v13, v2
	v_add_nc_u32_e32 v11, 0x1b0, v2
	s_mov_b32 s1, 0
.LBB52_105:                             ; =>This Inner Loop Header: Depth=1
	scratch_load_b64 v[112:113], v13, off
	ds_load_b64 v[114:115], v11
	v_dual_add_nc_u32 v9, 1, v9 :: v_dual_add_nc_u32 v11, 8, v11
	s_wait_xcnt 0x0
	v_add_nc_u32_e32 v13, 8, v13
	s_delay_alu instid0(VALU_DEP_2)
	v_cmp_lt_u32_e32 vcc_lo, 22, v9
	s_or_b32 s1, vcc_lo, s1
	s_wait_loadcnt_dscnt 0x0
	v_fmac_f64_e32 v[110:111], v[112:113], v[114:115]
	s_and_not1_b32 exec_lo, exec_lo, s1
	s_cbranch_execnz .LBB52_105
; %bb.106:
	s_or_b32 exec_lo, exec_lo, s1
	v_mov_b32_e32 v9, 0
	ds_load_b64 v[112:113], v9 offset:192
	s_wait_dscnt 0x0
	v_mul_f64_e32 v[110:111], v[110:111], v[112:113]
	scratch_store_b64 off, v[110:111], off offset:192
.LBB52_107:
	s_wait_xcnt 0x0
	s_or_b32 exec_lo, exec_lo, s0
	s_wait_storecnt 0x0
	s_barrier_signal -1
	s_barrier_wait -1
	scratch_load_b64 v[110:111], off, off offset:200
	;; [unrolled: 40-line block ×29, first 2 shown]
	s_mov_b32 s0, exec_lo
	s_wait_loadcnt 0x0
	ds_store_b64 v1, v[110:111]
	s_wait_dscnt 0x0
	s_barrier_signal -1
	s_barrier_wait -1
	v_cmpx_ne_u32_e32 52, v0
	s_cbranch_execz .LBB52_219
; %bb.216:
	v_mov_b64_e32 v[110:111], 0
	s_mov_b32 s1, 0
.LBB52_217:                             ; =>This Inner Loop Header: Depth=1
	scratch_load_b64 v[112:113], v2, off
	ds_load_b64 v[114:115], v1
	v_dual_add_nc_u32 v3, 1, v3 :: v_dual_add_nc_u32 v1, 8, v1
	s_wait_xcnt 0x0
	v_add_nc_u32_e32 v2, 8, v2
	s_delay_alu instid0(VALU_DEP_2)
	v_cmp_lt_u32_e32 vcc_lo, 50, v3
	s_or_b32 s1, vcc_lo, s1
	s_wait_loadcnt_dscnt 0x0
	v_fmac_f64_e32 v[110:111], v[112:113], v[114:115]
	s_and_not1_b32 exec_lo, exec_lo, s1
	s_cbranch_execnz .LBB52_217
; %bb.218:
	s_or_b32 exec_lo, exec_lo, s1
	v_mov_b32_e32 v1, 0
	ds_load_b64 v[2:3], v1 offset:416
	s_wait_dscnt 0x0
	v_mul_f64_e32 v[2:3], v[110:111], v[2:3]
	scratch_store_b64 off, v[2:3], off offset:416
.LBB52_219:
	s_wait_xcnt 0x0
	s_or_b32 exec_lo, exec_lo, s0
	s_mov_b32 s1, -1
	s_wait_storecnt 0x0
	s_barrier_signal -1
	s_barrier_wait -1
.LBB52_220:
	s_and_b32 vcc_lo, exec_lo, s1
	s_cbranch_vccz .LBB52_222
; %bb.221:
	v_mov_b32_e32 v1, 0
	s_lshl_b64 s[0:1], s[18:19], 2
	s_delay_alu instid0(SALU_CYCLE_1)
	s_add_nc_u64 s[0:1], s[6:7], s[0:1]
	global_load_b32 v1, v1, s[0:1]
	s_wait_loadcnt 0x0
	v_cmp_ne_u32_e32 vcc_lo, 0, v1
	s_cbranch_vccz .LBB52_223
.LBB52_222:
	s_sendmsg sendmsg(MSG_DEALLOC_VGPRS)
	s_endpgm
.LBB52_223:
	s_wait_xcnt 0x0
	v_lshl_add_u32 v1, v0, 3, 0x1b0
	s_mov_b32 s0, exec_lo
	v_cmpx_eq_u32_e32 52, v0
	s_cbranch_execz .LBB52_225
; %bb.224:
	scratch_load_b64 v[2:3], off, off offset:408
	v_mov_b64_e32 v[110:111], 0
	scratch_store_b64 off, v[110:111], off offset:408
	s_wait_loadcnt 0x0
	ds_store_b64 v1, v[2:3]
.LBB52_225:
	s_wait_xcnt 0x0
	s_or_b32 exec_lo, exec_lo, s0
	s_wait_storecnt_dscnt 0x0
	s_barrier_signal -1
	s_barrier_wait -1
	scratch_load_b128 v[110:113], off, off offset:408
	v_mov_b32_e32 v2, 0
	s_mov_b32 s0, exec_lo
	ds_load_b64 v[114:115], v2 offset:848
	s_wait_loadcnt_dscnt 0x0
	v_fma_f64 v[112:113], v[112:113], v[114:115], 0
	s_delay_alu instid0(VALU_DEP_1)
	v_add_f64_e64 v[110:111], v[110:111], -v[112:113]
	scratch_store_b64 off, v[110:111], off offset:408
	s_wait_xcnt 0x0
	v_cmpx_lt_u32_e32 50, v0
	s_cbranch_execz .LBB52_227
; %bb.226:
	scratch_load_b64 v[110:111], off, off offset:400
	v_mov_b64_e32 v[112:113], 0
	scratch_store_b64 off, v[112:113], off offset:400
	s_wait_loadcnt 0x0
	ds_store_b64 v1, v[110:111]
.LBB52_227:
	s_wait_xcnt 0x0
	s_or_b32 exec_lo, exec_lo, s0
	s_wait_storecnt_dscnt 0x0
	s_barrier_signal -1
	s_barrier_wait -1
	s_clause 0x1
	scratch_load_b128 v[110:113], off, off offset:400
	scratch_load_b64 v[118:119], off, off offset:416
	ds_load_2addr_b64 v[114:117], v2 offset0:105 offset1:106
	s_mov_b32 s0, exec_lo
	s_wait_loadcnt_dscnt 0x100
	v_fma_f64 v[2:3], v[112:113], v[114:115], 0
	s_wait_loadcnt 0x0
	s_delay_alu instid0(VALU_DEP_1) | instskip(NEXT) | instid1(VALU_DEP_1)
	v_fmac_f64_e32 v[2:3], v[118:119], v[116:117]
	v_add_f64_e64 v[2:3], v[110:111], -v[2:3]
	scratch_store_b64 off, v[2:3], off offset:400
	s_wait_xcnt 0x0
	v_cmpx_lt_u32_e32 49, v0
	s_cbranch_execz .LBB52_229
; %bb.228:
	scratch_load_b64 v[2:3], off, off offset:392
	v_mov_b64_e32 v[110:111], 0
	scratch_store_b64 off, v[110:111], off offset:392
	s_wait_loadcnt 0x0
	ds_store_b64 v1, v[2:3]
.LBB52_229:
	s_wait_xcnt 0x0
	s_or_b32 exec_lo, exec_lo, s0
	s_wait_storecnt_dscnt 0x0
	s_barrier_signal -1
	s_barrier_wait -1
	s_clause 0x1
	scratch_load_b128 v[110:113], off, off offset:392
	scratch_load_b128 v[114:117], off, off offset:408
	v_mov_b32_e32 v2, 0
	ds_load_b128 v[118:121], v2 offset:832
	ds_load_b64 v[122:123], v2 offset:848
	s_mov_b32 s0, exec_lo
	s_wait_loadcnt_dscnt 0x101
	v_fma_f64 v[112:113], v[112:113], v[118:119], 0
	s_wait_loadcnt 0x0
	s_delay_alu instid0(VALU_DEP_1) | instskip(SKIP_1) | instid1(VALU_DEP_1)
	v_fmac_f64_e32 v[112:113], v[114:115], v[120:121]
	s_wait_dscnt 0x0
	v_fmac_f64_e32 v[112:113], v[116:117], v[122:123]
	s_delay_alu instid0(VALU_DEP_1)
	v_add_f64_e64 v[110:111], v[110:111], -v[112:113]
	scratch_store_b64 off, v[110:111], off offset:392
	s_wait_xcnt 0x0
	v_cmpx_lt_u32_e32 48, v0
	s_cbranch_execz .LBB52_231
; %bb.230:
	scratch_load_b64 v[110:111], off, off offset:384
	v_mov_b64_e32 v[112:113], 0
	scratch_store_b64 off, v[112:113], off offset:384
	s_wait_loadcnt 0x0
	ds_store_b64 v1, v[110:111]
.LBB52_231:
	s_wait_xcnt 0x0
	s_or_b32 exec_lo, exec_lo, s0
	s_wait_storecnt_dscnt 0x0
	s_barrier_signal -1
	s_barrier_wait -1
	s_clause 0x2
	scratch_load_b128 v[110:113], off, off offset:384
	scratch_load_b128 v[114:117], off, off offset:400
	scratch_load_b64 v[126:127], off, off offset:416
	ds_load_2addr_b64 v[118:121], v2 offset0:103 offset1:104
	ds_load_2addr_b64 v[122:125], v2 offset0:105 offset1:106
	s_mov_b32 s0, exec_lo
	s_wait_loadcnt_dscnt 0x201
	v_fma_f64 v[2:3], v[112:113], v[118:119], 0
	s_wait_loadcnt 0x1
	s_delay_alu instid0(VALU_DEP_1) | instskip(SKIP_1) | instid1(VALU_DEP_1)
	v_fmac_f64_e32 v[2:3], v[114:115], v[120:121]
	s_wait_dscnt 0x0
	v_fmac_f64_e32 v[2:3], v[116:117], v[122:123]
	s_wait_loadcnt 0x0
	s_delay_alu instid0(VALU_DEP_1) | instskip(NEXT) | instid1(VALU_DEP_1)
	v_fmac_f64_e32 v[2:3], v[126:127], v[124:125]
	v_add_f64_e64 v[2:3], v[110:111], -v[2:3]
	scratch_store_b64 off, v[2:3], off offset:384
	s_wait_xcnt 0x0
	v_cmpx_lt_u32_e32 47, v0
	s_cbranch_execz .LBB52_233
; %bb.232:
	scratch_load_b64 v[2:3], off, off offset:376
	v_mov_b64_e32 v[110:111], 0
	scratch_store_b64 off, v[110:111], off offset:376
	s_wait_loadcnt 0x0
	ds_store_b64 v1, v[2:3]
.LBB52_233:
	s_wait_xcnt 0x0
	s_or_b32 exec_lo, exec_lo, s0
	s_wait_storecnt_dscnt 0x0
	s_barrier_signal -1
	s_barrier_wait -1
	s_clause 0x2
	scratch_load_b128 v[110:113], off, off offset:376
	scratch_load_b128 v[114:117], off, off offset:392
	;; [unrolled: 1-line block ×3, first 2 shown]
	v_mov_b32_e32 v2, 0
	ds_load_b128 v[122:125], v2 offset:816
	ds_load_b128 v[126:129], v2 offset:832
	s_mov_b32 s0, exec_lo
	s_wait_loadcnt_dscnt 0x201
	v_fma_f64 v[112:113], v[112:113], v[122:123], 0
	s_wait_loadcnt 0x1
	s_delay_alu instid0(VALU_DEP_1) | instskip(SKIP_4) | instid1(VALU_DEP_1)
	v_fmac_f64_e32 v[112:113], v[114:115], v[124:125]
	ds_load_b64 v[114:115], v2 offset:848
	s_wait_dscnt 0x1
	v_fmac_f64_e32 v[112:113], v[116:117], v[126:127]
	s_wait_loadcnt 0x0
	v_fmac_f64_e32 v[112:113], v[118:119], v[128:129]
	s_wait_dscnt 0x0
	s_delay_alu instid0(VALU_DEP_1) | instskip(NEXT) | instid1(VALU_DEP_1)
	v_fmac_f64_e32 v[112:113], v[120:121], v[114:115]
	v_add_f64_e64 v[110:111], v[110:111], -v[112:113]
	scratch_store_b64 off, v[110:111], off offset:376
	s_wait_xcnt 0x0
	v_cmpx_lt_u32_e32 46, v0
	s_cbranch_execz .LBB52_235
; %bb.234:
	scratch_load_b64 v[110:111], off, off offset:368
	v_mov_b64_e32 v[112:113], 0
	scratch_store_b64 off, v[112:113], off offset:368
	s_wait_loadcnt 0x0
	ds_store_b64 v1, v[110:111]
.LBB52_235:
	s_wait_xcnt 0x0
	s_or_b32 exec_lo, exec_lo, s0
	s_wait_storecnt_dscnt 0x0
	s_barrier_signal -1
	s_barrier_wait -1
	s_clause 0x3
	scratch_load_b128 v[110:113], off, off offset:368
	scratch_load_b128 v[114:117], off, off offset:384
	;; [unrolled: 1-line block ×3, first 2 shown]
	scratch_load_b64 v[130:131], off, off offset:416
	ds_load_2addr_b64 v[122:125], v2 offset0:101 offset1:102
	ds_load_2addr_b64 v[126:129], v2 offset0:103 offset1:104
	s_mov_b32 s0, exec_lo
	s_wait_loadcnt_dscnt 0x301
	v_fma_f64 v[122:123], v[112:113], v[122:123], 0
	s_wait_loadcnt 0x2
	s_delay_alu instid0(VALU_DEP_1) | instskip(SKIP_4) | instid1(VALU_DEP_1)
	v_fmac_f64_e32 v[122:123], v[114:115], v[124:125]
	ds_load_2addr_b64 v[112:115], v2 offset0:105 offset1:106
	s_wait_dscnt 0x1
	v_fmac_f64_e32 v[122:123], v[116:117], v[126:127]
	s_wait_loadcnt 0x1
	v_fmac_f64_e32 v[122:123], v[118:119], v[128:129]
	s_wait_dscnt 0x0
	s_delay_alu instid0(VALU_DEP_1) | instskip(SKIP_1) | instid1(VALU_DEP_1)
	v_fmac_f64_e32 v[122:123], v[120:121], v[112:113]
	s_wait_loadcnt 0x0
	v_fmac_f64_e32 v[122:123], v[130:131], v[114:115]
	s_delay_alu instid0(VALU_DEP_1)
	v_add_f64_e64 v[2:3], v[110:111], -v[122:123]
	scratch_store_b64 off, v[2:3], off offset:368
	s_wait_xcnt 0x0
	v_cmpx_lt_u32_e32 45, v0
	s_cbranch_execz .LBB52_237
; %bb.236:
	scratch_load_b64 v[2:3], off, off offset:360
	v_mov_b64_e32 v[110:111], 0
	scratch_store_b64 off, v[110:111], off offset:360
	s_wait_loadcnt 0x0
	ds_store_b64 v1, v[2:3]
.LBB52_237:
	s_wait_xcnt 0x0
	s_or_b32 exec_lo, exec_lo, s0
	s_wait_storecnt_dscnt 0x0
	s_barrier_signal -1
	s_barrier_wait -1
	s_clause 0x3
	scratch_load_b128 v[110:113], off, off offset:360
	scratch_load_b128 v[114:117], off, off offset:376
	;; [unrolled: 1-line block ×4, first 2 shown]
	v_mov_b32_e32 v2, 0
	ds_load_b128 v[126:129], v2 offset:800
	ds_load_b128 v[130:133], v2 offset:816
	s_mov_b32 s0, exec_lo
	s_wait_loadcnt_dscnt 0x301
	v_fma_f64 v[126:127], v[112:113], v[126:127], 0
	s_wait_loadcnt 0x2
	s_delay_alu instid0(VALU_DEP_1) | instskip(SKIP_1) | instid1(VALU_DEP_1)
	v_fmac_f64_e32 v[126:127], v[114:115], v[128:129]
	s_wait_dscnt 0x0
	v_fmac_f64_e32 v[126:127], v[116:117], v[130:131]
	ds_load_b128 v[112:115], v2 offset:832
	ds_load_b64 v[116:117], v2 offset:848
	s_wait_loadcnt 0x1
	v_fmac_f64_e32 v[126:127], v[118:119], v[132:133]
	s_wait_dscnt 0x1
	s_delay_alu instid0(VALU_DEP_1) | instskip(SKIP_1) | instid1(VALU_DEP_1)
	v_fmac_f64_e32 v[126:127], v[120:121], v[112:113]
	s_wait_loadcnt 0x0
	v_fmac_f64_e32 v[126:127], v[122:123], v[114:115]
	s_wait_dscnt 0x0
	s_delay_alu instid0(VALU_DEP_1) | instskip(NEXT) | instid1(VALU_DEP_1)
	v_fmac_f64_e32 v[126:127], v[124:125], v[116:117]
	v_add_f64_e64 v[110:111], v[110:111], -v[126:127]
	scratch_store_b64 off, v[110:111], off offset:360
	s_wait_xcnt 0x0
	v_cmpx_lt_u32_e32 44, v0
	s_cbranch_execz .LBB52_239
; %bb.238:
	scratch_load_b64 v[110:111], off, off offset:352
	v_mov_b64_e32 v[112:113], 0
	scratch_store_b64 off, v[112:113], off offset:352
	s_wait_loadcnt 0x0
	ds_store_b64 v1, v[110:111]
.LBB52_239:
	s_wait_xcnt 0x0
	s_or_b32 exec_lo, exec_lo, s0
	s_wait_storecnt_dscnt 0x0
	s_barrier_signal -1
	s_barrier_wait -1
	s_clause 0x4
	scratch_load_b128 v[110:113], off, off offset:352
	scratch_load_b128 v[114:117], off, off offset:368
	;; [unrolled: 1-line block ×4, first 2 shown]
	scratch_load_b64 v[134:135], off, off offset:416
	ds_load_2addr_b64 v[126:129], v2 offset0:99 offset1:100
	ds_load_2addr_b64 v[130:133], v2 offset0:101 offset1:102
	s_mov_b32 s0, exec_lo
	s_wait_loadcnt_dscnt 0x401
	v_fma_f64 v[126:127], v[112:113], v[126:127], 0
	s_wait_loadcnt 0x3
	s_delay_alu instid0(VALU_DEP_1) | instskip(SKIP_1) | instid1(VALU_DEP_1)
	v_fmac_f64_e32 v[126:127], v[114:115], v[128:129]
	s_wait_dscnt 0x0
	v_fmac_f64_e32 v[126:127], v[116:117], v[130:131]
	s_wait_loadcnt 0x2
	s_delay_alu instid0(VALU_DEP_1)
	v_fmac_f64_e32 v[126:127], v[118:119], v[132:133]
	ds_load_2addr_b64 v[112:115], v2 offset0:103 offset1:104
	ds_load_2addr_b64 v[116:119], v2 offset0:105 offset1:106
	s_wait_dscnt 0x1
	v_fmac_f64_e32 v[126:127], v[120:121], v[112:113]
	s_wait_loadcnt 0x1
	s_delay_alu instid0(VALU_DEP_1) | instskip(SKIP_1) | instid1(VALU_DEP_1)
	v_fmac_f64_e32 v[126:127], v[122:123], v[114:115]
	s_wait_dscnt 0x0
	v_fmac_f64_e32 v[126:127], v[124:125], v[116:117]
	s_wait_loadcnt 0x0
	s_delay_alu instid0(VALU_DEP_1) | instskip(NEXT) | instid1(VALU_DEP_1)
	v_fmac_f64_e32 v[126:127], v[134:135], v[118:119]
	v_add_f64_e64 v[2:3], v[110:111], -v[126:127]
	scratch_store_b64 off, v[2:3], off offset:352
	s_wait_xcnt 0x0
	v_cmpx_lt_u32_e32 43, v0
	s_cbranch_execz .LBB52_241
; %bb.240:
	scratch_load_b64 v[2:3], off, off offset:344
	v_mov_b64_e32 v[110:111], 0
	scratch_store_b64 off, v[110:111], off offset:344
	s_wait_loadcnt 0x0
	ds_store_b64 v1, v[2:3]
.LBB52_241:
	s_wait_xcnt 0x0
	s_or_b32 exec_lo, exec_lo, s0
	s_wait_storecnt_dscnt 0x0
	s_barrier_signal -1
	s_barrier_wait -1
	s_clause 0x4
	scratch_load_b128 v[110:113], off, off offset:344
	scratch_load_b128 v[114:117], off, off offset:360
	;; [unrolled: 1-line block ×5, first 2 shown]
	v_mov_b32_e32 v2, 0
	ds_load_b128 v[130:133], v2 offset:784
	ds_load_b128 v[134:137], v2 offset:800
	s_mov_b32 s0, exec_lo
	s_wait_loadcnt_dscnt 0x401
	v_fma_f64 v[130:131], v[112:113], v[130:131], 0
	s_wait_loadcnt 0x3
	s_delay_alu instid0(VALU_DEP_1) | instskip(SKIP_1) | instid1(VALU_DEP_1)
	v_fmac_f64_e32 v[130:131], v[114:115], v[132:133]
	s_wait_dscnt 0x0
	v_fmac_f64_e32 v[130:131], v[116:117], v[134:135]
	s_wait_loadcnt 0x2
	s_delay_alu instid0(VALU_DEP_1)
	v_fmac_f64_e32 v[130:131], v[118:119], v[136:137]
	ds_load_b128 v[112:115], v2 offset:816
	ds_load_b128 v[116:119], v2 offset:832
	s_wait_dscnt 0x1
	v_fmac_f64_e32 v[130:131], v[120:121], v[112:113]
	ds_load_b64 v[112:113], v2 offset:848
	s_wait_loadcnt 0x1
	v_fmac_f64_e32 v[130:131], v[122:123], v[114:115]
	s_wait_dscnt 0x1
	s_delay_alu instid0(VALU_DEP_1) | instskip(SKIP_1) | instid1(VALU_DEP_1)
	v_fmac_f64_e32 v[130:131], v[124:125], v[116:117]
	s_wait_loadcnt 0x0
	v_fmac_f64_e32 v[130:131], v[126:127], v[118:119]
	s_wait_dscnt 0x0
	s_delay_alu instid0(VALU_DEP_1) | instskip(NEXT) | instid1(VALU_DEP_1)
	v_fmac_f64_e32 v[130:131], v[128:129], v[112:113]
	v_add_f64_e64 v[110:111], v[110:111], -v[130:131]
	scratch_store_b64 off, v[110:111], off offset:344
	s_wait_xcnt 0x0
	v_cmpx_lt_u32_e32 42, v0
	s_cbranch_execz .LBB52_243
; %bb.242:
	scratch_load_b64 v[110:111], off, off offset:336
	v_mov_b64_e32 v[112:113], 0
	scratch_store_b64 off, v[112:113], off offset:336
	s_wait_loadcnt 0x0
	ds_store_b64 v1, v[110:111]
.LBB52_243:
	s_wait_xcnt 0x0
	s_or_b32 exec_lo, exec_lo, s0
	s_wait_storecnt_dscnt 0x0
	s_barrier_signal -1
	s_barrier_wait -1
	s_clause 0x5
	scratch_load_b128 v[110:113], off, off offset:336
	scratch_load_b128 v[114:117], off, off offset:352
	;; [unrolled: 1-line block ×5, first 2 shown]
	scratch_load_b64 v[138:139], off, off offset:416
	ds_load_2addr_b64 v[130:133], v2 offset0:97 offset1:98
	ds_load_2addr_b64 v[134:137], v2 offset0:99 offset1:100
	s_mov_b32 s0, exec_lo
	s_wait_loadcnt_dscnt 0x501
	v_fma_f64 v[130:131], v[112:113], v[130:131], 0
	s_wait_loadcnt 0x4
	s_delay_alu instid0(VALU_DEP_1) | instskip(SKIP_1) | instid1(VALU_DEP_1)
	v_fmac_f64_e32 v[130:131], v[114:115], v[132:133]
	s_wait_dscnt 0x0
	v_fmac_f64_e32 v[130:131], v[116:117], v[134:135]
	s_wait_loadcnt 0x3
	s_delay_alu instid0(VALU_DEP_1)
	v_fmac_f64_e32 v[130:131], v[118:119], v[136:137]
	ds_load_2addr_b64 v[112:115], v2 offset0:101 offset1:102
	ds_load_2addr_b64 v[116:119], v2 offset0:103 offset1:104
	s_wait_dscnt 0x1
	v_fmac_f64_e32 v[130:131], v[120:121], v[112:113]
	s_wait_loadcnt 0x2
	s_delay_alu instid0(VALU_DEP_1) | instskip(SKIP_4) | instid1(VALU_DEP_1)
	v_fmac_f64_e32 v[130:131], v[122:123], v[114:115]
	ds_load_2addr_b64 v[112:115], v2 offset0:105 offset1:106
	s_wait_dscnt 0x1
	v_fmac_f64_e32 v[130:131], v[124:125], v[116:117]
	s_wait_loadcnt 0x1
	v_fmac_f64_e32 v[130:131], v[126:127], v[118:119]
	s_wait_dscnt 0x0
	s_delay_alu instid0(VALU_DEP_1) | instskip(SKIP_1) | instid1(VALU_DEP_1)
	v_fmac_f64_e32 v[130:131], v[128:129], v[112:113]
	s_wait_loadcnt 0x0
	v_fmac_f64_e32 v[130:131], v[138:139], v[114:115]
	s_delay_alu instid0(VALU_DEP_1)
	v_add_f64_e64 v[2:3], v[110:111], -v[130:131]
	scratch_store_b64 off, v[2:3], off offset:336
	s_wait_xcnt 0x0
	v_cmpx_lt_u32_e32 41, v0
	s_cbranch_execz .LBB52_245
; %bb.244:
	scratch_load_b64 v[2:3], off, off offset:328
	v_mov_b64_e32 v[110:111], 0
	scratch_store_b64 off, v[110:111], off offset:328
	s_wait_loadcnt 0x0
	ds_store_b64 v1, v[2:3]
.LBB52_245:
	s_wait_xcnt 0x0
	s_or_b32 exec_lo, exec_lo, s0
	s_wait_storecnt_dscnt 0x0
	s_barrier_signal -1
	s_barrier_wait -1
	s_clause 0x5
	scratch_load_b128 v[110:113], off, off offset:328
	scratch_load_b128 v[114:117], off, off offset:344
	;; [unrolled: 1-line block ×6, first 2 shown]
	v_mov_b32_e32 v2, 0
	ds_load_b128 v[134:137], v2 offset:768
	ds_load_b128 v[138:141], v2 offset:784
	s_mov_b32 s0, exec_lo
	s_wait_loadcnt_dscnt 0x501
	v_fma_f64 v[134:135], v[112:113], v[134:135], 0
	s_wait_loadcnt 0x4
	s_delay_alu instid0(VALU_DEP_1) | instskip(SKIP_1) | instid1(VALU_DEP_1)
	v_fmac_f64_e32 v[134:135], v[114:115], v[136:137]
	s_wait_dscnt 0x0
	v_fmac_f64_e32 v[134:135], v[116:117], v[138:139]
	s_wait_loadcnt 0x3
	s_delay_alu instid0(VALU_DEP_1)
	v_fmac_f64_e32 v[134:135], v[118:119], v[140:141]
	ds_load_b128 v[112:115], v2 offset:800
	ds_load_b128 v[116:119], v2 offset:816
	s_wait_dscnt 0x1
	v_fmac_f64_e32 v[134:135], v[120:121], v[112:113]
	s_wait_loadcnt 0x2
	s_delay_alu instid0(VALU_DEP_1) | instskip(SKIP_1) | instid1(VALU_DEP_1)
	v_fmac_f64_e32 v[134:135], v[122:123], v[114:115]
	s_wait_dscnt 0x0
	v_fmac_f64_e32 v[134:135], v[124:125], v[116:117]
	ds_load_b128 v[112:115], v2 offset:832
	ds_load_b64 v[116:117], v2 offset:848
	s_wait_loadcnt 0x1
	v_fmac_f64_e32 v[134:135], v[126:127], v[118:119]
	s_wait_dscnt 0x1
	s_delay_alu instid0(VALU_DEP_1) | instskip(SKIP_1) | instid1(VALU_DEP_1)
	v_fmac_f64_e32 v[134:135], v[128:129], v[112:113]
	s_wait_loadcnt 0x0
	v_fmac_f64_e32 v[134:135], v[130:131], v[114:115]
	s_wait_dscnt 0x0
	s_delay_alu instid0(VALU_DEP_1) | instskip(NEXT) | instid1(VALU_DEP_1)
	v_fmac_f64_e32 v[134:135], v[132:133], v[116:117]
	v_add_f64_e64 v[110:111], v[110:111], -v[134:135]
	scratch_store_b64 off, v[110:111], off offset:328
	s_wait_xcnt 0x0
	v_cmpx_lt_u32_e32 40, v0
	s_cbranch_execz .LBB52_247
; %bb.246:
	scratch_load_b64 v[110:111], off, off offset:320
	v_mov_b64_e32 v[112:113], 0
	scratch_store_b64 off, v[112:113], off offset:320
	s_wait_loadcnt 0x0
	ds_store_b64 v1, v[110:111]
.LBB52_247:
	s_wait_xcnt 0x0
	s_or_b32 exec_lo, exec_lo, s0
	s_wait_storecnt_dscnt 0x0
	s_barrier_signal -1
	s_barrier_wait -1
	s_clause 0x5
	scratch_load_b128 v[110:113], off, off offset:320
	scratch_load_b128 v[114:117], off, off offset:336
	;; [unrolled: 1-line block ×6, first 2 shown]
	ds_load_2addr_b64 v[134:137], v2 offset0:95 offset1:96
	ds_load_2addr_b64 v[138:141], v2 offset0:97 offset1:98
	s_mov_b32 s0, exec_lo
	s_wait_loadcnt_dscnt 0x501
	v_fma_f64 v[134:135], v[112:113], v[134:135], 0
	s_wait_loadcnt 0x4
	s_delay_alu instid0(VALU_DEP_1) | instskip(SKIP_4) | instid1(VALU_DEP_1)
	v_fmac_f64_e32 v[134:135], v[114:115], v[136:137]
	scratch_load_b64 v[136:137], off, off offset:416
	s_wait_dscnt 0x0
	v_fmac_f64_e32 v[134:135], v[116:117], v[138:139]
	s_wait_loadcnt 0x4
	v_fmac_f64_e32 v[134:135], v[118:119], v[140:141]
	ds_load_2addr_b64 v[112:115], v2 offset0:99 offset1:100
	ds_load_2addr_b64 v[116:119], v2 offset0:101 offset1:102
	s_wait_dscnt 0x1
	v_fmac_f64_e32 v[134:135], v[120:121], v[112:113]
	s_wait_loadcnt 0x3
	s_delay_alu instid0(VALU_DEP_1) | instskip(SKIP_1) | instid1(VALU_DEP_1)
	v_fmac_f64_e32 v[134:135], v[122:123], v[114:115]
	s_wait_dscnt 0x0
	v_fmac_f64_e32 v[134:135], v[124:125], v[116:117]
	s_wait_loadcnt 0x2
	s_delay_alu instid0(VALU_DEP_1)
	v_fmac_f64_e32 v[134:135], v[126:127], v[118:119]
	ds_load_2addr_b64 v[112:115], v2 offset0:103 offset1:104
	ds_load_2addr_b64 v[116:119], v2 offset0:105 offset1:106
	s_wait_dscnt 0x1
	v_fmac_f64_e32 v[134:135], v[128:129], v[112:113]
	s_wait_loadcnt 0x1
	s_delay_alu instid0(VALU_DEP_1) | instskip(SKIP_1) | instid1(VALU_DEP_1)
	v_fmac_f64_e32 v[134:135], v[130:131], v[114:115]
	s_wait_dscnt 0x0
	v_fmac_f64_e32 v[134:135], v[132:133], v[116:117]
	s_wait_loadcnt 0x0
	s_delay_alu instid0(VALU_DEP_1) | instskip(NEXT) | instid1(VALU_DEP_1)
	v_fmac_f64_e32 v[134:135], v[136:137], v[118:119]
	v_add_f64_e64 v[2:3], v[110:111], -v[134:135]
	scratch_store_b64 off, v[2:3], off offset:320
	s_wait_xcnt 0x0
	v_cmpx_lt_u32_e32 39, v0
	s_cbranch_execz .LBB52_249
; %bb.248:
	scratch_load_b64 v[2:3], off, off offset:312
	v_mov_b64_e32 v[110:111], 0
	scratch_store_b64 off, v[110:111], off offset:312
	s_wait_loadcnt 0x0
	ds_store_b64 v1, v[2:3]
.LBB52_249:
	s_wait_xcnt 0x0
	s_or_b32 exec_lo, exec_lo, s0
	s_wait_storecnt_dscnt 0x0
	s_barrier_signal -1
	s_barrier_wait -1
	s_clause 0x5
	scratch_load_b128 v[110:113], off, off offset:312
	scratch_load_b128 v[114:117], off, off offset:328
	;; [unrolled: 1-line block ×6, first 2 shown]
	v_mov_b32_e32 v2, 0
	ds_load_b128 v[134:137], v2 offset:752
	ds_load_b128 v[138:141], v2 offset:768
	s_mov_b32 s0, exec_lo
	s_wait_loadcnt_dscnt 0x501
	v_fma_f64 v[142:143], v[112:113], v[134:135], 0
	s_wait_loadcnt 0x4
	s_delay_alu instid0(VALU_DEP_1) | instskip(SKIP_4) | instid1(VALU_DEP_1)
	v_fmac_f64_e32 v[142:143], v[114:115], v[136:137]
	scratch_load_b128 v[112:115], off, off offset:408
	s_wait_dscnt 0x0
	v_fmac_f64_e32 v[142:143], v[116:117], v[138:139]
	s_wait_loadcnt 0x4
	v_fmac_f64_e32 v[142:143], v[118:119], v[140:141]
	ds_load_b128 v[116:119], v2 offset:784
	ds_load_b128 v[134:137], v2 offset:800
	s_wait_dscnt 0x1
	v_fmac_f64_e32 v[142:143], v[120:121], v[116:117]
	s_wait_loadcnt 0x3
	s_delay_alu instid0(VALU_DEP_1)
	v_fmac_f64_e32 v[142:143], v[122:123], v[118:119]
	ds_load_b128 v[116:119], v2 offset:816
	ds_load_b128 v[120:123], v2 offset:832
	s_wait_dscnt 0x2
	v_fmac_f64_e32 v[142:143], v[124:125], v[134:135]
	s_wait_loadcnt 0x2
	s_delay_alu instid0(VALU_DEP_1) | instskip(SKIP_1) | instid1(VALU_DEP_1)
	v_fmac_f64_e32 v[142:143], v[126:127], v[136:137]
	s_wait_dscnt 0x1
	v_fmac_f64_e32 v[142:143], v[128:129], v[116:117]
	s_wait_loadcnt 0x1
	s_delay_alu instid0(VALU_DEP_1) | instskip(SKIP_1) | instid1(VALU_DEP_1)
	v_fmac_f64_e32 v[142:143], v[130:131], v[118:119]
	s_wait_dscnt 0x0
	v_fmac_f64_e32 v[142:143], v[132:133], v[120:121]
	s_wait_loadcnt 0x0
	s_delay_alu instid0(VALU_DEP_1) | instskip(SKIP_3) | instid1(VALU_DEP_1)
	v_fmac_f64_e32 v[142:143], v[112:113], v[122:123]
	ds_load_b64 v[112:113], v2 offset:848
	s_wait_dscnt 0x0
	v_fmac_f64_e32 v[142:143], v[114:115], v[112:113]
	v_add_f64_e64 v[110:111], v[110:111], -v[142:143]
	scratch_store_b64 off, v[110:111], off offset:312
	s_wait_xcnt 0x0
	v_cmpx_lt_u32_e32 38, v0
	s_cbranch_execz .LBB52_251
; %bb.250:
	scratch_load_b64 v[110:111], off, off offset:304
	v_mov_b64_e32 v[112:113], 0
	scratch_store_b64 off, v[112:113], off offset:304
	s_wait_loadcnt 0x0
	ds_store_b64 v1, v[110:111]
.LBB52_251:
	s_wait_xcnt 0x0
	s_or_b32 exec_lo, exec_lo, s0
	s_wait_storecnt_dscnt 0x0
	s_barrier_signal -1
	s_barrier_wait -1
	s_clause 0x5
	scratch_load_b128 v[110:113], off, off offset:304
	scratch_load_b128 v[114:117], off, off offset:320
	scratch_load_b128 v[118:121], off, off offset:336
	scratch_load_b128 v[122:125], off, off offset:352
	scratch_load_b128 v[126:129], off, off offset:368
	scratch_load_b128 v[130:133], off, off offset:384
	ds_load_2addr_b64 v[134:137], v2 offset0:93 offset1:94
	ds_load_2addr_b64 v[138:141], v2 offset0:95 offset1:96
	s_mov_b32 s0, exec_lo
	s_wait_loadcnt_dscnt 0x501
	v_fma_f64 v[142:143], v[112:113], v[134:135], 0
	s_wait_loadcnt 0x4
	s_delay_alu instid0(VALU_DEP_1)
	v_fmac_f64_e32 v[142:143], v[114:115], v[136:137]
	scratch_load_b128 v[112:115], off, off offset:400
	s_wait_dscnt 0x0
	v_fmac_f64_e32 v[142:143], v[116:117], v[138:139]
	scratch_load_b64 v[138:139], off, off offset:416
	s_wait_loadcnt 0x5
	v_fmac_f64_e32 v[142:143], v[118:119], v[140:141]
	ds_load_2addr_b64 v[116:119], v2 offset0:97 offset1:98
	ds_load_2addr_b64 v[134:137], v2 offset0:99 offset1:100
	s_wait_dscnt 0x1
	v_fmac_f64_e32 v[142:143], v[120:121], v[116:117]
	s_wait_loadcnt 0x4
	s_delay_alu instid0(VALU_DEP_1)
	v_fmac_f64_e32 v[142:143], v[122:123], v[118:119]
	ds_load_2addr_b64 v[116:119], v2 offset0:101 offset1:102
	ds_load_2addr_b64 v[120:123], v2 offset0:103 offset1:104
	s_wait_dscnt 0x2
	v_fmac_f64_e32 v[142:143], v[124:125], v[134:135]
	s_wait_loadcnt 0x3
	s_delay_alu instid0(VALU_DEP_1) | instskip(SKIP_1) | instid1(VALU_DEP_1)
	v_fmac_f64_e32 v[142:143], v[126:127], v[136:137]
	s_wait_dscnt 0x1
	v_fmac_f64_e32 v[142:143], v[128:129], v[116:117]
	s_wait_loadcnt 0x2
	s_delay_alu instid0(VALU_DEP_1) | instskip(SKIP_4) | instid1(VALU_DEP_1)
	v_fmac_f64_e32 v[142:143], v[130:131], v[118:119]
	ds_load_2addr_b64 v[116:119], v2 offset0:105 offset1:106
	s_wait_dscnt 0x1
	v_fmac_f64_e32 v[142:143], v[132:133], v[120:121]
	s_wait_loadcnt 0x1
	v_fmac_f64_e32 v[142:143], v[112:113], v[122:123]
	s_wait_dscnt 0x0
	s_delay_alu instid0(VALU_DEP_1) | instskip(SKIP_1) | instid1(VALU_DEP_1)
	v_fmac_f64_e32 v[142:143], v[114:115], v[116:117]
	s_wait_loadcnt 0x0
	v_fmac_f64_e32 v[142:143], v[138:139], v[118:119]
	s_delay_alu instid0(VALU_DEP_1)
	v_add_f64_e64 v[2:3], v[110:111], -v[142:143]
	scratch_store_b64 off, v[2:3], off offset:304
	s_wait_xcnt 0x0
	v_cmpx_lt_u32_e32 37, v0
	s_cbranch_execz .LBB52_253
; %bb.252:
	scratch_load_b64 v[2:3], off, off offset:296
	v_mov_b64_e32 v[110:111], 0
	scratch_store_b64 off, v[110:111], off offset:296
	s_wait_loadcnt 0x0
	ds_store_b64 v1, v[2:3]
.LBB52_253:
	s_wait_xcnt 0x0
	s_or_b32 exec_lo, exec_lo, s0
	s_wait_storecnt_dscnt 0x0
	s_barrier_signal -1
	s_barrier_wait -1
	s_clause 0x5
	scratch_load_b128 v[110:113], off, off offset:296
	scratch_load_b128 v[114:117], off, off offset:312
	scratch_load_b128 v[118:121], off, off offset:328
	scratch_load_b128 v[122:125], off, off offset:344
	scratch_load_b128 v[126:129], off, off offset:360
	scratch_load_b128 v[130:133], off, off offset:376
	v_mov_b32_e32 v2, 0
	ds_load_b128 v[134:137], v2 offset:736
	ds_load_b128 v[138:141], v2 offset:752
	s_mov_b32 s0, exec_lo
	s_wait_loadcnt_dscnt 0x501
	v_fma_f64 v[142:143], v[112:113], v[134:135], 0
	s_wait_loadcnt 0x4
	s_delay_alu instid0(VALU_DEP_1) | instskip(SKIP_4) | instid1(VALU_DEP_1)
	v_fmac_f64_e32 v[142:143], v[114:115], v[136:137]
	scratch_load_b128 v[112:115], off, off offset:392
	s_wait_dscnt 0x0
	v_fmac_f64_e32 v[142:143], v[116:117], v[138:139]
	s_wait_loadcnt 0x4
	v_fmac_f64_e32 v[142:143], v[118:119], v[140:141]
	scratch_load_b128 v[116:119], off, off offset:408
	ds_load_b128 v[134:137], v2 offset:768
	ds_load_b128 v[138:141], v2 offset:784
	s_wait_dscnt 0x1
	v_fmac_f64_e32 v[142:143], v[120:121], v[134:135]
	s_wait_loadcnt 0x4
	s_delay_alu instid0(VALU_DEP_1) | instskip(SKIP_1) | instid1(VALU_DEP_1)
	v_fmac_f64_e32 v[142:143], v[122:123], v[136:137]
	s_wait_dscnt 0x0
	v_fmac_f64_e32 v[142:143], v[124:125], v[138:139]
	s_wait_loadcnt 0x3
	s_delay_alu instid0(VALU_DEP_1)
	v_fmac_f64_e32 v[142:143], v[126:127], v[140:141]
	ds_load_b128 v[120:123], v2 offset:800
	ds_load_b128 v[124:127], v2 offset:816
	s_wait_dscnt 0x1
	v_fmac_f64_e32 v[142:143], v[128:129], v[120:121]
	s_wait_loadcnt 0x2
	s_delay_alu instid0(VALU_DEP_1) | instskip(SKIP_1) | instid1(VALU_DEP_1)
	v_fmac_f64_e32 v[142:143], v[130:131], v[122:123]
	s_wait_dscnt 0x0
	v_fmac_f64_e32 v[142:143], v[132:133], v[124:125]
	s_wait_loadcnt 0x1
	s_delay_alu instid0(VALU_DEP_1)
	v_fmac_f64_e32 v[142:143], v[112:113], v[126:127]
	ds_load_b128 v[120:123], v2 offset:832
	ds_load_b64 v[112:113], v2 offset:848
	s_wait_dscnt 0x1
	v_fmac_f64_e32 v[142:143], v[114:115], v[120:121]
	s_wait_loadcnt 0x0
	s_delay_alu instid0(VALU_DEP_1) | instskip(SKIP_1) | instid1(VALU_DEP_1)
	v_fmac_f64_e32 v[142:143], v[116:117], v[122:123]
	s_wait_dscnt 0x0
	v_fmac_f64_e32 v[142:143], v[118:119], v[112:113]
	s_delay_alu instid0(VALU_DEP_1)
	v_add_f64_e64 v[110:111], v[110:111], -v[142:143]
	scratch_store_b64 off, v[110:111], off offset:296
	s_wait_xcnt 0x0
	v_cmpx_lt_u32_e32 36, v0
	s_cbranch_execz .LBB52_255
; %bb.254:
	scratch_load_b64 v[110:111], off, off offset:288
	v_mov_b64_e32 v[112:113], 0
	scratch_store_b64 off, v[112:113], off offset:288
	s_wait_loadcnt 0x0
	ds_store_b64 v1, v[110:111]
.LBB52_255:
	s_wait_xcnt 0x0
	s_or_b32 exec_lo, exec_lo, s0
	s_wait_storecnt_dscnt 0x0
	s_barrier_signal -1
	s_barrier_wait -1
	s_clause 0x5
	scratch_load_b128 v[110:113], off, off offset:288
	scratch_load_b128 v[114:117], off, off offset:304
	;; [unrolled: 1-line block ×6, first 2 shown]
	ds_load_2addr_b64 v[134:137], v2 offset0:91 offset1:92
	ds_load_2addr_b64 v[138:141], v2 offset0:93 offset1:94
	s_mov_b32 s0, exec_lo
	s_wait_loadcnt_dscnt 0x501
	v_fma_f64 v[142:143], v[112:113], v[134:135], 0
	s_wait_loadcnt 0x4
	s_delay_alu instid0(VALU_DEP_1) | instskip(SKIP_4) | instid1(VALU_DEP_1)
	v_fmac_f64_e32 v[142:143], v[114:115], v[136:137]
	scratch_load_b128 v[112:115], off, off offset:384
	s_wait_dscnt 0x0
	v_fmac_f64_e32 v[142:143], v[116:117], v[138:139]
	s_wait_loadcnt 0x4
	v_fmac_f64_e32 v[142:143], v[118:119], v[140:141]
	scratch_load_b128 v[116:119], off, off offset:400
	ds_load_2addr_b64 v[134:137], v2 offset0:95 offset1:96
	ds_load_2addr_b64 v[138:141], v2 offset0:97 offset1:98
	s_wait_dscnt 0x1
	v_fmac_f64_e32 v[142:143], v[120:121], v[134:135]
	scratch_load_b64 v[134:135], off, off offset:416
	s_wait_loadcnt 0x5
	v_fmac_f64_e32 v[142:143], v[122:123], v[136:137]
	s_wait_dscnt 0x0
	s_delay_alu instid0(VALU_DEP_1) | instskip(SKIP_1) | instid1(VALU_DEP_1)
	v_fmac_f64_e32 v[142:143], v[124:125], v[138:139]
	s_wait_loadcnt 0x4
	v_fmac_f64_e32 v[142:143], v[126:127], v[140:141]
	ds_load_2addr_b64 v[120:123], v2 offset0:99 offset1:100
	ds_load_2addr_b64 v[124:127], v2 offset0:101 offset1:102
	s_wait_dscnt 0x1
	v_fmac_f64_e32 v[142:143], v[128:129], v[120:121]
	s_wait_loadcnt 0x3
	s_delay_alu instid0(VALU_DEP_1) | instskip(SKIP_1) | instid1(VALU_DEP_1)
	v_fmac_f64_e32 v[142:143], v[130:131], v[122:123]
	s_wait_dscnt 0x0
	v_fmac_f64_e32 v[142:143], v[132:133], v[124:125]
	s_wait_loadcnt 0x2
	s_delay_alu instid0(VALU_DEP_1)
	v_fmac_f64_e32 v[142:143], v[112:113], v[126:127]
	ds_load_2addr_b64 v[120:123], v2 offset0:103 offset1:104
	ds_load_2addr_b64 v[124:127], v2 offset0:105 offset1:106
	s_wait_dscnt 0x1
	v_fmac_f64_e32 v[142:143], v[114:115], v[120:121]
	s_wait_loadcnt 0x1
	s_delay_alu instid0(VALU_DEP_1) | instskip(SKIP_1) | instid1(VALU_DEP_1)
	v_fmac_f64_e32 v[142:143], v[116:117], v[122:123]
	s_wait_dscnt 0x0
	v_fmac_f64_e32 v[142:143], v[118:119], v[124:125]
	s_wait_loadcnt 0x0
	s_delay_alu instid0(VALU_DEP_1) | instskip(NEXT) | instid1(VALU_DEP_1)
	v_fmac_f64_e32 v[142:143], v[134:135], v[126:127]
	v_add_f64_e64 v[2:3], v[110:111], -v[142:143]
	scratch_store_b64 off, v[2:3], off offset:288
	s_wait_xcnt 0x0
	v_cmpx_lt_u32_e32 35, v0
	s_cbranch_execz .LBB52_257
; %bb.256:
	scratch_load_b64 v[2:3], off, off offset:280
	v_mov_b64_e32 v[110:111], 0
	scratch_store_b64 off, v[110:111], off offset:280
	s_wait_loadcnt 0x0
	ds_store_b64 v1, v[2:3]
.LBB52_257:
	s_wait_xcnt 0x0
	s_or_b32 exec_lo, exec_lo, s0
	s_wait_storecnt_dscnt 0x0
	s_barrier_signal -1
	s_barrier_wait -1
	s_clause 0x5
	scratch_load_b128 v[110:113], off, off offset:280
	scratch_load_b128 v[114:117], off, off offset:296
	;; [unrolled: 1-line block ×6, first 2 shown]
	v_mov_b32_e32 v2, 0
	ds_load_b128 v[134:137], v2 offset:720
	ds_load_b128 v[138:141], v2 offset:736
	s_mov_b32 s0, exec_lo
	s_wait_loadcnt_dscnt 0x501
	v_fma_f64 v[142:143], v[112:113], v[134:135], 0
	s_wait_loadcnt 0x4
	s_delay_alu instid0(VALU_DEP_1) | instskip(SKIP_4) | instid1(VALU_DEP_1)
	v_fmac_f64_e32 v[142:143], v[114:115], v[136:137]
	scratch_load_b128 v[112:115], off, off offset:376
	s_wait_dscnt 0x0
	v_fmac_f64_e32 v[142:143], v[116:117], v[138:139]
	s_wait_loadcnt 0x4
	v_fmac_f64_e32 v[142:143], v[118:119], v[140:141]
	scratch_load_b128 v[116:119], off, off offset:392
	ds_load_b128 v[134:137], v2 offset:752
	ds_load_b128 v[138:141], v2 offset:768
	s_wait_dscnt 0x1
	v_fmac_f64_e32 v[142:143], v[120:121], v[134:135]
	s_wait_loadcnt 0x4
	s_delay_alu instid0(VALU_DEP_1) | instskip(SKIP_4) | instid1(VALU_DEP_1)
	v_fmac_f64_e32 v[142:143], v[122:123], v[136:137]
	scratch_load_b128 v[120:123], off, off offset:408
	s_wait_dscnt 0x0
	v_fmac_f64_e32 v[142:143], v[124:125], v[138:139]
	s_wait_loadcnt 0x4
	v_fmac_f64_e32 v[142:143], v[126:127], v[140:141]
	ds_load_b128 v[124:127], v2 offset:784
	ds_load_b128 v[134:137], v2 offset:800
	s_wait_dscnt 0x1
	v_fmac_f64_e32 v[142:143], v[128:129], v[124:125]
	s_wait_loadcnt 0x3
	s_delay_alu instid0(VALU_DEP_1)
	v_fmac_f64_e32 v[142:143], v[130:131], v[126:127]
	ds_load_b128 v[124:127], v2 offset:816
	ds_load_b128 v[128:131], v2 offset:832
	s_wait_dscnt 0x2
	v_fmac_f64_e32 v[142:143], v[132:133], v[134:135]
	s_wait_loadcnt 0x2
	s_delay_alu instid0(VALU_DEP_1) | instskip(SKIP_4) | instid1(VALU_DEP_1)
	v_fmac_f64_e32 v[142:143], v[112:113], v[136:137]
	ds_load_b64 v[112:113], v2 offset:848
	s_wait_dscnt 0x2
	v_fmac_f64_e32 v[142:143], v[114:115], v[124:125]
	s_wait_loadcnt 0x1
	v_fmac_f64_e32 v[142:143], v[116:117], v[126:127]
	s_wait_dscnt 0x1
	s_delay_alu instid0(VALU_DEP_1) | instskip(SKIP_1) | instid1(VALU_DEP_1)
	v_fmac_f64_e32 v[142:143], v[118:119], v[128:129]
	s_wait_loadcnt 0x0
	v_fmac_f64_e32 v[142:143], v[120:121], v[130:131]
	s_wait_dscnt 0x0
	s_delay_alu instid0(VALU_DEP_1) | instskip(NEXT) | instid1(VALU_DEP_1)
	v_fmac_f64_e32 v[142:143], v[122:123], v[112:113]
	v_add_f64_e64 v[110:111], v[110:111], -v[142:143]
	scratch_store_b64 off, v[110:111], off offset:280
	s_wait_xcnt 0x0
	v_cmpx_lt_u32_e32 34, v0
	s_cbranch_execz .LBB52_259
; %bb.258:
	scratch_load_b64 v[110:111], off, off offset:272
	v_mov_b64_e32 v[112:113], 0
	scratch_store_b64 off, v[112:113], off offset:272
	s_wait_loadcnt 0x0
	ds_store_b64 v1, v[110:111]
.LBB52_259:
	s_wait_xcnt 0x0
	s_or_b32 exec_lo, exec_lo, s0
	s_wait_storecnt_dscnt 0x0
	s_barrier_signal -1
	s_barrier_wait -1
	s_clause 0x5
	scratch_load_b128 v[110:113], off, off offset:272
	scratch_load_b128 v[114:117], off, off offset:288
	;; [unrolled: 1-line block ×6, first 2 shown]
	ds_load_2addr_b64 v[134:137], v2 offset0:89 offset1:90
	ds_load_2addr_b64 v[138:141], v2 offset0:91 offset1:92
	s_mov_b32 s0, exec_lo
	s_wait_loadcnt_dscnt 0x501
	v_fma_f64 v[142:143], v[112:113], v[134:135], 0
	s_wait_loadcnt 0x4
	s_delay_alu instid0(VALU_DEP_1) | instskip(SKIP_4) | instid1(VALU_DEP_1)
	v_fmac_f64_e32 v[142:143], v[114:115], v[136:137]
	scratch_load_b128 v[112:115], off, off offset:368
	s_wait_dscnt 0x0
	v_fmac_f64_e32 v[142:143], v[116:117], v[138:139]
	s_wait_loadcnt 0x4
	v_fmac_f64_e32 v[142:143], v[118:119], v[140:141]
	scratch_load_b128 v[116:119], off, off offset:384
	ds_load_2addr_b64 v[134:137], v2 offset0:93 offset1:94
	ds_load_2addr_b64 v[138:141], v2 offset0:95 offset1:96
	s_wait_dscnt 0x1
	v_fmac_f64_e32 v[142:143], v[120:121], v[134:135]
	s_wait_loadcnt 0x4
	s_delay_alu instid0(VALU_DEP_1)
	v_fmac_f64_e32 v[142:143], v[122:123], v[136:137]
	scratch_load_b128 v[120:123], off, off offset:400
	s_wait_dscnt 0x0
	v_fmac_f64_e32 v[142:143], v[124:125], v[138:139]
	scratch_load_b64 v[138:139], off, off offset:416
	s_wait_loadcnt 0x5
	v_fmac_f64_e32 v[142:143], v[126:127], v[140:141]
	ds_load_2addr_b64 v[124:127], v2 offset0:97 offset1:98
	ds_load_2addr_b64 v[134:137], v2 offset0:99 offset1:100
	s_wait_dscnt 0x1
	v_fmac_f64_e32 v[142:143], v[128:129], v[124:125]
	s_wait_loadcnt 0x4
	s_delay_alu instid0(VALU_DEP_1)
	v_fmac_f64_e32 v[142:143], v[130:131], v[126:127]
	ds_load_2addr_b64 v[124:127], v2 offset0:101 offset1:102
	ds_load_2addr_b64 v[128:131], v2 offset0:103 offset1:104
	s_wait_dscnt 0x2
	v_fmac_f64_e32 v[142:143], v[132:133], v[134:135]
	s_wait_loadcnt 0x3
	s_delay_alu instid0(VALU_DEP_1) | instskip(SKIP_1) | instid1(VALU_DEP_1)
	v_fmac_f64_e32 v[142:143], v[112:113], v[136:137]
	s_wait_dscnt 0x1
	v_fmac_f64_e32 v[142:143], v[114:115], v[124:125]
	ds_load_2addr_b64 v[112:115], v2 offset0:105 offset1:106
	s_wait_loadcnt 0x2
	v_fmac_f64_e32 v[142:143], v[116:117], v[126:127]
	s_wait_dscnt 0x1
	s_delay_alu instid0(VALU_DEP_1) | instskip(SKIP_1) | instid1(VALU_DEP_1)
	v_fmac_f64_e32 v[142:143], v[118:119], v[128:129]
	s_wait_loadcnt 0x1
	v_fmac_f64_e32 v[142:143], v[120:121], v[130:131]
	s_wait_dscnt 0x0
	s_delay_alu instid0(VALU_DEP_1) | instskip(SKIP_1) | instid1(VALU_DEP_1)
	v_fmac_f64_e32 v[142:143], v[122:123], v[112:113]
	s_wait_loadcnt 0x0
	v_fmac_f64_e32 v[142:143], v[138:139], v[114:115]
	s_delay_alu instid0(VALU_DEP_1)
	v_add_f64_e64 v[2:3], v[110:111], -v[142:143]
	scratch_store_b64 off, v[2:3], off offset:272
	s_wait_xcnt 0x0
	v_cmpx_lt_u32_e32 33, v0
	s_cbranch_execz .LBB52_261
; %bb.260:
	scratch_load_b64 v[2:3], off, off offset:264
	v_mov_b64_e32 v[110:111], 0
	scratch_store_b64 off, v[110:111], off offset:264
	s_wait_loadcnt 0x0
	ds_store_b64 v1, v[2:3]
.LBB52_261:
	s_wait_xcnt 0x0
	s_or_b32 exec_lo, exec_lo, s0
	s_wait_storecnt_dscnt 0x0
	s_barrier_signal -1
	s_barrier_wait -1
	s_clause 0x5
	scratch_load_b128 v[110:113], off, off offset:264
	scratch_load_b128 v[114:117], off, off offset:280
	;; [unrolled: 1-line block ×6, first 2 shown]
	v_mov_b32_e32 v2, 0
	ds_load_b128 v[134:137], v2 offset:704
	ds_load_b128 v[138:141], v2 offset:720
	s_mov_b32 s0, exec_lo
	s_wait_loadcnt_dscnt 0x501
	v_fma_f64 v[142:143], v[112:113], v[134:135], 0
	s_wait_loadcnt 0x4
	s_delay_alu instid0(VALU_DEP_1) | instskip(SKIP_4) | instid1(VALU_DEP_1)
	v_fmac_f64_e32 v[142:143], v[114:115], v[136:137]
	scratch_load_b128 v[112:115], off, off offset:360
	s_wait_dscnt 0x0
	v_fmac_f64_e32 v[142:143], v[116:117], v[138:139]
	s_wait_loadcnt 0x4
	v_fmac_f64_e32 v[142:143], v[118:119], v[140:141]
	scratch_load_b128 v[116:119], off, off offset:376
	ds_load_b128 v[134:137], v2 offset:736
	ds_load_b128 v[138:141], v2 offset:752
	s_wait_dscnt 0x1
	v_fmac_f64_e32 v[142:143], v[120:121], v[134:135]
	s_wait_loadcnt 0x4
	s_delay_alu instid0(VALU_DEP_1) | instskip(SKIP_4) | instid1(VALU_DEP_1)
	v_fmac_f64_e32 v[142:143], v[122:123], v[136:137]
	scratch_load_b128 v[120:123], off, off offset:392
	s_wait_dscnt 0x0
	v_fmac_f64_e32 v[142:143], v[124:125], v[138:139]
	s_wait_loadcnt 0x4
	v_fmac_f64_e32 v[142:143], v[126:127], v[140:141]
	scratch_load_b128 v[124:127], off, off offset:408
	ds_load_b128 v[134:137], v2 offset:768
	ds_load_b128 v[138:141], v2 offset:784
	s_wait_dscnt 0x1
	v_fmac_f64_e32 v[142:143], v[128:129], v[134:135]
	s_wait_loadcnt 0x4
	s_delay_alu instid0(VALU_DEP_1) | instskip(SKIP_1) | instid1(VALU_DEP_1)
	v_fmac_f64_e32 v[142:143], v[130:131], v[136:137]
	s_wait_dscnt 0x0
	v_fmac_f64_e32 v[142:143], v[132:133], v[138:139]
	ds_load_b128 v[128:131], v2 offset:800
	ds_load_b128 v[132:135], v2 offset:816
	s_wait_loadcnt 0x3
	v_fmac_f64_e32 v[142:143], v[112:113], v[140:141]
	s_wait_dscnt 0x1
	s_delay_alu instid0(VALU_DEP_1) | instskip(SKIP_1) | instid1(VALU_DEP_1)
	v_fmac_f64_e32 v[142:143], v[114:115], v[128:129]
	s_wait_loadcnt 0x2
	v_fmac_f64_e32 v[142:143], v[116:117], v[130:131]
	ds_load_b128 v[112:115], v2 offset:832
	ds_load_b64 v[116:117], v2 offset:848
	s_wait_dscnt 0x2
	v_fmac_f64_e32 v[142:143], v[118:119], v[132:133]
	s_wait_loadcnt 0x1
	s_delay_alu instid0(VALU_DEP_1) | instskip(SKIP_1) | instid1(VALU_DEP_1)
	v_fmac_f64_e32 v[142:143], v[120:121], v[134:135]
	s_wait_dscnt 0x1
	v_fmac_f64_e32 v[142:143], v[122:123], v[112:113]
	s_wait_loadcnt 0x0
	s_delay_alu instid0(VALU_DEP_1) | instskip(SKIP_1) | instid1(VALU_DEP_1)
	v_fmac_f64_e32 v[142:143], v[124:125], v[114:115]
	s_wait_dscnt 0x0
	v_fmac_f64_e32 v[142:143], v[126:127], v[116:117]
	s_delay_alu instid0(VALU_DEP_1)
	v_add_f64_e64 v[110:111], v[110:111], -v[142:143]
	scratch_store_b64 off, v[110:111], off offset:264
	s_wait_xcnt 0x0
	v_cmpx_lt_u32_e32 32, v0
	s_cbranch_execz .LBB52_263
; %bb.262:
	scratch_load_b64 v[110:111], off, off offset:256
	v_mov_b64_e32 v[112:113], 0
	scratch_store_b64 off, v[112:113], off offset:256
	s_wait_loadcnt 0x0
	ds_store_b64 v1, v[110:111]
.LBB52_263:
	s_wait_xcnt 0x0
	s_or_b32 exec_lo, exec_lo, s0
	s_wait_storecnt_dscnt 0x0
	s_barrier_signal -1
	s_barrier_wait -1
	s_clause 0x5
	scratch_load_b128 v[110:113], off, off offset:256
	scratch_load_b128 v[114:117], off, off offset:272
	;; [unrolled: 1-line block ×6, first 2 shown]
	ds_load_2addr_b64 v[134:137], v2 offset0:87 offset1:88
	ds_load_2addr_b64 v[138:141], v2 offset0:89 offset1:90
	s_mov_b32 s0, exec_lo
	s_wait_loadcnt_dscnt 0x501
	v_fma_f64 v[142:143], v[112:113], v[134:135], 0
	s_wait_loadcnt 0x4
	s_delay_alu instid0(VALU_DEP_1) | instskip(SKIP_4) | instid1(VALU_DEP_1)
	v_fmac_f64_e32 v[142:143], v[114:115], v[136:137]
	scratch_load_b128 v[112:115], off, off offset:352
	s_wait_dscnt 0x0
	v_fmac_f64_e32 v[142:143], v[116:117], v[138:139]
	s_wait_loadcnt 0x4
	v_fmac_f64_e32 v[142:143], v[118:119], v[140:141]
	scratch_load_b128 v[116:119], off, off offset:368
	ds_load_2addr_b64 v[134:137], v2 offset0:91 offset1:92
	ds_load_2addr_b64 v[138:141], v2 offset0:93 offset1:94
	s_wait_dscnt 0x1
	v_fmac_f64_e32 v[142:143], v[120:121], v[134:135]
	s_wait_loadcnt 0x4
	s_delay_alu instid0(VALU_DEP_1) | instskip(SKIP_4) | instid1(VALU_DEP_1)
	v_fmac_f64_e32 v[142:143], v[122:123], v[136:137]
	scratch_load_b128 v[120:123], off, off offset:384
	s_wait_dscnt 0x0
	v_fmac_f64_e32 v[142:143], v[124:125], v[138:139]
	s_wait_loadcnt 0x4
	v_fmac_f64_e32 v[142:143], v[126:127], v[140:141]
	scratch_load_b128 v[124:127], off, off offset:400
	ds_load_2addr_b64 v[134:137], v2 offset0:95 offset1:96
	ds_load_2addr_b64 v[138:141], v2 offset0:97 offset1:98
	s_wait_dscnt 0x1
	v_fmac_f64_e32 v[142:143], v[128:129], v[134:135]
	s_wait_loadcnt 0x4
	s_delay_alu instid0(VALU_DEP_1)
	v_fmac_f64_e32 v[142:143], v[130:131], v[136:137]
	scratch_load_b64 v[136:137], off, off offset:416
	s_wait_dscnt 0x0
	v_fmac_f64_e32 v[142:143], v[132:133], v[138:139]
	ds_load_2addr_b64 v[128:131], v2 offset0:99 offset1:100
	ds_load_2addr_b64 v[132:135], v2 offset0:101 offset1:102
	s_wait_loadcnt 0x4
	v_fmac_f64_e32 v[142:143], v[112:113], v[140:141]
	s_wait_dscnt 0x1
	s_delay_alu instid0(VALU_DEP_1) | instskip(SKIP_1) | instid1(VALU_DEP_1)
	v_fmac_f64_e32 v[142:143], v[114:115], v[128:129]
	s_wait_loadcnt 0x3
	v_fmac_f64_e32 v[142:143], v[116:117], v[130:131]
	s_wait_dscnt 0x0
	s_delay_alu instid0(VALU_DEP_1)
	v_fmac_f64_e32 v[142:143], v[118:119], v[132:133]
	ds_load_2addr_b64 v[112:115], v2 offset0:103 offset1:104
	ds_load_2addr_b64 v[116:119], v2 offset0:105 offset1:106
	s_wait_loadcnt 0x2
	v_fmac_f64_e32 v[142:143], v[120:121], v[134:135]
	s_wait_dscnt 0x1
	s_delay_alu instid0(VALU_DEP_1) | instskip(SKIP_1) | instid1(VALU_DEP_1)
	v_fmac_f64_e32 v[142:143], v[122:123], v[112:113]
	s_wait_loadcnt 0x1
	v_fmac_f64_e32 v[142:143], v[124:125], v[114:115]
	s_wait_dscnt 0x0
	s_delay_alu instid0(VALU_DEP_1) | instskip(SKIP_1) | instid1(VALU_DEP_1)
	v_fmac_f64_e32 v[142:143], v[126:127], v[116:117]
	s_wait_loadcnt 0x0
	v_fmac_f64_e32 v[142:143], v[136:137], v[118:119]
	s_delay_alu instid0(VALU_DEP_1)
	v_add_f64_e64 v[2:3], v[110:111], -v[142:143]
	scratch_store_b64 off, v[2:3], off offset:256
	s_wait_xcnt 0x0
	v_cmpx_lt_u32_e32 31, v0
	s_cbranch_execz .LBB52_265
; %bb.264:
	scratch_load_b64 v[2:3], off, off offset:248
	v_mov_b64_e32 v[110:111], 0
	scratch_store_b64 off, v[110:111], off offset:248
	s_wait_loadcnt 0x0
	ds_store_b64 v1, v[2:3]
.LBB52_265:
	s_wait_xcnt 0x0
	s_or_b32 exec_lo, exec_lo, s0
	s_wait_storecnt_dscnt 0x0
	s_barrier_signal -1
	s_barrier_wait -1
	s_clause 0x5
	scratch_load_b128 v[110:113], off, off offset:248
	scratch_load_b128 v[114:117], off, off offset:264
	;; [unrolled: 1-line block ×6, first 2 shown]
	v_mov_b32_e32 v2, 0
	ds_load_b128 v[134:137], v2 offset:688
	ds_load_b128 v[138:141], v2 offset:704
	s_mov_b32 s0, exec_lo
	s_wait_loadcnt_dscnt 0x501
	v_fma_f64 v[142:143], v[112:113], v[134:135], 0
	s_wait_loadcnt 0x4
	s_delay_alu instid0(VALU_DEP_1) | instskip(SKIP_4) | instid1(VALU_DEP_1)
	v_fmac_f64_e32 v[142:143], v[114:115], v[136:137]
	scratch_load_b128 v[112:115], off, off offset:344
	s_wait_dscnt 0x0
	v_fmac_f64_e32 v[142:143], v[116:117], v[138:139]
	s_wait_loadcnt 0x4
	v_fmac_f64_e32 v[142:143], v[118:119], v[140:141]
	scratch_load_b128 v[116:119], off, off offset:360
	ds_load_b128 v[134:137], v2 offset:720
	ds_load_b128 v[138:141], v2 offset:736
	s_wait_dscnt 0x1
	v_fmac_f64_e32 v[142:143], v[120:121], v[134:135]
	s_wait_loadcnt 0x4
	s_delay_alu instid0(VALU_DEP_1) | instskip(SKIP_4) | instid1(VALU_DEP_1)
	v_fmac_f64_e32 v[142:143], v[122:123], v[136:137]
	scratch_load_b128 v[120:123], off, off offset:376
	s_wait_dscnt 0x0
	v_fmac_f64_e32 v[142:143], v[124:125], v[138:139]
	s_wait_loadcnt 0x4
	v_fmac_f64_e32 v[142:143], v[126:127], v[140:141]
	scratch_load_b128 v[124:127], off, off offset:392
	ds_load_b128 v[134:137], v2 offset:752
	ds_load_b128 v[138:141], v2 offset:768
	s_wait_dscnt 0x1
	v_fmac_f64_e32 v[142:143], v[128:129], v[134:135]
	s_wait_loadcnt 0x4
	s_delay_alu instid0(VALU_DEP_1)
	v_fmac_f64_e32 v[142:143], v[130:131], v[136:137]
	scratch_load_b128 v[128:131], off, off offset:408
	s_wait_dscnt 0x0
	v_fmac_f64_e32 v[142:143], v[132:133], v[138:139]
	ds_load_b128 v[132:135], v2 offset:784
	ds_load_b128 v[136:139], v2 offset:800
	s_wait_loadcnt 0x4
	v_fmac_f64_e32 v[142:143], v[112:113], v[140:141]
	s_wait_dscnt 0x1
	s_delay_alu instid0(VALU_DEP_1) | instskip(SKIP_1) | instid1(VALU_DEP_1)
	v_fmac_f64_e32 v[142:143], v[114:115], v[132:133]
	s_wait_loadcnt 0x3
	v_fmac_f64_e32 v[142:143], v[116:117], v[134:135]
	s_wait_dscnt 0x0
	s_delay_alu instid0(VALU_DEP_1)
	v_fmac_f64_e32 v[142:143], v[118:119], v[136:137]
	ds_load_b128 v[112:115], v2 offset:816
	ds_load_b128 v[116:119], v2 offset:832
	s_wait_loadcnt 0x2
	v_fmac_f64_e32 v[142:143], v[120:121], v[138:139]
	s_wait_dscnt 0x1
	s_delay_alu instid0(VALU_DEP_1) | instskip(SKIP_4) | instid1(VALU_DEP_1)
	v_fmac_f64_e32 v[142:143], v[122:123], v[112:113]
	ds_load_b64 v[112:113], v2 offset:848
	s_wait_loadcnt 0x1
	v_fmac_f64_e32 v[142:143], v[124:125], v[114:115]
	s_wait_dscnt 0x1
	v_fmac_f64_e32 v[142:143], v[126:127], v[116:117]
	s_wait_loadcnt 0x0
	s_delay_alu instid0(VALU_DEP_1) | instskip(SKIP_1) | instid1(VALU_DEP_1)
	v_fmac_f64_e32 v[142:143], v[128:129], v[118:119]
	s_wait_dscnt 0x0
	v_fmac_f64_e32 v[142:143], v[130:131], v[112:113]
	s_delay_alu instid0(VALU_DEP_1)
	v_add_f64_e64 v[110:111], v[110:111], -v[142:143]
	scratch_store_b64 off, v[110:111], off offset:248
	s_wait_xcnt 0x0
	v_cmpx_lt_u32_e32 30, v0
	s_cbranch_execz .LBB52_267
; %bb.266:
	scratch_load_b64 v[110:111], off, off offset:240
	v_mov_b64_e32 v[112:113], 0
	scratch_store_b64 off, v[112:113], off offset:240
	s_wait_loadcnt 0x0
	ds_store_b64 v1, v[110:111]
.LBB52_267:
	s_wait_xcnt 0x0
	s_or_b32 exec_lo, exec_lo, s0
	s_wait_storecnt_dscnt 0x0
	s_barrier_signal -1
	s_barrier_wait -1
	s_clause 0x5
	scratch_load_b128 v[110:113], off, off offset:240
	scratch_load_b128 v[114:117], off, off offset:256
	;; [unrolled: 1-line block ×6, first 2 shown]
	ds_load_2addr_b64 v[134:137], v2 offset0:85 offset1:86
	ds_load_2addr_b64 v[138:141], v2 offset0:87 offset1:88
	scratch_load_b128 v[142:145], off, off offset:336
	s_mov_b32 s0, exec_lo
	s_wait_loadcnt_dscnt 0x601
	v_fma_f64 v[146:147], v[112:113], v[134:135], 0
	s_wait_loadcnt 0x5
	s_delay_alu instid0(VALU_DEP_1) | instskip(SKIP_4) | instid1(VALU_DEP_1)
	v_fmac_f64_e32 v[146:147], v[114:115], v[136:137]
	scratch_load_b128 v[112:115], off, off offset:352
	s_wait_dscnt 0x0
	v_fmac_f64_e32 v[146:147], v[116:117], v[138:139]
	s_wait_loadcnt 0x5
	v_fmac_f64_e32 v[146:147], v[118:119], v[140:141]
	ds_load_2addr_b64 v[116:119], v2 offset0:89 offset1:90
	ds_load_2addr_b64 v[134:137], v2 offset0:91 offset1:92
	s_wait_dscnt 0x1
	v_fmac_f64_e32 v[146:147], v[120:121], v[116:117]
	s_wait_loadcnt 0x4
	s_delay_alu instid0(VALU_DEP_1)
	v_fmac_f64_e32 v[146:147], v[122:123], v[118:119]
	s_clause 0x1
	scratch_load_b128 v[116:119], off, off offset:368
	scratch_load_b128 v[120:123], off, off offset:384
	s_wait_dscnt 0x0
	v_fmac_f64_e32 v[146:147], v[124:125], v[134:135]
	s_wait_loadcnt 0x5
	s_delay_alu instid0(VALU_DEP_1)
	v_fmac_f64_e32 v[146:147], v[126:127], v[136:137]
	ds_load_2addr_b64 v[124:127], v2 offset0:93 offset1:94
	ds_load_2addr_b64 v[134:137], v2 offset0:95 offset1:96
	s_wait_dscnt 0x1
	v_fmac_f64_e32 v[146:147], v[128:129], v[124:125]
	s_wait_loadcnt 0x4
	s_delay_alu instid0(VALU_DEP_1) | instskip(SKIP_4) | instid1(VALU_DEP_1)
	v_fmac_f64_e32 v[146:147], v[130:131], v[126:127]
	scratch_load_b128 v[124:127], off, off offset:400
	s_wait_dscnt 0x0
	v_fmac_f64_e32 v[146:147], v[132:133], v[134:135]
	s_wait_loadcnt 0x4
	v_fmac_f64_e32 v[146:147], v[142:143], v[136:137]
	scratch_load_b64 v[136:137], off, off offset:416
	ds_load_2addr_b64 v[128:131], v2 offset0:97 offset1:98
	ds_load_2addr_b64 v[132:135], v2 offset0:99 offset1:100
	s_wait_dscnt 0x1
	v_fmac_f64_e32 v[146:147], v[144:145], v[128:129]
	s_wait_loadcnt 0x4
	s_delay_alu instid0(VALU_DEP_1) | instskip(SKIP_1) | instid1(VALU_DEP_1)
	v_fmac_f64_e32 v[146:147], v[112:113], v[130:131]
	s_wait_dscnt 0x0
	v_fmac_f64_e32 v[146:147], v[114:115], v[132:133]
	ds_load_2addr_b64 v[112:115], v2 offset0:101 offset1:102
	ds_load_2addr_b64 v[128:131], v2 offset0:103 offset1:104
	s_wait_loadcnt 0x3
	v_fmac_f64_e32 v[146:147], v[116:117], v[134:135]
	s_wait_dscnt 0x1
	s_delay_alu instid0(VALU_DEP_1) | instskip(SKIP_1) | instid1(VALU_DEP_1)
	v_fmac_f64_e32 v[146:147], v[118:119], v[112:113]
	s_wait_loadcnt 0x2
	v_fmac_f64_e32 v[146:147], v[120:121], v[114:115]
	ds_load_2addr_b64 v[112:115], v2 offset0:105 offset1:106
	s_wait_dscnt 0x1
	v_fmac_f64_e32 v[146:147], v[122:123], v[128:129]
	s_wait_loadcnt 0x1
	s_delay_alu instid0(VALU_DEP_1) | instskip(SKIP_1) | instid1(VALU_DEP_1)
	v_fmac_f64_e32 v[146:147], v[124:125], v[130:131]
	s_wait_dscnt 0x0
	v_fmac_f64_e32 v[146:147], v[126:127], v[112:113]
	s_wait_loadcnt 0x0
	s_delay_alu instid0(VALU_DEP_1) | instskip(NEXT) | instid1(VALU_DEP_1)
	v_fmac_f64_e32 v[146:147], v[136:137], v[114:115]
	v_add_f64_e64 v[2:3], v[110:111], -v[146:147]
	scratch_store_b64 off, v[2:3], off offset:240
	s_wait_xcnt 0x0
	v_cmpx_lt_u32_e32 29, v0
	s_cbranch_execz .LBB52_269
; %bb.268:
	scratch_load_b64 v[2:3], off, off offset:232
	v_mov_b64_e32 v[110:111], 0
	scratch_store_b64 off, v[110:111], off offset:232
	s_wait_loadcnt 0x0
	ds_store_b64 v1, v[2:3]
.LBB52_269:
	s_wait_xcnt 0x0
	s_or_b32 exec_lo, exec_lo, s0
	s_wait_storecnt_dscnt 0x0
	s_barrier_signal -1
	s_barrier_wait -1
	s_clause 0x5
	scratch_load_b128 v[110:113], off, off offset:232
	scratch_load_b128 v[114:117], off, off offset:248
	;; [unrolled: 1-line block ×6, first 2 shown]
	v_mov_b32_e32 v2, 0
	ds_load_b128 v[134:137], v2 offset:672
	ds_load_b128 v[138:141], v2 offset:688
	scratch_load_b128 v[142:145], off, off offset:328
	s_mov_b32 s0, exec_lo
	s_wait_loadcnt_dscnt 0x601
	v_fma_f64 v[146:147], v[112:113], v[134:135], 0
	s_wait_loadcnt 0x5
	s_delay_alu instid0(VALU_DEP_1) | instskip(SKIP_4) | instid1(VALU_DEP_1)
	v_fmac_f64_e32 v[146:147], v[114:115], v[136:137]
	scratch_load_b128 v[112:115], off, off offset:344
	s_wait_dscnt 0x0
	v_fmac_f64_e32 v[146:147], v[116:117], v[138:139]
	s_wait_loadcnt 0x5
	v_fmac_f64_e32 v[146:147], v[118:119], v[140:141]
	ds_load_b128 v[116:119], v2 offset:704
	ds_load_b128 v[134:137], v2 offset:720
	s_wait_dscnt 0x1
	v_fmac_f64_e32 v[146:147], v[120:121], v[116:117]
	s_wait_loadcnt 0x4
	s_delay_alu instid0(VALU_DEP_1)
	v_fmac_f64_e32 v[146:147], v[122:123], v[118:119]
	s_clause 0x1
	scratch_load_b128 v[116:119], off, off offset:360
	scratch_load_b128 v[120:123], off, off offset:376
	s_wait_dscnt 0x0
	v_fmac_f64_e32 v[146:147], v[124:125], v[134:135]
	s_wait_loadcnt 0x5
	s_delay_alu instid0(VALU_DEP_1)
	v_fmac_f64_e32 v[146:147], v[126:127], v[136:137]
	ds_load_b128 v[124:127], v2 offset:736
	ds_load_b128 v[134:137], v2 offset:752
	s_wait_dscnt 0x1
	v_fmac_f64_e32 v[146:147], v[128:129], v[124:125]
	s_wait_loadcnt 0x4
	s_delay_alu instid0(VALU_DEP_1)
	v_fmac_f64_e32 v[146:147], v[130:131], v[126:127]
	s_clause 0x1
	scratch_load_b128 v[124:127], off, off offset:392
	scratch_load_b128 v[128:131], off, off offset:408
	s_wait_dscnt 0x0
	v_fmac_f64_e32 v[146:147], v[132:133], v[134:135]
	s_wait_loadcnt 0x5
	s_delay_alu instid0(VALU_DEP_1)
	v_fmac_f64_e32 v[146:147], v[142:143], v[136:137]
	ds_load_b128 v[132:135], v2 offset:768
	ds_load_b128 v[136:139], v2 offset:784
	s_wait_dscnt 0x1
	v_fmac_f64_e32 v[146:147], v[144:145], v[132:133]
	s_wait_loadcnt 0x4
	s_delay_alu instid0(VALU_DEP_1) | instskip(SKIP_1) | instid1(VALU_DEP_1)
	v_fmac_f64_e32 v[146:147], v[112:113], v[134:135]
	s_wait_dscnt 0x0
	v_fmac_f64_e32 v[146:147], v[114:115], v[136:137]
	ds_load_b128 v[112:115], v2 offset:800
	ds_load_b128 v[132:135], v2 offset:816
	s_wait_loadcnt 0x3
	v_fmac_f64_e32 v[146:147], v[116:117], v[138:139]
	s_wait_dscnt 0x1
	s_delay_alu instid0(VALU_DEP_1) | instskip(SKIP_1) | instid1(VALU_DEP_1)
	v_fmac_f64_e32 v[146:147], v[118:119], v[112:113]
	s_wait_loadcnt 0x2
	v_fmac_f64_e32 v[146:147], v[120:121], v[114:115]
	ds_load_b128 v[112:115], v2 offset:832
	ds_load_b64 v[116:117], v2 offset:848
	s_wait_dscnt 0x2
	v_fmac_f64_e32 v[146:147], v[122:123], v[132:133]
	s_wait_loadcnt 0x1
	s_delay_alu instid0(VALU_DEP_1) | instskip(SKIP_1) | instid1(VALU_DEP_1)
	v_fmac_f64_e32 v[146:147], v[124:125], v[134:135]
	s_wait_dscnt 0x1
	v_fmac_f64_e32 v[146:147], v[126:127], v[112:113]
	s_wait_loadcnt 0x0
	s_delay_alu instid0(VALU_DEP_1) | instskip(SKIP_1) | instid1(VALU_DEP_1)
	v_fmac_f64_e32 v[146:147], v[128:129], v[114:115]
	s_wait_dscnt 0x0
	v_fmac_f64_e32 v[146:147], v[130:131], v[116:117]
	s_delay_alu instid0(VALU_DEP_1)
	v_add_f64_e64 v[110:111], v[110:111], -v[146:147]
	scratch_store_b64 off, v[110:111], off offset:232
	s_wait_xcnt 0x0
	v_cmpx_lt_u32_e32 28, v0
	s_cbranch_execz .LBB52_271
; %bb.270:
	scratch_load_b64 v[110:111], off, off offset:224
	v_mov_b64_e32 v[112:113], 0
	scratch_store_b64 off, v[112:113], off offset:224
	s_wait_loadcnt 0x0
	ds_store_b64 v1, v[110:111]
.LBB52_271:
	s_wait_xcnt 0x0
	s_or_b32 exec_lo, exec_lo, s0
	s_wait_storecnt_dscnt 0x0
	s_barrier_signal -1
	s_barrier_wait -1
	s_clause 0x5
	scratch_load_b128 v[110:113], off, off offset:224
	scratch_load_b128 v[114:117], off, off offset:240
	;; [unrolled: 1-line block ×6, first 2 shown]
	ds_load_2addr_b64 v[134:137], v2 offset0:83 offset1:84
	ds_load_2addr_b64 v[138:141], v2 offset0:85 offset1:86
	scratch_load_b128 v[142:145], off, off offset:320
	s_mov_b32 s0, exec_lo
	s_wait_loadcnt_dscnt 0x601
	v_fma_f64 v[146:147], v[112:113], v[134:135], 0
	s_wait_loadcnt 0x5
	s_delay_alu instid0(VALU_DEP_1) | instskip(SKIP_4) | instid1(VALU_DEP_1)
	v_fmac_f64_e32 v[146:147], v[114:115], v[136:137]
	scratch_load_b128 v[112:115], off, off offset:336
	s_wait_dscnt 0x0
	v_fmac_f64_e32 v[146:147], v[116:117], v[138:139]
	s_wait_loadcnt 0x5
	v_fmac_f64_e32 v[146:147], v[118:119], v[140:141]
	ds_load_2addr_b64 v[116:119], v2 offset0:87 offset1:88
	ds_load_2addr_b64 v[134:137], v2 offset0:89 offset1:90
	s_wait_dscnt 0x1
	v_fmac_f64_e32 v[146:147], v[120:121], v[116:117]
	s_wait_loadcnt 0x4
	s_delay_alu instid0(VALU_DEP_1)
	v_fmac_f64_e32 v[146:147], v[122:123], v[118:119]
	s_clause 0x1
	scratch_load_b128 v[116:119], off, off offset:352
	scratch_load_b128 v[120:123], off, off offset:368
	s_wait_dscnt 0x0
	v_fmac_f64_e32 v[146:147], v[124:125], v[134:135]
	s_wait_loadcnt 0x5
	s_delay_alu instid0(VALU_DEP_1)
	v_fmac_f64_e32 v[146:147], v[126:127], v[136:137]
	ds_load_2addr_b64 v[124:127], v2 offset0:91 offset1:92
	ds_load_2addr_b64 v[134:137], v2 offset0:93 offset1:94
	s_wait_dscnt 0x1
	v_fmac_f64_e32 v[146:147], v[128:129], v[124:125]
	s_wait_loadcnt 0x4
	s_delay_alu instid0(VALU_DEP_1)
	v_fmac_f64_e32 v[146:147], v[130:131], v[126:127]
	s_clause 0x1
	scratch_load_b128 v[124:127], off, off offset:384
	scratch_load_b128 v[128:131], off, off offset:400
	s_wait_dscnt 0x0
	v_fmac_f64_e32 v[146:147], v[132:133], v[134:135]
	s_wait_loadcnt 0x5
	s_delay_alu instid0(VALU_DEP_1)
	v_fmac_f64_e32 v[146:147], v[142:143], v[136:137]
	ds_load_2addr_b64 v[132:135], v2 offset0:95 offset1:96
	ds_load_2addr_b64 v[136:139], v2 offset0:97 offset1:98
	scratch_load_b64 v[140:141], off, off offset:416
	s_wait_dscnt 0x1
	v_fmac_f64_e32 v[146:147], v[144:145], v[132:133]
	s_wait_loadcnt 0x5
	s_delay_alu instid0(VALU_DEP_1) | instskip(SKIP_1) | instid1(VALU_DEP_1)
	v_fmac_f64_e32 v[146:147], v[112:113], v[134:135]
	s_wait_dscnt 0x0
	v_fmac_f64_e32 v[146:147], v[114:115], v[136:137]
	ds_load_2addr_b64 v[112:115], v2 offset0:99 offset1:100
	ds_load_2addr_b64 v[132:135], v2 offset0:101 offset1:102
	s_wait_loadcnt 0x4
	v_fmac_f64_e32 v[146:147], v[116:117], v[138:139]
	s_wait_dscnt 0x1
	s_delay_alu instid0(VALU_DEP_1) | instskip(SKIP_1) | instid1(VALU_DEP_1)
	v_fmac_f64_e32 v[146:147], v[118:119], v[112:113]
	s_wait_loadcnt 0x3
	v_fmac_f64_e32 v[146:147], v[120:121], v[114:115]
	ds_load_2addr_b64 v[112:115], v2 offset0:103 offset1:104
	ds_load_2addr_b64 v[116:119], v2 offset0:105 offset1:106
	s_wait_dscnt 0x2
	v_fmac_f64_e32 v[146:147], v[122:123], v[132:133]
	s_wait_loadcnt 0x2
	s_delay_alu instid0(VALU_DEP_1) | instskip(SKIP_1) | instid1(VALU_DEP_1)
	v_fmac_f64_e32 v[146:147], v[124:125], v[134:135]
	s_wait_dscnt 0x1
	v_fmac_f64_e32 v[146:147], v[126:127], v[112:113]
	s_wait_loadcnt 0x1
	s_delay_alu instid0(VALU_DEP_1) | instskip(SKIP_1) | instid1(VALU_DEP_1)
	v_fmac_f64_e32 v[146:147], v[128:129], v[114:115]
	s_wait_dscnt 0x0
	v_fmac_f64_e32 v[146:147], v[130:131], v[116:117]
	s_wait_loadcnt 0x0
	s_delay_alu instid0(VALU_DEP_1) | instskip(NEXT) | instid1(VALU_DEP_1)
	v_fmac_f64_e32 v[146:147], v[140:141], v[118:119]
	v_add_f64_e64 v[2:3], v[110:111], -v[146:147]
	scratch_store_b64 off, v[2:3], off offset:224
	s_wait_xcnt 0x0
	v_cmpx_lt_u32_e32 27, v0
	s_cbranch_execz .LBB52_273
; %bb.272:
	scratch_load_b64 v[2:3], off, off offset:216
	v_mov_b64_e32 v[110:111], 0
	scratch_store_b64 off, v[110:111], off offset:216
	s_wait_loadcnt 0x0
	ds_store_b64 v1, v[2:3]
.LBB52_273:
	s_wait_xcnt 0x0
	s_or_b32 exec_lo, exec_lo, s0
	s_wait_storecnt_dscnt 0x0
	s_barrier_signal -1
	s_barrier_wait -1
	s_clause 0x5
	scratch_load_b128 v[110:113], off, off offset:216
	scratch_load_b128 v[114:117], off, off offset:232
	;; [unrolled: 1-line block ×6, first 2 shown]
	v_mov_b32_e32 v2, 0
	ds_load_b128 v[134:137], v2 offset:656
	ds_load_b128 v[138:141], v2 offset:672
	scratch_load_b128 v[142:145], off, off offset:312
	s_mov_b32 s0, exec_lo
	s_wait_loadcnt_dscnt 0x601
	v_fma_f64 v[146:147], v[112:113], v[134:135], 0
	s_wait_loadcnt 0x5
	s_delay_alu instid0(VALU_DEP_1) | instskip(SKIP_4) | instid1(VALU_DEP_1)
	v_fmac_f64_e32 v[146:147], v[114:115], v[136:137]
	scratch_load_b128 v[112:115], off, off offset:328
	s_wait_dscnt 0x0
	v_fmac_f64_e32 v[146:147], v[116:117], v[138:139]
	s_wait_loadcnt 0x5
	v_fmac_f64_e32 v[146:147], v[118:119], v[140:141]
	ds_load_b128 v[116:119], v2 offset:688
	ds_load_b128 v[134:137], v2 offset:704
	s_wait_dscnt 0x1
	v_fmac_f64_e32 v[146:147], v[120:121], v[116:117]
	s_wait_loadcnt 0x4
	s_delay_alu instid0(VALU_DEP_1)
	v_fmac_f64_e32 v[146:147], v[122:123], v[118:119]
	s_clause 0x1
	scratch_load_b128 v[116:119], off, off offset:344
	scratch_load_b128 v[120:123], off, off offset:360
	s_wait_dscnt 0x0
	v_fmac_f64_e32 v[146:147], v[124:125], v[134:135]
	s_wait_loadcnt 0x5
	s_delay_alu instid0(VALU_DEP_1)
	v_fmac_f64_e32 v[146:147], v[126:127], v[136:137]
	ds_load_b128 v[124:127], v2 offset:720
	ds_load_b128 v[134:137], v2 offset:736
	s_wait_dscnt 0x1
	v_fmac_f64_e32 v[146:147], v[128:129], v[124:125]
	s_wait_loadcnt 0x4
	s_delay_alu instid0(VALU_DEP_1)
	v_fmac_f64_e32 v[146:147], v[130:131], v[126:127]
	s_clause 0x1
	scratch_load_b128 v[124:127], off, off offset:376
	scratch_load_b128 v[128:131], off, off offset:392
	s_wait_dscnt 0x0
	v_fmac_f64_e32 v[146:147], v[132:133], v[134:135]
	s_wait_loadcnt 0x5
	s_delay_alu instid0(VALU_DEP_1)
	v_fmac_f64_e32 v[146:147], v[142:143], v[136:137]
	ds_load_b128 v[132:135], v2 offset:752
	ds_load_b128 v[136:139], v2 offset:768
	s_wait_dscnt 0x1
	v_fmac_f64_e32 v[146:147], v[144:145], v[132:133]
	s_wait_loadcnt 0x4
	s_delay_alu instid0(VALU_DEP_1) | instskip(SKIP_4) | instid1(VALU_DEP_1)
	v_fmac_f64_e32 v[146:147], v[112:113], v[134:135]
	scratch_load_b128 v[132:135], off, off offset:408
	s_wait_dscnt 0x0
	v_fmac_f64_e32 v[146:147], v[114:115], v[136:137]
	s_wait_loadcnt 0x4
	v_fmac_f64_e32 v[146:147], v[116:117], v[138:139]
	ds_load_b128 v[112:115], v2 offset:784
	ds_load_b128 v[136:139], v2 offset:800
	s_wait_dscnt 0x1
	v_fmac_f64_e32 v[146:147], v[118:119], v[112:113]
	s_wait_loadcnt 0x3
	s_delay_alu instid0(VALU_DEP_1)
	v_fmac_f64_e32 v[146:147], v[120:121], v[114:115]
	ds_load_b128 v[112:115], v2 offset:816
	ds_load_b128 v[116:119], v2 offset:832
	s_wait_dscnt 0x2
	v_fmac_f64_e32 v[146:147], v[122:123], v[136:137]
	s_wait_loadcnt 0x2
	s_delay_alu instid0(VALU_DEP_1) | instskip(SKIP_1) | instid1(VALU_DEP_1)
	v_fmac_f64_e32 v[146:147], v[124:125], v[138:139]
	s_wait_dscnt 0x1
	v_fmac_f64_e32 v[146:147], v[126:127], v[112:113]
	ds_load_b64 v[112:113], v2 offset:848
	s_wait_loadcnt 0x1
	v_fmac_f64_e32 v[146:147], v[128:129], v[114:115]
	s_wait_dscnt 0x1
	s_delay_alu instid0(VALU_DEP_1) | instskip(SKIP_1) | instid1(VALU_DEP_1)
	v_fmac_f64_e32 v[146:147], v[130:131], v[116:117]
	s_wait_loadcnt 0x0
	v_fmac_f64_e32 v[146:147], v[132:133], v[118:119]
	s_wait_dscnt 0x0
	s_delay_alu instid0(VALU_DEP_1) | instskip(NEXT) | instid1(VALU_DEP_1)
	v_fmac_f64_e32 v[146:147], v[134:135], v[112:113]
	v_add_f64_e64 v[110:111], v[110:111], -v[146:147]
	scratch_store_b64 off, v[110:111], off offset:216
	s_wait_xcnt 0x0
	v_cmpx_lt_u32_e32 26, v0
	s_cbranch_execz .LBB52_275
; %bb.274:
	scratch_load_b64 v[110:111], off, off offset:208
	v_mov_b64_e32 v[112:113], 0
	scratch_store_b64 off, v[112:113], off offset:208
	s_wait_loadcnt 0x0
	ds_store_b64 v1, v[110:111]
.LBB52_275:
	s_wait_xcnt 0x0
	s_or_b32 exec_lo, exec_lo, s0
	s_wait_storecnt_dscnt 0x0
	s_barrier_signal -1
	s_barrier_wait -1
	s_clause 0x5
	scratch_load_b128 v[110:113], off, off offset:208
	scratch_load_b128 v[114:117], off, off offset:224
	;; [unrolled: 1-line block ×6, first 2 shown]
	ds_load_2addr_b64 v[134:137], v2 offset0:81 offset1:82
	ds_load_2addr_b64 v[138:141], v2 offset0:83 offset1:84
	scratch_load_b128 v[142:145], off, off offset:304
	s_mov_b32 s0, exec_lo
	s_wait_loadcnt_dscnt 0x601
	v_fma_f64 v[146:147], v[112:113], v[134:135], 0
	s_wait_loadcnt 0x5
	s_delay_alu instid0(VALU_DEP_1) | instskip(SKIP_4) | instid1(VALU_DEP_1)
	v_fmac_f64_e32 v[146:147], v[114:115], v[136:137]
	scratch_load_b128 v[112:115], off, off offset:320
	s_wait_dscnt 0x0
	v_fmac_f64_e32 v[146:147], v[116:117], v[138:139]
	s_wait_loadcnt 0x5
	v_fmac_f64_e32 v[146:147], v[118:119], v[140:141]
	ds_load_2addr_b64 v[116:119], v2 offset0:85 offset1:86
	ds_load_2addr_b64 v[134:137], v2 offset0:87 offset1:88
	scratch_load_b128 v[138:141], off, off offset:336
	s_wait_dscnt 0x1
	v_fmac_f64_e32 v[146:147], v[120:121], v[116:117]
	s_wait_loadcnt 0x5
	s_delay_alu instid0(VALU_DEP_1) | instskip(SKIP_4) | instid1(VALU_DEP_1)
	v_fmac_f64_e32 v[146:147], v[122:123], v[118:119]
	scratch_load_b128 v[116:119], off, off offset:352
	s_wait_dscnt 0x0
	v_fmac_f64_e32 v[146:147], v[124:125], v[134:135]
	s_wait_loadcnt 0x5
	v_fmac_f64_e32 v[146:147], v[126:127], v[136:137]
	ds_load_2addr_b64 v[120:123], v2 offset0:89 offset1:90
	ds_load_2addr_b64 v[124:127], v2 offset0:91 offset1:92
	s_wait_dscnt 0x1
	v_fmac_f64_e32 v[146:147], v[128:129], v[120:121]
	s_wait_loadcnt 0x4
	s_delay_alu instid0(VALU_DEP_1) | instskip(SKIP_4) | instid1(VALU_DEP_1)
	v_fmac_f64_e32 v[146:147], v[130:131], v[122:123]
	scratch_load_b128 v[120:123], off, off offset:368
	s_wait_dscnt 0x0
	v_fmac_f64_e32 v[146:147], v[132:133], v[124:125]
	s_wait_loadcnt 0x4
	v_fmac_f64_e32 v[146:147], v[142:143], v[126:127]
	scratch_load_b128 v[124:127], off, off offset:384
	ds_load_2addr_b64 v[128:131], v2 offset0:93 offset1:94
	ds_load_2addr_b64 v[132:135], v2 offset0:95 offset1:96
	scratch_load_b64 v[136:137], off, off offset:416
	s_wait_dscnt 0x1
	v_fmac_f64_e32 v[146:147], v[144:145], v[128:129]
	s_wait_loadcnt 0x5
	s_delay_alu instid0(VALU_DEP_1) | instskip(SKIP_4) | instid1(VALU_DEP_1)
	v_fmac_f64_e32 v[146:147], v[112:113], v[130:131]
	scratch_load_b128 v[128:131], off, off offset:400
	s_wait_dscnt 0x0
	v_fmac_f64_e32 v[146:147], v[114:115], v[132:133]
	s_wait_loadcnt 0x5
	v_fmac_f64_e32 v[146:147], v[138:139], v[134:135]
	ds_load_2addr_b64 v[112:115], v2 offset0:97 offset1:98
	ds_load_2addr_b64 v[132:135], v2 offset0:99 offset1:100
	s_wait_dscnt 0x1
	v_fmac_f64_e32 v[146:147], v[140:141], v[112:113]
	s_wait_loadcnt 0x4
	s_delay_alu instid0(VALU_DEP_1) | instskip(SKIP_1) | instid1(VALU_DEP_1)
	v_fmac_f64_e32 v[146:147], v[116:117], v[114:115]
	s_wait_dscnt 0x0
	v_fmac_f64_e32 v[146:147], v[118:119], v[132:133]
	ds_load_2addr_b64 v[112:115], v2 offset0:101 offset1:102
	ds_load_2addr_b64 v[116:119], v2 offset0:103 offset1:104
	s_wait_loadcnt 0x3
	v_fmac_f64_e32 v[146:147], v[120:121], v[134:135]
	s_wait_dscnt 0x1
	s_delay_alu instid0(VALU_DEP_1) | instskip(SKIP_1) | instid1(VALU_DEP_1)
	v_fmac_f64_e32 v[146:147], v[122:123], v[112:113]
	s_wait_loadcnt 0x2
	v_fmac_f64_e32 v[146:147], v[124:125], v[114:115]
	ds_load_2addr_b64 v[112:115], v2 offset0:105 offset1:106
	s_wait_dscnt 0x1
	v_fmac_f64_e32 v[146:147], v[126:127], v[116:117]
	s_wait_loadcnt 0x0
	s_delay_alu instid0(VALU_DEP_1) | instskip(SKIP_1) | instid1(VALU_DEP_1)
	v_fmac_f64_e32 v[146:147], v[128:129], v[118:119]
	s_wait_dscnt 0x0
	v_fmac_f64_e32 v[146:147], v[130:131], v[112:113]
	s_delay_alu instid0(VALU_DEP_1) | instskip(NEXT) | instid1(VALU_DEP_1)
	v_fmac_f64_e32 v[146:147], v[136:137], v[114:115]
	v_add_f64_e64 v[2:3], v[110:111], -v[146:147]
	scratch_store_b64 off, v[2:3], off offset:208
	s_wait_xcnt 0x0
	v_cmpx_lt_u32_e32 25, v0
	s_cbranch_execz .LBB52_277
; %bb.276:
	scratch_load_b64 v[2:3], off, off offset:200
	v_mov_b64_e32 v[110:111], 0
	scratch_store_b64 off, v[110:111], off offset:200
	s_wait_loadcnt 0x0
	ds_store_b64 v1, v[2:3]
.LBB52_277:
	s_wait_xcnt 0x0
	s_or_b32 exec_lo, exec_lo, s0
	s_wait_storecnt_dscnt 0x0
	s_barrier_signal -1
	s_barrier_wait -1
	s_clause 0x5
	scratch_load_b128 v[110:113], off, off offset:200
	scratch_load_b128 v[114:117], off, off offset:216
	;; [unrolled: 1-line block ×6, first 2 shown]
	v_mov_b32_e32 v2, 0
	ds_load_b128 v[134:137], v2 offset:640
	ds_load_b128 v[138:141], v2 offset:656
	scratch_load_b128 v[142:145], off, off offset:296
	s_mov_b32 s0, exec_lo
	s_wait_loadcnt_dscnt 0x601
	v_fma_f64 v[146:147], v[112:113], v[134:135], 0
	s_wait_loadcnt 0x5
	s_delay_alu instid0(VALU_DEP_1) | instskip(SKIP_4) | instid1(VALU_DEP_1)
	v_fmac_f64_e32 v[146:147], v[114:115], v[136:137]
	scratch_load_b128 v[112:115], off, off offset:312
	s_wait_dscnt 0x0
	v_fmac_f64_e32 v[146:147], v[116:117], v[138:139]
	s_wait_loadcnt 0x5
	v_fmac_f64_e32 v[146:147], v[118:119], v[140:141]
	ds_load_b128 v[116:119], v2 offset:672
	ds_load_b128 v[134:137], v2 offset:688
	scratch_load_b128 v[138:141], off, off offset:328
	s_wait_dscnt 0x1
	v_fmac_f64_e32 v[146:147], v[120:121], v[116:117]
	s_wait_loadcnt 0x5
	s_delay_alu instid0(VALU_DEP_1) | instskip(SKIP_4) | instid1(VALU_DEP_1)
	v_fmac_f64_e32 v[146:147], v[122:123], v[118:119]
	scratch_load_b128 v[116:119], off, off offset:344
	s_wait_dscnt 0x0
	v_fmac_f64_e32 v[146:147], v[124:125], v[134:135]
	s_wait_loadcnt 0x5
	v_fmac_f64_e32 v[146:147], v[126:127], v[136:137]
	ds_load_b128 v[120:123], v2 offset:704
	ds_load_b128 v[124:127], v2 offset:720
	s_wait_dscnt 0x1
	v_fmac_f64_e32 v[146:147], v[128:129], v[120:121]
	s_wait_loadcnt 0x4
	s_delay_alu instid0(VALU_DEP_1) | instskip(SKIP_4) | instid1(VALU_DEP_1)
	v_fmac_f64_e32 v[146:147], v[130:131], v[122:123]
	scratch_load_b128 v[120:123], off, off offset:360
	s_wait_dscnt 0x0
	v_fmac_f64_e32 v[146:147], v[132:133], v[124:125]
	s_wait_loadcnt 0x4
	v_fmac_f64_e32 v[146:147], v[142:143], v[126:127]
	scratch_load_b128 v[124:127], off, off offset:376
	ds_load_b128 v[128:131], v2 offset:736
	ds_load_b128 v[132:135], v2 offset:752
	s_wait_dscnt 0x1
	v_fmac_f64_e32 v[146:147], v[144:145], v[128:129]
	s_wait_loadcnt 0x4
	s_delay_alu instid0(VALU_DEP_1)
	v_fmac_f64_e32 v[146:147], v[112:113], v[130:131]
	scratch_load_b128 v[128:131], off, off offset:392
	s_wait_dscnt 0x0
	v_fmac_f64_e32 v[146:147], v[114:115], v[132:133]
	scratch_load_b128 v[112:115], off, off offset:408
	s_wait_loadcnt 0x5
	v_fmac_f64_e32 v[146:147], v[138:139], v[134:135]
	ds_load_b128 v[132:135], v2 offset:768
	ds_load_b128 v[136:139], v2 offset:784
	s_wait_dscnt 0x1
	v_fmac_f64_e32 v[146:147], v[140:141], v[132:133]
	s_wait_loadcnt 0x4
	s_delay_alu instid0(VALU_DEP_1) | instskip(SKIP_1) | instid1(VALU_DEP_1)
	v_fmac_f64_e32 v[146:147], v[116:117], v[134:135]
	s_wait_dscnt 0x0
	v_fmac_f64_e32 v[146:147], v[118:119], v[136:137]
	ds_load_b128 v[116:119], v2 offset:800
	ds_load_b128 v[132:135], v2 offset:816
	s_wait_loadcnt 0x3
	v_fmac_f64_e32 v[146:147], v[120:121], v[138:139]
	s_wait_dscnt 0x1
	s_delay_alu instid0(VALU_DEP_1) | instskip(SKIP_1) | instid1(VALU_DEP_1)
	v_fmac_f64_e32 v[146:147], v[122:123], v[116:117]
	s_wait_loadcnt 0x2
	v_fmac_f64_e32 v[146:147], v[124:125], v[118:119]
	ds_load_b128 v[116:119], v2 offset:832
	ds_load_b64 v[120:121], v2 offset:848
	s_wait_dscnt 0x2
	v_fmac_f64_e32 v[146:147], v[126:127], v[132:133]
	s_wait_loadcnt 0x1
	s_delay_alu instid0(VALU_DEP_1) | instskip(SKIP_1) | instid1(VALU_DEP_1)
	v_fmac_f64_e32 v[146:147], v[128:129], v[134:135]
	s_wait_dscnt 0x1
	v_fmac_f64_e32 v[146:147], v[130:131], v[116:117]
	s_wait_loadcnt 0x0
	s_delay_alu instid0(VALU_DEP_1) | instskip(SKIP_1) | instid1(VALU_DEP_1)
	v_fmac_f64_e32 v[146:147], v[112:113], v[118:119]
	s_wait_dscnt 0x0
	v_fmac_f64_e32 v[146:147], v[114:115], v[120:121]
	s_delay_alu instid0(VALU_DEP_1)
	v_add_f64_e64 v[110:111], v[110:111], -v[146:147]
	scratch_store_b64 off, v[110:111], off offset:200
	s_wait_xcnt 0x0
	v_cmpx_lt_u32_e32 24, v0
	s_cbranch_execz .LBB52_279
; %bb.278:
	scratch_load_b64 v[110:111], off, off offset:192
	v_mov_b64_e32 v[112:113], 0
	scratch_store_b64 off, v[112:113], off offset:192
	s_wait_loadcnt 0x0
	ds_store_b64 v1, v[110:111]
.LBB52_279:
	s_wait_xcnt 0x0
	s_or_b32 exec_lo, exec_lo, s0
	s_wait_storecnt_dscnt 0x0
	s_barrier_signal -1
	s_barrier_wait -1
	s_clause 0x5
	scratch_load_b128 v[110:113], off, off offset:192
	scratch_load_b128 v[114:117], off, off offset:208
	;; [unrolled: 1-line block ×6, first 2 shown]
	ds_load_2addr_b64 v[134:137], v2 offset0:79 offset1:80
	ds_load_2addr_b64 v[138:141], v2 offset0:81 offset1:82
	scratch_load_b128 v[142:145], off, off offset:288
	s_mov_b32 s0, exec_lo
	s_wait_loadcnt_dscnt 0x601
	v_fma_f64 v[146:147], v[112:113], v[134:135], 0
	s_wait_loadcnt 0x5
	s_delay_alu instid0(VALU_DEP_1) | instskip(SKIP_4) | instid1(VALU_DEP_1)
	v_fmac_f64_e32 v[146:147], v[114:115], v[136:137]
	scratch_load_b128 v[112:115], off, off offset:304
	s_wait_dscnt 0x0
	v_fmac_f64_e32 v[146:147], v[116:117], v[138:139]
	s_wait_loadcnt 0x5
	v_fmac_f64_e32 v[146:147], v[118:119], v[140:141]
	ds_load_2addr_b64 v[116:119], v2 offset0:83 offset1:84
	ds_load_2addr_b64 v[134:137], v2 offset0:85 offset1:86
	scratch_load_b128 v[138:141], off, off offset:320
	s_wait_dscnt 0x1
	v_fmac_f64_e32 v[146:147], v[120:121], v[116:117]
	s_wait_loadcnt 0x5
	s_delay_alu instid0(VALU_DEP_1) | instskip(SKIP_4) | instid1(VALU_DEP_1)
	v_fmac_f64_e32 v[146:147], v[122:123], v[118:119]
	scratch_load_b128 v[116:119], off, off offset:336
	s_wait_dscnt 0x0
	v_fmac_f64_e32 v[146:147], v[124:125], v[134:135]
	s_wait_loadcnt 0x5
	v_fmac_f64_e32 v[146:147], v[126:127], v[136:137]
	ds_load_2addr_b64 v[120:123], v2 offset0:87 offset1:88
	ds_load_2addr_b64 v[124:127], v2 offset0:89 offset1:90
	s_wait_dscnt 0x1
	v_fmac_f64_e32 v[146:147], v[128:129], v[120:121]
	s_wait_loadcnt 0x4
	s_delay_alu instid0(VALU_DEP_1) | instskip(SKIP_4) | instid1(VALU_DEP_1)
	v_fmac_f64_e32 v[146:147], v[130:131], v[122:123]
	scratch_load_b128 v[120:123], off, off offset:352
	s_wait_dscnt 0x0
	v_fmac_f64_e32 v[146:147], v[132:133], v[124:125]
	s_wait_loadcnt 0x4
	v_fmac_f64_e32 v[146:147], v[142:143], v[126:127]
	scratch_load_b128 v[124:127], off, off offset:368
	ds_load_2addr_b64 v[128:131], v2 offset0:91 offset1:92
	ds_load_2addr_b64 v[132:135], v2 offset0:93 offset1:94
	s_wait_dscnt 0x1
	v_fmac_f64_e32 v[146:147], v[144:145], v[128:129]
	s_wait_loadcnt 0x4
	s_delay_alu instid0(VALU_DEP_1)
	v_fmac_f64_e32 v[146:147], v[112:113], v[130:131]
	scratch_load_b128 v[128:131], off, off offset:384
	s_wait_dscnt 0x0
	v_fmac_f64_e32 v[146:147], v[114:115], v[132:133]
	scratch_load_b128 v[112:115], off, off offset:400
	s_wait_loadcnt 0x5
	v_fmac_f64_e32 v[146:147], v[138:139], v[134:135]
	ds_load_2addr_b64 v[132:135], v2 offset0:95 offset1:96
	ds_load_2addr_b64 v[136:139], v2 offset0:97 offset1:98
	s_wait_dscnt 0x1
	v_fmac_f64_e32 v[146:147], v[140:141], v[132:133]
	scratch_load_b64 v[140:141], off, off offset:416
	s_wait_loadcnt 0x5
	v_fmac_f64_e32 v[146:147], v[116:117], v[134:135]
	s_wait_dscnt 0x0
	s_delay_alu instid0(VALU_DEP_1)
	v_fmac_f64_e32 v[146:147], v[118:119], v[136:137]
	ds_load_2addr_b64 v[116:119], v2 offset0:99 offset1:100
	ds_load_2addr_b64 v[132:135], v2 offset0:101 offset1:102
	s_wait_loadcnt 0x4
	v_fmac_f64_e32 v[146:147], v[120:121], v[138:139]
	s_wait_dscnt 0x1
	s_delay_alu instid0(VALU_DEP_1) | instskip(SKIP_1) | instid1(VALU_DEP_1)
	v_fmac_f64_e32 v[146:147], v[122:123], v[116:117]
	s_wait_loadcnt 0x3
	v_fmac_f64_e32 v[146:147], v[124:125], v[118:119]
	ds_load_2addr_b64 v[116:119], v2 offset0:103 offset1:104
	ds_load_2addr_b64 v[120:123], v2 offset0:105 offset1:106
	s_wait_dscnt 0x2
	v_fmac_f64_e32 v[146:147], v[126:127], v[132:133]
	s_wait_loadcnt 0x2
	s_delay_alu instid0(VALU_DEP_1) | instskip(SKIP_1) | instid1(VALU_DEP_1)
	v_fmac_f64_e32 v[146:147], v[128:129], v[134:135]
	s_wait_dscnt 0x1
	v_fmac_f64_e32 v[146:147], v[130:131], v[116:117]
	s_wait_loadcnt 0x1
	s_delay_alu instid0(VALU_DEP_1) | instskip(SKIP_1) | instid1(VALU_DEP_1)
	v_fmac_f64_e32 v[146:147], v[112:113], v[118:119]
	s_wait_dscnt 0x0
	v_fmac_f64_e32 v[146:147], v[114:115], v[120:121]
	s_wait_loadcnt 0x0
	s_delay_alu instid0(VALU_DEP_1) | instskip(NEXT) | instid1(VALU_DEP_1)
	v_fmac_f64_e32 v[146:147], v[140:141], v[122:123]
	v_add_f64_e64 v[2:3], v[110:111], -v[146:147]
	scratch_store_b64 off, v[2:3], off offset:192
	s_wait_xcnt 0x0
	v_cmpx_lt_u32_e32 23, v0
	s_cbranch_execz .LBB52_281
; %bb.280:
	scratch_load_b64 v[2:3], off, off offset:184
	v_mov_b64_e32 v[110:111], 0
	scratch_store_b64 off, v[110:111], off offset:184
	s_wait_loadcnt 0x0
	ds_store_b64 v1, v[2:3]
.LBB52_281:
	s_wait_xcnt 0x0
	s_or_b32 exec_lo, exec_lo, s0
	s_wait_storecnt_dscnt 0x0
	s_barrier_signal -1
	s_barrier_wait -1
	s_clause 0x5
	scratch_load_b128 v[110:113], off, off offset:184
	scratch_load_b128 v[114:117], off, off offset:200
	scratch_load_b128 v[118:121], off, off offset:216
	scratch_load_b128 v[122:125], off, off offset:232
	scratch_load_b128 v[126:129], off, off offset:248
	scratch_load_b128 v[130:133], off, off offset:264
	v_mov_b32_e32 v2, 0
	ds_load_b128 v[134:137], v2 offset:624
	ds_load_b128 v[138:141], v2 offset:640
	scratch_load_b128 v[142:145], off, off offset:280
	s_mov_b32 s0, exec_lo
	s_wait_loadcnt_dscnt 0x601
	v_fma_f64 v[146:147], v[112:113], v[134:135], 0
	s_wait_loadcnt 0x5
	s_delay_alu instid0(VALU_DEP_1) | instskip(SKIP_4) | instid1(VALU_DEP_1)
	v_fmac_f64_e32 v[146:147], v[114:115], v[136:137]
	scratch_load_b128 v[112:115], off, off offset:296
	s_wait_dscnt 0x0
	v_fmac_f64_e32 v[146:147], v[116:117], v[138:139]
	s_wait_loadcnt 0x5
	v_fmac_f64_e32 v[146:147], v[118:119], v[140:141]
	ds_load_b128 v[116:119], v2 offset:656
	ds_load_b128 v[134:137], v2 offset:672
	scratch_load_b128 v[138:141], off, off offset:312
	s_wait_dscnt 0x1
	v_fmac_f64_e32 v[146:147], v[120:121], v[116:117]
	s_wait_loadcnt 0x5
	s_delay_alu instid0(VALU_DEP_1) | instskip(SKIP_4) | instid1(VALU_DEP_1)
	v_fmac_f64_e32 v[146:147], v[122:123], v[118:119]
	scratch_load_b128 v[116:119], off, off offset:328
	s_wait_dscnt 0x0
	v_fmac_f64_e32 v[146:147], v[124:125], v[134:135]
	s_wait_loadcnt 0x5
	v_fmac_f64_e32 v[146:147], v[126:127], v[136:137]
	ds_load_b128 v[120:123], v2 offset:688
	ds_load_b128 v[124:127], v2 offset:704
	s_wait_dscnt 0x1
	v_fmac_f64_e32 v[146:147], v[128:129], v[120:121]
	s_wait_loadcnt 0x4
	s_delay_alu instid0(VALU_DEP_1) | instskip(SKIP_4) | instid1(VALU_DEP_1)
	v_fmac_f64_e32 v[146:147], v[130:131], v[122:123]
	scratch_load_b128 v[120:123], off, off offset:344
	s_wait_dscnt 0x0
	v_fmac_f64_e32 v[146:147], v[132:133], v[124:125]
	s_wait_loadcnt 0x4
	v_fmac_f64_e32 v[146:147], v[142:143], v[126:127]
	scratch_load_b128 v[124:127], off, off offset:360
	ds_load_b128 v[128:131], v2 offset:720
	ds_load_b128 v[132:135], v2 offset:736
	s_wait_dscnt 0x1
	v_fmac_f64_e32 v[146:147], v[144:145], v[128:129]
	s_wait_loadcnt 0x4
	s_delay_alu instid0(VALU_DEP_1)
	v_fmac_f64_e32 v[146:147], v[112:113], v[130:131]
	scratch_load_b128 v[128:131], off, off offset:376
	s_wait_dscnt 0x0
	v_fmac_f64_e32 v[146:147], v[114:115], v[132:133]
	scratch_load_b128 v[112:115], off, off offset:392
	s_wait_loadcnt 0x5
	v_fmac_f64_e32 v[146:147], v[138:139], v[134:135]
	ds_load_b128 v[132:135], v2 offset:752
	ds_load_b128 v[136:139], v2 offset:768
	s_wait_dscnt 0x1
	v_fmac_f64_e32 v[146:147], v[140:141], v[132:133]
	s_wait_loadcnt 0x4
	s_delay_alu instid0(VALU_DEP_1) | instskip(SKIP_4) | instid1(VALU_DEP_1)
	v_fmac_f64_e32 v[146:147], v[116:117], v[134:135]
	scratch_load_b128 v[132:135], off, off offset:408
	s_wait_dscnt 0x0
	v_fmac_f64_e32 v[146:147], v[118:119], v[136:137]
	s_wait_loadcnt 0x4
	v_fmac_f64_e32 v[146:147], v[120:121], v[138:139]
	ds_load_b128 v[116:119], v2 offset:784
	ds_load_b128 v[136:139], v2 offset:800
	s_wait_dscnt 0x1
	v_fmac_f64_e32 v[146:147], v[122:123], v[116:117]
	s_wait_loadcnt 0x3
	s_delay_alu instid0(VALU_DEP_1)
	v_fmac_f64_e32 v[146:147], v[124:125], v[118:119]
	ds_load_b128 v[116:119], v2 offset:816
	ds_load_b128 v[120:123], v2 offset:832
	s_wait_dscnt 0x2
	v_fmac_f64_e32 v[146:147], v[126:127], v[136:137]
	s_wait_loadcnt 0x2
	s_delay_alu instid0(VALU_DEP_1) | instskip(SKIP_1) | instid1(VALU_DEP_1)
	v_fmac_f64_e32 v[146:147], v[128:129], v[138:139]
	s_wait_dscnt 0x1
	v_fmac_f64_e32 v[146:147], v[130:131], v[116:117]
	s_wait_loadcnt 0x1
	s_delay_alu instid0(VALU_DEP_1) | instskip(SKIP_4) | instid1(VALU_DEP_1)
	v_fmac_f64_e32 v[146:147], v[112:113], v[118:119]
	ds_load_b64 v[112:113], v2 offset:848
	s_wait_dscnt 0x1
	v_fmac_f64_e32 v[146:147], v[114:115], v[120:121]
	s_wait_loadcnt 0x0
	v_fmac_f64_e32 v[146:147], v[132:133], v[122:123]
	s_wait_dscnt 0x0
	s_delay_alu instid0(VALU_DEP_1) | instskip(NEXT) | instid1(VALU_DEP_1)
	v_fmac_f64_e32 v[146:147], v[134:135], v[112:113]
	v_add_f64_e64 v[110:111], v[110:111], -v[146:147]
	scratch_store_b64 off, v[110:111], off offset:184
	s_wait_xcnt 0x0
	v_cmpx_lt_u32_e32 22, v0
	s_cbranch_execz .LBB52_283
; %bb.282:
	scratch_load_b64 v[110:111], off, off offset:176
	v_mov_b64_e32 v[112:113], 0
	scratch_store_b64 off, v[112:113], off offset:176
	s_wait_loadcnt 0x0
	ds_store_b64 v1, v[110:111]
.LBB52_283:
	s_wait_xcnt 0x0
	s_or_b32 exec_lo, exec_lo, s0
	s_wait_storecnt_dscnt 0x0
	s_barrier_signal -1
	s_barrier_wait -1
	s_clause 0x5
	scratch_load_b128 v[110:113], off, off offset:176
	scratch_load_b128 v[114:117], off, off offset:192
	;; [unrolled: 1-line block ×6, first 2 shown]
	ds_load_2addr_b64 v[134:137], v2 offset0:77 offset1:78
	ds_load_2addr_b64 v[138:141], v2 offset0:79 offset1:80
	scratch_load_b128 v[142:145], off, off offset:272
	s_mov_b32 s0, exec_lo
	s_wait_loadcnt_dscnt 0x601
	v_fma_f64 v[146:147], v[112:113], v[134:135], 0
	s_wait_loadcnt 0x5
	s_delay_alu instid0(VALU_DEP_1) | instskip(SKIP_4) | instid1(VALU_DEP_1)
	v_fmac_f64_e32 v[146:147], v[114:115], v[136:137]
	scratch_load_b128 v[112:115], off, off offset:288
	s_wait_dscnt 0x0
	v_fmac_f64_e32 v[146:147], v[116:117], v[138:139]
	s_wait_loadcnt 0x5
	v_fmac_f64_e32 v[146:147], v[118:119], v[140:141]
	ds_load_2addr_b64 v[116:119], v2 offset0:81 offset1:82
	ds_load_2addr_b64 v[134:137], v2 offset0:83 offset1:84
	scratch_load_b128 v[138:141], off, off offset:304
	s_wait_dscnt 0x1
	v_fmac_f64_e32 v[146:147], v[120:121], v[116:117]
	s_wait_loadcnt 0x5
	s_delay_alu instid0(VALU_DEP_1) | instskip(SKIP_4) | instid1(VALU_DEP_1)
	v_fmac_f64_e32 v[146:147], v[122:123], v[118:119]
	scratch_load_b128 v[116:119], off, off offset:320
	s_wait_dscnt 0x0
	v_fmac_f64_e32 v[146:147], v[124:125], v[134:135]
	s_wait_loadcnt 0x5
	v_fmac_f64_e32 v[146:147], v[126:127], v[136:137]
	ds_load_2addr_b64 v[120:123], v2 offset0:85 offset1:86
	ds_load_2addr_b64 v[124:127], v2 offset0:87 offset1:88
	scratch_load_b128 v[134:137], off, off offset:336
	s_wait_dscnt 0x1
	v_fmac_f64_e32 v[146:147], v[128:129], v[120:121]
	s_wait_loadcnt 0x5
	s_delay_alu instid0(VALU_DEP_1) | instskip(SKIP_4) | instid1(VALU_DEP_1)
	v_fmac_f64_e32 v[146:147], v[130:131], v[122:123]
	scratch_load_b128 v[120:123], off, off offset:352
	s_wait_dscnt 0x0
	v_fmac_f64_e32 v[146:147], v[132:133], v[124:125]
	s_wait_loadcnt 0x5
	v_fmac_f64_e32 v[146:147], v[142:143], v[126:127]
	ds_load_2addr_b64 v[124:127], v2 offset0:89 offset1:90
	ds_load_2addr_b64 v[128:131], v2 offset0:91 offset1:92
	s_wait_dscnt 0x1
	v_fmac_f64_e32 v[146:147], v[144:145], v[124:125]
	s_wait_loadcnt 0x4
	s_delay_alu instid0(VALU_DEP_1)
	v_fmac_f64_e32 v[146:147], v[112:113], v[126:127]
	scratch_load_b128 v[124:127], off, off offset:368
	s_wait_dscnt 0x0
	v_fmac_f64_e32 v[146:147], v[114:115], v[128:129]
	scratch_load_b128 v[112:115], off, off offset:384
	s_wait_loadcnt 0x5
	v_fmac_f64_e32 v[146:147], v[138:139], v[130:131]
	ds_load_2addr_b64 v[128:131], v2 offset0:93 offset1:94
	ds_load_2addr_b64 v[142:145], v2 offset0:95 offset1:96
	scratch_load_b64 v[138:139], off, off offset:416
	s_wait_dscnt 0x1
	v_fmac_f64_e32 v[146:147], v[140:141], v[128:129]
	s_wait_loadcnt 0x5
	s_delay_alu instid0(VALU_DEP_1) | instskip(SKIP_4) | instid1(VALU_DEP_1)
	v_fmac_f64_e32 v[146:147], v[116:117], v[130:131]
	scratch_load_b128 v[128:131], off, off offset:400
	s_wait_dscnt 0x0
	v_fmac_f64_e32 v[146:147], v[118:119], v[142:143]
	s_wait_loadcnt 0x5
	v_fmac_f64_e32 v[146:147], v[134:135], v[144:145]
	ds_load_2addr_b64 v[116:119], v2 offset0:97 offset1:98
	ds_load_2addr_b64 v[132:135], v2 offset0:99 offset1:100
	s_wait_dscnt 0x1
	v_fmac_f64_e32 v[146:147], v[136:137], v[116:117]
	s_wait_loadcnt 0x4
	s_delay_alu instid0(VALU_DEP_1) | instskip(SKIP_1) | instid1(VALU_DEP_1)
	v_fmac_f64_e32 v[146:147], v[120:121], v[118:119]
	s_wait_dscnt 0x0
	v_fmac_f64_e32 v[146:147], v[122:123], v[132:133]
	ds_load_2addr_b64 v[116:119], v2 offset0:101 offset1:102
	ds_load_2addr_b64 v[120:123], v2 offset0:103 offset1:104
	s_wait_loadcnt 0x3
	v_fmac_f64_e32 v[146:147], v[124:125], v[134:135]
	s_wait_dscnt 0x1
	s_delay_alu instid0(VALU_DEP_1) | instskip(SKIP_1) | instid1(VALU_DEP_1)
	v_fmac_f64_e32 v[146:147], v[126:127], v[116:117]
	s_wait_loadcnt 0x2
	v_fmac_f64_e32 v[146:147], v[112:113], v[118:119]
	s_wait_dscnt 0x0
	s_delay_alu instid0(VALU_DEP_1) | instskip(SKIP_4) | instid1(VALU_DEP_1)
	v_fmac_f64_e32 v[146:147], v[114:115], v[120:121]
	ds_load_2addr_b64 v[112:115], v2 offset0:105 offset1:106
	s_wait_loadcnt 0x0
	v_fmac_f64_e32 v[146:147], v[128:129], v[122:123]
	s_wait_dscnt 0x0
	v_fmac_f64_e32 v[146:147], v[130:131], v[112:113]
	s_delay_alu instid0(VALU_DEP_1) | instskip(NEXT) | instid1(VALU_DEP_1)
	v_fmac_f64_e32 v[146:147], v[138:139], v[114:115]
	v_add_f64_e64 v[2:3], v[110:111], -v[146:147]
	scratch_store_b64 off, v[2:3], off offset:176
	s_wait_xcnt 0x0
	v_cmpx_lt_u32_e32 21, v0
	s_cbranch_execz .LBB52_285
; %bb.284:
	scratch_load_b64 v[2:3], off, off offset:168
	v_mov_b64_e32 v[110:111], 0
	scratch_store_b64 off, v[110:111], off offset:168
	s_wait_loadcnt 0x0
	ds_store_b64 v1, v[2:3]
.LBB52_285:
	s_wait_xcnt 0x0
	s_or_b32 exec_lo, exec_lo, s0
	s_wait_storecnt_dscnt 0x0
	s_barrier_signal -1
	s_barrier_wait -1
	s_clause 0x5
	scratch_load_b128 v[110:113], off, off offset:168
	scratch_load_b128 v[114:117], off, off offset:184
	;; [unrolled: 1-line block ×6, first 2 shown]
	v_mov_b32_e32 v2, 0
	ds_load_b128 v[134:137], v2 offset:608
	ds_load_b128 v[138:141], v2 offset:624
	scratch_load_b128 v[142:145], off, off offset:264
	s_mov_b32 s0, exec_lo
	s_wait_loadcnt_dscnt 0x601
	v_fma_f64 v[146:147], v[112:113], v[134:135], 0
	s_wait_loadcnt 0x5
	s_delay_alu instid0(VALU_DEP_1) | instskip(SKIP_4) | instid1(VALU_DEP_1)
	v_fmac_f64_e32 v[146:147], v[114:115], v[136:137]
	scratch_load_b128 v[112:115], off, off offset:280
	s_wait_dscnt 0x0
	v_fmac_f64_e32 v[146:147], v[116:117], v[138:139]
	s_wait_loadcnt 0x5
	v_fmac_f64_e32 v[146:147], v[118:119], v[140:141]
	ds_load_b128 v[116:119], v2 offset:640
	ds_load_b128 v[134:137], v2 offset:656
	scratch_load_b128 v[138:141], off, off offset:296
	s_wait_dscnt 0x1
	v_fmac_f64_e32 v[146:147], v[120:121], v[116:117]
	s_wait_loadcnt 0x5
	s_delay_alu instid0(VALU_DEP_1) | instskip(SKIP_4) | instid1(VALU_DEP_1)
	v_fmac_f64_e32 v[146:147], v[122:123], v[118:119]
	scratch_load_b128 v[116:119], off, off offset:312
	s_wait_dscnt 0x0
	v_fmac_f64_e32 v[146:147], v[124:125], v[134:135]
	s_wait_loadcnt 0x5
	v_fmac_f64_e32 v[146:147], v[126:127], v[136:137]
	ds_load_b128 v[120:123], v2 offset:672
	ds_load_b128 v[124:127], v2 offset:688
	scratch_load_b128 v[134:137], off, off offset:328
	s_wait_dscnt 0x1
	v_fmac_f64_e32 v[146:147], v[128:129], v[120:121]
	s_wait_loadcnt 0x5
	s_delay_alu instid0(VALU_DEP_1) | instskip(SKIP_4) | instid1(VALU_DEP_1)
	v_fmac_f64_e32 v[146:147], v[130:131], v[122:123]
	scratch_load_b128 v[120:123], off, off offset:344
	s_wait_dscnt 0x0
	v_fmac_f64_e32 v[146:147], v[132:133], v[124:125]
	s_wait_loadcnt 0x5
	v_fmac_f64_e32 v[146:147], v[142:143], v[126:127]
	ds_load_b128 v[124:127], v2 offset:704
	ds_load_b128 v[128:131], v2 offset:720
	s_wait_dscnt 0x1
	v_fmac_f64_e32 v[146:147], v[144:145], v[124:125]
	s_wait_loadcnt 0x4
	s_delay_alu instid0(VALU_DEP_1)
	v_fmac_f64_e32 v[146:147], v[112:113], v[126:127]
	scratch_load_b128 v[124:127], off, off offset:360
	s_wait_dscnt 0x0
	v_fmac_f64_e32 v[146:147], v[114:115], v[128:129]
	scratch_load_b128 v[112:115], off, off offset:376
	s_wait_loadcnt 0x5
	v_fmac_f64_e32 v[146:147], v[138:139], v[130:131]
	ds_load_b128 v[128:131], v2 offset:736
	ds_load_b128 v[142:145], v2 offset:752
	s_wait_dscnt 0x1
	v_fmac_f64_e32 v[146:147], v[140:141], v[128:129]
	s_wait_loadcnt 0x4
	s_delay_alu instid0(VALU_DEP_1)
	v_fmac_f64_e32 v[146:147], v[116:117], v[130:131]
	scratch_load_b128 v[128:131], off, off offset:392
	s_wait_dscnt 0x0
	v_fmac_f64_e32 v[146:147], v[118:119], v[142:143]
	scratch_load_b128 v[116:119], off, off offset:408
	s_wait_loadcnt 0x5
	v_fmac_f64_e32 v[146:147], v[134:135], v[144:145]
	ds_load_b128 v[132:135], v2 offset:768
	ds_load_b128 v[138:141], v2 offset:784
	s_wait_dscnt 0x1
	v_fmac_f64_e32 v[146:147], v[136:137], v[132:133]
	s_wait_loadcnt 0x4
	s_delay_alu instid0(VALU_DEP_1) | instskip(SKIP_1) | instid1(VALU_DEP_1)
	v_fmac_f64_e32 v[146:147], v[120:121], v[134:135]
	s_wait_dscnt 0x0
	v_fmac_f64_e32 v[146:147], v[122:123], v[138:139]
	ds_load_b128 v[120:123], v2 offset:800
	ds_load_b128 v[132:135], v2 offset:816
	s_wait_loadcnt 0x3
	v_fmac_f64_e32 v[146:147], v[124:125], v[140:141]
	s_wait_dscnt 0x1
	s_delay_alu instid0(VALU_DEP_1) | instskip(SKIP_1) | instid1(VALU_DEP_1)
	v_fmac_f64_e32 v[146:147], v[126:127], v[120:121]
	s_wait_loadcnt 0x2
	v_fmac_f64_e32 v[146:147], v[112:113], v[122:123]
	s_wait_dscnt 0x0
	s_delay_alu instid0(VALU_DEP_1)
	v_fmac_f64_e32 v[146:147], v[114:115], v[132:133]
	ds_load_b128 v[112:115], v2 offset:832
	ds_load_b64 v[120:121], v2 offset:848
	s_wait_loadcnt 0x1
	v_fmac_f64_e32 v[146:147], v[128:129], v[134:135]
	s_wait_dscnt 0x1
	s_delay_alu instid0(VALU_DEP_1) | instskip(SKIP_1) | instid1(VALU_DEP_1)
	v_fmac_f64_e32 v[146:147], v[130:131], v[112:113]
	s_wait_loadcnt 0x0
	v_fmac_f64_e32 v[146:147], v[116:117], v[114:115]
	s_wait_dscnt 0x0
	s_delay_alu instid0(VALU_DEP_1) | instskip(NEXT) | instid1(VALU_DEP_1)
	v_fmac_f64_e32 v[146:147], v[118:119], v[120:121]
	v_add_f64_e64 v[110:111], v[110:111], -v[146:147]
	scratch_store_b64 off, v[110:111], off offset:168
	s_wait_xcnt 0x0
	v_cmpx_lt_u32_e32 20, v0
	s_cbranch_execz .LBB52_287
; %bb.286:
	scratch_load_b64 v[110:111], off, off offset:160
	v_mov_b64_e32 v[112:113], 0
	scratch_store_b64 off, v[112:113], off offset:160
	s_wait_loadcnt 0x0
	ds_store_b64 v1, v[110:111]
.LBB52_287:
	s_wait_xcnt 0x0
	s_or_b32 exec_lo, exec_lo, s0
	s_wait_storecnt_dscnt 0x0
	s_barrier_signal -1
	s_barrier_wait -1
	s_clause 0x5
	scratch_load_b128 v[110:113], off, off offset:160
	scratch_load_b128 v[114:117], off, off offset:176
	;; [unrolled: 1-line block ×6, first 2 shown]
	ds_load_2addr_b64 v[134:137], v2 offset0:75 offset1:76
	ds_load_2addr_b64 v[138:141], v2 offset0:77 offset1:78
	scratch_load_b128 v[142:145], off, off offset:256
	s_mov_b32 s0, exec_lo
	s_wait_loadcnt_dscnt 0x601
	v_fma_f64 v[146:147], v[112:113], v[134:135], 0
	s_wait_loadcnt 0x5
	s_delay_alu instid0(VALU_DEP_1) | instskip(SKIP_4) | instid1(VALU_DEP_1)
	v_fmac_f64_e32 v[146:147], v[114:115], v[136:137]
	scratch_load_b128 v[112:115], off, off offset:272
	s_wait_dscnt 0x0
	v_fmac_f64_e32 v[146:147], v[116:117], v[138:139]
	s_wait_loadcnt 0x5
	v_fmac_f64_e32 v[146:147], v[118:119], v[140:141]
	ds_load_2addr_b64 v[116:119], v2 offset0:79 offset1:80
	ds_load_2addr_b64 v[134:137], v2 offset0:81 offset1:82
	scratch_load_b128 v[138:141], off, off offset:288
	s_wait_dscnt 0x1
	v_fmac_f64_e32 v[146:147], v[120:121], v[116:117]
	s_wait_loadcnt 0x5
	s_delay_alu instid0(VALU_DEP_1) | instskip(SKIP_4) | instid1(VALU_DEP_1)
	v_fmac_f64_e32 v[146:147], v[122:123], v[118:119]
	scratch_load_b128 v[116:119], off, off offset:304
	s_wait_dscnt 0x0
	v_fmac_f64_e32 v[146:147], v[124:125], v[134:135]
	s_wait_loadcnt 0x5
	v_fmac_f64_e32 v[146:147], v[126:127], v[136:137]
	ds_load_2addr_b64 v[120:123], v2 offset0:83 offset1:84
	ds_load_2addr_b64 v[124:127], v2 offset0:85 offset1:86
	scratch_load_b128 v[134:137], off, off offset:320
	s_wait_dscnt 0x1
	v_fmac_f64_e32 v[146:147], v[128:129], v[120:121]
	s_wait_loadcnt 0x5
	s_delay_alu instid0(VALU_DEP_1) | instskip(SKIP_4) | instid1(VALU_DEP_1)
	v_fmac_f64_e32 v[146:147], v[130:131], v[122:123]
	scratch_load_b128 v[120:123], off, off offset:336
	s_wait_dscnt 0x0
	v_fmac_f64_e32 v[146:147], v[132:133], v[124:125]
	s_wait_loadcnt 0x5
	v_fmac_f64_e32 v[146:147], v[142:143], v[126:127]
	ds_load_2addr_b64 v[124:127], v2 offset0:87 offset1:88
	ds_load_2addr_b64 v[128:131], v2 offset0:89 offset1:90
	s_wait_dscnt 0x1
	v_fmac_f64_e32 v[146:147], v[144:145], v[124:125]
	s_wait_loadcnt 0x4
	s_delay_alu instid0(VALU_DEP_1)
	v_fmac_f64_e32 v[146:147], v[112:113], v[126:127]
	scratch_load_b128 v[124:127], off, off offset:352
	s_wait_dscnt 0x0
	v_fmac_f64_e32 v[146:147], v[114:115], v[128:129]
	scratch_load_b128 v[112:115], off, off offset:368
	s_wait_loadcnt 0x5
	v_fmac_f64_e32 v[146:147], v[138:139], v[130:131]
	ds_load_2addr_b64 v[128:131], v2 offset0:91 offset1:92
	ds_load_2addr_b64 v[142:145], v2 offset0:93 offset1:94
	s_wait_dscnt 0x1
	v_fmac_f64_e32 v[146:147], v[140:141], v[128:129]
	s_wait_loadcnt 0x4
	s_delay_alu instid0(VALU_DEP_1)
	v_fmac_f64_e32 v[146:147], v[116:117], v[130:131]
	scratch_load_b128 v[128:131], off, off offset:384
	s_wait_dscnt 0x0
	v_fmac_f64_e32 v[146:147], v[118:119], v[142:143]
	scratch_load_b128 v[116:119], off, off offset:400
	s_wait_loadcnt 0x5
	v_fmac_f64_e32 v[146:147], v[134:135], v[144:145]
	ds_load_2addr_b64 v[132:135], v2 offset0:95 offset1:96
	ds_load_2addr_b64 v[138:141], v2 offset0:97 offset1:98
	s_wait_dscnt 0x1
	v_fmac_f64_e32 v[146:147], v[136:137], v[132:133]
	scratch_load_b64 v[136:137], off, off offset:416
	s_wait_loadcnt 0x5
	v_fmac_f64_e32 v[146:147], v[120:121], v[134:135]
	s_wait_dscnt 0x0
	s_delay_alu instid0(VALU_DEP_1)
	v_fmac_f64_e32 v[146:147], v[122:123], v[138:139]
	ds_load_2addr_b64 v[120:123], v2 offset0:99 offset1:100
	ds_load_2addr_b64 v[132:135], v2 offset0:101 offset1:102
	s_wait_loadcnt 0x4
	v_fmac_f64_e32 v[146:147], v[124:125], v[140:141]
	s_wait_dscnt 0x1
	s_delay_alu instid0(VALU_DEP_1) | instskip(SKIP_1) | instid1(VALU_DEP_1)
	v_fmac_f64_e32 v[146:147], v[126:127], v[120:121]
	s_wait_loadcnt 0x3
	v_fmac_f64_e32 v[146:147], v[112:113], v[122:123]
	s_wait_dscnt 0x0
	s_delay_alu instid0(VALU_DEP_1)
	v_fmac_f64_e32 v[146:147], v[114:115], v[132:133]
	ds_load_2addr_b64 v[112:115], v2 offset0:103 offset1:104
	ds_load_2addr_b64 v[120:123], v2 offset0:105 offset1:106
	s_wait_loadcnt 0x2
	v_fmac_f64_e32 v[146:147], v[128:129], v[134:135]
	s_wait_dscnt 0x1
	s_delay_alu instid0(VALU_DEP_1) | instskip(SKIP_1) | instid1(VALU_DEP_1)
	v_fmac_f64_e32 v[146:147], v[130:131], v[112:113]
	s_wait_loadcnt 0x1
	v_fmac_f64_e32 v[146:147], v[116:117], v[114:115]
	s_wait_dscnt 0x0
	s_delay_alu instid0(VALU_DEP_1) | instskip(SKIP_1) | instid1(VALU_DEP_1)
	v_fmac_f64_e32 v[146:147], v[118:119], v[120:121]
	s_wait_loadcnt 0x0
	v_fmac_f64_e32 v[146:147], v[136:137], v[122:123]
	s_delay_alu instid0(VALU_DEP_1)
	v_add_f64_e64 v[2:3], v[110:111], -v[146:147]
	scratch_store_b64 off, v[2:3], off offset:160
	s_wait_xcnt 0x0
	v_cmpx_lt_u32_e32 19, v0
	s_cbranch_execz .LBB52_289
; %bb.288:
	scratch_load_b64 v[2:3], off, off offset:152
	v_mov_b64_e32 v[110:111], 0
	scratch_store_b64 off, v[110:111], off offset:152
	s_wait_loadcnt 0x0
	ds_store_b64 v1, v[2:3]
.LBB52_289:
	s_wait_xcnt 0x0
	s_or_b32 exec_lo, exec_lo, s0
	s_wait_storecnt_dscnt 0x0
	s_barrier_signal -1
	s_barrier_wait -1
	s_clause 0x5
	scratch_load_b128 v[110:113], off, off offset:152
	scratch_load_b128 v[114:117], off, off offset:168
	scratch_load_b128 v[118:121], off, off offset:184
	scratch_load_b128 v[122:125], off, off offset:200
	scratch_load_b128 v[126:129], off, off offset:216
	scratch_load_b128 v[130:133], off, off offset:232
	v_mov_b32_e32 v2, 0
	ds_load_b128 v[134:137], v2 offset:592
	ds_load_b128 v[138:141], v2 offset:608
	scratch_load_b128 v[142:145], off, off offset:248
	s_mov_b32 s0, exec_lo
	s_wait_loadcnt_dscnt 0x601
	v_fma_f64 v[146:147], v[112:113], v[134:135], 0
	s_wait_loadcnt 0x5
	s_delay_alu instid0(VALU_DEP_1) | instskip(SKIP_4) | instid1(VALU_DEP_1)
	v_fmac_f64_e32 v[146:147], v[114:115], v[136:137]
	scratch_load_b128 v[112:115], off, off offset:264
	s_wait_dscnt 0x0
	v_fmac_f64_e32 v[146:147], v[116:117], v[138:139]
	s_wait_loadcnt 0x5
	v_fmac_f64_e32 v[146:147], v[118:119], v[140:141]
	ds_load_b128 v[116:119], v2 offset:624
	ds_load_b128 v[134:137], v2 offset:640
	scratch_load_b128 v[138:141], off, off offset:280
	s_wait_dscnt 0x1
	v_fmac_f64_e32 v[146:147], v[120:121], v[116:117]
	s_wait_loadcnt 0x5
	s_delay_alu instid0(VALU_DEP_1) | instskip(SKIP_4) | instid1(VALU_DEP_1)
	v_fmac_f64_e32 v[146:147], v[122:123], v[118:119]
	scratch_load_b128 v[116:119], off, off offset:296
	s_wait_dscnt 0x0
	v_fmac_f64_e32 v[146:147], v[124:125], v[134:135]
	s_wait_loadcnt 0x5
	v_fmac_f64_e32 v[146:147], v[126:127], v[136:137]
	ds_load_b128 v[120:123], v2 offset:656
	ds_load_b128 v[124:127], v2 offset:672
	scratch_load_b128 v[134:137], off, off offset:312
	s_wait_dscnt 0x1
	v_fmac_f64_e32 v[146:147], v[128:129], v[120:121]
	s_wait_loadcnt 0x5
	s_delay_alu instid0(VALU_DEP_1) | instskip(SKIP_4) | instid1(VALU_DEP_1)
	v_fmac_f64_e32 v[146:147], v[130:131], v[122:123]
	scratch_load_b128 v[120:123], off, off offset:328
	s_wait_dscnt 0x0
	v_fmac_f64_e32 v[146:147], v[132:133], v[124:125]
	s_wait_loadcnt 0x5
	v_fmac_f64_e32 v[146:147], v[142:143], v[126:127]
	ds_load_b128 v[124:127], v2 offset:688
	ds_load_b128 v[128:131], v2 offset:704
	s_wait_dscnt 0x1
	v_fmac_f64_e32 v[146:147], v[144:145], v[124:125]
	s_wait_loadcnt 0x4
	s_delay_alu instid0(VALU_DEP_1)
	v_fmac_f64_e32 v[146:147], v[112:113], v[126:127]
	scratch_load_b128 v[124:127], off, off offset:344
	s_wait_dscnt 0x0
	v_fmac_f64_e32 v[146:147], v[114:115], v[128:129]
	scratch_load_b128 v[112:115], off, off offset:360
	s_wait_loadcnt 0x5
	v_fmac_f64_e32 v[146:147], v[138:139], v[130:131]
	ds_load_b128 v[128:131], v2 offset:720
	ds_load_b128 v[142:145], v2 offset:736
	s_wait_dscnt 0x1
	v_fmac_f64_e32 v[146:147], v[140:141], v[128:129]
	s_wait_loadcnt 0x4
	s_delay_alu instid0(VALU_DEP_1)
	v_fmac_f64_e32 v[146:147], v[116:117], v[130:131]
	scratch_load_b128 v[128:131], off, off offset:376
	s_wait_dscnt 0x0
	v_fmac_f64_e32 v[146:147], v[118:119], v[142:143]
	scratch_load_b128 v[116:119], off, off offset:392
	s_wait_loadcnt 0x5
	v_fmac_f64_e32 v[146:147], v[134:135], v[144:145]
	ds_load_b128 v[132:135], v2 offset:752
	ds_load_b128 v[138:141], v2 offset:768
	s_wait_dscnt 0x1
	v_fmac_f64_e32 v[146:147], v[136:137], v[132:133]
	s_wait_loadcnt 0x4
	s_delay_alu instid0(VALU_DEP_1)
	v_fmac_f64_e32 v[146:147], v[120:121], v[134:135]
	scratch_load_b128 v[132:135], off, off offset:408
	s_wait_dscnt 0x0
	v_fmac_f64_e32 v[146:147], v[122:123], v[138:139]
	ds_load_b128 v[120:123], v2 offset:784
	ds_load_b128 v[136:139], v2 offset:800
	s_wait_loadcnt 0x4
	v_fmac_f64_e32 v[146:147], v[124:125], v[140:141]
	s_wait_dscnt 0x1
	s_delay_alu instid0(VALU_DEP_1) | instskip(SKIP_1) | instid1(VALU_DEP_1)
	v_fmac_f64_e32 v[146:147], v[126:127], v[120:121]
	s_wait_loadcnt 0x3
	v_fmac_f64_e32 v[146:147], v[112:113], v[122:123]
	s_wait_dscnt 0x0
	s_delay_alu instid0(VALU_DEP_1)
	v_fmac_f64_e32 v[146:147], v[114:115], v[136:137]
	ds_load_b128 v[112:115], v2 offset:816
	ds_load_b128 v[120:123], v2 offset:832
	s_wait_loadcnt 0x2
	v_fmac_f64_e32 v[146:147], v[128:129], v[138:139]
	s_wait_dscnt 0x1
	s_delay_alu instid0(VALU_DEP_1) | instskip(SKIP_4) | instid1(VALU_DEP_1)
	v_fmac_f64_e32 v[146:147], v[130:131], v[112:113]
	ds_load_b64 v[112:113], v2 offset:848
	s_wait_loadcnt 0x1
	v_fmac_f64_e32 v[146:147], v[116:117], v[114:115]
	s_wait_dscnt 0x1
	v_fmac_f64_e32 v[146:147], v[118:119], v[120:121]
	s_wait_loadcnt 0x0
	s_delay_alu instid0(VALU_DEP_1) | instskip(SKIP_1) | instid1(VALU_DEP_1)
	v_fmac_f64_e32 v[146:147], v[132:133], v[122:123]
	s_wait_dscnt 0x0
	v_fmac_f64_e32 v[146:147], v[134:135], v[112:113]
	s_delay_alu instid0(VALU_DEP_1)
	v_add_f64_e64 v[110:111], v[110:111], -v[146:147]
	scratch_store_b64 off, v[110:111], off offset:152
	s_wait_xcnt 0x0
	v_cmpx_lt_u32_e32 18, v0
	s_cbranch_execz .LBB52_291
; %bb.290:
	scratch_load_b64 v[110:111], off, off offset:144
	v_mov_b64_e32 v[112:113], 0
	scratch_store_b64 off, v[112:113], off offset:144
	s_wait_loadcnt 0x0
	ds_store_b64 v1, v[110:111]
.LBB52_291:
	s_wait_xcnt 0x0
	s_or_b32 exec_lo, exec_lo, s0
	s_wait_storecnt_dscnt 0x0
	s_barrier_signal -1
	s_barrier_wait -1
	s_clause 0x5
	scratch_load_b128 v[110:113], off, off offset:144
	scratch_load_b128 v[114:117], off, off offset:160
	;; [unrolled: 1-line block ×6, first 2 shown]
	ds_load_2addr_b64 v[134:137], v2 offset0:73 offset1:74
	ds_load_2addr_b64 v[138:141], v2 offset0:75 offset1:76
	scratch_load_b128 v[142:145], off, off offset:240
	s_mov_b32 s0, exec_lo
	s_wait_loadcnt_dscnt 0x601
	v_fma_f64 v[146:147], v[112:113], v[134:135], 0
	s_wait_loadcnt 0x5
	s_delay_alu instid0(VALU_DEP_1) | instskip(SKIP_4) | instid1(VALU_DEP_1)
	v_fmac_f64_e32 v[146:147], v[114:115], v[136:137]
	scratch_load_b128 v[112:115], off, off offset:256
	s_wait_dscnt 0x0
	v_fmac_f64_e32 v[146:147], v[116:117], v[138:139]
	s_wait_loadcnt 0x5
	v_fmac_f64_e32 v[146:147], v[118:119], v[140:141]
	ds_load_2addr_b64 v[116:119], v2 offset0:77 offset1:78
	ds_load_2addr_b64 v[134:137], v2 offset0:79 offset1:80
	scratch_load_b128 v[138:141], off, off offset:272
	s_wait_dscnt 0x1
	v_fmac_f64_e32 v[146:147], v[120:121], v[116:117]
	s_wait_loadcnt 0x5
	s_delay_alu instid0(VALU_DEP_1) | instskip(SKIP_4) | instid1(VALU_DEP_1)
	v_fmac_f64_e32 v[146:147], v[122:123], v[118:119]
	scratch_load_b128 v[116:119], off, off offset:288
	s_wait_dscnt 0x0
	v_fmac_f64_e32 v[146:147], v[124:125], v[134:135]
	s_wait_loadcnt 0x5
	v_fmac_f64_e32 v[146:147], v[126:127], v[136:137]
	ds_load_2addr_b64 v[120:123], v2 offset0:81 offset1:82
	ds_load_2addr_b64 v[124:127], v2 offset0:83 offset1:84
	scratch_load_b128 v[134:137], off, off offset:304
	s_wait_dscnt 0x1
	v_fmac_f64_e32 v[146:147], v[128:129], v[120:121]
	s_wait_loadcnt 0x5
	s_delay_alu instid0(VALU_DEP_1) | instskip(SKIP_4) | instid1(VALU_DEP_1)
	v_fmac_f64_e32 v[146:147], v[130:131], v[122:123]
	scratch_load_b128 v[120:123], off, off offset:320
	s_wait_dscnt 0x0
	v_fmac_f64_e32 v[146:147], v[132:133], v[124:125]
	s_wait_loadcnt 0x5
	v_fmac_f64_e32 v[146:147], v[142:143], v[126:127]
	ds_load_2addr_b64 v[124:127], v2 offset0:85 offset1:86
	ds_load_2addr_b64 v[128:131], v2 offset0:87 offset1:88
	s_wait_dscnt 0x1
	v_fmac_f64_e32 v[146:147], v[144:145], v[124:125]
	scratch_load_b128 v[142:145], off, off offset:336
	s_wait_loadcnt 0x5
	v_fmac_f64_e32 v[146:147], v[112:113], v[126:127]
	s_wait_dscnt 0x0
	s_delay_alu instid0(VALU_DEP_1)
	v_fmac_f64_e32 v[146:147], v[114:115], v[128:129]
	scratch_load_b128 v[112:115], off, off offset:352
	s_wait_loadcnt 0x5
	v_fmac_f64_e32 v[146:147], v[138:139], v[130:131]
	ds_load_2addr_b64 v[124:127], v2 offset0:89 offset1:90
	ds_load_2addr_b64 v[128:131], v2 offset0:91 offset1:92
	s_wait_dscnt 0x1
	v_fmac_f64_e32 v[146:147], v[140:141], v[124:125]
	s_wait_loadcnt 0x4
	s_delay_alu instid0(VALU_DEP_1)
	v_fmac_f64_e32 v[146:147], v[116:117], v[126:127]
	scratch_load_b128 v[124:127], off, off offset:368
	s_wait_dscnt 0x0
	v_fmac_f64_e32 v[146:147], v[118:119], v[128:129]
	scratch_load_b128 v[116:119], off, off offset:384
	s_wait_loadcnt 0x5
	v_fmac_f64_e32 v[146:147], v[134:135], v[130:131]
	ds_load_2addr_b64 v[128:131], v2 offset0:93 offset1:94
	ds_load_2addr_b64 v[132:135], v2 offset0:95 offset1:96
	s_wait_dscnt 0x1
	v_fmac_f64_e32 v[146:147], v[136:137], v[128:129]
	scratch_load_b64 v[136:137], off, off offset:416
	s_wait_loadcnt 0x5
	v_fmac_f64_e32 v[146:147], v[120:121], v[130:131]
	scratch_load_b128 v[128:131], off, off offset:400
	s_wait_dscnt 0x0
	v_fmac_f64_e32 v[146:147], v[122:123], v[132:133]
	s_wait_loadcnt 0x5
	s_delay_alu instid0(VALU_DEP_1)
	v_fmac_f64_e32 v[146:147], v[142:143], v[134:135]
	ds_load_2addr_b64 v[120:123], v2 offset0:97 offset1:98
	ds_load_2addr_b64 v[132:135], v2 offset0:99 offset1:100
	s_wait_dscnt 0x1
	v_fmac_f64_e32 v[146:147], v[144:145], v[120:121]
	s_wait_loadcnt 0x4
	s_delay_alu instid0(VALU_DEP_1) | instskip(SKIP_1) | instid1(VALU_DEP_1)
	v_fmac_f64_e32 v[146:147], v[112:113], v[122:123]
	s_wait_dscnt 0x0
	v_fmac_f64_e32 v[146:147], v[114:115], v[132:133]
	ds_load_2addr_b64 v[112:115], v2 offset0:101 offset1:102
	ds_load_2addr_b64 v[120:123], v2 offset0:103 offset1:104
	s_wait_loadcnt 0x3
	v_fmac_f64_e32 v[146:147], v[124:125], v[134:135]
	s_wait_dscnt 0x1
	s_delay_alu instid0(VALU_DEP_1) | instskip(SKIP_1) | instid1(VALU_DEP_1)
	v_fmac_f64_e32 v[146:147], v[126:127], v[112:113]
	s_wait_loadcnt 0x2
	v_fmac_f64_e32 v[146:147], v[116:117], v[114:115]
	ds_load_2addr_b64 v[112:115], v2 offset0:105 offset1:106
	s_wait_dscnt 0x1
	v_fmac_f64_e32 v[146:147], v[118:119], v[120:121]
	s_wait_loadcnt 0x0
	s_delay_alu instid0(VALU_DEP_1) | instskip(SKIP_1) | instid1(VALU_DEP_1)
	v_fmac_f64_e32 v[146:147], v[128:129], v[122:123]
	s_wait_dscnt 0x0
	v_fmac_f64_e32 v[146:147], v[130:131], v[112:113]
	s_delay_alu instid0(VALU_DEP_1) | instskip(NEXT) | instid1(VALU_DEP_1)
	v_fmac_f64_e32 v[146:147], v[136:137], v[114:115]
	v_add_f64_e64 v[2:3], v[110:111], -v[146:147]
	scratch_store_b64 off, v[2:3], off offset:144
	s_wait_xcnt 0x0
	v_cmpx_lt_u32_e32 17, v0
	s_cbranch_execz .LBB52_293
; %bb.292:
	scratch_load_b64 v[2:3], off, off offset:136
	v_mov_b64_e32 v[110:111], 0
	scratch_store_b64 off, v[110:111], off offset:136
	s_wait_loadcnt 0x0
	ds_store_b64 v1, v[2:3]
.LBB52_293:
	s_wait_xcnt 0x0
	s_or_b32 exec_lo, exec_lo, s0
	s_wait_storecnt_dscnt 0x0
	s_barrier_signal -1
	s_barrier_wait -1
	s_clause 0x5
	scratch_load_b128 v[110:113], off, off offset:136
	scratch_load_b128 v[114:117], off, off offset:152
	;; [unrolled: 1-line block ×6, first 2 shown]
	v_mov_b32_e32 v2, 0
	ds_load_b128 v[134:137], v2 offset:576
	ds_load_b128 v[138:141], v2 offset:592
	scratch_load_b128 v[142:145], off, off offset:232
	s_mov_b32 s0, exec_lo
	s_wait_loadcnt_dscnt 0x601
	v_fma_f64 v[146:147], v[112:113], v[134:135], 0
	s_wait_loadcnt 0x5
	s_delay_alu instid0(VALU_DEP_1) | instskip(SKIP_4) | instid1(VALU_DEP_1)
	v_fmac_f64_e32 v[146:147], v[114:115], v[136:137]
	scratch_load_b128 v[112:115], off, off offset:248
	s_wait_dscnt 0x0
	v_fmac_f64_e32 v[146:147], v[116:117], v[138:139]
	s_wait_loadcnt 0x5
	v_fmac_f64_e32 v[146:147], v[118:119], v[140:141]
	ds_load_b128 v[116:119], v2 offset:608
	ds_load_b128 v[134:137], v2 offset:624
	scratch_load_b128 v[138:141], off, off offset:264
	s_wait_dscnt 0x1
	v_fmac_f64_e32 v[146:147], v[120:121], v[116:117]
	s_wait_loadcnt 0x5
	s_delay_alu instid0(VALU_DEP_1) | instskip(SKIP_4) | instid1(VALU_DEP_1)
	v_fmac_f64_e32 v[146:147], v[122:123], v[118:119]
	scratch_load_b128 v[116:119], off, off offset:280
	s_wait_dscnt 0x0
	v_fmac_f64_e32 v[146:147], v[124:125], v[134:135]
	s_wait_loadcnt 0x5
	v_fmac_f64_e32 v[146:147], v[126:127], v[136:137]
	ds_load_b128 v[120:123], v2 offset:640
	ds_load_b128 v[124:127], v2 offset:656
	scratch_load_b128 v[134:137], off, off offset:296
	s_wait_dscnt 0x1
	v_fmac_f64_e32 v[146:147], v[128:129], v[120:121]
	s_wait_loadcnt 0x5
	s_delay_alu instid0(VALU_DEP_1) | instskip(SKIP_4) | instid1(VALU_DEP_1)
	v_fmac_f64_e32 v[146:147], v[130:131], v[122:123]
	scratch_load_b128 v[120:123], off, off offset:312
	s_wait_dscnt 0x0
	v_fmac_f64_e32 v[146:147], v[132:133], v[124:125]
	s_wait_loadcnt 0x5
	v_fmac_f64_e32 v[146:147], v[142:143], v[126:127]
	ds_load_b128 v[124:127], v2 offset:672
	ds_load_b128 v[128:131], v2 offset:688
	s_wait_dscnt 0x1
	v_fmac_f64_e32 v[146:147], v[144:145], v[124:125]
	scratch_load_b128 v[142:145], off, off offset:328
	s_wait_loadcnt 0x5
	v_fmac_f64_e32 v[146:147], v[112:113], v[126:127]
	s_wait_dscnt 0x0
	s_delay_alu instid0(VALU_DEP_1)
	v_fmac_f64_e32 v[146:147], v[114:115], v[128:129]
	scratch_load_b128 v[112:115], off, off offset:344
	s_wait_loadcnt 0x5
	v_fmac_f64_e32 v[146:147], v[138:139], v[130:131]
	ds_load_b128 v[124:127], v2 offset:704
	ds_load_b128 v[128:131], v2 offset:720
	s_wait_dscnt 0x1
	v_fmac_f64_e32 v[146:147], v[140:141], v[124:125]
	s_wait_loadcnt 0x4
	s_delay_alu instid0(VALU_DEP_1)
	v_fmac_f64_e32 v[146:147], v[116:117], v[126:127]
	scratch_load_b128 v[124:127], off, off offset:360
	s_wait_dscnt 0x0
	v_fmac_f64_e32 v[146:147], v[118:119], v[128:129]
	scratch_load_b128 v[116:119], off, off offset:376
	s_wait_loadcnt 0x5
	v_fmac_f64_e32 v[146:147], v[134:135], v[130:131]
	ds_load_b128 v[128:131], v2 offset:736
	ds_load_b128 v[132:135], v2 offset:752
	s_wait_dscnt 0x1
	v_fmac_f64_e32 v[146:147], v[136:137], v[128:129]
	s_wait_loadcnt 0x4
	s_delay_alu instid0(VALU_DEP_1)
	v_fmac_f64_e32 v[146:147], v[120:121], v[130:131]
	scratch_load_b128 v[128:131], off, off offset:392
	s_wait_dscnt 0x0
	v_fmac_f64_e32 v[146:147], v[122:123], v[132:133]
	scratch_load_b128 v[120:123], off, off offset:408
	s_wait_loadcnt 0x5
	v_fmac_f64_e32 v[146:147], v[142:143], v[134:135]
	ds_load_b128 v[132:135], v2 offset:768
	ds_load_b128 v[136:139], v2 offset:784
	s_wait_dscnt 0x1
	v_fmac_f64_e32 v[146:147], v[144:145], v[132:133]
	s_wait_loadcnt 0x4
	s_delay_alu instid0(VALU_DEP_1) | instskip(SKIP_1) | instid1(VALU_DEP_1)
	v_fmac_f64_e32 v[146:147], v[112:113], v[134:135]
	s_wait_dscnt 0x0
	v_fmac_f64_e32 v[146:147], v[114:115], v[136:137]
	ds_load_b128 v[112:115], v2 offset:800
	ds_load_b128 v[132:135], v2 offset:816
	s_wait_loadcnt 0x3
	v_fmac_f64_e32 v[146:147], v[124:125], v[138:139]
	s_wait_dscnt 0x1
	s_delay_alu instid0(VALU_DEP_1) | instskip(SKIP_1) | instid1(VALU_DEP_1)
	v_fmac_f64_e32 v[146:147], v[126:127], v[112:113]
	s_wait_loadcnt 0x2
	v_fmac_f64_e32 v[146:147], v[116:117], v[114:115]
	ds_load_b128 v[112:115], v2 offset:832
	ds_load_b64 v[116:117], v2 offset:848
	s_wait_dscnt 0x2
	v_fmac_f64_e32 v[146:147], v[118:119], v[132:133]
	s_wait_loadcnt 0x1
	s_delay_alu instid0(VALU_DEP_1) | instskip(SKIP_1) | instid1(VALU_DEP_1)
	v_fmac_f64_e32 v[146:147], v[128:129], v[134:135]
	s_wait_dscnt 0x1
	v_fmac_f64_e32 v[146:147], v[130:131], v[112:113]
	s_wait_loadcnt 0x0
	s_delay_alu instid0(VALU_DEP_1) | instskip(SKIP_1) | instid1(VALU_DEP_1)
	v_fmac_f64_e32 v[146:147], v[120:121], v[114:115]
	s_wait_dscnt 0x0
	v_fmac_f64_e32 v[146:147], v[122:123], v[116:117]
	s_delay_alu instid0(VALU_DEP_1)
	v_add_f64_e64 v[110:111], v[110:111], -v[146:147]
	scratch_store_b64 off, v[110:111], off offset:136
	s_wait_xcnt 0x0
	v_cmpx_lt_u32_e32 16, v0
	s_cbranch_execz .LBB52_295
; %bb.294:
	scratch_load_b64 v[110:111], off, off offset:128
	v_mov_b64_e32 v[112:113], 0
	scratch_store_b64 off, v[112:113], off offset:128
	s_wait_loadcnt 0x0
	ds_store_b64 v1, v[110:111]
.LBB52_295:
	s_wait_xcnt 0x0
	s_or_b32 exec_lo, exec_lo, s0
	s_wait_storecnt_dscnt 0x0
	s_barrier_signal -1
	s_barrier_wait -1
	s_clause 0x5
	scratch_load_b128 v[110:113], off, off offset:128
	scratch_load_b128 v[114:117], off, off offset:144
	;; [unrolled: 1-line block ×6, first 2 shown]
	ds_load_2addr_b64 v[134:137], v2 offset0:71 offset1:72
	ds_load_2addr_b64 v[138:141], v2 offset0:73 offset1:74
	scratch_load_b128 v[142:145], off, off offset:224
	s_mov_b32 s0, exec_lo
	s_wait_loadcnt_dscnt 0x601
	v_fma_f64 v[146:147], v[112:113], v[134:135], 0
	s_wait_loadcnt 0x5
	s_delay_alu instid0(VALU_DEP_1) | instskip(SKIP_4) | instid1(VALU_DEP_1)
	v_fmac_f64_e32 v[146:147], v[114:115], v[136:137]
	scratch_load_b128 v[112:115], off, off offset:240
	s_wait_dscnt 0x0
	v_fmac_f64_e32 v[146:147], v[116:117], v[138:139]
	s_wait_loadcnt 0x5
	v_fmac_f64_e32 v[146:147], v[118:119], v[140:141]
	ds_load_2addr_b64 v[116:119], v2 offset0:75 offset1:76
	ds_load_2addr_b64 v[134:137], v2 offset0:77 offset1:78
	scratch_load_b128 v[138:141], off, off offset:256
	s_wait_dscnt 0x1
	v_fmac_f64_e32 v[146:147], v[120:121], v[116:117]
	s_wait_loadcnt 0x5
	s_delay_alu instid0(VALU_DEP_1) | instskip(SKIP_4) | instid1(VALU_DEP_1)
	v_fmac_f64_e32 v[146:147], v[122:123], v[118:119]
	scratch_load_b128 v[116:119], off, off offset:272
	s_wait_dscnt 0x0
	v_fmac_f64_e32 v[146:147], v[124:125], v[134:135]
	s_wait_loadcnt 0x5
	v_fmac_f64_e32 v[146:147], v[126:127], v[136:137]
	ds_load_2addr_b64 v[120:123], v2 offset0:79 offset1:80
	ds_load_2addr_b64 v[124:127], v2 offset0:81 offset1:82
	scratch_load_b128 v[134:137], off, off offset:288
	s_wait_dscnt 0x1
	v_fmac_f64_e32 v[146:147], v[128:129], v[120:121]
	s_wait_loadcnt 0x5
	s_delay_alu instid0(VALU_DEP_1) | instskip(SKIP_4) | instid1(VALU_DEP_1)
	v_fmac_f64_e32 v[146:147], v[130:131], v[122:123]
	scratch_load_b128 v[120:123], off, off offset:304
	s_wait_dscnt 0x0
	v_fmac_f64_e32 v[146:147], v[132:133], v[124:125]
	s_wait_loadcnt 0x5
	v_fmac_f64_e32 v[146:147], v[142:143], v[126:127]
	ds_load_2addr_b64 v[124:127], v2 offset0:83 offset1:84
	ds_load_2addr_b64 v[128:131], v2 offset0:85 offset1:86
	s_wait_dscnt 0x1
	v_fmac_f64_e32 v[146:147], v[144:145], v[124:125]
	scratch_load_b128 v[142:145], off, off offset:320
	s_wait_loadcnt 0x5
	v_fmac_f64_e32 v[146:147], v[112:113], v[126:127]
	s_wait_dscnt 0x0
	s_delay_alu instid0(VALU_DEP_1)
	v_fmac_f64_e32 v[146:147], v[114:115], v[128:129]
	scratch_load_b128 v[112:115], off, off offset:336
	s_wait_loadcnt 0x5
	v_fmac_f64_e32 v[146:147], v[138:139], v[130:131]
	ds_load_2addr_b64 v[124:127], v2 offset0:87 offset1:88
	ds_load_2addr_b64 v[128:131], v2 offset0:89 offset1:90
	s_wait_dscnt 0x1
	v_fmac_f64_e32 v[146:147], v[140:141], v[124:125]
	s_wait_loadcnt 0x4
	s_delay_alu instid0(VALU_DEP_1)
	v_fmac_f64_e32 v[146:147], v[116:117], v[126:127]
	scratch_load_b128 v[124:127], off, off offset:352
	s_wait_dscnt 0x0
	v_fmac_f64_e32 v[146:147], v[118:119], v[128:129]
	scratch_load_b128 v[116:119], off, off offset:368
	s_wait_loadcnt 0x5
	v_fmac_f64_e32 v[146:147], v[134:135], v[130:131]
	ds_load_2addr_b64 v[128:131], v2 offset0:91 offset1:92
	ds_load_2addr_b64 v[132:135], v2 offset0:93 offset1:94
	s_wait_dscnt 0x1
	v_fmac_f64_e32 v[146:147], v[136:137], v[128:129]
	s_wait_loadcnt 0x4
	s_delay_alu instid0(VALU_DEP_1)
	v_fmac_f64_e32 v[146:147], v[120:121], v[130:131]
	scratch_load_b128 v[128:131], off, off offset:384
	s_wait_dscnt 0x0
	v_fmac_f64_e32 v[146:147], v[122:123], v[132:133]
	scratch_load_b128 v[120:123], off, off offset:400
	s_wait_loadcnt 0x5
	v_fmac_f64_e32 v[146:147], v[142:143], v[134:135]
	ds_load_2addr_b64 v[132:135], v2 offset0:95 offset1:96
	ds_load_2addr_b64 v[136:139], v2 offset0:97 offset1:98
	scratch_load_b64 v[140:141], off, off offset:416
	s_wait_dscnt 0x1
	v_fmac_f64_e32 v[146:147], v[144:145], v[132:133]
	s_wait_loadcnt 0x5
	s_delay_alu instid0(VALU_DEP_1) | instskip(SKIP_1) | instid1(VALU_DEP_1)
	v_fmac_f64_e32 v[146:147], v[112:113], v[134:135]
	s_wait_dscnt 0x0
	v_fmac_f64_e32 v[146:147], v[114:115], v[136:137]
	ds_load_2addr_b64 v[112:115], v2 offset0:99 offset1:100
	ds_load_2addr_b64 v[132:135], v2 offset0:101 offset1:102
	s_wait_loadcnt 0x4
	v_fmac_f64_e32 v[146:147], v[124:125], v[138:139]
	s_wait_dscnt 0x1
	s_delay_alu instid0(VALU_DEP_1) | instskip(SKIP_1) | instid1(VALU_DEP_1)
	v_fmac_f64_e32 v[146:147], v[126:127], v[112:113]
	s_wait_loadcnt 0x3
	v_fmac_f64_e32 v[146:147], v[116:117], v[114:115]
	s_wait_dscnt 0x0
	s_delay_alu instid0(VALU_DEP_1)
	v_fmac_f64_e32 v[146:147], v[118:119], v[132:133]
	ds_load_2addr_b64 v[112:115], v2 offset0:103 offset1:104
	ds_load_2addr_b64 v[116:119], v2 offset0:105 offset1:106
	s_wait_loadcnt 0x2
	v_fmac_f64_e32 v[146:147], v[128:129], v[134:135]
	s_wait_dscnt 0x1
	s_delay_alu instid0(VALU_DEP_1) | instskip(SKIP_1) | instid1(VALU_DEP_1)
	v_fmac_f64_e32 v[146:147], v[130:131], v[112:113]
	s_wait_loadcnt 0x1
	v_fmac_f64_e32 v[146:147], v[120:121], v[114:115]
	s_wait_dscnt 0x0
	s_delay_alu instid0(VALU_DEP_1) | instskip(SKIP_1) | instid1(VALU_DEP_1)
	v_fmac_f64_e32 v[146:147], v[122:123], v[116:117]
	s_wait_loadcnt 0x0
	v_fmac_f64_e32 v[146:147], v[140:141], v[118:119]
	s_delay_alu instid0(VALU_DEP_1)
	v_add_f64_e64 v[2:3], v[110:111], -v[146:147]
	scratch_store_b64 off, v[2:3], off offset:128
	s_wait_xcnt 0x0
	v_cmpx_lt_u32_e32 15, v0
	s_cbranch_execz .LBB52_297
; %bb.296:
	scratch_load_b64 v[2:3], off, off offset:120
	v_mov_b64_e32 v[110:111], 0
	scratch_store_b64 off, v[110:111], off offset:120
	s_wait_loadcnt 0x0
	ds_store_b64 v1, v[2:3]
.LBB52_297:
	s_wait_xcnt 0x0
	s_or_b32 exec_lo, exec_lo, s0
	s_wait_storecnt_dscnt 0x0
	s_barrier_signal -1
	s_barrier_wait -1
	s_clause 0x5
	scratch_load_b128 v[110:113], off, off offset:120
	scratch_load_b128 v[114:117], off, off offset:136
	;; [unrolled: 1-line block ×6, first 2 shown]
	v_mov_b32_e32 v2, 0
	ds_load_b128 v[134:137], v2 offset:560
	ds_load_b128 v[138:141], v2 offset:576
	scratch_load_b128 v[142:145], off, off offset:216
	s_mov_b32 s0, exec_lo
	s_wait_loadcnt_dscnt 0x601
	v_fma_f64 v[146:147], v[112:113], v[134:135], 0
	s_wait_loadcnt 0x5
	s_delay_alu instid0(VALU_DEP_1) | instskip(SKIP_4) | instid1(VALU_DEP_1)
	v_fmac_f64_e32 v[146:147], v[114:115], v[136:137]
	scratch_load_b128 v[112:115], off, off offset:232
	s_wait_dscnt 0x0
	v_fmac_f64_e32 v[146:147], v[116:117], v[138:139]
	s_wait_loadcnt 0x5
	v_fmac_f64_e32 v[146:147], v[118:119], v[140:141]
	ds_load_b128 v[116:119], v2 offset:592
	ds_load_b128 v[134:137], v2 offset:608
	scratch_load_b128 v[138:141], off, off offset:248
	s_wait_dscnt 0x1
	v_fmac_f64_e32 v[146:147], v[120:121], v[116:117]
	s_wait_loadcnt 0x5
	s_delay_alu instid0(VALU_DEP_1) | instskip(SKIP_4) | instid1(VALU_DEP_1)
	v_fmac_f64_e32 v[146:147], v[122:123], v[118:119]
	scratch_load_b128 v[116:119], off, off offset:264
	s_wait_dscnt 0x0
	v_fmac_f64_e32 v[146:147], v[124:125], v[134:135]
	s_wait_loadcnt 0x5
	v_fmac_f64_e32 v[146:147], v[126:127], v[136:137]
	ds_load_b128 v[120:123], v2 offset:624
	ds_load_b128 v[124:127], v2 offset:640
	scratch_load_b128 v[134:137], off, off offset:280
	s_wait_dscnt 0x1
	v_fmac_f64_e32 v[146:147], v[128:129], v[120:121]
	s_wait_loadcnt 0x5
	s_delay_alu instid0(VALU_DEP_1) | instskip(SKIP_4) | instid1(VALU_DEP_1)
	v_fmac_f64_e32 v[146:147], v[130:131], v[122:123]
	scratch_load_b128 v[120:123], off, off offset:296
	s_wait_dscnt 0x0
	v_fmac_f64_e32 v[146:147], v[132:133], v[124:125]
	s_wait_loadcnt 0x5
	v_fmac_f64_e32 v[146:147], v[142:143], v[126:127]
	ds_load_b128 v[124:127], v2 offset:656
	ds_load_b128 v[128:131], v2 offset:672
	s_wait_dscnt 0x1
	v_fmac_f64_e32 v[146:147], v[144:145], v[124:125]
	scratch_load_b128 v[142:145], off, off offset:312
	s_wait_loadcnt 0x5
	v_fmac_f64_e32 v[146:147], v[112:113], v[126:127]
	s_wait_dscnt 0x0
	s_delay_alu instid0(VALU_DEP_1)
	v_fmac_f64_e32 v[146:147], v[114:115], v[128:129]
	scratch_load_b128 v[112:115], off, off offset:328
	s_wait_loadcnt 0x5
	v_fmac_f64_e32 v[146:147], v[138:139], v[130:131]
	ds_load_b128 v[124:127], v2 offset:688
	ds_load_b128 v[128:131], v2 offset:704
	s_wait_dscnt 0x1
	v_fmac_f64_e32 v[146:147], v[140:141], v[124:125]
	s_wait_loadcnt 0x4
	s_delay_alu instid0(VALU_DEP_1)
	v_fmac_f64_e32 v[146:147], v[116:117], v[126:127]
	scratch_load_b128 v[124:127], off, off offset:344
	s_wait_dscnt 0x0
	v_fmac_f64_e32 v[146:147], v[118:119], v[128:129]
	scratch_load_b128 v[116:119], off, off offset:360
	s_wait_loadcnt 0x5
	v_fmac_f64_e32 v[146:147], v[134:135], v[130:131]
	ds_load_b128 v[128:131], v2 offset:720
	ds_load_b128 v[132:135], v2 offset:736
	s_wait_dscnt 0x1
	v_fmac_f64_e32 v[146:147], v[136:137], v[128:129]
	s_wait_loadcnt 0x4
	s_delay_alu instid0(VALU_DEP_1)
	v_fmac_f64_e32 v[146:147], v[120:121], v[130:131]
	scratch_load_b128 v[128:131], off, off offset:376
	s_wait_dscnt 0x0
	v_fmac_f64_e32 v[146:147], v[122:123], v[132:133]
	scratch_load_b128 v[120:123], off, off offset:392
	s_wait_loadcnt 0x5
	v_fmac_f64_e32 v[146:147], v[142:143], v[134:135]
	ds_load_b128 v[132:135], v2 offset:752
	ds_load_b128 v[136:139], v2 offset:768
	s_wait_dscnt 0x1
	v_fmac_f64_e32 v[146:147], v[144:145], v[132:133]
	s_wait_loadcnt 0x4
	s_delay_alu instid0(VALU_DEP_1) | instskip(SKIP_4) | instid1(VALU_DEP_1)
	v_fmac_f64_e32 v[146:147], v[112:113], v[134:135]
	scratch_load_b128 v[132:135], off, off offset:408
	s_wait_dscnt 0x0
	v_fmac_f64_e32 v[146:147], v[114:115], v[136:137]
	s_wait_loadcnt 0x4
	v_fmac_f64_e32 v[146:147], v[124:125], v[138:139]
	ds_load_b128 v[112:115], v2 offset:784
	ds_load_b128 v[136:139], v2 offset:800
	s_wait_dscnt 0x1
	v_fmac_f64_e32 v[146:147], v[126:127], v[112:113]
	s_wait_loadcnt 0x3
	s_delay_alu instid0(VALU_DEP_1) | instskip(SKIP_1) | instid1(VALU_DEP_1)
	v_fmac_f64_e32 v[146:147], v[116:117], v[114:115]
	s_wait_dscnt 0x0
	v_fmac_f64_e32 v[146:147], v[118:119], v[136:137]
	ds_load_b128 v[112:115], v2 offset:816
	ds_load_b128 v[116:119], v2 offset:832
	s_wait_loadcnt 0x2
	v_fmac_f64_e32 v[146:147], v[128:129], v[138:139]
	s_wait_dscnt 0x1
	s_delay_alu instid0(VALU_DEP_1) | instskip(SKIP_4) | instid1(VALU_DEP_1)
	v_fmac_f64_e32 v[146:147], v[130:131], v[112:113]
	ds_load_b64 v[112:113], v2 offset:848
	s_wait_loadcnt 0x1
	v_fmac_f64_e32 v[146:147], v[120:121], v[114:115]
	s_wait_dscnt 0x1
	v_fmac_f64_e32 v[146:147], v[122:123], v[116:117]
	s_wait_loadcnt 0x0
	s_delay_alu instid0(VALU_DEP_1) | instskip(SKIP_1) | instid1(VALU_DEP_1)
	v_fmac_f64_e32 v[146:147], v[132:133], v[118:119]
	s_wait_dscnt 0x0
	v_fmac_f64_e32 v[146:147], v[134:135], v[112:113]
	s_delay_alu instid0(VALU_DEP_1)
	v_add_f64_e64 v[110:111], v[110:111], -v[146:147]
	scratch_store_b64 off, v[110:111], off offset:120
	s_wait_xcnt 0x0
	v_cmpx_lt_u32_e32 14, v0
	s_cbranch_execz .LBB52_299
; %bb.298:
	scratch_load_b64 v[110:111], off, off offset:112
	v_mov_b64_e32 v[112:113], 0
	scratch_store_b64 off, v[112:113], off offset:112
	s_wait_loadcnt 0x0
	ds_store_b64 v1, v[110:111]
.LBB52_299:
	s_wait_xcnt 0x0
	s_or_b32 exec_lo, exec_lo, s0
	s_wait_storecnt_dscnt 0x0
	s_barrier_signal -1
	s_barrier_wait -1
	s_clause 0x5
	scratch_load_b128 v[110:113], off, off offset:112
	scratch_load_b128 v[114:117], off, off offset:128
	;; [unrolled: 1-line block ×6, first 2 shown]
	ds_load_2addr_b64 v[134:137], v2 offset0:69 offset1:70
	ds_load_2addr_b64 v[138:141], v2 offset0:71 offset1:72
	scratch_load_b128 v[142:145], off, off offset:208
	s_mov_b32 s0, exec_lo
	s_wait_loadcnt_dscnt 0x601
	v_fma_f64 v[146:147], v[112:113], v[134:135], 0
	s_wait_loadcnt 0x5
	s_delay_alu instid0(VALU_DEP_1) | instskip(SKIP_4) | instid1(VALU_DEP_1)
	v_fmac_f64_e32 v[146:147], v[114:115], v[136:137]
	scratch_load_b128 v[112:115], off, off offset:224
	s_wait_dscnt 0x0
	v_fmac_f64_e32 v[146:147], v[116:117], v[138:139]
	s_wait_loadcnt 0x5
	v_fmac_f64_e32 v[146:147], v[118:119], v[140:141]
	ds_load_2addr_b64 v[116:119], v2 offset0:73 offset1:74
	ds_load_2addr_b64 v[134:137], v2 offset0:75 offset1:76
	scratch_load_b128 v[138:141], off, off offset:240
	s_wait_dscnt 0x1
	v_fmac_f64_e32 v[146:147], v[120:121], v[116:117]
	s_wait_loadcnt 0x5
	s_delay_alu instid0(VALU_DEP_1) | instskip(SKIP_4) | instid1(VALU_DEP_1)
	v_fmac_f64_e32 v[146:147], v[122:123], v[118:119]
	scratch_load_b128 v[116:119], off, off offset:256
	s_wait_dscnt 0x0
	v_fmac_f64_e32 v[146:147], v[124:125], v[134:135]
	s_wait_loadcnt 0x5
	v_fmac_f64_e32 v[146:147], v[126:127], v[136:137]
	ds_load_2addr_b64 v[120:123], v2 offset0:77 offset1:78
	ds_load_2addr_b64 v[124:127], v2 offset0:79 offset1:80
	scratch_load_b128 v[134:137], off, off offset:272
	s_wait_dscnt 0x1
	v_fmac_f64_e32 v[146:147], v[128:129], v[120:121]
	s_wait_loadcnt 0x5
	s_delay_alu instid0(VALU_DEP_1) | instskip(SKIP_4) | instid1(VALU_DEP_1)
	v_fmac_f64_e32 v[146:147], v[130:131], v[122:123]
	scratch_load_b128 v[120:123], off, off offset:288
	s_wait_dscnt 0x0
	v_fmac_f64_e32 v[146:147], v[132:133], v[124:125]
	s_wait_loadcnt 0x5
	v_fmac_f64_e32 v[146:147], v[142:143], v[126:127]
	ds_load_2addr_b64 v[124:127], v2 offset0:81 offset1:82
	ds_load_2addr_b64 v[128:131], v2 offset0:83 offset1:84
	s_wait_dscnt 0x1
	v_fmac_f64_e32 v[146:147], v[144:145], v[124:125]
	scratch_load_b128 v[142:145], off, off offset:304
	s_wait_loadcnt 0x5
	v_fmac_f64_e32 v[146:147], v[112:113], v[126:127]
	s_wait_dscnt 0x0
	s_delay_alu instid0(VALU_DEP_1)
	v_fmac_f64_e32 v[146:147], v[114:115], v[128:129]
	scratch_load_b128 v[112:115], off, off offset:320
	s_wait_loadcnt 0x5
	v_fmac_f64_e32 v[146:147], v[138:139], v[130:131]
	ds_load_2addr_b64 v[124:127], v2 offset0:85 offset1:86
	ds_load_2addr_b64 v[128:131], v2 offset0:87 offset1:88
	s_wait_dscnt 0x1
	v_fmac_f64_e32 v[146:147], v[140:141], v[124:125]
	scratch_load_b128 v[138:141], off, off offset:336
	s_wait_loadcnt 0x5
	v_fmac_f64_e32 v[146:147], v[116:117], v[126:127]
	s_wait_dscnt 0x0
	s_delay_alu instid0(VALU_DEP_1)
	v_fmac_f64_e32 v[146:147], v[118:119], v[128:129]
	scratch_load_b128 v[116:119], off, off offset:352
	s_wait_loadcnt 0x5
	v_fmac_f64_e32 v[146:147], v[134:135], v[130:131]
	ds_load_2addr_b64 v[124:127], v2 offset0:89 offset1:90
	ds_load_2addr_b64 v[128:131], v2 offset0:91 offset1:92
	s_wait_dscnt 0x1
	v_fmac_f64_e32 v[146:147], v[136:137], v[124:125]
	s_wait_loadcnt 0x4
	s_delay_alu instid0(VALU_DEP_1)
	v_fmac_f64_e32 v[146:147], v[120:121], v[126:127]
	scratch_load_b128 v[124:127], off, off offset:368
	s_wait_dscnt 0x0
	v_fmac_f64_e32 v[146:147], v[122:123], v[128:129]
	scratch_load_b128 v[120:123], off, off offset:384
	s_wait_loadcnt 0x5
	v_fmac_f64_e32 v[146:147], v[142:143], v[130:131]
	ds_load_2addr_b64 v[128:131], v2 offset0:93 offset1:94
	ds_load_2addr_b64 v[132:135], v2 offset0:95 offset1:96
	scratch_load_b64 v[136:137], off, off offset:416
	s_wait_dscnt 0x1
	v_fmac_f64_e32 v[146:147], v[144:145], v[128:129]
	s_wait_loadcnt 0x5
	s_delay_alu instid0(VALU_DEP_1) | instskip(SKIP_4) | instid1(VALU_DEP_1)
	v_fmac_f64_e32 v[146:147], v[112:113], v[130:131]
	scratch_load_b128 v[128:131], off, off offset:400
	s_wait_dscnt 0x0
	v_fmac_f64_e32 v[146:147], v[114:115], v[132:133]
	s_wait_loadcnt 0x5
	v_fmac_f64_e32 v[146:147], v[138:139], v[134:135]
	ds_load_2addr_b64 v[112:115], v2 offset0:97 offset1:98
	ds_load_2addr_b64 v[132:135], v2 offset0:99 offset1:100
	s_wait_dscnt 0x1
	v_fmac_f64_e32 v[146:147], v[140:141], v[112:113]
	s_wait_loadcnt 0x4
	s_delay_alu instid0(VALU_DEP_1) | instskip(SKIP_1) | instid1(VALU_DEP_1)
	v_fmac_f64_e32 v[146:147], v[116:117], v[114:115]
	s_wait_dscnt 0x0
	v_fmac_f64_e32 v[146:147], v[118:119], v[132:133]
	ds_load_2addr_b64 v[112:115], v2 offset0:101 offset1:102
	ds_load_2addr_b64 v[116:119], v2 offset0:103 offset1:104
	s_wait_loadcnt 0x3
	v_fmac_f64_e32 v[146:147], v[124:125], v[134:135]
	s_wait_dscnt 0x1
	s_delay_alu instid0(VALU_DEP_1) | instskip(SKIP_1) | instid1(VALU_DEP_1)
	v_fmac_f64_e32 v[146:147], v[126:127], v[112:113]
	s_wait_loadcnt 0x2
	v_fmac_f64_e32 v[146:147], v[120:121], v[114:115]
	ds_load_2addr_b64 v[112:115], v2 offset0:105 offset1:106
	s_wait_dscnt 0x1
	v_fmac_f64_e32 v[146:147], v[122:123], v[116:117]
	s_wait_loadcnt 0x0
	s_delay_alu instid0(VALU_DEP_1) | instskip(SKIP_1) | instid1(VALU_DEP_1)
	v_fmac_f64_e32 v[146:147], v[128:129], v[118:119]
	s_wait_dscnt 0x0
	v_fmac_f64_e32 v[146:147], v[130:131], v[112:113]
	s_delay_alu instid0(VALU_DEP_1) | instskip(NEXT) | instid1(VALU_DEP_1)
	v_fmac_f64_e32 v[146:147], v[136:137], v[114:115]
	v_add_f64_e64 v[2:3], v[110:111], -v[146:147]
	scratch_store_b64 off, v[2:3], off offset:112
	s_wait_xcnt 0x0
	v_cmpx_lt_u32_e32 13, v0
	s_cbranch_execz .LBB52_301
; %bb.300:
	scratch_load_b64 v[2:3], off, off offset:104
	v_mov_b64_e32 v[110:111], 0
	scratch_store_b64 off, v[110:111], off offset:104
	s_wait_loadcnt 0x0
	ds_store_b64 v1, v[2:3]
.LBB52_301:
	s_wait_xcnt 0x0
	s_or_b32 exec_lo, exec_lo, s0
	s_wait_storecnt_dscnt 0x0
	s_barrier_signal -1
	s_barrier_wait -1
	s_clause 0x5
	scratch_load_b128 v[110:113], off, off offset:104
	scratch_load_b128 v[114:117], off, off offset:120
	;; [unrolled: 1-line block ×6, first 2 shown]
	v_mov_b32_e32 v2, 0
	ds_load_b128 v[134:137], v2 offset:544
	ds_load_b128 v[138:141], v2 offset:560
	scratch_load_b128 v[142:145], off, off offset:200
	s_mov_b32 s0, exec_lo
	s_wait_loadcnt_dscnt 0x601
	v_fma_f64 v[146:147], v[112:113], v[134:135], 0
	s_wait_loadcnt 0x5
	s_delay_alu instid0(VALU_DEP_1) | instskip(SKIP_4) | instid1(VALU_DEP_1)
	v_fmac_f64_e32 v[146:147], v[114:115], v[136:137]
	scratch_load_b128 v[112:115], off, off offset:216
	s_wait_dscnt 0x0
	v_fmac_f64_e32 v[146:147], v[116:117], v[138:139]
	s_wait_loadcnt 0x5
	v_fmac_f64_e32 v[146:147], v[118:119], v[140:141]
	ds_load_b128 v[116:119], v2 offset:576
	ds_load_b128 v[134:137], v2 offset:592
	scratch_load_b128 v[138:141], off, off offset:232
	s_wait_dscnt 0x1
	v_fmac_f64_e32 v[146:147], v[120:121], v[116:117]
	s_wait_loadcnt 0x5
	s_delay_alu instid0(VALU_DEP_1) | instskip(SKIP_4) | instid1(VALU_DEP_1)
	v_fmac_f64_e32 v[146:147], v[122:123], v[118:119]
	scratch_load_b128 v[116:119], off, off offset:248
	s_wait_dscnt 0x0
	v_fmac_f64_e32 v[146:147], v[124:125], v[134:135]
	s_wait_loadcnt 0x5
	v_fmac_f64_e32 v[146:147], v[126:127], v[136:137]
	ds_load_b128 v[120:123], v2 offset:608
	ds_load_b128 v[124:127], v2 offset:624
	scratch_load_b128 v[134:137], off, off offset:264
	s_wait_dscnt 0x1
	v_fmac_f64_e32 v[146:147], v[128:129], v[120:121]
	s_wait_loadcnt 0x5
	s_delay_alu instid0(VALU_DEP_1) | instskip(SKIP_4) | instid1(VALU_DEP_1)
	v_fmac_f64_e32 v[146:147], v[130:131], v[122:123]
	scratch_load_b128 v[120:123], off, off offset:280
	s_wait_dscnt 0x0
	v_fmac_f64_e32 v[146:147], v[132:133], v[124:125]
	s_wait_loadcnt 0x5
	v_fmac_f64_e32 v[146:147], v[142:143], v[126:127]
	ds_load_b128 v[124:127], v2 offset:640
	ds_load_b128 v[128:131], v2 offset:656
	s_wait_dscnt 0x1
	v_fmac_f64_e32 v[146:147], v[144:145], v[124:125]
	scratch_load_b128 v[142:145], off, off offset:296
	s_wait_loadcnt 0x5
	v_fmac_f64_e32 v[146:147], v[112:113], v[126:127]
	s_wait_dscnt 0x0
	s_delay_alu instid0(VALU_DEP_1)
	v_fmac_f64_e32 v[146:147], v[114:115], v[128:129]
	scratch_load_b128 v[112:115], off, off offset:312
	s_wait_loadcnt 0x5
	v_fmac_f64_e32 v[146:147], v[138:139], v[130:131]
	ds_load_b128 v[124:127], v2 offset:672
	ds_load_b128 v[128:131], v2 offset:688
	s_wait_dscnt 0x1
	v_fmac_f64_e32 v[146:147], v[140:141], v[124:125]
	scratch_load_b128 v[138:141], off, off offset:328
	s_wait_loadcnt 0x5
	v_fmac_f64_e32 v[146:147], v[116:117], v[126:127]
	s_wait_dscnt 0x0
	s_delay_alu instid0(VALU_DEP_1)
	v_fmac_f64_e32 v[146:147], v[118:119], v[128:129]
	scratch_load_b128 v[116:119], off, off offset:344
	s_wait_loadcnt 0x5
	v_fmac_f64_e32 v[146:147], v[134:135], v[130:131]
	ds_load_b128 v[124:127], v2 offset:704
	ds_load_b128 v[128:131], v2 offset:720
	s_wait_dscnt 0x1
	v_fmac_f64_e32 v[146:147], v[136:137], v[124:125]
	s_wait_loadcnt 0x4
	s_delay_alu instid0(VALU_DEP_1)
	v_fmac_f64_e32 v[146:147], v[120:121], v[126:127]
	scratch_load_b128 v[124:127], off, off offset:360
	s_wait_dscnt 0x0
	v_fmac_f64_e32 v[146:147], v[122:123], v[128:129]
	scratch_load_b128 v[120:123], off, off offset:376
	s_wait_loadcnt 0x5
	v_fmac_f64_e32 v[146:147], v[142:143], v[130:131]
	ds_load_b128 v[128:131], v2 offset:736
	ds_load_b128 v[132:135], v2 offset:752
	s_wait_dscnt 0x1
	v_fmac_f64_e32 v[146:147], v[144:145], v[128:129]
	s_wait_loadcnt 0x4
	s_delay_alu instid0(VALU_DEP_1)
	v_fmac_f64_e32 v[146:147], v[112:113], v[130:131]
	scratch_load_b128 v[128:131], off, off offset:392
	s_wait_dscnt 0x0
	v_fmac_f64_e32 v[146:147], v[114:115], v[132:133]
	scratch_load_b128 v[112:115], off, off offset:408
	s_wait_loadcnt 0x5
	v_fmac_f64_e32 v[146:147], v[138:139], v[134:135]
	ds_load_b128 v[132:135], v2 offset:768
	ds_load_b128 v[136:139], v2 offset:784
	s_wait_dscnt 0x1
	v_fmac_f64_e32 v[146:147], v[140:141], v[132:133]
	s_wait_loadcnt 0x4
	s_delay_alu instid0(VALU_DEP_1) | instskip(SKIP_1) | instid1(VALU_DEP_1)
	v_fmac_f64_e32 v[146:147], v[116:117], v[134:135]
	s_wait_dscnt 0x0
	v_fmac_f64_e32 v[146:147], v[118:119], v[136:137]
	ds_load_b128 v[116:119], v2 offset:800
	ds_load_b128 v[132:135], v2 offset:816
	s_wait_loadcnt 0x3
	v_fmac_f64_e32 v[146:147], v[124:125], v[138:139]
	s_wait_dscnt 0x1
	s_delay_alu instid0(VALU_DEP_1) | instskip(SKIP_1) | instid1(VALU_DEP_1)
	v_fmac_f64_e32 v[146:147], v[126:127], v[116:117]
	s_wait_loadcnt 0x2
	v_fmac_f64_e32 v[146:147], v[120:121], v[118:119]
	ds_load_b128 v[116:119], v2 offset:832
	ds_load_b64 v[120:121], v2 offset:848
	s_wait_dscnt 0x2
	v_fmac_f64_e32 v[146:147], v[122:123], v[132:133]
	s_wait_loadcnt 0x1
	s_delay_alu instid0(VALU_DEP_1) | instskip(SKIP_1) | instid1(VALU_DEP_1)
	v_fmac_f64_e32 v[146:147], v[128:129], v[134:135]
	s_wait_dscnt 0x1
	v_fmac_f64_e32 v[146:147], v[130:131], v[116:117]
	s_wait_loadcnt 0x0
	s_delay_alu instid0(VALU_DEP_1) | instskip(SKIP_1) | instid1(VALU_DEP_1)
	v_fmac_f64_e32 v[146:147], v[112:113], v[118:119]
	s_wait_dscnt 0x0
	v_fmac_f64_e32 v[146:147], v[114:115], v[120:121]
	s_delay_alu instid0(VALU_DEP_1)
	v_add_f64_e64 v[110:111], v[110:111], -v[146:147]
	scratch_store_b64 off, v[110:111], off offset:104
	s_wait_xcnt 0x0
	v_cmpx_lt_u32_e32 12, v0
	s_cbranch_execz .LBB52_303
; %bb.302:
	scratch_load_b64 v[110:111], off, off offset:96
	v_mov_b64_e32 v[112:113], 0
	scratch_store_b64 off, v[112:113], off offset:96
	s_wait_loadcnt 0x0
	ds_store_b64 v1, v[110:111]
.LBB52_303:
	s_wait_xcnt 0x0
	s_or_b32 exec_lo, exec_lo, s0
	s_wait_storecnt_dscnt 0x0
	s_barrier_signal -1
	s_barrier_wait -1
	s_clause 0x5
	scratch_load_b128 v[110:113], off, off offset:96
	scratch_load_b128 v[114:117], off, off offset:112
	;; [unrolled: 1-line block ×6, first 2 shown]
	ds_load_2addr_b64 v[134:137], v2 offset0:67 offset1:68
	ds_load_2addr_b64 v[138:141], v2 offset0:69 offset1:70
	scratch_load_b128 v[142:145], off, off offset:192
	s_mov_b32 s0, exec_lo
	s_wait_loadcnt_dscnt 0x601
	v_fma_f64 v[146:147], v[112:113], v[134:135], 0
	s_wait_loadcnt 0x5
	s_delay_alu instid0(VALU_DEP_1) | instskip(SKIP_4) | instid1(VALU_DEP_1)
	v_fmac_f64_e32 v[146:147], v[114:115], v[136:137]
	scratch_load_b128 v[112:115], off, off offset:208
	s_wait_dscnt 0x0
	v_fmac_f64_e32 v[146:147], v[116:117], v[138:139]
	s_wait_loadcnt 0x5
	v_fmac_f64_e32 v[146:147], v[118:119], v[140:141]
	ds_load_2addr_b64 v[116:119], v2 offset0:71 offset1:72
	ds_load_2addr_b64 v[134:137], v2 offset0:73 offset1:74
	scratch_load_b128 v[138:141], off, off offset:224
	s_wait_dscnt 0x1
	v_fmac_f64_e32 v[146:147], v[120:121], v[116:117]
	s_wait_loadcnt 0x5
	s_delay_alu instid0(VALU_DEP_1) | instskip(SKIP_4) | instid1(VALU_DEP_1)
	v_fmac_f64_e32 v[146:147], v[122:123], v[118:119]
	scratch_load_b128 v[116:119], off, off offset:240
	s_wait_dscnt 0x0
	v_fmac_f64_e32 v[146:147], v[124:125], v[134:135]
	s_wait_loadcnt 0x5
	v_fmac_f64_e32 v[146:147], v[126:127], v[136:137]
	ds_load_2addr_b64 v[120:123], v2 offset0:75 offset1:76
	ds_load_2addr_b64 v[124:127], v2 offset0:77 offset1:78
	scratch_load_b128 v[134:137], off, off offset:256
	s_wait_dscnt 0x1
	v_fmac_f64_e32 v[146:147], v[128:129], v[120:121]
	s_wait_loadcnt 0x5
	s_delay_alu instid0(VALU_DEP_1) | instskip(SKIP_4) | instid1(VALU_DEP_1)
	v_fmac_f64_e32 v[146:147], v[130:131], v[122:123]
	scratch_load_b128 v[120:123], off, off offset:272
	s_wait_dscnt 0x0
	v_fmac_f64_e32 v[146:147], v[132:133], v[124:125]
	s_wait_loadcnt 0x5
	v_fmac_f64_e32 v[146:147], v[142:143], v[126:127]
	ds_load_2addr_b64 v[124:127], v2 offset0:79 offset1:80
	ds_load_2addr_b64 v[128:131], v2 offset0:81 offset1:82
	s_wait_dscnt 0x1
	v_fmac_f64_e32 v[146:147], v[144:145], v[124:125]
	scratch_load_b128 v[142:145], off, off offset:288
	s_wait_loadcnt 0x5
	v_fmac_f64_e32 v[146:147], v[112:113], v[126:127]
	s_wait_dscnt 0x0
	s_delay_alu instid0(VALU_DEP_1)
	v_fmac_f64_e32 v[146:147], v[114:115], v[128:129]
	scratch_load_b128 v[112:115], off, off offset:304
	s_wait_loadcnt 0x5
	v_fmac_f64_e32 v[146:147], v[138:139], v[130:131]
	ds_load_2addr_b64 v[124:127], v2 offset0:83 offset1:84
	ds_load_2addr_b64 v[128:131], v2 offset0:85 offset1:86
	s_wait_dscnt 0x1
	v_fmac_f64_e32 v[146:147], v[140:141], v[124:125]
	scratch_load_b128 v[138:141], off, off offset:320
	s_wait_loadcnt 0x5
	v_fmac_f64_e32 v[146:147], v[116:117], v[126:127]
	s_wait_dscnt 0x0
	s_delay_alu instid0(VALU_DEP_1)
	v_fmac_f64_e32 v[146:147], v[118:119], v[128:129]
	scratch_load_b128 v[116:119], off, off offset:336
	s_wait_loadcnt 0x5
	v_fmac_f64_e32 v[146:147], v[134:135], v[130:131]
	ds_load_2addr_b64 v[124:127], v2 offset0:87 offset1:88
	ds_load_2addr_b64 v[128:131], v2 offset0:89 offset1:90
	s_wait_dscnt 0x1
	v_fmac_f64_e32 v[146:147], v[136:137], v[124:125]
	s_wait_loadcnt 0x4
	s_delay_alu instid0(VALU_DEP_1)
	v_fmac_f64_e32 v[146:147], v[120:121], v[126:127]
	scratch_load_b128 v[124:127], off, off offset:352
	s_wait_dscnt 0x0
	v_fmac_f64_e32 v[146:147], v[122:123], v[128:129]
	scratch_load_b128 v[120:123], off, off offset:368
	s_wait_loadcnt 0x5
	v_fmac_f64_e32 v[146:147], v[142:143], v[130:131]
	ds_load_2addr_b64 v[128:131], v2 offset0:91 offset1:92
	ds_load_2addr_b64 v[132:135], v2 offset0:93 offset1:94
	s_wait_dscnt 0x1
	v_fmac_f64_e32 v[146:147], v[144:145], v[128:129]
	s_wait_loadcnt 0x4
	s_delay_alu instid0(VALU_DEP_1)
	v_fmac_f64_e32 v[146:147], v[112:113], v[130:131]
	scratch_load_b128 v[128:131], off, off offset:384
	s_wait_dscnt 0x0
	v_fmac_f64_e32 v[146:147], v[114:115], v[132:133]
	scratch_load_b128 v[112:115], off, off offset:400
	s_wait_loadcnt 0x5
	v_fmac_f64_e32 v[146:147], v[138:139], v[134:135]
	ds_load_2addr_b64 v[132:135], v2 offset0:95 offset1:96
	ds_load_2addr_b64 v[136:139], v2 offset0:97 offset1:98
	s_wait_dscnt 0x1
	v_fmac_f64_e32 v[146:147], v[140:141], v[132:133]
	scratch_load_b64 v[140:141], off, off offset:416
	s_wait_loadcnt 0x5
	v_fmac_f64_e32 v[146:147], v[116:117], v[134:135]
	s_wait_dscnt 0x0
	s_delay_alu instid0(VALU_DEP_1)
	v_fmac_f64_e32 v[146:147], v[118:119], v[136:137]
	ds_load_2addr_b64 v[116:119], v2 offset0:99 offset1:100
	ds_load_2addr_b64 v[132:135], v2 offset0:101 offset1:102
	s_wait_loadcnt 0x4
	v_fmac_f64_e32 v[146:147], v[124:125], v[138:139]
	s_wait_dscnt 0x1
	s_delay_alu instid0(VALU_DEP_1) | instskip(SKIP_1) | instid1(VALU_DEP_1)
	v_fmac_f64_e32 v[146:147], v[126:127], v[116:117]
	s_wait_loadcnt 0x3
	v_fmac_f64_e32 v[146:147], v[120:121], v[118:119]
	s_wait_dscnt 0x0
	s_delay_alu instid0(VALU_DEP_1)
	v_fmac_f64_e32 v[146:147], v[122:123], v[132:133]
	ds_load_2addr_b64 v[116:119], v2 offset0:103 offset1:104
	ds_load_2addr_b64 v[120:123], v2 offset0:105 offset1:106
	s_wait_loadcnt 0x2
	v_fmac_f64_e32 v[146:147], v[128:129], v[134:135]
	s_wait_dscnt 0x1
	s_delay_alu instid0(VALU_DEP_1) | instskip(SKIP_1) | instid1(VALU_DEP_1)
	v_fmac_f64_e32 v[146:147], v[130:131], v[116:117]
	s_wait_loadcnt 0x1
	v_fmac_f64_e32 v[146:147], v[112:113], v[118:119]
	s_wait_dscnt 0x0
	s_delay_alu instid0(VALU_DEP_1) | instskip(SKIP_1) | instid1(VALU_DEP_1)
	v_fmac_f64_e32 v[146:147], v[114:115], v[120:121]
	s_wait_loadcnt 0x0
	v_fmac_f64_e32 v[146:147], v[140:141], v[122:123]
	s_delay_alu instid0(VALU_DEP_1)
	v_add_f64_e64 v[2:3], v[110:111], -v[146:147]
	scratch_store_b64 off, v[2:3], off offset:96
	s_wait_xcnt 0x0
	v_cmpx_lt_u32_e32 11, v0
	s_cbranch_execz .LBB52_305
; %bb.304:
	scratch_load_b64 v[2:3], off, off offset:88
	v_mov_b64_e32 v[110:111], 0
	scratch_store_b64 off, v[110:111], off offset:88
	s_wait_loadcnt 0x0
	ds_store_b64 v1, v[2:3]
.LBB52_305:
	s_wait_xcnt 0x0
	s_or_b32 exec_lo, exec_lo, s0
	s_wait_storecnt_dscnt 0x0
	s_barrier_signal -1
	s_barrier_wait -1
	s_clause 0x5
	scratch_load_b128 v[110:113], off, off offset:88
	scratch_load_b128 v[114:117], off, off offset:104
	;; [unrolled: 1-line block ×6, first 2 shown]
	v_mov_b32_e32 v2, 0
	ds_load_b128 v[134:137], v2 offset:528
	ds_load_b128 v[138:141], v2 offset:544
	scratch_load_b128 v[142:145], off, off offset:184
	s_mov_b32 s0, exec_lo
	s_wait_loadcnt_dscnt 0x601
	v_fma_f64 v[146:147], v[112:113], v[134:135], 0
	s_wait_loadcnt 0x5
	s_delay_alu instid0(VALU_DEP_1) | instskip(SKIP_4) | instid1(VALU_DEP_1)
	v_fmac_f64_e32 v[146:147], v[114:115], v[136:137]
	scratch_load_b128 v[112:115], off, off offset:200
	s_wait_dscnt 0x0
	v_fmac_f64_e32 v[146:147], v[116:117], v[138:139]
	s_wait_loadcnt 0x5
	v_fmac_f64_e32 v[146:147], v[118:119], v[140:141]
	ds_load_b128 v[116:119], v2 offset:560
	ds_load_b128 v[134:137], v2 offset:576
	scratch_load_b128 v[138:141], off, off offset:216
	s_wait_dscnt 0x1
	v_fmac_f64_e32 v[146:147], v[120:121], v[116:117]
	s_wait_loadcnt 0x5
	s_delay_alu instid0(VALU_DEP_1) | instskip(SKIP_4) | instid1(VALU_DEP_1)
	v_fmac_f64_e32 v[146:147], v[122:123], v[118:119]
	scratch_load_b128 v[116:119], off, off offset:232
	s_wait_dscnt 0x0
	v_fmac_f64_e32 v[146:147], v[124:125], v[134:135]
	s_wait_loadcnt 0x5
	v_fmac_f64_e32 v[146:147], v[126:127], v[136:137]
	ds_load_b128 v[120:123], v2 offset:592
	ds_load_b128 v[124:127], v2 offset:608
	scratch_load_b128 v[134:137], off, off offset:248
	s_wait_dscnt 0x1
	v_fmac_f64_e32 v[146:147], v[128:129], v[120:121]
	s_wait_loadcnt 0x5
	s_delay_alu instid0(VALU_DEP_1) | instskip(SKIP_4) | instid1(VALU_DEP_1)
	v_fmac_f64_e32 v[146:147], v[130:131], v[122:123]
	scratch_load_b128 v[120:123], off, off offset:264
	s_wait_dscnt 0x0
	v_fmac_f64_e32 v[146:147], v[132:133], v[124:125]
	s_wait_loadcnt 0x5
	v_fmac_f64_e32 v[146:147], v[142:143], v[126:127]
	ds_load_b128 v[124:127], v2 offset:624
	ds_load_b128 v[128:131], v2 offset:640
	s_wait_dscnt 0x1
	v_fmac_f64_e32 v[146:147], v[144:145], v[124:125]
	scratch_load_b128 v[142:145], off, off offset:280
	s_wait_loadcnt 0x5
	v_fmac_f64_e32 v[146:147], v[112:113], v[126:127]
	s_wait_dscnt 0x0
	s_delay_alu instid0(VALU_DEP_1)
	v_fmac_f64_e32 v[146:147], v[114:115], v[128:129]
	scratch_load_b128 v[112:115], off, off offset:296
	s_wait_loadcnt 0x5
	v_fmac_f64_e32 v[146:147], v[138:139], v[130:131]
	ds_load_b128 v[124:127], v2 offset:656
	ds_load_b128 v[128:131], v2 offset:672
	s_wait_dscnt 0x1
	v_fmac_f64_e32 v[146:147], v[140:141], v[124:125]
	scratch_load_b128 v[138:141], off, off offset:312
	s_wait_loadcnt 0x5
	v_fmac_f64_e32 v[146:147], v[116:117], v[126:127]
	s_wait_dscnt 0x0
	s_delay_alu instid0(VALU_DEP_1)
	v_fmac_f64_e32 v[146:147], v[118:119], v[128:129]
	scratch_load_b128 v[116:119], off, off offset:328
	s_wait_loadcnt 0x5
	v_fmac_f64_e32 v[146:147], v[134:135], v[130:131]
	ds_load_b128 v[124:127], v2 offset:688
	ds_load_b128 v[128:131], v2 offset:704
	s_wait_dscnt 0x1
	v_fmac_f64_e32 v[146:147], v[136:137], v[124:125]
	s_wait_loadcnt 0x4
	s_delay_alu instid0(VALU_DEP_1)
	v_fmac_f64_e32 v[146:147], v[120:121], v[126:127]
	scratch_load_b128 v[124:127], off, off offset:344
	s_wait_dscnt 0x0
	v_fmac_f64_e32 v[146:147], v[122:123], v[128:129]
	scratch_load_b128 v[120:123], off, off offset:360
	s_wait_loadcnt 0x5
	v_fmac_f64_e32 v[146:147], v[142:143], v[130:131]
	ds_load_b128 v[128:131], v2 offset:720
	ds_load_b128 v[132:135], v2 offset:736
	s_wait_dscnt 0x1
	v_fmac_f64_e32 v[146:147], v[144:145], v[128:129]
	s_wait_loadcnt 0x4
	s_delay_alu instid0(VALU_DEP_1)
	v_fmac_f64_e32 v[146:147], v[112:113], v[130:131]
	scratch_load_b128 v[128:131], off, off offset:376
	s_wait_dscnt 0x0
	v_fmac_f64_e32 v[146:147], v[114:115], v[132:133]
	scratch_load_b128 v[112:115], off, off offset:392
	s_wait_loadcnt 0x5
	v_fmac_f64_e32 v[146:147], v[138:139], v[134:135]
	ds_load_b128 v[132:135], v2 offset:752
	ds_load_b128 v[136:139], v2 offset:768
	s_wait_dscnt 0x1
	v_fmac_f64_e32 v[146:147], v[140:141], v[132:133]
	s_wait_loadcnt 0x4
	s_delay_alu instid0(VALU_DEP_1) | instskip(SKIP_4) | instid1(VALU_DEP_1)
	v_fmac_f64_e32 v[146:147], v[116:117], v[134:135]
	scratch_load_b128 v[132:135], off, off offset:408
	s_wait_dscnt 0x0
	v_fmac_f64_e32 v[146:147], v[118:119], v[136:137]
	s_wait_loadcnt 0x4
	v_fmac_f64_e32 v[146:147], v[124:125], v[138:139]
	ds_load_b128 v[116:119], v2 offset:784
	ds_load_b128 v[136:139], v2 offset:800
	s_wait_dscnt 0x1
	v_fmac_f64_e32 v[146:147], v[126:127], v[116:117]
	s_wait_loadcnt 0x3
	s_delay_alu instid0(VALU_DEP_1) | instskip(SKIP_1) | instid1(VALU_DEP_1)
	v_fmac_f64_e32 v[146:147], v[120:121], v[118:119]
	s_wait_dscnt 0x0
	v_fmac_f64_e32 v[146:147], v[122:123], v[136:137]
	ds_load_b128 v[116:119], v2 offset:816
	ds_load_b128 v[120:123], v2 offset:832
	s_wait_loadcnt 0x2
	v_fmac_f64_e32 v[146:147], v[128:129], v[138:139]
	s_wait_dscnt 0x1
	s_delay_alu instid0(VALU_DEP_1) | instskip(SKIP_1) | instid1(VALU_DEP_1)
	v_fmac_f64_e32 v[146:147], v[130:131], v[116:117]
	s_wait_loadcnt 0x1
	v_fmac_f64_e32 v[146:147], v[112:113], v[118:119]
	ds_load_b64 v[112:113], v2 offset:848
	s_wait_dscnt 0x1
	v_fmac_f64_e32 v[146:147], v[114:115], v[120:121]
	s_wait_loadcnt 0x0
	s_delay_alu instid0(VALU_DEP_1) | instskip(SKIP_1) | instid1(VALU_DEP_1)
	v_fmac_f64_e32 v[146:147], v[132:133], v[122:123]
	s_wait_dscnt 0x0
	v_fmac_f64_e32 v[146:147], v[134:135], v[112:113]
	s_delay_alu instid0(VALU_DEP_1)
	v_add_f64_e64 v[110:111], v[110:111], -v[146:147]
	scratch_store_b64 off, v[110:111], off offset:88
	s_wait_xcnt 0x0
	v_cmpx_lt_u32_e32 10, v0
	s_cbranch_execz .LBB52_307
; %bb.306:
	scratch_load_b64 v[110:111], off, off offset:80
	v_mov_b64_e32 v[112:113], 0
	scratch_store_b64 off, v[112:113], off offset:80
	s_wait_loadcnt 0x0
	ds_store_b64 v1, v[110:111]
.LBB52_307:
	s_wait_xcnt 0x0
	s_or_b32 exec_lo, exec_lo, s0
	s_wait_storecnt_dscnt 0x0
	s_barrier_signal -1
	s_barrier_wait -1
	s_clause 0x5
	scratch_load_b128 v[110:113], off, off offset:80
	scratch_load_b128 v[114:117], off, off offset:96
	;; [unrolled: 1-line block ×6, first 2 shown]
	ds_load_2addr_b64 v[134:137], v2 offset0:65 offset1:66
	ds_load_2addr_b64 v[138:141], v2 offset0:67 offset1:68
	scratch_load_b128 v[142:145], off, off offset:176
	s_mov_b32 s0, exec_lo
	s_wait_loadcnt_dscnt 0x601
	v_fma_f64 v[146:147], v[112:113], v[134:135], 0
	s_wait_loadcnt 0x5
	s_delay_alu instid0(VALU_DEP_1) | instskip(SKIP_4) | instid1(VALU_DEP_1)
	v_fmac_f64_e32 v[146:147], v[114:115], v[136:137]
	scratch_load_b128 v[112:115], off, off offset:192
	s_wait_dscnt 0x0
	v_fmac_f64_e32 v[146:147], v[116:117], v[138:139]
	s_wait_loadcnt 0x5
	v_fmac_f64_e32 v[146:147], v[118:119], v[140:141]
	ds_load_2addr_b64 v[116:119], v2 offset0:69 offset1:70
	ds_load_2addr_b64 v[134:137], v2 offset0:71 offset1:72
	scratch_load_b128 v[138:141], off, off offset:208
	s_wait_dscnt 0x1
	v_fmac_f64_e32 v[146:147], v[120:121], v[116:117]
	s_wait_loadcnt 0x5
	s_delay_alu instid0(VALU_DEP_1) | instskip(SKIP_4) | instid1(VALU_DEP_1)
	v_fmac_f64_e32 v[146:147], v[122:123], v[118:119]
	scratch_load_b128 v[116:119], off, off offset:224
	s_wait_dscnt 0x0
	v_fmac_f64_e32 v[146:147], v[124:125], v[134:135]
	s_wait_loadcnt 0x5
	v_fmac_f64_e32 v[146:147], v[126:127], v[136:137]
	ds_load_2addr_b64 v[120:123], v2 offset0:73 offset1:74
	ds_load_2addr_b64 v[124:127], v2 offset0:75 offset1:76
	scratch_load_b128 v[134:137], off, off offset:240
	s_wait_dscnt 0x1
	v_fmac_f64_e32 v[146:147], v[128:129], v[120:121]
	s_wait_loadcnt 0x5
	s_delay_alu instid0(VALU_DEP_1) | instskip(SKIP_4) | instid1(VALU_DEP_1)
	v_fmac_f64_e32 v[146:147], v[130:131], v[122:123]
	scratch_load_b128 v[120:123], off, off offset:256
	s_wait_dscnt 0x0
	v_fmac_f64_e32 v[146:147], v[132:133], v[124:125]
	s_wait_loadcnt 0x5
	v_fmac_f64_e32 v[146:147], v[142:143], v[126:127]
	ds_load_2addr_b64 v[124:127], v2 offset0:77 offset1:78
	ds_load_2addr_b64 v[128:131], v2 offset0:79 offset1:80
	s_wait_dscnt 0x1
	v_fmac_f64_e32 v[146:147], v[144:145], v[124:125]
	scratch_load_b128 v[142:145], off, off offset:272
	s_wait_loadcnt 0x5
	v_fmac_f64_e32 v[146:147], v[112:113], v[126:127]
	s_wait_dscnt 0x0
	s_delay_alu instid0(VALU_DEP_1)
	v_fmac_f64_e32 v[146:147], v[114:115], v[128:129]
	scratch_load_b128 v[112:115], off, off offset:288
	s_wait_loadcnt 0x5
	v_fmac_f64_e32 v[146:147], v[138:139], v[130:131]
	ds_load_2addr_b64 v[124:127], v2 offset0:81 offset1:82
	ds_load_2addr_b64 v[128:131], v2 offset0:83 offset1:84
	s_wait_dscnt 0x1
	v_fmac_f64_e32 v[146:147], v[140:141], v[124:125]
	scratch_load_b128 v[138:141], off, off offset:304
	s_wait_loadcnt 0x5
	v_fmac_f64_e32 v[146:147], v[116:117], v[126:127]
	s_wait_dscnt 0x0
	s_delay_alu instid0(VALU_DEP_1)
	v_fmac_f64_e32 v[146:147], v[118:119], v[128:129]
	scratch_load_b128 v[116:119], off, off offset:320
	s_wait_loadcnt 0x5
	v_fmac_f64_e32 v[146:147], v[134:135], v[130:131]
	ds_load_2addr_b64 v[124:127], v2 offset0:85 offset1:86
	ds_load_2addr_b64 v[128:131], v2 offset0:87 offset1:88
	scratch_load_b128 v[132:135], off, off offset:336
	s_wait_dscnt 0x1
	v_fmac_f64_e32 v[146:147], v[136:137], v[124:125]
	s_wait_loadcnt 0x5
	s_delay_alu instid0(VALU_DEP_1) | instskip(SKIP_1) | instid1(VALU_DEP_1)
	v_fmac_f64_e32 v[146:147], v[120:121], v[126:127]
	s_wait_dscnt 0x0
	v_fmac_f64_e32 v[146:147], v[122:123], v[128:129]
	scratch_load_b128 v[120:123], off, off offset:352
	s_wait_loadcnt 0x5
	v_fmac_f64_e32 v[146:147], v[142:143], v[130:131]
	ds_load_2addr_b64 v[124:127], v2 offset0:89 offset1:90
	ds_load_2addr_b64 v[128:131], v2 offset0:91 offset1:92
	s_wait_dscnt 0x1
	v_fmac_f64_e32 v[146:147], v[144:145], v[124:125]
	s_wait_loadcnt 0x4
	s_delay_alu instid0(VALU_DEP_1)
	v_fmac_f64_e32 v[146:147], v[112:113], v[126:127]
	scratch_load_b128 v[124:127], off, off offset:368
	s_wait_dscnt 0x0
	v_fmac_f64_e32 v[146:147], v[114:115], v[128:129]
	scratch_load_b128 v[112:115], off, off offset:384
	s_wait_loadcnt 0x5
	v_fmac_f64_e32 v[146:147], v[138:139], v[130:131]
	ds_load_2addr_b64 v[128:131], v2 offset0:93 offset1:94
	ds_load_2addr_b64 v[136:139], v2 offset0:95 offset1:96
	s_wait_dscnt 0x1
	v_fmac_f64_e32 v[146:147], v[140:141], v[128:129]
	s_wait_loadcnt 0x4
	s_delay_alu instid0(VALU_DEP_1) | instskip(SKIP_4) | instid1(VALU_DEP_1)
	v_fmac_f64_e32 v[146:147], v[116:117], v[130:131]
	scratch_load_b128 v[128:131], off, off offset:400
	s_wait_dscnt 0x0
	v_fmac_f64_e32 v[146:147], v[118:119], v[136:137]
	s_wait_loadcnt 0x4
	v_fmac_f64_e32 v[146:147], v[132:133], v[138:139]
	scratch_load_b64 v[132:133], off, off offset:416
	ds_load_2addr_b64 v[116:119], v2 offset0:97 offset1:98
	ds_load_2addr_b64 v[136:139], v2 offset0:99 offset1:100
	s_wait_dscnt 0x1
	v_fmac_f64_e32 v[146:147], v[134:135], v[116:117]
	s_wait_loadcnt 0x4
	s_delay_alu instid0(VALU_DEP_1) | instskip(SKIP_1) | instid1(VALU_DEP_1)
	v_fmac_f64_e32 v[146:147], v[120:121], v[118:119]
	s_wait_dscnt 0x0
	v_fmac_f64_e32 v[146:147], v[122:123], v[136:137]
	ds_load_2addr_b64 v[116:119], v2 offset0:101 offset1:102
	ds_load_2addr_b64 v[120:123], v2 offset0:103 offset1:104
	s_wait_loadcnt 0x3
	v_fmac_f64_e32 v[146:147], v[124:125], v[138:139]
	s_wait_dscnt 0x1
	s_delay_alu instid0(VALU_DEP_1) | instskip(SKIP_1) | instid1(VALU_DEP_1)
	v_fmac_f64_e32 v[146:147], v[126:127], v[116:117]
	s_wait_loadcnt 0x2
	v_fmac_f64_e32 v[146:147], v[112:113], v[118:119]
	s_wait_dscnt 0x0
	s_delay_alu instid0(VALU_DEP_1) | instskip(SKIP_4) | instid1(VALU_DEP_1)
	v_fmac_f64_e32 v[146:147], v[114:115], v[120:121]
	ds_load_2addr_b64 v[112:115], v2 offset0:105 offset1:106
	s_wait_loadcnt 0x1
	v_fmac_f64_e32 v[146:147], v[128:129], v[122:123]
	s_wait_dscnt 0x0
	v_fmac_f64_e32 v[146:147], v[130:131], v[112:113]
	s_wait_loadcnt 0x0
	s_delay_alu instid0(VALU_DEP_1) | instskip(NEXT) | instid1(VALU_DEP_1)
	v_fmac_f64_e32 v[146:147], v[132:133], v[114:115]
	v_add_f64_e64 v[2:3], v[110:111], -v[146:147]
	scratch_store_b64 off, v[2:3], off offset:80
	s_wait_xcnt 0x0
	v_cmpx_lt_u32_e32 9, v0
	s_cbranch_execz .LBB52_309
; %bb.308:
	scratch_load_b64 v[2:3], off, off offset:72
	v_mov_b64_e32 v[110:111], 0
	scratch_store_b64 off, v[110:111], off offset:72
	s_wait_loadcnt 0x0
	ds_store_b64 v1, v[2:3]
.LBB52_309:
	s_wait_xcnt 0x0
	s_or_b32 exec_lo, exec_lo, s0
	s_wait_storecnt_dscnt 0x0
	s_barrier_signal -1
	s_barrier_wait -1
	s_clause 0x5
	scratch_load_b128 v[110:113], off, off offset:72
	scratch_load_b128 v[114:117], off, off offset:88
	;; [unrolled: 1-line block ×6, first 2 shown]
	v_mov_b32_e32 v2, 0
	ds_load_b128 v[134:137], v2 offset:512
	ds_load_b128 v[138:141], v2 offset:528
	scratch_load_b128 v[142:145], off, off offset:168
	s_mov_b32 s0, exec_lo
	s_wait_loadcnt_dscnt 0x601
	v_fma_f64 v[146:147], v[112:113], v[134:135], 0
	s_wait_loadcnt 0x5
	s_delay_alu instid0(VALU_DEP_1) | instskip(SKIP_4) | instid1(VALU_DEP_1)
	v_fmac_f64_e32 v[146:147], v[114:115], v[136:137]
	scratch_load_b128 v[112:115], off, off offset:184
	s_wait_dscnt 0x0
	v_fmac_f64_e32 v[146:147], v[116:117], v[138:139]
	s_wait_loadcnt 0x5
	v_fmac_f64_e32 v[146:147], v[118:119], v[140:141]
	ds_load_b128 v[116:119], v2 offset:544
	ds_load_b128 v[134:137], v2 offset:560
	scratch_load_b128 v[138:141], off, off offset:200
	s_wait_dscnt 0x1
	v_fmac_f64_e32 v[146:147], v[120:121], v[116:117]
	s_wait_loadcnt 0x5
	s_delay_alu instid0(VALU_DEP_1) | instskip(SKIP_4) | instid1(VALU_DEP_1)
	v_fmac_f64_e32 v[146:147], v[122:123], v[118:119]
	scratch_load_b128 v[116:119], off, off offset:216
	s_wait_dscnt 0x0
	v_fmac_f64_e32 v[146:147], v[124:125], v[134:135]
	s_wait_loadcnt 0x5
	v_fmac_f64_e32 v[146:147], v[126:127], v[136:137]
	ds_load_b128 v[120:123], v2 offset:576
	ds_load_b128 v[124:127], v2 offset:592
	scratch_load_b128 v[134:137], off, off offset:232
	s_wait_dscnt 0x1
	v_fmac_f64_e32 v[146:147], v[128:129], v[120:121]
	s_wait_loadcnt 0x5
	s_delay_alu instid0(VALU_DEP_1) | instskip(SKIP_4) | instid1(VALU_DEP_1)
	v_fmac_f64_e32 v[146:147], v[130:131], v[122:123]
	scratch_load_b128 v[120:123], off, off offset:248
	s_wait_dscnt 0x0
	v_fmac_f64_e32 v[146:147], v[132:133], v[124:125]
	s_wait_loadcnt 0x5
	v_fmac_f64_e32 v[146:147], v[142:143], v[126:127]
	ds_load_b128 v[124:127], v2 offset:608
	ds_load_b128 v[128:131], v2 offset:624
	s_wait_dscnt 0x1
	v_fmac_f64_e32 v[146:147], v[144:145], v[124:125]
	scratch_load_b128 v[142:145], off, off offset:264
	s_wait_loadcnt 0x5
	v_fmac_f64_e32 v[146:147], v[112:113], v[126:127]
	s_wait_dscnt 0x0
	s_delay_alu instid0(VALU_DEP_1)
	v_fmac_f64_e32 v[146:147], v[114:115], v[128:129]
	scratch_load_b128 v[112:115], off, off offset:280
	s_wait_loadcnt 0x5
	v_fmac_f64_e32 v[146:147], v[138:139], v[130:131]
	ds_load_b128 v[124:127], v2 offset:640
	ds_load_b128 v[128:131], v2 offset:656
	s_wait_dscnt 0x1
	v_fmac_f64_e32 v[146:147], v[140:141], v[124:125]
	scratch_load_b128 v[138:141], off, off offset:296
	s_wait_loadcnt 0x5
	v_fmac_f64_e32 v[146:147], v[116:117], v[126:127]
	s_wait_dscnt 0x0
	s_delay_alu instid0(VALU_DEP_1)
	v_fmac_f64_e32 v[146:147], v[118:119], v[128:129]
	scratch_load_b128 v[116:119], off, off offset:312
	s_wait_loadcnt 0x5
	v_fmac_f64_e32 v[146:147], v[134:135], v[130:131]
	ds_load_b128 v[124:127], v2 offset:672
	ds_load_b128 v[128:131], v2 offset:688
	scratch_load_b128 v[132:135], off, off offset:328
	s_wait_dscnt 0x1
	v_fmac_f64_e32 v[146:147], v[136:137], v[124:125]
	s_wait_loadcnt 0x5
	s_delay_alu instid0(VALU_DEP_1) | instskip(SKIP_1) | instid1(VALU_DEP_1)
	v_fmac_f64_e32 v[146:147], v[120:121], v[126:127]
	s_wait_dscnt 0x0
	v_fmac_f64_e32 v[146:147], v[122:123], v[128:129]
	scratch_load_b128 v[120:123], off, off offset:344
	s_wait_loadcnt 0x5
	v_fmac_f64_e32 v[146:147], v[142:143], v[130:131]
	ds_load_b128 v[124:127], v2 offset:704
	ds_load_b128 v[128:131], v2 offset:720
	s_wait_dscnt 0x1
	v_fmac_f64_e32 v[146:147], v[144:145], v[124:125]
	s_wait_loadcnt 0x4
	s_delay_alu instid0(VALU_DEP_1)
	v_fmac_f64_e32 v[146:147], v[112:113], v[126:127]
	scratch_load_b128 v[124:127], off, off offset:360
	s_wait_dscnt 0x0
	v_fmac_f64_e32 v[146:147], v[114:115], v[128:129]
	scratch_load_b128 v[112:115], off, off offset:376
	s_wait_loadcnt 0x5
	v_fmac_f64_e32 v[146:147], v[138:139], v[130:131]
	ds_load_b128 v[128:131], v2 offset:736
	ds_load_b128 v[136:139], v2 offset:752
	s_wait_dscnt 0x1
	v_fmac_f64_e32 v[146:147], v[140:141], v[128:129]
	s_wait_loadcnt 0x4
	s_delay_alu instid0(VALU_DEP_1)
	v_fmac_f64_e32 v[146:147], v[116:117], v[130:131]
	scratch_load_b128 v[128:131], off, off offset:392
	s_wait_dscnt 0x0
	v_fmac_f64_e32 v[146:147], v[118:119], v[136:137]
	scratch_load_b128 v[116:119], off, off offset:408
	s_wait_loadcnt 0x5
	v_fmac_f64_e32 v[146:147], v[132:133], v[138:139]
	ds_load_b128 v[136:139], v2 offset:768
	ds_load_b128 v[140:143], v2 offset:784
	s_wait_dscnt 0x1
	v_fmac_f64_e32 v[146:147], v[134:135], v[136:137]
	s_wait_loadcnt 0x4
	s_delay_alu instid0(VALU_DEP_1) | instskip(SKIP_1) | instid1(VALU_DEP_1)
	v_fmac_f64_e32 v[146:147], v[120:121], v[138:139]
	s_wait_dscnt 0x0
	v_fmac_f64_e32 v[146:147], v[122:123], v[140:141]
	ds_load_b128 v[120:123], v2 offset:800
	ds_load_b128 v[132:135], v2 offset:816
	s_wait_loadcnt 0x3
	v_fmac_f64_e32 v[146:147], v[124:125], v[142:143]
	s_wait_dscnt 0x1
	s_delay_alu instid0(VALU_DEP_1) | instskip(SKIP_1) | instid1(VALU_DEP_1)
	v_fmac_f64_e32 v[146:147], v[126:127], v[120:121]
	s_wait_loadcnt 0x2
	v_fmac_f64_e32 v[146:147], v[112:113], v[122:123]
	s_wait_dscnt 0x0
	s_delay_alu instid0(VALU_DEP_1)
	v_fmac_f64_e32 v[146:147], v[114:115], v[132:133]
	ds_load_b128 v[112:115], v2 offset:832
	ds_load_b64 v[120:121], v2 offset:848
	s_wait_loadcnt 0x1
	v_fmac_f64_e32 v[146:147], v[128:129], v[134:135]
	s_wait_dscnt 0x1
	s_delay_alu instid0(VALU_DEP_1) | instskip(SKIP_1) | instid1(VALU_DEP_1)
	v_fmac_f64_e32 v[146:147], v[130:131], v[112:113]
	s_wait_loadcnt 0x0
	v_fmac_f64_e32 v[146:147], v[116:117], v[114:115]
	s_wait_dscnt 0x0
	s_delay_alu instid0(VALU_DEP_1) | instskip(NEXT) | instid1(VALU_DEP_1)
	v_fmac_f64_e32 v[146:147], v[118:119], v[120:121]
	v_add_f64_e64 v[110:111], v[110:111], -v[146:147]
	scratch_store_b64 off, v[110:111], off offset:72
	s_wait_xcnt 0x0
	v_cmpx_lt_u32_e32 8, v0
	s_cbranch_execz .LBB52_311
; %bb.310:
	scratch_load_b64 v[110:111], off, off offset:64
	v_mov_b64_e32 v[112:113], 0
	scratch_store_b64 off, v[112:113], off offset:64
	s_wait_loadcnt 0x0
	ds_store_b64 v1, v[110:111]
.LBB52_311:
	s_wait_xcnt 0x0
	s_or_b32 exec_lo, exec_lo, s0
	s_wait_storecnt_dscnt 0x0
	s_barrier_signal -1
	s_barrier_wait -1
	s_clause 0x5
	scratch_load_b128 v[110:113], off, off offset:64
	scratch_load_b128 v[114:117], off, off offset:80
	;; [unrolled: 1-line block ×6, first 2 shown]
	ds_load_2addr_b64 v[134:137], v2 offset0:63 offset1:64
	ds_load_2addr_b64 v[138:141], v2 offset0:65 offset1:66
	scratch_load_b128 v[142:145], off, off offset:160
	s_mov_b32 s0, exec_lo
	s_wait_loadcnt_dscnt 0x601
	v_fma_f64 v[146:147], v[112:113], v[134:135], 0
	s_wait_loadcnt 0x5
	s_delay_alu instid0(VALU_DEP_1) | instskip(SKIP_4) | instid1(VALU_DEP_1)
	v_fmac_f64_e32 v[146:147], v[114:115], v[136:137]
	scratch_load_b128 v[112:115], off, off offset:176
	s_wait_dscnt 0x0
	v_fmac_f64_e32 v[146:147], v[116:117], v[138:139]
	s_wait_loadcnt 0x5
	v_fmac_f64_e32 v[146:147], v[118:119], v[140:141]
	ds_load_2addr_b64 v[116:119], v2 offset0:67 offset1:68
	ds_load_2addr_b64 v[134:137], v2 offset0:69 offset1:70
	scratch_load_b128 v[138:141], off, off offset:192
	s_wait_dscnt 0x1
	v_fmac_f64_e32 v[146:147], v[120:121], v[116:117]
	s_wait_loadcnt 0x5
	s_delay_alu instid0(VALU_DEP_1) | instskip(SKIP_4) | instid1(VALU_DEP_1)
	v_fmac_f64_e32 v[146:147], v[122:123], v[118:119]
	scratch_load_b128 v[116:119], off, off offset:208
	s_wait_dscnt 0x0
	v_fmac_f64_e32 v[146:147], v[124:125], v[134:135]
	s_wait_loadcnt 0x5
	v_fmac_f64_e32 v[146:147], v[126:127], v[136:137]
	ds_load_2addr_b64 v[120:123], v2 offset0:71 offset1:72
	ds_load_2addr_b64 v[124:127], v2 offset0:73 offset1:74
	scratch_load_b128 v[134:137], off, off offset:224
	s_wait_dscnt 0x1
	v_fmac_f64_e32 v[146:147], v[128:129], v[120:121]
	s_wait_loadcnt 0x5
	s_delay_alu instid0(VALU_DEP_1) | instskip(SKIP_4) | instid1(VALU_DEP_1)
	v_fmac_f64_e32 v[146:147], v[130:131], v[122:123]
	scratch_load_b128 v[120:123], off, off offset:240
	s_wait_dscnt 0x0
	v_fmac_f64_e32 v[146:147], v[132:133], v[124:125]
	s_wait_loadcnt 0x5
	v_fmac_f64_e32 v[146:147], v[142:143], v[126:127]
	ds_load_2addr_b64 v[124:127], v2 offset0:75 offset1:76
	ds_load_2addr_b64 v[128:131], v2 offset0:77 offset1:78
	s_wait_dscnt 0x1
	v_fmac_f64_e32 v[146:147], v[144:145], v[124:125]
	scratch_load_b128 v[142:145], off, off offset:256
	s_wait_loadcnt 0x5
	v_fmac_f64_e32 v[146:147], v[112:113], v[126:127]
	s_wait_dscnt 0x0
	s_delay_alu instid0(VALU_DEP_1)
	v_fmac_f64_e32 v[146:147], v[114:115], v[128:129]
	scratch_load_b128 v[112:115], off, off offset:272
	s_wait_loadcnt 0x5
	v_fmac_f64_e32 v[146:147], v[138:139], v[130:131]
	ds_load_2addr_b64 v[124:127], v2 offset0:79 offset1:80
	ds_load_2addr_b64 v[128:131], v2 offset0:81 offset1:82
	s_wait_dscnt 0x1
	v_fmac_f64_e32 v[146:147], v[140:141], v[124:125]
	scratch_load_b128 v[138:141], off, off offset:288
	s_wait_loadcnt 0x5
	v_fmac_f64_e32 v[146:147], v[116:117], v[126:127]
	s_wait_dscnt 0x0
	s_delay_alu instid0(VALU_DEP_1)
	v_fmac_f64_e32 v[146:147], v[118:119], v[128:129]
	scratch_load_b128 v[116:119], off, off offset:304
	s_wait_loadcnt 0x5
	v_fmac_f64_e32 v[146:147], v[134:135], v[130:131]
	ds_load_2addr_b64 v[124:127], v2 offset0:83 offset1:84
	ds_load_2addr_b64 v[128:131], v2 offset0:85 offset1:86
	scratch_load_b128 v[132:135], off, off offset:320
	s_wait_dscnt 0x1
	v_fmac_f64_e32 v[146:147], v[136:137], v[124:125]
	s_wait_loadcnt 0x5
	s_delay_alu instid0(VALU_DEP_1) | instskip(SKIP_1) | instid1(VALU_DEP_1)
	v_fmac_f64_e32 v[146:147], v[120:121], v[126:127]
	s_wait_dscnt 0x0
	v_fmac_f64_e32 v[146:147], v[122:123], v[128:129]
	scratch_load_b128 v[120:123], off, off offset:336
	s_wait_loadcnt 0x5
	v_fmac_f64_e32 v[146:147], v[142:143], v[130:131]
	ds_load_2addr_b64 v[124:127], v2 offset0:87 offset1:88
	ds_load_2addr_b64 v[128:131], v2 offset0:89 offset1:90
	s_wait_dscnt 0x1
	v_fmac_f64_e32 v[146:147], v[144:145], v[124:125]
	s_wait_loadcnt 0x4
	s_delay_alu instid0(VALU_DEP_1)
	v_fmac_f64_e32 v[146:147], v[112:113], v[126:127]
	scratch_load_b128 v[124:127], off, off offset:352
	s_wait_dscnt 0x0
	v_fmac_f64_e32 v[146:147], v[114:115], v[128:129]
	scratch_load_b128 v[112:115], off, off offset:368
	s_wait_loadcnt 0x5
	v_fmac_f64_e32 v[146:147], v[138:139], v[130:131]
	ds_load_2addr_b64 v[128:131], v2 offset0:91 offset1:92
	ds_load_2addr_b64 v[136:139], v2 offset0:93 offset1:94
	s_wait_dscnt 0x1
	v_fmac_f64_e32 v[146:147], v[140:141], v[128:129]
	s_wait_loadcnt 0x4
	s_delay_alu instid0(VALU_DEP_1)
	v_fmac_f64_e32 v[146:147], v[116:117], v[130:131]
	scratch_load_b128 v[128:131], off, off offset:384
	s_wait_dscnt 0x0
	v_fmac_f64_e32 v[146:147], v[118:119], v[136:137]
	scratch_load_b128 v[116:119], off, off offset:400
	s_wait_loadcnt 0x5
	v_fmac_f64_e32 v[146:147], v[132:133], v[138:139]
	ds_load_2addr_b64 v[136:139], v2 offset0:95 offset1:96
	ds_load_2addr_b64 v[140:143], v2 offset0:97 offset1:98
	s_wait_dscnt 0x1
	v_fmac_f64_e32 v[146:147], v[134:135], v[136:137]
	scratch_load_b64 v[136:137], off, off offset:416
	s_wait_loadcnt 0x5
	v_fmac_f64_e32 v[146:147], v[120:121], v[138:139]
	s_wait_dscnt 0x0
	s_delay_alu instid0(VALU_DEP_1)
	v_fmac_f64_e32 v[146:147], v[122:123], v[140:141]
	ds_load_2addr_b64 v[120:123], v2 offset0:99 offset1:100
	ds_load_2addr_b64 v[132:135], v2 offset0:101 offset1:102
	s_wait_loadcnt 0x4
	v_fmac_f64_e32 v[146:147], v[124:125], v[142:143]
	s_wait_dscnt 0x1
	s_delay_alu instid0(VALU_DEP_1) | instskip(SKIP_1) | instid1(VALU_DEP_1)
	v_fmac_f64_e32 v[146:147], v[126:127], v[120:121]
	s_wait_loadcnt 0x3
	v_fmac_f64_e32 v[146:147], v[112:113], v[122:123]
	s_wait_dscnt 0x0
	s_delay_alu instid0(VALU_DEP_1)
	v_fmac_f64_e32 v[146:147], v[114:115], v[132:133]
	ds_load_2addr_b64 v[112:115], v2 offset0:103 offset1:104
	ds_load_2addr_b64 v[120:123], v2 offset0:105 offset1:106
	s_wait_loadcnt 0x2
	v_fmac_f64_e32 v[146:147], v[128:129], v[134:135]
	s_wait_dscnt 0x1
	s_delay_alu instid0(VALU_DEP_1) | instskip(SKIP_1) | instid1(VALU_DEP_1)
	v_fmac_f64_e32 v[146:147], v[130:131], v[112:113]
	s_wait_loadcnt 0x1
	v_fmac_f64_e32 v[146:147], v[116:117], v[114:115]
	s_wait_dscnt 0x0
	s_delay_alu instid0(VALU_DEP_1) | instskip(SKIP_1) | instid1(VALU_DEP_1)
	v_fmac_f64_e32 v[146:147], v[118:119], v[120:121]
	s_wait_loadcnt 0x0
	v_fmac_f64_e32 v[146:147], v[136:137], v[122:123]
	s_delay_alu instid0(VALU_DEP_1)
	v_add_f64_e64 v[2:3], v[110:111], -v[146:147]
	scratch_store_b64 off, v[2:3], off offset:64
	s_wait_xcnt 0x0
	v_cmpx_lt_u32_e32 7, v0
	s_cbranch_execz .LBB52_313
; %bb.312:
	scratch_load_b64 v[2:3], off, off offset:56
	v_mov_b64_e32 v[110:111], 0
	scratch_store_b64 off, v[110:111], off offset:56
	s_wait_loadcnt 0x0
	ds_store_b64 v1, v[2:3]
.LBB52_313:
	s_wait_xcnt 0x0
	s_or_b32 exec_lo, exec_lo, s0
	s_wait_storecnt_dscnt 0x0
	s_barrier_signal -1
	s_barrier_wait -1
	s_clause 0x5
	scratch_load_b128 v[110:113], off, off offset:56
	scratch_load_b128 v[114:117], off, off offset:72
	;; [unrolled: 1-line block ×6, first 2 shown]
	v_mov_b32_e32 v2, 0
	ds_load_b128 v[134:137], v2 offset:496
	ds_load_b128 v[138:141], v2 offset:512
	scratch_load_b128 v[142:145], off, off offset:152
	s_mov_b32 s0, exec_lo
	s_wait_loadcnt_dscnt 0x601
	v_fma_f64 v[146:147], v[112:113], v[134:135], 0
	s_wait_loadcnt 0x5
	s_delay_alu instid0(VALU_DEP_1) | instskip(SKIP_4) | instid1(VALU_DEP_1)
	v_fmac_f64_e32 v[146:147], v[114:115], v[136:137]
	scratch_load_b128 v[112:115], off, off offset:168
	s_wait_dscnt 0x0
	v_fmac_f64_e32 v[146:147], v[116:117], v[138:139]
	s_wait_loadcnt 0x5
	v_fmac_f64_e32 v[146:147], v[118:119], v[140:141]
	ds_load_b128 v[116:119], v2 offset:528
	ds_load_b128 v[134:137], v2 offset:544
	scratch_load_b128 v[138:141], off, off offset:184
	s_wait_dscnt 0x1
	v_fmac_f64_e32 v[146:147], v[120:121], v[116:117]
	s_wait_loadcnt 0x5
	s_delay_alu instid0(VALU_DEP_1) | instskip(SKIP_4) | instid1(VALU_DEP_1)
	v_fmac_f64_e32 v[146:147], v[122:123], v[118:119]
	scratch_load_b128 v[116:119], off, off offset:200
	s_wait_dscnt 0x0
	v_fmac_f64_e32 v[146:147], v[124:125], v[134:135]
	s_wait_loadcnt 0x5
	v_fmac_f64_e32 v[146:147], v[126:127], v[136:137]
	ds_load_b128 v[120:123], v2 offset:560
	ds_load_b128 v[124:127], v2 offset:576
	scratch_load_b128 v[134:137], off, off offset:216
	s_wait_dscnt 0x1
	v_fmac_f64_e32 v[146:147], v[128:129], v[120:121]
	s_wait_loadcnt 0x5
	s_delay_alu instid0(VALU_DEP_1) | instskip(SKIP_4) | instid1(VALU_DEP_1)
	v_fmac_f64_e32 v[146:147], v[130:131], v[122:123]
	scratch_load_b128 v[120:123], off, off offset:232
	s_wait_dscnt 0x0
	v_fmac_f64_e32 v[146:147], v[132:133], v[124:125]
	s_wait_loadcnt 0x5
	v_fmac_f64_e32 v[146:147], v[142:143], v[126:127]
	ds_load_b128 v[124:127], v2 offset:592
	ds_load_b128 v[128:131], v2 offset:608
	s_wait_dscnt 0x1
	v_fmac_f64_e32 v[146:147], v[144:145], v[124:125]
	scratch_load_b128 v[142:145], off, off offset:248
	s_wait_loadcnt 0x5
	v_fmac_f64_e32 v[146:147], v[112:113], v[126:127]
	s_wait_dscnt 0x0
	s_delay_alu instid0(VALU_DEP_1)
	v_fmac_f64_e32 v[146:147], v[114:115], v[128:129]
	scratch_load_b128 v[112:115], off, off offset:264
	s_wait_loadcnt 0x5
	v_fmac_f64_e32 v[146:147], v[138:139], v[130:131]
	ds_load_b128 v[124:127], v2 offset:624
	ds_load_b128 v[128:131], v2 offset:640
	s_wait_dscnt 0x1
	v_fmac_f64_e32 v[146:147], v[140:141], v[124:125]
	scratch_load_b128 v[138:141], off, off offset:280
	s_wait_loadcnt 0x5
	v_fmac_f64_e32 v[146:147], v[116:117], v[126:127]
	s_wait_dscnt 0x0
	s_delay_alu instid0(VALU_DEP_1)
	v_fmac_f64_e32 v[146:147], v[118:119], v[128:129]
	scratch_load_b128 v[116:119], off, off offset:296
	s_wait_loadcnt 0x5
	v_fmac_f64_e32 v[146:147], v[134:135], v[130:131]
	ds_load_b128 v[124:127], v2 offset:656
	ds_load_b128 v[128:131], v2 offset:672
	scratch_load_b128 v[132:135], off, off offset:312
	s_wait_dscnt 0x1
	v_fmac_f64_e32 v[146:147], v[136:137], v[124:125]
	s_wait_loadcnt 0x5
	s_delay_alu instid0(VALU_DEP_1) | instskip(SKIP_1) | instid1(VALU_DEP_1)
	v_fmac_f64_e32 v[146:147], v[120:121], v[126:127]
	s_wait_dscnt 0x0
	v_fmac_f64_e32 v[146:147], v[122:123], v[128:129]
	scratch_load_b128 v[120:123], off, off offset:328
	s_wait_loadcnt 0x5
	v_fmac_f64_e32 v[146:147], v[142:143], v[130:131]
	ds_load_b128 v[124:127], v2 offset:688
	ds_load_b128 v[128:131], v2 offset:704
	s_wait_dscnt 0x1
	v_fmac_f64_e32 v[146:147], v[144:145], v[124:125]
	s_wait_loadcnt 0x4
	s_delay_alu instid0(VALU_DEP_1)
	v_fmac_f64_e32 v[146:147], v[112:113], v[126:127]
	scratch_load_b128 v[124:127], off, off offset:344
	s_wait_dscnt 0x0
	v_fmac_f64_e32 v[146:147], v[114:115], v[128:129]
	scratch_load_b128 v[112:115], off, off offset:360
	s_wait_loadcnt 0x5
	v_fmac_f64_e32 v[146:147], v[138:139], v[130:131]
	ds_load_b128 v[128:131], v2 offset:720
	ds_load_b128 v[136:139], v2 offset:736
	s_wait_dscnt 0x1
	v_fmac_f64_e32 v[146:147], v[140:141], v[128:129]
	s_wait_loadcnt 0x4
	s_delay_alu instid0(VALU_DEP_1)
	v_fmac_f64_e32 v[146:147], v[116:117], v[130:131]
	scratch_load_b128 v[128:131], off, off offset:376
	s_wait_dscnt 0x0
	v_fmac_f64_e32 v[146:147], v[118:119], v[136:137]
	scratch_load_b128 v[116:119], off, off offset:392
	s_wait_loadcnt 0x5
	v_fmac_f64_e32 v[146:147], v[132:133], v[138:139]
	ds_load_b128 v[136:139], v2 offset:752
	ds_load_b128 v[140:143], v2 offset:768
	s_wait_dscnt 0x1
	v_fmac_f64_e32 v[146:147], v[134:135], v[136:137]
	scratch_load_b128 v[132:135], off, off offset:408
	s_wait_loadcnt 0x5
	v_fmac_f64_e32 v[146:147], v[120:121], v[138:139]
	s_wait_dscnt 0x0
	s_delay_alu instid0(VALU_DEP_1)
	v_fmac_f64_e32 v[146:147], v[122:123], v[140:141]
	ds_load_b128 v[120:123], v2 offset:784
	ds_load_b128 v[136:139], v2 offset:800
	s_wait_loadcnt 0x4
	v_fmac_f64_e32 v[146:147], v[124:125], v[142:143]
	s_wait_dscnt 0x1
	s_delay_alu instid0(VALU_DEP_1) | instskip(SKIP_1) | instid1(VALU_DEP_1)
	v_fmac_f64_e32 v[146:147], v[126:127], v[120:121]
	s_wait_loadcnt 0x3
	v_fmac_f64_e32 v[146:147], v[112:113], v[122:123]
	s_wait_dscnt 0x0
	s_delay_alu instid0(VALU_DEP_1)
	v_fmac_f64_e32 v[146:147], v[114:115], v[136:137]
	ds_load_b128 v[112:115], v2 offset:816
	ds_load_b128 v[120:123], v2 offset:832
	s_wait_loadcnt 0x2
	v_fmac_f64_e32 v[146:147], v[128:129], v[138:139]
	s_wait_dscnt 0x1
	s_delay_alu instid0(VALU_DEP_1) | instskip(SKIP_4) | instid1(VALU_DEP_1)
	v_fmac_f64_e32 v[146:147], v[130:131], v[112:113]
	ds_load_b64 v[112:113], v2 offset:848
	s_wait_loadcnt 0x1
	v_fmac_f64_e32 v[146:147], v[116:117], v[114:115]
	s_wait_dscnt 0x1
	v_fmac_f64_e32 v[146:147], v[118:119], v[120:121]
	s_wait_loadcnt 0x0
	s_delay_alu instid0(VALU_DEP_1) | instskip(SKIP_1) | instid1(VALU_DEP_1)
	v_fmac_f64_e32 v[146:147], v[132:133], v[122:123]
	s_wait_dscnt 0x0
	v_fmac_f64_e32 v[146:147], v[134:135], v[112:113]
	s_delay_alu instid0(VALU_DEP_1)
	v_add_f64_e64 v[110:111], v[110:111], -v[146:147]
	scratch_store_b64 off, v[110:111], off offset:56
	s_wait_xcnt 0x0
	v_cmpx_lt_u32_e32 6, v0
	s_cbranch_execz .LBB52_315
; %bb.314:
	scratch_load_b64 v[110:111], off, off offset:48
	v_mov_b64_e32 v[112:113], 0
	scratch_store_b64 off, v[112:113], off offset:48
	s_wait_loadcnt 0x0
	ds_store_b64 v1, v[110:111]
.LBB52_315:
	s_wait_xcnt 0x0
	s_or_b32 exec_lo, exec_lo, s0
	s_wait_storecnt_dscnt 0x0
	s_barrier_signal -1
	s_barrier_wait -1
	s_clause 0x5
	scratch_load_b128 v[110:113], off, off offset:48
	scratch_load_b128 v[114:117], off, off offset:64
	;; [unrolled: 1-line block ×6, first 2 shown]
	ds_load_2addr_b64 v[134:137], v2 offset0:61 offset1:62
	ds_load_2addr_b64 v[138:141], v2 offset0:63 offset1:64
	scratch_load_b128 v[142:145], off, off offset:144
	s_mov_b32 s0, exec_lo
	s_wait_loadcnt_dscnt 0x601
	v_fma_f64 v[146:147], v[112:113], v[134:135], 0
	s_wait_loadcnt 0x5
	s_delay_alu instid0(VALU_DEP_1) | instskip(SKIP_4) | instid1(VALU_DEP_1)
	v_fmac_f64_e32 v[146:147], v[114:115], v[136:137]
	scratch_load_b128 v[112:115], off, off offset:160
	s_wait_dscnt 0x0
	v_fmac_f64_e32 v[146:147], v[116:117], v[138:139]
	s_wait_loadcnt 0x5
	v_fmac_f64_e32 v[146:147], v[118:119], v[140:141]
	ds_load_2addr_b64 v[116:119], v2 offset0:65 offset1:66
	ds_load_2addr_b64 v[134:137], v2 offset0:67 offset1:68
	scratch_load_b128 v[138:141], off, off offset:176
	s_wait_dscnt 0x1
	v_fmac_f64_e32 v[146:147], v[120:121], v[116:117]
	s_wait_loadcnt 0x5
	s_delay_alu instid0(VALU_DEP_1) | instskip(SKIP_4) | instid1(VALU_DEP_1)
	v_fmac_f64_e32 v[146:147], v[122:123], v[118:119]
	scratch_load_b128 v[116:119], off, off offset:192
	s_wait_dscnt 0x0
	v_fmac_f64_e32 v[146:147], v[124:125], v[134:135]
	s_wait_loadcnt 0x5
	v_fmac_f64_e32 v[146:147], v[126:127], v[136:137]
	ds_load_2addr_b64 v[120:123], v2 offset0:69 offset1:70
	ds_load_2addr_b64 v[124:127], v2 offset0:71 offset1:72
	scratch_load_b128 v[134:137], off, off offset:208
	s_wait_dscnt 0x1
	v_fmac_f64_e32 v[146:147], v[128:129], v[120:121]
	s_wait_loadcnt 0x5
	s_delay_alu instid0(VALU_DEP_1) | instskip(SKIP_4) | instid1(VALU_DEP_1)
	v_fmac_f64_e32 v[146:147], v[130:131], v[122:123]
	scratch_load_b128 v[120:123], off, off offset:224
	s_wait_dscnt 0x0
	v_fmac_f64_e32 v[146:147], v[132:133], v[124:125]
	s_wait_loadcnt 0x5
	v_fmac_f64_e32 v[146:147], v[142:143], v[126:127]
	ds_load_2addr_b64 v[124:127], v2 offset0:73 offset1:74
	ds_load_2addr_b64 v[128:131], v2 offset0:75 offset1:76
	s_wait_dscnt 0x1
	v_fmac_f64_e32 v[146:147], v[144:145], v[124:125]
	scratch_load_b128 v[142:145], off, off offset:240
	s_wait_loadcnt 0x5
	v_fmac_f64_e32 v[146:147], v[112:113], v[126:127]
	s_wait_dscnt 0x0
	s_delay_alu instid0(VALU_DEP_1)
	v_fmac_f64_e32 v[146:147], v[114:115], v[128:129]
	scratch_load_b128 v[112:115], off, off offset:256
	s_wait_loadcnt 0x5
	v_fmac_f64_e32 v[146:147], v[138:139], v[130:131]
	ds_load_2addr_b64 v[124:127], v2 offset0:77 offset1:78
	ds_load_2addr_b64 v[128:131], v2 offset0:79 offset1:80
	s_wait_dscnt 0x1
	v_fmac_f64_e32 v[146:147], v[140:141], v[124:125]
	scratch_load_b128 v[138:141], off, off offset:272
	s_wait_loadcnt 0x5
	v_fmac_f64_e32 v[146:147], v[116:117], v[126:127]
	s_wait_dscnt 0x0
	s_delay_alu instid0(VALU_DEP_1)
	v_fmac_f64_e32 v[146:147], v[118:119], v[128:129]
	scratch_load_b128 v[116:119], off, off offset:288
	s_wait_loadcnt 0x5
	v_fmac_f64_e32 v[146:147], v[134:135], v[130:131]
	ds_load_2addr_b64 v[124:127], v2 offset0:81 offset1:82
	ds_load_2addr_b64 v[128:131], v2 offset0:83 offset1:84
	scratch_load_b128 v[132:135], off, off offset:304
	s_wait_dscnt 0x1
	v_fmac_f64_e32 v[146:147], v[136:137], v[124:125]
	s_wait_loadcnt 0x5
	s_delay_alu instid0(VALU_DEP_1) | instskip(SKIP_1) | instid1(VALU_DEP_1)
	v_fmac_f64_e32 v[146:147], v[120:121], v[126:127]
	s_wait_dscnt 0x0
	v_fmac_f64_e32 v[146:147], v[122:123], v[128:129]
	scratch_load_b128 v[120:123], off, off offset:320
	s_wait_loadcnt 0x5
	v_fmac_f64_e32 v[146:147], v[142:143], v[130:131]
	ds_load_2addr_b64 v[124:127], v2 offset0:85 offset1:86
	ds_load_2addr_b64 v[128:131], v2 offset0:87 offset1:88
	s_wait_dscnt 0x1
	v_fmac_f64_e32 v[146:147], v[144:145], v[124:125]
	scratch_load_b128 v[142:145], off, off offset:336
	s_wait_loadcnt 0x5
	v_fmac_f64_e32 v[146:147], v[112:113], v[126:127]
	s_wait_dscnt 0x0
	s_delay_alu instid0(VALU_DEP_1)
	v_fmac_f64_e32 v[146:147], v[114:115], v[128:129]
	scratch_load_b128 v[112:115], off, off offset:352
	s_wait_loadcnt 0x5
	v_fmac_f64_e32 v[146:147], v[138:139], v[130:131]
	ds_load_2addr_b64 v[124:127], v2 offset0:89 offset1:90
	ds_load_2addr_b64 v[128:131], v2 offset0:91 offset1:92
	s_wait_dscnt 0x1
	v_fmac_f64_e32 v[146:147], v[140:141], v[124:125]
	s_wait_loadcnt 0x4
	s_delay_alu instid0(VALU_DEP_1)
	v_fmac_f64_e32 v[146:147], v[116:117], v[126:127]
	scratch_load_b128 v[124:127], off, off offset:368
	s_wait_dscnt 0x0
	v_fmac_f64_e32 v[146:147], v[118:119], v[128:129]
	scratch_load_b128 v[116:119], off, off offset:384
	s_wait_loadcnt 0x5
	v_fmac_f64_e32 v[146:147], v[132:133], v[130:131]
	ds_load_2addr_b64 v[128:131], v2 offset0:93 offset1:94
	ds_load_2addr_b64 v[136:139], v2 offset0:95 offset1:96
	s_wait_dscnt 0x1
	v_fmac_f64_e32 v[146:147], v[134:135], v[128:129]
	s_wait_loadcnt 0x4
	s_delay_alu instid0(VALU_DEP_1)
	v_fmac_f64_e32 v[146:147], v[120:121], v[130:131]
	scratch_load_b128 v[128:131], off, off offset:400
	s_wait_dscnt 0x0
	v_fmac_f64_e32 v[146:147], v[122:123], v[136:137]
	scratch_load_b64 v[136:137], off, off offset:416
	ds_load_2addr_b64 v[120:123], v2 offset0:97 offset1:98
	ds_load_2addr_b64 v[132:135], v2 offset0:99 offset1:100
	s_wait_loadcnt 0x5
	v_fmac_f64_e32 v[146:147], v[142:143], v[138:139]
	s_wait_dscnt 0x1
	s_delay_alu instid0(VALU_DEP_1) | instskip(SKIP_1) | instid1(VALU_DEP_1)
	v_fmac_f64_e32 v[146:147], v[144:145], v[120:121]
	s_wait_loadcnt 0x4
	v_fmac_f64_e32 v[146:147], v[112:113], v[122:123]
	s_wait_dscnt 0x0
	s_delay_alu instid0(VALU_DEP_1)
	v_fmac_f64_e32 v[146:147], v[114:115], v[132:133]
	ds_load_2addr_b64 v[112:115], v2 offset0:101 offset1:102
	ds_load_2addr_b64 v[120:123], v2 offset0:103 offset1:104
	s_wait_loadcnt 0x3
	v_fmac_f64_e32 v[146:147], v[124:125], v[134:135]
	s_wait_dscnt 0x1
	s_delay_alu instid0(VALU_DEP_1) | instskip(SKIP_1) | instid1(VALU_DEP_1)
	v_fmac_f64_e32 v[146:147], v[126:127], v[112:113]
	s_wait_loadcnt 0x2
	v_fmac_f64_e32 v[146:147], v[116:117], v[114:115]
	ds_load_2addr_b64 v[112:115], v2 offset0:105 offset1:106
	s_wait_dscnt 0x1
	v_fmac_f64_e32 v[146:147], v[118:119], v[120:121]
	s_wait_loadcnt 0x1
	s_delay_alu instid0(VALU_DEP_1) | instskip(SKIP_1) | instid1(VALU_DEP_1)
	v_fmac_f64_e32 v[146:147], v[128:129], v[122:123]
	s_wait_dscnt 0x0
	v_fmac_f64_e32 v[146:147], v[130:131], v[112:113]
	s_wait_loadcnt 0x0
	s_delay_alu instid0(VALU_DEP_1) | instskip(NEXT) | instid1(VALU_DEP_1)
	v_fmac_f64_e32 v[146:147], v[136:137], v[114:115]
	v_add_f64_e64 v[2:3], v[110:111], -v[146:147]
	scratch_store_b64 off, v[2:3], off offset:48
	s_wait_xcnt 0x0
	v_cmpx_lt_u32_e32 5, v0
	s_cbranch_execz .LBB52_317
; %bb.316:
	scratch_load_b64 v[2:3], off, off offset:40
	v_mov_b64_e32 v[110:111], 0
	scratch_store_b64 off, v[110:111], off offset:40
	s_wait_loadcnt 0x0
	ds_store_b64 v1, v[2:3]
.LBB52_317:
	s_wait_xcnt 0x0
	s_or_b32 exec_lo, exec_lo, s0
	s_wait_storecnt_dscnt 0x0
	s_barrier_signal -1
	s_barrier_wait -1
	s_clause 0x5
	scratch_load_b128 v[110:113], off, off offset:40
	scratch_load_b128 v[114:117], off, off offset:56
	;; [unrolled: 1-line block ×6, first 2 shown]
	v_mov_b32_e32 v2, 0
	ds_load_b128 v[134:137], v2 offset:480
	ds_load_b128 v[138:141], v2 offset:496
	scratch_load_b128 v[142:145], off, off offset:136
	s_mov_b32 s0, exec_lo
	s_wait_loadcnt_dscnt 0x601
	v_fma_f64 v[146:147], v[112:113], v[134:135], 0
	s_wait_loadcnt 0x5
	s_delay_alu instid0(VALU_DEP_1) | instskip(SKIP_4) | instid1(VALU_DEP_1)
	v_fmac_f64_e32 v[146:147], v[114:115], v[136:137]
	scratch_load_b128 v[112:115], off, off offset:152
	s_wait_dscnt 0x0
	v_fmac_f64_e32 v[146:147], v[116:117], v[138:139]
	s_wait_loadcnt 0x5
	v_fmac_f64_e32 v[146:147], v[118:119], v[140:141]
	ds_load_b128 v[116:119], v2 offset:512
	ds_load_b128 v[134:137], v2 offset:528
	scratch_load_b128 v[138:141], off, off offset:168
	s_wait_dscnt 0x1
	v_fmac_f64_e32 v[146:147], v[120:121], v[116:117]
	s_wait_loadcnt 0x5
	s_delay_alu instid0(VALU_DEP_1) | instskip(SKIP_4) | instid1(VALU_DEP_1)
	v_fmac_f64_e32 v[146:147], v[122:123], v[118:119]
	scratch_load_b128 v[116:119], off, off offset:184
	s_wait_dscnt 0x0
	v_fmac_f64_e32 v[146:147], v[124:125], v[134:135]
	s_wait_loadcnt 0x5
	v_fmac_f64_e32 v[146:147], v[126:127], v[136:137]
	ds_load_b128 v[120:123], v2 offset:544
	ds_load_b128 v[124:127], v2 offset:560
	scratch_load_b128 v[134:137], off, off offset:200
	s_wait_dscnt 0x1
	v_fmac_f64_e32 v[146:147], v[128:129], v[120:121]
	s_wait_loadcnt 0x5
	s_delay_alu instid0(VALU_DEP_1) | instskip(SKIP_4) | instid1(VALU_DEP_1)
	v_fmac_f64_e32 v[146:147], v[130:131], v[122:123]
	scratch_load_b128 v[120:123], off, off offset:216
	s_wait_dscnt 0x0
	v_fmac_f64_e32 v[146:147], v[132:133], v[124:125]
	s_wait_loadcnt 0x5
	v_fmac_f64_e32 v[146:147], v[142:143], v[126:127]
	ds_load_b128 v[124:127], v2 offset:576
	ds_load_b128 v[128:131], v2 offset:592
	s_wait_dscnt 0x1
	v_fmac_f64_e32 v[146:147], v[144:145], v[124:125]
	scratch_load_b128 v[142:145], off, off offset:232
	s_wait_loadcnt 0x5
	v_fmac_f64_e32 v[146:147], v[112:113], v[126:127]
	s_wait_dscnt 0x0
	s_delay_alu instid0(VALU_DEP_1)
	v_fmac_f64_e32 v[146:147], v[114:115], v[128:129]
	scratch_load_b128 v[112:115], off, off offset:248
	s_wait_loadcnt 0x5
	v_fmac_f64_e32 v[146:147], v[138:139], v[130:131]
	ds_load_b128 v[124:127], v2 offset:608
	ds_load_b128 v[128:131], v2 offset:624
	s_wait_dscnt 0x1
	v_fmac_f64_e32 v[146:147], v[140:141], v[124:125]
	scratch_load_b128 v[138:141], off, off offset:264
	s_wait_loadcnt 0x5
	v_fmac_f64_e32 v[146:147], v[116:117], v[126:127]
	s_wait_dscnt 0x0
	s_delay_alu instid0(VALU_DEP_1)
	v_fmac_f64_e32 v[146:147], v[118:119], v[128:129]
	scratch_load_b128 v[116:119], off, off offset:280
	s_wait_loadcnt 0x5
	v_fmac_f64_e32 v[146:147], v[134:135], v[130:131]
	ds_load_b128 v[124:127], v2 offset:640
	ds_load_b128 v[128:131], v2 offset:656
	scratch_load_b128 v[132:135], off, off offset:296
	s_wait_dscnt 0x1
	v_fmac_f64_e32 v[146:147], v[136:137], v[124:125]
	s_wait_loadcnt 0x5
	s_delay_alu instid0(VALU_DEP_1) | instskip(SKIP_1) | instid1(VALU_DEP_1)
	v_fmac_f64_e32 v[146:147], v[120:121], v[126:127]
	s_wait_dscnt 0x0
	v_fmac_f64_e32 v[146:147], v[122:123], v[128:129]
	scratch_load_b128 v[120:123], off, off offset:312
	s_wait_loadcnt 0x5
	v_fmac_f64_e32 v[146:147], v[142:143], v[130:131]
	ds_load_b128 v[124:127], v2 offset:672
	ds_load_b128 v[128:131], v2 offset:688
	s_wait_dscnt 0x1
	v_fmac_f64_e32 v[146:147], v[144:145], v[124:125]
	scratch_load_b128 v[142:145], off, off offset:328
	s_wait_loadcnt 0x5
	v_fmac_f64_e32 v[146:147], v[112:113], v[126:127]
	s_wait_dscnt 0x0
	s_delay_alu instid0(VALU_DEP_1)
	v_fmac_f64_e32 v[146:147], v[114:115], v[128:129]
	scratch_load_b128 v[112:115], off, off offset:344
	s_wait_loadcnt 0x5
	v_fmac_f64_e32 v[146:147], v[138:139], v[130:131]
	ds_load_b128 v[124:127], v2 offset:704
	ds_load_b128 v[128:131], v2 offset:720
	s_wait_dscnt 0x1
	v_fmac_f64_e32 v[146:147], v[140:141], v[124:125]
	s_wait_loadcnt 0x4
	s_delay_alu instid0(VALU_DEP_1)
	v_fmac_f64_e32 v[146:147], v[116:117], v[126:127]
	scratch_load_b128 v[124:127], off, off offset:360
	s_wait_dscnt 0x0
	v_fmac_f64_e32 v[146:147], v[118:119], v[128:129]
	scratch_load_b128 v[116:119], off, off offset:376
	s_wait_loadcnt 0x5
	v_fmac_f64_e32 v[146:147], v[132:133], v[130:131]
	ds_load_b128 v[128:131], v2 offset:736
	ds_load_b128 v[136:139], v2 offset:752
	s_wait_dscnt 0x1
	v_fmac_f64_e32 v[146:147], v[134:135], v[128:129]
	s_wait_loadcnt 0x4
	s_delay_alu instid0(VALU_DEP_1)
	v_fmac_f64_e32 v[146:147], v[120:121], v[130:131]
	scratch_load_b128 v[128:131], off, off offset:392
	s_wait_dscnt 0x0
	v_fmac_f64_e32 v[146:147], v[122:123], v[136:137]
	scratch_load_b128 v[120:123], off, off offset:408
	s_wait_loadcnt 0x5
	v_fmac_f64_e32 v[146:147], v[142:143], v[138:139]
	ds_load_b128 v[132:135], v2 offset:768
	ds_load_b128 v[136:139], v2 offset:784
	s_wait_dscnt 0x1
	v_fmac_f64_e32 v[146:147], v[144:145], v[132:133]
	s_wait_loadcnt 0x4
	s_delay_alu instid0(VALU_DEP_1) | instskip(SKIP_1) | instid1(VALU_DEP_1)
	v_fmac_f64_e32 v[146:147], v[112:113], v[134:135]
	s_wait_dscnt 0x0
	v_fmac_f64_e32 v[146:147], v[114:115], v[136:137]
	ds_load_b128 v[112:115], v2 offset:800
	ds_load_b128 v[132:135], v2 offset:816
	s_wait_loadcnt 0x3
	v_fmac_f64_e32 v[146:147], v[124:125], v[138:139]
	s_wait_dscnt 0x1
	s_delay_alu instid0(VALU_DEP_1) | instskip(SKIP_1) | instid1(VALU_DEP_1)
	v_fmac_f64_e32 v[146:147], v[126:127], v[112:113]
	s_wait_loadcnt 0x2
	v_fmac_f64_e32 v[146:147], v[116:117], v[114:115]
	ds_load_b128 v[112:115], v2 offset:832
	ds_load_b64 v[116:117], v2 offset:848
	s_wait_dscnt 0x2
	v_fmac_f64_e32 v[146:147], v[118:119], v[132:133]
	s_wait_loadcnt 0x1
	s_delay_alu instid0(VALU_DEP_1) | instskip(SKIP_1) | instid1(VALU_DEP_1)
	v_fmac_f64_e32 v[146:147], v[128:129], v[134:135]
	s_wait_dscnt 0x1
	v_fmac_f64_e32 v[146:147], v[130:131], v[112:113]
	s_wait_loadcnt 0x0
	s_delay_alu instid0(VALU_DEP_1) | instskip(SKIP_1) | instid1(VALU_DEP_1)
	v_fmac_f64_e32 v[146:147], v[120:121], v[114:115]
	s_wait_dscnt 0x0
	v_fmac_f64_e32 v[146:147], v[122:123], v[116:117]
	s_delay_alu instid0(VALU_DEP_1)
	v_add_f64_e64 v[110:111], v[110:111], -v[146:147]
	scratch_store_b64 off, v[110:111], off offset:40
	s_wait_xcnt 0x0
	v_cmpx_lt_u32_e32 4, v0
	s_cbranch_execz .LBB52_319
; %bb.318:
	scratch_load_b64 v[110:111], off, off offset:32
	v_mov_b64_e32 v[112:113], 0
	scratch_store_b64 off, v[112:113], off offset:32
	s_wait_loadcnt 0x0
	ds_store_b64 v1, v[110:111]
.LBB52_319:
	s_wait_xcnt 0x0
	s_or_b32 exec_lo, exec_lo, s0
	s_wait_storecnt_dscnt 0x0
	s_barrier_signal -1
	s_barrier_wait -1
	s_clause 0x5
	scratch_load_b128 v[110:113], off, off offset:32
	scratch_load_b128 v[114:117], off, off offset:48
	;; [unrolled: 1-line block ×6, first 2 shown]
	ds_load_2addr_b64 v[134:137], v2 offset0:59 offset1:60
	ds_load_2addr_b64 v[138:141], v2 offset0:61 offset1:62
	scratch_load_b128 v[142:145], off, off offset:128
	s_mov_b32 s0, exec_lo
	s_wait_loadcnt_dscnt 0x601
	v_fma_f64 v[146:147], v[112:113], v[134:135], 0
	s_wait_loadcnt 0x5
	s_delay_alu instid0(VALU_DEP_1) | instskip(SKIP_4) | instid1(VALU_DEP_1)
	v_fmac_f64_e32 v[146:147], v[114:115], v[136:137]
	scratch_load_b128 v[112:115], off, off offset:144
	s_wait_dscnt 0x0
	v_fmac_f64_e32 v[146:147], v[116:117], v[138:139]
	s_wait_loadcnt 0x5
	v_fmac_f64_e32 v[146:147], v[118:119], v[140:141]
	ds_load_2addr_b64 v[116:119], v2 offset0:63 offset1:64
	ds_load_2addr_b64 v[134:137], v2 offset0:65 offset1:66
	scratch_load_b128 v[138:141], off, off offset:160
	s_wait_dscnt 0x1
	v_fmac_f64_e32 v[146:147], v[120:121], v[116:117]
	s_wait_loadcnt 0x5
	s_delay_alu instid0(VALU_DEP_1) | instskip(SKIP_4) | instid1(VALU_DEP_1)
	v_fmac_f64_e32 v[146:147], v[122:123], v[118:119]
	scratch_load_b128 v[116:119], off, off offset:176
	s_wait_dscnt 0x0
	v_fmac_f64_e32 v[146:147], v[124:125], v[134:135]
	s_wait_loadcnt 0x5
	v_fmac_f64_e32 v[146:147], v[126:127], v[136:137]
	ds_load_2addr_b64 v[120:123], v2 offset0:67 offset1:68
	ds_load_2addr_b64 v[124:127], v2 offset0:69 offset1:70
	scratch_load_b128 v[134:137], off, off offset:192
	s_wait_dscnt 0x1
	v_fmac_f64_e32 v[146:147], v[128:129], v[120:121]
	s_wait_loadcnt 0x5
	s_delay_alu instid0(VALU_DEP_1) | instskip(SKIP_4) | instid1(VALU_DEP_1)
	v_fmac_f64_e32 v[146:147], v[130:131], v[122:123]
	scratch_load_b128 v[120:123], off, off offset:208
	s_wait_dscnt 0x0
	v_fmac_f64_e32 v[146:147], v[132:133], v[124:125]
	s_wait_loadcnt 0x5
	v_fmac_f64_e32 v[146:147], v[142:143], v[126:127]
	ds_load_2addr_b64 v[124:127], v2 offset0:71 offset1:72
	ds_load_2addr_b64 v[128:131], v2 offset0:73 offset1:74
	s_wait_dscnt 0x1
	v_fmac_f64_e32 v[146:147], v[144:145], v[124:125]
	scratch_load_b128 v[142:145], off, off offset:224
	s_wait_loadcnt 0x5
	v_fmac_f64_e32 v[146:147], v[112:113], v[126:127]
	s_wait_dscnt 0x0
	s_delay_alu instid0(VALU_DEP_1)
	v_fmac_f64_e32 v[146:147], v[114:115], v[128:129]
	scratch_load_b128 v[112:115], off, off offset:240
	s_wait_loadcnt 0x5
	v_fmac_f64_e32 v[146:147], v[138:139], v[130:131]
	ds_load_2addr_b64 v[124:127], v2 offset0:75 offset1:76
	ds_load_2addr_b64 v[128:131], v2 offset0:77 offset1:78
	s_wait_dscnt 0x1
	v_fmac_f64_e32 v[146:147], v[140:141], v[124:125]
	scratch_load_b128 v[138:141], off, off offset:256
	s_wait_loadcnt 0x5
	v_fmac_f64_e32 v[146:147], v[116:117], v[126:127]
	s_wait_dscnt 0x0
	s_delay_alu instid0(VALU_DEP_1)
	v_fmac_f64_e32 v[146:147], v[118:119], v[128:129]
	scratch_load_b128 v[116:119], off, off offset:272
	s_wait_loadcnt 0x5
	v_fmac_f64_e32 v[146:147], v[134:135], v[130:131]
	ds_load_2addr_b64 v[124:127], v2 offset0:79 offset1:80
	ds_load_2addr_b64 v[128:131], v2 offset0:81 offset1:82
	scratch_load_b128 v[132:135], off, off offset:288
	s_wait_dscnt 0x1
	v_fmac_f64_e32 v[146:147], v[136:137], v[124:125]
	s_wait_loadcnt 0x5
	s_delay_alu instid0(VALU_DEP_1) | instskip(SKIP_1) | instid1(VALU_DEP_1)
	v_fmac_f64_e32 v[146:147], v[120:121], v[126:127]
	s_wait_dscnt 0x0
	v_fmac_f64_e32 v[146:147], v[122:123], v[128:129]
	scratch_load_b128 v[120:123], off, off offset:304
	s_wait_loadcnt 0x5
	v_fmac_f64_e32 v[146:147], v[142:143], v[130:131]
	ds_load_2addr_b64 v[124:127], v2 offset0:83 offset1:84
	ds_load_2addr_b64 v[128:131], v2 offset0:85 offset1:86
	s_wait_dscnt 0x1
	v_fmac_f64_e32 v[146:147], v[144:145], v[124:125]
	scratch_load_b128 v[142:145], off, off offset:320
	s_wait_loadcnt 0x5
	v_fmac_f64_e32 v[146:147], v[112:113], v[126:127]
	s_wait_dscnt 0x0
	s_delay_alu instid0(VALU_DEP_1)
	v_fmac_f64_e32 v[146:147], v[114:115], v[128:129]
	scratch_load_b128 v[112:115], off, off offset:336
	s_wait_loadcnt 0x5
	v_fmac_f64_e32 v[146:147], v[138:139], v[130:131]
	ds_load_2addr_b64 v[124:127], v2 offset0:87 offset1:88
	ds_load_2addr_b64 v[128:131], v2 offset0:89 offset1:90
	s_wait_dscnt 0x1
	v_fmac_f64_e32 v[146:147], v[140:141], v[124:125]
	s_wait_loadcnt 0x4
	s_delay_alu instid0(VALU_DEP_1)
	v_fmac_f64_e32 v[146:147], v[116:117], v[126:127]
	scratch_load_b128 v[124:127], off, off offset:352
	s_wait_dscnt 0x0
	v_fmac_f64_e32 v[146:147], v[118:119], v[128:129]
	scratch_load_b128 v[116:119], off, off offset:368
	s_wait_loadcnt 0x5
	v_fmac_f64_e32 v[146:147], v[132:133], v[130:131]
	ds_load_2addr_b64 v[128:131], v2 offset0:91 offset1:92
	ds_load_2addr_b64 v[136:139], v2 offset0:93 offset1:94
	s_wait_dscnt 0x1
	v_fmac_f64_e32 v[146:147], v[134:135], v[128:129]
	s_wait_loadcnt 0x4
	s_delay_alu instid0(VALU_DEP_1)
	v_fmac_f64_e32 v[146:147], v[120:121], v[130:131]
	scratch_load_b128 v[128:131], off, off offset:384
	s_wait_dscnt 0x0
	v_fmac_f64_e32 v[146:147], v[122:123], v[136:137]
	scratch_load_b128 v[120:123], off, off offset:400
	s_wait_loadcnt 0x5
	v_fmac_f64_e32 v[146:147], v[142:143], v[138:139]
	ds_load_2addr_b64 v[132:135], v2 offset0:95 offset1:96
	ds_load_2addr_b64 v[136:139], v2 offset0:97 offset1:98
	scratch_load_b64 v[140:141], off, off offset:416
	s_wait_dscnt 0x1
	v_fmac_f64_e32 v[146:147], v[144:145], v[132:133]
	s_wait_loadcnt 0x5
	s_delay_alu instid0(VALU_DEP_1) | instskip(SKIP_1) | instid1(VALU_DEP_1)
	v_fmac_f64_e32 v[146:147], v[112:113], v[134:135]
	s_wait_dscnt 0x0
	v_fmac_f64_e32 v[146:147], v[114:115], v[136:137]
	ds_load_2addr_b64 v[112:115], v2 offset0:99 offset1:100
	ds_load_2addr_b64 v[132:135], v2 offset0:101 offset1:102
	s_wait_loadcnt 0x4
	v_fmac_f64_e32 v[146:147], v[124:125], v[138:139]
	s_wait_dscnt 0x1
	s_delay_alu instid0(VALU_DEP_1) | instskip(SKIP_1) | instid1(VALU_DEP_1)
	v_fmac_f64_e32 v[146:147], v[126:127], v[112:113]
	s_wait_loadcnt 0x3
	v_fmac_f64_e32 v[146:147], v[116:117], v[114:115]
	s_wait_dscnt 0x0
	s_delay_alu instid0(VALU_DEP_1)
	v_fmac_f64_e32 v[146:147], v[118:119], v[132:133]
	ds_load_2addr_b64 v[112:115], v2 offset0:103 offset1:104
	ds_load_2addr_b64 v[116:119], v2 offset0:105 offset1:106
	s_wait_loadcnt 0x2
	v_fmac_f64_e32 v[146:147], v[128:129], v[134:135]
	s_wait_dscnt 0x1
	s_delay_alu instid0(VALU_DEP_1) | instskip(SKIP_1) | instid1(VALU_DEP_1)
	v_fmac_f64_e32 v[146:147], v[130:131], v[112:113]
	s_wait_loadcnt 0x1
	v_fmac_f64_e32 v[146:147], v[120:121], v[114:115]
	s_wait_dscnt 0x0
	s_delay_alu instid0(VALU_DEP_1) | instskip(SKIP_1) | instid1(VALU_DEP_1)
	v_fmac_f64_e32 v[146:147], v[122:123], v[116:117]
	s_wait_loadcnt 0x0
	v_fmac_f64_e32 v[146:147], v[140:141], v[118:119]
	s_delay_alu instid0(VALU_DEP_1)
	v_add_f64_e64 v[2:3], v[110:111], -v[146:147]
	scratch_store_b64 off, v[2:3], off offset:32
	s_wait_xcnt 0x0
	v_cmpx_lt_u32_e32 3, v0
	s_cbranch_execz .LBB52_321
; %bb.320:
	scratch_load_b64 v[2:3], off, off offset:24
	v_mov_b64_e32 v[110:111], 0
	scratch_store_b64 off, v[110:111], off offset:24
	s_wait_loadcnt 0x0
	ds_store_b64 v1, v[2:3]
.LBB52_321:
	s_wait_xcnt 0x0
	s_or_b32 exec_lo, exec_lo, s0
	s_wait_storecnt_dscnt 0x0
	s_barrier_signal -1
	s_barrier_wait -1
	s_clause 0x5
	scratch_load_b128 v[110:113], off, off offset:24
	scratch_load_b128 v[114:117], off, off offset:40
	;; [unrolled: 1-line block ×6, first 2 shown]
	v_mov_b32_e32 v2, 0
	ds_load_b128 v[134:137], v2 offset:464
	ds_load_b128 v[138:141], v2 offset:480
	scratch_load_b128 v[142:145], off, off offset:120
	s_mov_b32 s0, exec_lo
	s_wait_loadcnt_dscnt 0x601
	v_fma_f64 v[146:147], v[112:113], v[134:135], 0
	s_wait_loadcnt 0x5
	s_delay_alu instid0(VALU_DEP_1) | instskip(SKIP_4) | instid1(VALU_DEP_1)
	v_fmac_f64_e32 v[146:147], v[114:115], v[136:137]
	scratch_load_b128 v[112:115], off, off offset:136
	s_wait_dscnt 0x0
	v_fmac_f64_e32 v[146:147], v[116:117], v[138:139]
	s_wait_loadcnt 0x5
	v_fmac_f64_e32 v[146:147], v[118:119], v[140:141]
	ds_load_b128 v[116:119], v2 offset:496
	ds_load_b128 v[134:137], v2 offset:512
	scratch_load_b128 v[138:141], off, off offset:152
	s_wait_dscnt 0x1
	v_fmac_f64_e32 v[146:147], v[120:121], v[116:117]
	s_wait_loadcnt 0x5
	s_delay_alu instid0(VALU_DEP_1) | instskip(SKIP_4) | instid1(VALU_DEP_1)
	v_fmac_f64_e32 v[146:147], v[122:123], v[118:119]
	scratch_load_b128 v[116:119], off, off offset:168
	s_wait_dscnt 0x0
	v_fmac_f64_e32 v[146:147], v[124:125], v[134:135]
	s_wait_loadcnt 0x5
	v_fmac_f64_e32 v[146:147], v[126:127], v[136:137]
	ds_load_b128 v[120:123], v2 offset:528
	ds_load_b128 v[124:127], v2 offset:544
	scratch_load_b128 v[134:137], off, off offset:184
	s_wait_dscnt 0x1
	v_fmac_f64_e32 v[146:147], v[128:129], v[120:121]
	s_wait_loadcnt 0x5
	s_delay_alu instid0(VALU_DEP_1) | instskip(SKIP_4) | instid1(VALU_DEP_1)
	v_fmac_f64_e32 v[146:147], v[130:131], v[122:123]
	scratch_load_b128 v[120:123], off, off offset:200
	s_wait_dscnt 0x0
	v_fmac_f64_e32 v[146:147], v[132:133], v[124:125]
	s_wait_loadcnt 0x5
	v_fmac_f64_e32 v[146:147], v[142:143], v[126:127]
	ds_load_b128 v[124:127], v2 offset:560
	ds_load_b128 v[128:131], v2 offset:576
	s_wait_dscnt 0x1
	v_fmac_f64_e32 v[146:147], v[144:145], v[124:125]
	scratch_load_b128 v[142:145], off, off offset:216
	s_wait_loadcnt 0x5
	v_fmac_f64_e32 v[146:147], v[112:113], v[126:127]
	s_wait_dscnt 0x0
	s_delay_alu instid0(VALU_DEP_1)
	v_fmac_f64_e32 v[146:147], v[114:115], v[128:129]
	scratch_load_b128 v[112:115], off, off offset:232
	s_wait_loadcnt 0x5
	v_fmac_f64_e32 v[146:147], v[138:139], v[130:131]
	ds_load_b128 v[124:127], v2 offset:592
	ds_load_b128 v[128:131], v2 offset:608
	s_wait_dscnt 0x1
	v_fmac_f64_e32 v[146:147], v[140:141], v[124:125]
	scratch_load_b128 v[138:141], off, off offset:248
	s_wait_loadcnt 0x5
	v_fmac_f64_e32 v[146:147], v[116:117], v[126:127]
	s_wait_dscnt 0x0
	s_delay_alu instid0(VALU_DEP_1)
	v_fmac_f64_e32 v[146:147], v[118:119], v[128:129]
	scratch_load_b128 v[116:119], off, off offset:264
	s_wait_loadcnt 0x5
	v_fmac_f64_e32 v[146:147], v[134:135], v[130:131]
	ds_load_b128 v[124:127], v2 offset:624
	ds_load_b128 v[128:131], v2 offset:640
	scratch_load_b128 v[132:135], off, off offset:280
	s_wait_dscnt 0x1
	v_fmac_f64_e32 v[146:147], v[136:137], v[124:125]
	s_wait_loadcnt 0x5
	s_delay_alu instid0(VALU_DEP_1) | instskip(SKIP_1) | instid1(VALU_DEP_1)
	v_fmac_f64_e32 v[146:147], v[120:121], v[126:127]
	s_wait_dscnt 0x0
	v_fmac_f64_e32 v[146:147], v[122:123], v[128:129]
	scratch_load_b128 v[120:123], off, off offset:296
	s_wait_loadcnt 0x5
	v_fmac_f64_e32 v[146:147], v[142:143], v[130:131]
	ds_load_b128 v[124:127], v2 offset:656
	ds_load_b128 v[128:131], v2 offset:672
	s_wait_dscnt 0x1
	v_fmac_f64_e32 v[146:147], v[144:145], v[124:125]
	scratch_load_b128 v[142:145], off, off offset:312
	s_wait_loadcnt 0x5
	v_fmac_f64_e32 v[146:147], v[112:113], v[126:127]
	s_wait_dscnt 0x0
	s_delay_alu instid0(VALU_DEP_1)
	v_fmac_f64_e32 v[146:147], v[114:115], v[128:129]
	scratch_load_b128 v[112:115], off, off offset:328
	s_wait_loadcnt 0x5
	v_fmac_f64_e32 v[146:147], v[138:139], v[130:131]
	ds_load_b128 v[124:127], v2 offset:688
	ds_load_b128 v[128:131], v2 offset:704
	s_wait_dscnt 0x1
	v_fmac_f64_e32 v[146:147], v[140:141], v[124:125]
	s_wait_loadcnt 0x4
	s_delay_alu instid0(VALU_DEP_1)
	v_fmac_f64_e32 v[146:147], v[116:117], v[126:127]
	scratch_load_b128 v[124:127], off, off offset:344
	s_wait_dscnt 0x0
	v_fmac_f64_e32 v[146:147], v[118:119], v[128:129]
	scratch_load_b128 v[116:119], off, off offset:360
	s_wait_loadcnt 0x5
	v_fmac_f64_e32 v[146:147], v[132:133], v[130:131]
	ds_load_b128 v[128:131], v2 offset:720
	ds_load_b128 v[136:139], v2 offset:736
	s_wait_dscnt 0x1
	v_fmac_f64_e32 v[146:147], v[134:135], v[128:129]
	s_wait_loadcnt 0x4
	s_delay_alu instid0(VALU_DEP_1)
	v_fmac_f64_e32 v[146:147], v[120:121], v[130:131]
	scratch_load_b128 v[128:131], off, off offset:376
	s_wait_dscnt 0x0
	v_fmac_f64_e32 v[146:147], v[122:123], v[136:137]
	scratch_load_b128 v[120:123], off, off offset:392
	s_wait_loadcnt 0x5
	v_fmac_f64_e32 v[146:147], v[142:143], v[138:139]
	ds_load_b128 v[132:135], v2 offset:752
	ds_load_b128 v[136:139], v2 offset:768
	s_wait_dscnt 0x1
	v_fmac_f64_e32 v[146:147], v[144:145], v[132:133]
	s_wait_loadcnt 0x4
	s_delay_alu instid0(VALU_DEP_1) | instskip(SKIP_4) | instid1(VALU_DEP_1)
	v_fmac_f64_e32 v[146:147], v[112:113], v[134:135]
	scratch_load_b128 v[132:135], off, off offset:408
	s_wait_dscnt 0x0
	v_fmac_f64_e32 v[146:147], v[114:115], v[136:137]
	s_wait_loadcnt 0x4
	v_fmac_f64_e32 v[146:147], v[124:125], v[138:139]
	ds_load_b128 v[112:115], v2 offset:784
	ds_load_b128 v[136:139], v2 offset:800
	s_wait_dscnt 0x1
	v_fmac_f64_e32 v[146:147], v[126:127], v[112:113]
	s_wait_loadcnt 0x3
	s_delay_alu instid0(VALU_DEP_1) | instskip(SKIP_1) | instid1(VALU_DEP_1)
	v_fmac_f64_e32 v[146:147], v[116:117], v[114:115]
	s_wait_dscnt 0x0
	v_fmac_f64_e32 v[146:147], v[118:119], v[136:137]
	ds_load_b128 v[112:115], v2 offset:816
	ds_load_b128 v[116:119], v2 offset:832
	s_wait_loadcnt 0x2
	v_fmac_f64_e32 v[146:147], v[128:129], v[138:139]
	s_wait_dscnt 0x1
	s_delay_alu instid0(VALU_DEP_1) | instskip(SKIP_4) | instid1(VALU_DEP_1)
	v_fmac_f64_e32 v[146:147], v[130:131], v[112:113]
	ds_load_b64 v[112:113], v2 offset:848
	s_wait_loadcnt 0x1
	v_fmac_f64_e32 v[146:147], v[120:121], v[114:115]
	s_wait_dscnt 0x1
	v_fmac_f64_e32 v[146:147], v[122:123], v[116:117]
	s_wait_loadcnt 0x0
	s_delay_alu instid0(VALU_DEP_1) | instskip(SKIP_1) | instid1(VALU_DEP_1)
	v_fmac_f64_e32 v[146:147], v[132:133], v[118:119]
	s_wait_dscnt 0x0
	v_fmac_f64_e32 v[146:147], v[134:135], v[112:113]
	s_delay_alu instid0(VALU_DEP_1)
	v_add_f64_e64 v[110:111], v[110:111], -v[146:147]
	scratch_store_b64 off, v[110:111], off offset:24
	s_wait_xcnt 0x0
	v_cmpx_lt_u32_e32 2, v0
	s_cbranch_execz .LBB52_323
; %bb.322:
	scratch_load_b64 v[110:111], off, off offset:16
	v_mov_b64_e32 v[112:113], 0
	scratch_store_b64 off, v[112:113], off offset:16
	s_wait_loadcnt 0x0
	ds_store_b64 v1, v[110:111]
.LBB52_323:
	s_wait_xcnt 0x0
	s_or_b32 exec_lo, exec_lo, s0
	s_wait_storecnt_dscnt 0x0
	s_barrier_signal -1
	s_barrier_wait -1
	s_clause 0x5
	scratch_load_b128 v[110:113], off, off offset:16
	scratch_load_b128 v[114:117], off, off offset:32
	;; [unrolled: 1-line block ×6, first 2 shown]
	ds_load_2addr_b64 v[134:137], v2 offset0:57 offset1:58
	ds_load_2addr_b64 v[138:141], v2 offset0:59 offset1:60
	scratch_load_b128 v[142:145], off, off offset:112
	s_mov_b32 s0, exec_lo
	s_wait_loadcnt_dscnt 0x601
	v_fma_f64 v[146:147], v[112:113], v[134:135], 0
	s_wait_loadcnt 0x5
	s_delay_alu instid0(VALU_DEP_1) | instskip(SKIP_4) | instid1(VALU_DEP_1)
	v_fmac_f64_e32 v[146:147], v[114:115], v[136:137]
	scratch_load_b128 v[112:115], off, off offset:128
	s_wait_dscnt 0x0
	v_fmac_f64_e32 v[146:147], v[116:117], v[138:139]
	s_wait_loadcnt 0x5
	v_fmac_f64_e32 v[146:147], v[118:119], v[140:141]
	ds_load_2addr_b64 v[116:119], v2 offset0:61 offset1:62
	ds_load_2addr_b64 v[134:137], v2 offset0:63 offset1:64
	scratch_load_b128 v[138:141], off, off offset:144
	s_wait_dscnt 0x1
	v_fmac_f64_e32 v[146:147], v[120:121], v[116:117]
	s_wait_loadcnt 0x5
	s_delay_alu instid0(VALU_DEP_1) | instskip(SKIP_4) | instid1(VALU_DEP_1)
	v_fmac_f64_e32 v[146:147], v[122:123], v[118:119]
	scratch_load_b128 v[116:119], off, off offset:160
	s_wait_dscnt 0x0
	v_fmac_f64_e32 v[146:147], v[124:125], v[134:135]
	s_wait_loadcnt 0x5
	v_fmac_f64_e32 v[146:147], v[126:127], v[136:137]
	ds_load_2addr_b64 v[120:123], v2 offset0:65 offset1:66
	ds_load_2addr_b64 v[124:127], v2 offset0:67 offset1:68
	scratch_load_b128 v[134:137], off, off offset:176
	s_wait_dscnt 0x1
	v_fmac_f64_e32 v[146:147], v[128:129], v[120:121]
	s_wait_loadcnt 0x5
	s_delay_alu instid0(VALU_DEP_1) | instskip(SKIP_4) | instid1(VALU_DEP_1)
	v_fmac_f64_e32 v[146:147], v[130:131], v[122:123]
	scratch_load_b128 v[120:123], off, off offset:192
	s_wait_dscnt 0x0
	v_fmac_f64_e32 v[146:147], v[132:133], v[124:125]
	s_wait_loadcnt 0x5
	v_fmac_f64_e32 v[146:147], v[142:143], v[126:127]
	ds_load_2addr_b64 v[124:127], v2 offset0:69 offset1:70
	ds_load_2addr_b64 v[128:131], v2 offset0:71 offset1:72
	s_wait_dscnt 0x1
	v_fmac_f64_e32 v[146:147], v[144:145], v[124:125]
	scratch_load_b128 v[142:145], off, off offset:208
	s_wait_loadcnt 0x5
	v_fmac_f64_e32 v[146:147], v[112:113], v[126:127]
	s_wait_dscnt 0x0
	s_delay_alu instid0(VALU_DEP_1)
	v_fmac_f64_e32 v[146:147], v[114:115], v[128:129]
	scratch_load_b128 v[112:115], off, off offset:224
	s_wait_loadcnt 0x5
	v_fmac_f64_e32 v[146:147], v[138:139], v[130:131]
	ds_load_2addr_b64 v[124:127], v2 offset0:73 offset1:74
	ds_load_2addr_b64 v[128:131], v2 offset0:75 offset1:76
	s_wait_dscnt 0x1
	v_fmac_f64_e32 v[146:147], v[140:141], v[124:125]
	scratch_load_b128 v[138:141], off, off offset:240
	s_wait_loadcnt 0x5
	v_fmac_f64_e32 v[146:147], v[116:117], v[126:127]
	s_wait_dscnt 0x0
	s_delay_alu instid0(VALU_DEP_1)
	v_fmac_f64_e32 v[146:147], v[118:119], v[128:129]
	scratch_load_b128 v[116:119], off, off offset:256
	s_wait_loadcnt 0x5
	v_fmac_f64_e32 v[146:147], v[134:135], v[130:131]
	ds_load_2addr_b64 v[124:127], v2 offset0:77 offset1:78
	ds_load_2addr_b64 v[128:131], v2 offset0:79 offset1:80
	scratch_load_b128 v[132:135], off, off offset:272
	s_wait_dscnt 0x1
	v_fmac_f64_e32 v[146:147], v[136:137], v[124:125]
	s_wait_loadcnt 0x5
	s_delay_alu instid0(VALU_DEP_1) | instskip(SKIP_1) | instid1(VALU_DEP_1)
	v_fmac_f64_e32 v[146:147], v[120:121], v[126:127]
	s_wait_dscnt 0x0
	v_fmac_f64_e32 v[146:147], v[122:123], v[128:129]
	scratch_load_b128 v[120:123], off, off offset:288
	s_wait_loadcnt 0x5
	v_fmac_f64_e32 v[146:147], v[142:143], v[130:131]
	ds_load_2addr_b64 v[124:127], v2 offset0:81 offset1:82
	ds_load_2addr_b64 v[128:131], v2 offset0:83 offset1:84
	s_wait_dscnt 0x1
	v_fmac_f64_e32 v[146:147], v[144:145], v[124:125]
	scratch_load_b128 v[142:145], off, off offset:304
	s_wait_loadcnt 0x5
	v_fmac_f64_e32 v[146:147], v[112:113], v[126:127]
	s_wait_dscnt 0x0
	s_delay_alu instid0(VALU_DEP_1)
	v_fmac_f64_e32 v[146:147], v[114:115], v[128:129]
	scratch_load_b128 v[112:115], off, off offset:320
	s_wait_loadcnt 0x5
	v_fmac_f64_e32 v[146:147], v[138:139], v[130:131]
	ds_load_2addr_b64 v[124:127], v2 offset0:85 offset1:86
	ds_load_2addr_b64 v[128:131], v2 offset0:87 offset1:88
	scratch_load_b128 v[136:139], off, off offset:336
	s_wait_dscnt 0x1
	v_fmac_f64_e32 v[146:147], v[140:141], v[124:125]
	s_wait_loadcnt 0x5
	s_delay_alu instid0(VALU_DEP_1) | instskip(SKIP_1) | instid1(VALU_DEP_1)
	v_fmac_f64_e32 v[146:147], v[116:117], v[126:127]
	s_wait_dscnt 0x0
	v_fmac_f64_e32 v[146:147], v[118:119], v[128:129]
	scratch_load_b128 v[116:119], off, off offset:352
	s_wait_loadcnt 0x5
	v_fmac_f64_e32 v[146:147], v[132:133], v[130:131]
	ds_load_2addr_b64 v[124:127], v2 offset0:89 offset1:90
	ds_load_2addr_b64 v[128:131], v2 offset0:91 offset1:92
	s_wait_dscnt 0x1
	v_fmac_f64_e32 v[146:147], v[134:135], v[124:125]
	s_wait_loadcnt 0x4
	s_delay_alu instid0(VALU_DEP_1)
	v_fmac_f64_e32 v[146:147], v[120:121], v[126:127]
	scratch_load_b128 v[124:127], off, off offset:368
	s_wait_dscnt 0x0
	v_fmac_f64_e32 v[146:147], v[122:123], v[128:129]
	scratch_load_b128 v[120:123], off, off offset:384
	s_wait_loadcnt 0x5
	v_fmac_f64_e32 v[146:147], v[142:143], v[130:131]
	ds_load_2addr_b64 v[128:131], v2 offset0:93 offset1:94
	ds_load_2addr_b64 v[132:135], v2 offset0:95 offset1:96
	s_wait_dscnt 0x1
	v_fmac_f64_e32 v[146:147], v[144:145], v[128:129]
	s_wait_loadcnt 0x4
	s_delay_alu instid0(VALU_DEP_1) | instskip(SKIP_4) | instid1(VALU_DEP_1)
	v_fmac_f64_e32 v[146:147], v[112:113], v[130:131]
	scratch_load_b128 v[128:131], off, off offset:400
	s_wait_dscnt 0x0
	v_fmac_f64_e32 v[146:147], v[114:115], v[132:133]
	s_wait_loadcnt 0x4
	v_fmac_f64_e32 v[146:147], v[136:137], v[134:135]
	scratch_load_b64 v[136:137], off, off offset:416
	ds_load_2addr_b64 v[112:115], v2 offset0:97 offset1:98
	ds_load_2addr_b64 v[132:135], v2 offset0:99 offset1:100
	s_wait_dscnt 0x1
	v_fmac_f64_e32 v[146:147], v[138:139], v[112:113]
	s_wait_loadcnt 0x4
	s_delay_alu instid0(VALU_DEP_1) | instskip(SKIP_1) | instid1(VALU_DEP_1)
	v_fmac_f64_e32 v[146:147], v[116:117], v[114:115]
	s_wait_dscnt 0x0
	v_fmac_f64_e32 v[146:147], v[118:119], v[132:133]
	ds_load_2addr_b64 v[112:115], v2 offset0:101 offset1:102
	ds_load_2addr_b64 v[116:119], v2 offset0:103 offset1:104
	s_wait_loadcnt 0x3
	v_fmac_f64_e32 v[146:147], v[124:125], v[134:135]
	s_wait_dscnt 0x1
	s_delay_alu instid0(VALU_DEP_1) | instskip(SKIP_1) | instid1(VALU_DEP_1)
	v_fmac_f64_e32 v[146:147], v[126:127], v[112:113]
	s_wait_loadcnt 0x2
	v_fmac_f64_e32 v[146:147], v[120:121], v[114:115]
	ds_load_2addr_b64 v[112:115], v2 offset0:105 offset1:106
	s_wait_dscnt 0x1
	v_fmac_f64_e32 v[146:147], v[122:123], v[116:117]
	s_wait_loadcnt 0x1
	s_delay_alu instid0(VALU_DEP_1) | instskip(SKIP_1) | instid1(VALU_DEP_1)
	v_fmac_f64_e32 v[146:147], v[128:129], v[118:119]
	s_wait_dscnt 0x0
	v_fmac_f64_e32 v[146:147], v[130:131], v[112:113]
	s_wait_loadcnt 0x0
	s_delay_alu instid0(VALU_DEP_1) | instskip(NEXT) | instid1(VALU_DEP_1)
	v_fmac_f64_e32 v[146:147], v[136:137], v[114:115]
	v_add_f64_e64 v[2:3], v[110:111], -v[146:147]
	scratch_store_b64 off, v[2:3], off offset:16
	s_wait_xcnt 0x0
	v_cmpx_lt_u32_e32 1, v0
	s_cbranch_execz .LBB52_325
; %bb.324:
	scratch_load_b64 v[2:3], off, off offset:8
	v_mov_b64_e32 v[110:111], 0
	scratch_store_b64 off, v[110:111], off offset:8
	s_wait_loadcnt 0x0
	ds_store_b64 v1, v[2:3]
.LBB52_325:
	s_wait_xcnt 0x0
	s_or_b32 exec_lo, exec_lo, s0
	s_wait_storecnt_dscnt 0x0
	s_barrier_signal -1
	s_barrier_wait -1
	s_clause 0x4
	scratch_load_b128 v[112:115], off, off offset:8
	scratch_load_b128 v[116:119], off, off offset:24
	;; [unrolled: 1-line block ×5, first 2 shown]
	v_dual_mov_b32 v110, 0 :: v_dual_ashrrev_i32 v9, 31, v8
	ds_load_b128 v[132:135], v110 offset:448
	ds_load_b128 v[136:139], v110 offset:464
	scratch_load_b128 v[140:143], off, off offset:88
	v_dual_ashrrev_i32 v11, 31, v10 :: v_dual_ashrrev_i32 v13, 31, v12
	v_dual_ashrrev_i32 v15, 31, v14 :: v_dual_ashrrev_i32 v17, 31, v16
	;; [unrolled: 1-line block ×24, first 2 shown]
	v_ashrrev_i32_e32 v107, 31, v106
	s_mov_b32 s0, exec_lo
	v_ashrrev_i32_e32 v57, 31, v56
	s_wait_loadcnt_dscnt 0x501
	v_fma_f64 v[2:3], v[114:115], v[132:133], 0
	s_wait_loadcnt 0x4
	s_delay_alu instid0(VALU_DEP_1) | instskip(SKIP_4) | instid1(VALU_DEP_1)
	v_fmac_f64_e32 v[2:3], v[116:117], v[134:135]
	scratch_load_b128 v[114:117], off, off offset:104
	s_wait_dscnt 0x0
	v_fmac_f64_e32 v[2:3], v[118:119], v[136:137]
	s_wait_loadcnt 0x4
	v_fmac_f64_e32 v[2:3], v[120:121], v[138:139]
	ds_load_b128 v[118:121], v110 offset:480
	ds_load_b128 v[132:135], v110 offset:496
	scratch_load_b128 v[136:139], off, off offset:120
	s_wait_dscnt 0x1
	v_fmac_f64_e32 v[2:3], v[122:123], v[118:119]
	s_wait_loadcnt 0x4
	s_delay_alu instid0(VALU_DEP_1) | instskip(SKIP_4) | instid1(VALU_DEP_1)
	v_fmac_f64_e32 v[2:3], v[124:125], v[120:121]
	scratch_load_b128 v[118:121], off, off offset:136
	s_wait_dscnt 0x0
	v_fmac_f64_e32 v[2:3], v[126:127], v[132:133]
	s_wait_loadcnt 0x4
	v_fmac_f64_e32 v[2:3], v[128:129], v[134:135]
	ds_load_b128 v[122:125], v110 offset:512
	ds_load_b128 v[126:129], v110 offset:528
	s_wait_dscnt 0x1
	v_fmac_f64_e32 v[2:3], v[130:131], v[122:123]
	scratch_load_b128 v[130:133], off, off offset:152
	s_wait_loadcnt 0x4
	v_fmac_f64_e32 v[2:3], v[140:141], v[124:125]
	scratch_load_b128 v[122:125], off, off offset:168
	s_wait_dscnt 0x0
	v_fmac_f64_e32 v[2:3], v[142:143], v[126:127]
	s_wait_loadcnt 0x4
	s_delay_alu instid0(VALU_DEP_1)
	v_fmac_f64_e32 v[2:3], v[114:115], v[128:129]
	ds_load_b128 v[126:129], v110 offset:544
	ds_load_b128 v[140:143], v110 offset:560
	s_wait_dscnt 0x1
	v_fmac_f64_e32 v[2:3], v[116:117], v[126:127]
	scratch_load_b128 v[114:117], off, off offset:184
	s_wait_loadcnt 0x4
	v_fmac_f64_e32 v[2:3], v[136:137], v[128:129]
	scratch_load_b128 v[126:129], off, off offset:200
	s_wait_dscnt 0x0
	v_fmac_f64_e32 v[2:3], v[138:139], v[140:141]
	ds_load_b128 v[134:137], v110 offset:576
	ds_load_b128 v[138:141], v110 offset:592
	s_wait_loadcnt 0x4
	v_fmac_f64_e32 v[2:3], v[118:119], v[142:143]
	s_wait_dscnt 0x1
	s_delay_alu instid0(VALU_DEP_1)
	v_fmac_f64_e32 v[2:3], v[120:121], v[134:135]
	scratch_load_b128 v[118:121], off, off offset:216
	s_wait_loadcnt 0x4
	v_fmac_f64_e32 v[2:3], v[130:131], v[136:137]
	scratch_load_b128 v[134:137], off, off offset:232
	s_wait_dscnt 0x0
	v_fmac_f64_e32 v[2:3], v[132:133], v[138:139]
	s_wait_loadcnt 0x4
	s_delay_alu instid0(VALU_DEP_1)
	v_fmac_f64_e32 v[2:3], v[122:123], v[140:141]
	ds_load_b128 v[130:133], v110 offset:608
	ds_load_b128 v[138:141], v110 offset:624
	s_wait_dscnt 0x1
	v_fmac_f64_e32 v[2:3], v[124:125], v[130:131]
	scratch_load_b128 v[122:125], off, off offset:248
	s_wait_loadcnt 0x4
	v_fmac_f64_e32 v[2:3], v[114:115], v[132:133]
	s_wait_dscnt 0x0
	s_delay_alu instid0(VALU_DEP_1)
	v_fmac_f64_e32 v[2:3], v[116:117], v[138:139]
	scratch_load_b128 v[114:117], off, off offset:264
	s_wait_loadcnt 0x4
	v_fmac_f64_e32 v[2:3], v[126:127], v[140:141]
	ds_load_b128 v[130:133], v110 offset:640
	ds_load_b128 v[138:141], v110 offset:656
	s_wait_dscnt 0x1
	v_fmac_f64_e32 v[2:3], v[128:129], v[130:131]
	scratch_load_b128 v[126:129], off, off offset:280
	s_wait_loadcnt 0x4
	v_fmac_f64_e32 v[2:3], v[118:119], v[132:133]
	s_wait_dscnt 0x0
	s_delay_alu instid0(VALU_DEP_1)
	v_fmac_f64_e32 v[2:3], v[120:121], v[138:139]
	scratch_load_b128 v[118:121], off, off offset:296
	s_wait_loadcnt 0x4
	v_fmac_f64_e32 v[2:3], v[134:135], v[140:141]
	ds_load_b128 v[130:133], v110 offset:672
	ds_load_b128 v[138:141], v110 offset:688
	s_wait_dscnt 0x1
	v_fmac_f64_e32 v[2:3], v[136:137], v[130:131]
	scratch_load_b128 v[134:137], off, off offset:312
	s_wait_loadcnt 0x4
	v_fmac_f64_e32 v[2:3], v[122:123], v[132:133]
	scratch_load_b128 v[130:133], off, off offset:328
	s_wait_dscnt 0x0
	v_fmac_f64_e32 v[2:3], v[124:125], v[138:139]
	s_wait_loadcnt 0x4
	s_delay_alu instid0(VALU_DEP_1)
	v_fmac_f64_e32 v[2:3], v[114:115], v[140:141]
	ds_load_b128 v[122:125], v110 offset:704
	ds_load_b128 v[138:141], v110 offset:720
	s_wait_dscnt 0x1
	v_fmac_f64_e32 v[2:3], v[116:117], v[122:123]
	scratch_load_b128 v[114:117], off, off offset:344
	s_wait_loadcnt 0x4
	v_fmac_f64_e32 v[2:3], v[126:127], v[124:125]
	scratch_load_b128 v[122:125], off, off offset:360
	s_wait_dscnt 0x0
	v_fmac_f64_e32 v[2:3], v[128:129], v[138:139]
	s_wait_loadcnt 0x4
	s_delay_alu instid0(VALU_DEP_1)
	;; [unrolled: 13-line block ×3, first 2 shown]
	v_fmac_f64_e32 v[2:3], v[130:131], v[140:141]
	ds_load_b128 v[134:137], v110 offset:768
	ds_load_b128 v[138:141], v110 offset:784
	s_wait_dscnt 0x1
	v_fmac_f64_e32 v[2:3], v[132:133], v[134:135]
	scratch_load_b128 v[130:133], off, off offset:408
	s_wait_loadcnt 0x4
	v_fmac_f64_e32 v[2:3], v[114:115], v[136:137]
	s_wait_dscnt 0x0
	s_delay_alu instid0(VALU_DEP_1)
	v_fmac_f64_e32 v[2:3], v[116:117], v[138:139]
	ds_load_b128 v[114:117], v110 offset:800
	ds_load_b128 v[134:137], v110 offset:816
	s_wait_loadcnt 0x3
	v_fmac_f64_e32 v[2:3], v[122:123], v[140:141]
	s_wait_dscnt 0x1
	s_delay_alu instid0(VALU_DEP_1) | instskip(SKIP_1) | instid1(VALU_DEP_1)
	v_fmac_f64_e32 v[2:3], v[124:125], v[114:115]
	s_wait_loadcnt 0x2
	v_fmac_f64_e32 v[2:3], v[118:119], v[116:117]
	ds_load_b128 v[114:117], v110 offset:832
	s_wait_dscnt 0x1
	v_fmac_f64_e32 v[2:3], v[120:121], v[134:135]
	s_wait_loadcnt 0x1
	s_delay_alu instid0(VALU_DEP_1) | instskip(SKIP_1) | instid1(VALU_DEP_1)
	v_fmac_f64_e32 v[2:3], v[126:127], v[136:137]
	s_wait_dscnt 0x0
	v_fmac_f64_e32 v[2:3], v[128:129], v[114:115]
	ds_load_b64 v[114:115], v110 offset:848
	s_wait_loadcnt 0x0
	v_fmac_f64_e32 v[2:3], v[130:131], v[116:117]
	s_wait_dscnt 0x0
	s_delay_alu instid0(VALU_DEP_1) | instskip(NEXT) | instid1(VALU_DEP_1)
	v_fmac_f64_e32 v[2:3], v[132:133], v[114:115]
	v_add_f64_e64 v[2:3], v[112:113], -v[2:3]
	scratch_store_b64 off, v[2:3], off offset:8
	s_wait_xcnt 0x0
	v_cmpx_ne_u32_e32 0, v0
	s_cbranch_execz .LBB52_327
; %bb.326:
	scratch_load_b64 v[2:3], off, off
	v_mov_b64_e32 v[112:113], 0
	scratch_store_b64 off, v[112:113], off
	s_wait_loadcnt 0x0
	ds_store_b64 v1, v[2:3]
.LBB52_327:
	s_wait_xcnt 0x0
	s_or_b32 exec_lo, exec_lo, s0
	s_wait_storecnt_dscnt 0x0
	s_barrier_signal -1
	s_barrier_wait -1
	s_clause 0x5
	scratch_load_b128 v[112:115], off, off
	scratch_load_b128 v[0:3], off, off offset:16
	scratch_load_b128 v[116:119], off, off offset:32
	;; [unrolled: 1-line block ×5, first 2 shown]
	ds_load_2addr_b64 v[132:135], v110 offset0:55 offset1:56
	scratch_load_b128 v[136:139], off, off offset:96
	s_and_b32 vcc_lo, exec_lo, s20
	s_wait_loadcnt_dscnt 0x600
	v_fma_f64 v[140:141], v[114:115], v[132:133], 0
	s_wait_loadcnt 0x5
	s_delay_alu instid0(VALU_DEP_1)
	v_fmac_f64_e32 v[140:141], v[0:1], v[134:135]
	ds_load_2addr_b64 v[132:135], v110 offset0:57 offset1:58
	s_wait_dscnt 0x0
	v_fmac_f64_e32 v[140:141], v[2:3], v[132:133]
	scratch_load_b128 v[0:3], off, off offset:112
	s_wait_loadcnt 0x5
	v_fmac_f64_e32 v[140:141], v[116:117], v[134:135]
	ds_load_2addr_b64 v[114:117], v110 offset0:59 offset1:60
	scratch_load_b128 v[132:135], off, off offset:128
	s_wait_dscnt 0x0
	v_fmac_f64_e32 v[140:141], v[118:119], v[114:115]
	s_wait_loadcnt 0x5
	s_delay_alu instid0(VALU_DEP_1)
	v_fmac_f64_e32 v[140:141], v[120:121], v[116:117]
	ds_load_2addr_b64 v[114:117], v110 offset0:61 offset1:62
	scratch_load_b128 v[118:121], off, off offset:144
	s_wait_dscnt 0x0
	v_fmac_f64_e32 v[140:141], v[122:123], v[114:115]
	s_wait_loadcnt 0x5
	s_delay_alu instid0(VALU_DEP_1)
	;; [unrolled: 7-line block ×4, first 2 shown]
	v_fmac_f64_e32 v[140:141], v[136:137], v[116:117]
	ds_load_2addr_b64 v[114:117], v110 offset0:67 offset1:68
	s_wait_dscnt 0x0
	v_fmac_f64_e32 v[140:141], v[138:139], v[114:115]
	scratch_load_b128 v[136:139], off, off offset:192
	s_wait_loadcnt 0x5
	v_fmac_f64_e32 v[140:141], v[0:1], v[116:117]
	ds_load_2addr_b64 v[114:117], v110 offset0:69 offset1:70
	s_wait_dscnt 0x0
	v_fmac_f64_e32 v[140:141], v[2:3], v[114:115]
	scratch_load_b128 v[0:3], off, off offset:208
	s_wait_loadcnt 0x5
	v_fmac_f64_e32 v[140:141], v[132:133], v[116:117]
	ds_load_2addr_b64 v[114:117], v110 offset0:71 offset1:72
	scratch_load_b128 v[130:133], off, off offset:224
	s_wait_dscnt 0x0
	v_fmac_f64_e32 v[140:141], v[134:135], v[114:115]
	s_wait_loadcnt 0x5
	s_delay_alu instid0(VALU_DEP_1)
	v_fmac_f64_e32 v[140:141], v[118:119], v[116:117]
	ds_load_2addr_b64 v[114:117], v110 offset0:73 offset1:74
	s_wait_dscnt 0x0
	v_fmac_f64_e32 v[140:141], v[120:121], v[114:115]
	scratch_load_b128 v[118:121], off, off offset:240
	s_wait_loadcnt 0x5
	v_fmac_f64_e32 v[140:141], v[122:123], v[116:117]
	ds_load_2addr_b64 v[114:117], v110 offset0:75 offset1:76
	s_wait_dscnt 0x0
	v_fmac_f64_e32 v[140:141], v[124:125], v[114:115]
	scratch_load_b128 v[122:125], off, off offset:256
	s_wait_loadcnt 0x5
	;; [unrolled: 6-line block ×3, first 2 shown]
	v_fmac_f64_e32 v[140:141], v[136:137], v[116:117]
	ds_load_2addr_b64 v[114:117], v110 offset0:79 offset1:80
	scratch_load_b128 v[134:137], off, off offset:288
	s_wait_dscnt 0x0
	v_fmac_f64_e32 v[140:141], v[138:139], v[114:115]
	s_wait_loadcnt 0x5
	s_delay_alu instid0(VALU_DEP_1)
	v_fmac_f64_e32 v[140:141], v[0:1], v[116:117]
	ds_load_2addr_b64 v[114:117], v110 offset0:81 offset1:82
	s_wait_dscnt 0x0
	v_fmac_f64_e32 v[140:141], v[2:3], v[114:115]
	scratch_load_b128 v[0:3], off, off offset:304
	s_wait_loadcnt 0x5
	v_fmac_f64_e32 v[140:141], v[130:131], v[116:117]
	ds_load_2addr_b64 v[114:117], v110 offset0:83 offset1:84
	s_wait_dscnt 0x0
	v_fmac_f64_e32 v[140:141], v[132:133], v[114:115]
	scratch_load_b128 v[130:133], off, off offset:320
	s_wait_loadcnt 0x5
	;; [unrolled: 6-line block ×7, first 2 shown]
	v_fmac_f64_e32 v[140:141], v[130:131], v[116:117]
	ds_load_2addr_b64 v[114:117], v110 offset0:95 offset1:96
	scratch_load_b64 v[130:131], off, off offset:416
	s_wait_dscnt 0x0
	v_fmac_f64_e32 v[140:141], v[132:133], v[114:115]
	s_wait_loadcnt 0x5
	s_delay_alu instid0(VALU_DEP_1) | instskip(SKIP_4) | instid1(VALU_DEP_1)
	v_fmac_f64_e32 v[140:141], v[118:119], v[116:117]
	ds_load_2addr_b64 v[114:117], v110 offset0:97 offset1:98
	s_wait_dscnt 0x0
	v_fmac_f64_e32 v[140:141], v[120:121], v[114:115]
	s_wait_loadcnt 0x4
	v_fmac_f64_e32 v[140:141], v[122:123], v[116:117]
	ds_load_2addr_b64 v[114:117], v110 offset0:99 offset1:100
	s_wait_dscnt 0x0
	v_fmac_f64_e32 v[140:141], v[124:125], v[114:115]
	s_wait_loadcnt 0x3
	s_delay_alu instid0(VALU_DEP_1) | instskip(SKIP_4) | instid1(VALU_DEP_1)
	v_fmac_f64_e32 v[140:141], v[126:127], v[116:117]
	ds_load_2addr_b64 v[114:117], v110 offset0:101 offset1:102
	s_wait_dscnt 0x0
	v_fmac_f64_e32 v[140:141], v[128:129], v[114:115]
	s_wait_loadcnt 0x2
	v_fmac_f64_e32 v[140:141], v[134:135], v[116:117]
	ds_load_2addr_b64 v[114:117], v110 offset0:103 offset1:104
	s_wait_dscnt 0x0
	v_fmac_f64_e32 v[140:141], v[136:137], v[114:115]
	s_wait_loadcnt 0x1
	s_delay_alu instid0(VALU_DEP_1) | instskip(SKIP_4) | instid1(VALU_DEP_1)
	v_fmac_f64_e32 v[140:141], v[0:1], v[116:117]
	ds_load_2addr_b64 v[114:117], v110 offset0:105 offset1:106
	s_wait_dscnt 0x0
	v_fmac_f64_e32 v[140:141], v[2:3], v[114:115]
	s_wait_loadcnt 0x0
	v_fmac_f64_e32 v[140:141], v[130:131], v[116:117]
	s_delay_alu instid0(VALU_DEP_1)
	v_add_f64_e64 v[138:139], v[112:113], -v[140:141]
	scratch_store_b64 off, v[138:139], off
	s_cbranch_vccz .LBB52_432
; %bb.328:
	v_mov_b32_e32 v0, 0
	global_load_b32 v1, v0, s[16:17] offset:204
	s_wait_loadcnt 0x0
	v_cmp_ne_u32_e32 vcc_lo, 52, v1
	s_cbranch_vccz .LBB52_330
; %bb.329:
	v_lshlrev_b32_e32 v1, 3, v1
	scratch_load_b64 v[110:111], v1, off offset:-8
	s_wait_loadcnt 0x0
	scratch_store_b64 off, v[110:111], off offset:408
	scratch_store_b64 v1, v[2:3], off offset:-8
.LBB52_330:
	global_load_b32 v0, v0, s[16:17] offset:200
	s_wait_loadcnt 0x0
	v_cmp_eq_u32_e32 vcc_lo, 51, v0
	s_cbranch_vccnz .LBB52_332
; %bb.331:
	s_wait_xcnt 0x0
	v_lshlrev_b32_e32 v0, 3, v0
	s_delay_alu instid0(VALU_DEP_1)
	v_mov_b32_e32 v110, v0
	scratch_load_b64 v[0:1], v110, off offset:-8
	scratch_load_b64 v[2:3], off, off offset:400
	s_wait_loadcnt 0x1
	scratch_store_b64 off, v[0:1], off offset:400
	s_wait_loadcnt 0x0
	scratch_store_b64 v110, v[2:3], off offset:-8
.LBB52_332:
	s_wait_xcnt 0x0
	v_mov_b32_e32 v0, 0
	global_load_b32 v1, v0, s[16:17] offset:196
	s_wait_loadcnt 0x0
	v_cmp_eq_u32_e32 vcc_lo, 50, v1
	s_cbranch_vccnz .LBB52_334
; %bb.333:
	v_lshlrev_b32_e32 v1, 3, v1
	scratch_load_b64 v[2:3], v1, off offset:-8
	scratch_load_b64 v[110:111], off, off offset:392
	s_wait_loadcnt 0x1
	scratch_store_b64 off, v[2:3], off offset:392
	s_wait_loadcnt 0x0
	scratch_store_b64 v1, v[110:111], off offset:-8
.LBB52_334:
	global_load_b32 v0, v0, s[16:17] offset:192
	s_wait_loadcnt 0x0
	v_cmp_eq_u32_e32 vcc_lo, 49, v0
	s_cbranch_vccnz .LBB52_336
; %bb.335:
	s_wait_xcnt 0x0
	v_lshlrev_b32_e32 v0, 3, v0
	s_delay_alu instid0(VALU_DEP_1)
	v_mov_b32_e32 v110, v0
	scratch_load_b64 v[0:1], v110, off offset:-8
	scratch_load_b64 v[2:3], off, off offset:384
	s_wait_loadcnt 0x1
	scratch_store_b64 off, v[0:1], off offset:384
	s_wait_loadcnt 0x0
	scratch_store_b64 v110, v[2:3], off offset:-8
.LBB52_336:
	s_wait_xcnt 0x0
	v_mov_b32_e32 v0, 0
	global_load_b32 v1, v0, s[16:17] offset:188
	s_wait_loadcnt 0x0
	v_cmp_eq_u32_e32 vcc_lo, 48, v1
	s_cbranch_vccnz .LBB52_338
; %bb.337:
	v_lshlrev_b32_e32 v1, 3, v1
	scratch_load_b64 v[2:3], v1, off offset:-8
	scratch_load_b64 v[110:111], off, off offset:376
	s_wait_loadcnt 0x1
	scratch_store_b64 off, v[2:3], off offset:376
	s_wait_loadcnt 0x0
	scratch_store_b64 v1, v[110:111], off offset:-8
.LBB52_338:
	global_load_b32 v0, v0, s[16:17] offset:184
	s_wait_loadcnt 0x0
	v_cmp_eq_u32_e32 vcc_lo, 47, v0
	s_cbranch_vccnz .LBB52_340
; %bb.339:
	s_wait_xcnt 0x0
	v_lshlrev_b32_e32 v0, 3, v0
	s_delay_alu instid0(VALU_DEP_1)
	v_mov_b32_e32 v110, v0
	scratch_load_b64 v[0:1], v110, off offset:-8
	scratch_load_b64 v[2:3], off, off offset:368
	s_wait_loadcnt 0x1
	scratch_store_b64 off, v[0:1], off offset:368
	s_wait_loadcnt 0x0
	scratch_store_b64 v110, v[2:3], off offset:-8
.LBB52_340:
	s_wait_xcnt 0x0
	v_mov_b32_e32 v0, 0
	global_load_b32 v1, v0, s[16:17] offset:180
	s_wait_loadcnt 0x0
	v_cmp_eq_u32_e32 vcc_lo, 46, v1
	s_cbranch_vccnz .LBB52_342
; %bb.341:
	v_lshlrev_b32_e32 v1, 3, v1
	scratch_load_b64 v[2:3], v1, off offset:-8
	scratch_load_b64 v[110:111], off, off offset:360
	s_wait_loadcnt 0x1
	scratch_store_b64 off, v[2:3], off offset:360
	s_wait_loadcnt 0x0
	scratch_store_b64 v1, v[110:111], off offset:-8
.LBB52_342:
	global_load_b32 v0, v0, s[16:17] offset:176
	s_wait_loadcnt 0x0
	v_cmp_eq_u32_e32 vcc_lo, 45, v0
	s_cbranch_vccnz .LBB52_344
; %bb.343:
	s_wait_xcnt 0x0
	v_lshlrev_b32_e32 v0, 3, v0
	s_delay_alu instid0(VALU_DEP_1)
	v_mov_b32_e32 v110, v0
	scratch_load_b64 v[0:1], v110, off offset:-8
	scratch_load_b64 v[2:3], off, off offset:352
	s_wait_loadcnt 0x1
	scratch_store_b64 off, v[0:1], off offset:352
	s_wait_loadcnt 0x0
	scratch_store_b64 v110, v[2:3], off offset:-8
.LBB52_344:
	s_wait_xcnt 0x0
	v_mov_b32_e32 v0, 0
	global_load_b32 v1, v0, s[16:17] offset:172
	s_wait_loadcnt 0x0
	v_cmp_eq_u32_e32 vcc_lo, 44, v1
	s_cbranch_vccnz .LBB52_346
; %bb.345:
	v_lshlrev_b32_e32 v1, 3, v1
	scratch_load_b64 v[2:3], v1, off offset:-8
	scratch_load_b64 v[110:111], off, off offset:344
	s_wait_loadcnt 0x1
	scratch_store_b64 off, v[2:3], off offset:344
	s_wait_loadcnt 0x0
	scratch_store_b64 v1, v[110:111], off offset:-8
.LBB52_346:
	global_load_b32 v0, v0, s[16:17] offset:168
	s_wait_loadcnt 0x0
	v_cmp_eq_u32_e32 vcc_lo, 43, v0
	s_cbranch_vccnz .LBB52_348
; %bb.347:
	s_wait_xcnt 0x0
	v_lshlrev_b32_e32 v0, 3, v0
	s_delay_alu instid0(VALU_DEP_1)
	v_mov_b32_e32 v110, v0
	scratch_load_b64 v[0:1], v110, off offset:-8
	scratch_load_b64 v[2:3], off, off offset:336
	s_wait_loadcnt 0x1
	scratch_store_b64 off, v[0:1], off offset:336
	s_wait_loadcnt 0x0
	scratch_store_b64 v110, v[2:3], off offset:-8
.LBB52_348:
	s_wait_xcnt 0x0
	v_mov_b32_e32 v0, 0
	global_load_b32 v1, v0, s[16:17] offset:164
	s_wait_loadcnt 0x0
	v_cmp_eq_u32_e32 vcc_lo, 42, v1
	s_cbranch_vccnz .LBB52_350
; %bb.349:
	v_lshlrev_b32_e32 v1, 3, v1
	scratch_load_b64 v[2:3], v1, off offset:-8
	scratch_load_b64 v[110:111], off, off offset:328
	s_wait_loadcnt 0x1
	scratch_store_b64 off, v[2:3], off offset:328
	s_wait_loadcnt 0x0
	scratch_store_b64 v1, v[110:111], off offset:-8
.LBB52_350:
	global_load_b32 v0, v0, s[16:17] offset:160
	s_wait_loadcnt 0x0
	v_cmp_eq_u32_e32 vcc_lo, 41, v0
	s_cbranch_vccnz .LBB52_352
; %bb.351:
	s_wait_xcnt 0x0
	v_lshlrev_b32_e32 v0, 3, v0
	s_delay_alu instid0(VALU_DEP_1)
	v_mov_b32_e32 v110, v0
	scratch_load_b64 v[0:1], v110, off offset:-8
	scratch_load_b64 v[2:3], off, off offset:320
	s_wait_loadcnt 0x1
	scratch_store_b64 off, v[0:1], off offset:320
	s_wait_loadcnt 0x0
	scratch_store_b64 v110, v[2:3], off offset:-8
.LBB52_352:
	s_wait_xcnt 0x0
	v_mov_b32_e32 v0, 0
	global_load_b32 v1, v0, s[16:17] offset:156
	s_wait_loadcnt 0x0
	v_cmp_eq_u32_e32 vcc_lo, 40, v1
	s_cbranch_vccnz .LBB52_354
; %bb.353:
	v_lshlrev_b32_e32 v1, 3, v1
	scratch_load_b64 v[2:3], v1, off offset:-8
	scratch_load_b64 v[110:111], off, off offset:312
	s_wait_loadcnt 0x1
	scratch_store_b64 off, v[2:3], off offset:312
	s_wait_loadcnt 0x0
	scratch_store_b64 v1, v[110:111], off offset:-8
.LBB52_354:
	global_load_b32 v0, v0, s[16:17] offset:152
	s_wait_loadcnt 0x0
	v_cmp_eq_u32_e32 vcc_lo, 39, v0
	s_cbranch_vccnz .LBB52_356
; %bb.355:
	s_wait_xcnt 0x0
	v_lshlrev_b32_e32 v0, 3, v0
	s_delay_alu instid0(VALU_DEP_1)
	v_mov_b32_e32 v110, v0
	scratch_load_b64 v[0:1], v110, off offset:-8
	scratch_load_b64 v[2:3], off, off offset:304
	s_wait_loadcnt 0x1
	scratch_store_b64 off, v[0:1], off offset:304
	s_wait_loadcnt 0x0
	scratch_store_b64 v110, v[2:3], off offset:-8
.LBB52_356:
	s_wait_xcnt 0x0
	v_mov_b32_e32 v0, 0
	global_load_b32 v1, v0, s[16:17] offset:148
	s_wait_loadcnt 0x0
	v_cmp_eq_u32_e32 vcc_lo, 38, v1
	s_cbranch_vccnz .LBB52_358
; %bb.357:
	v_lshlrev_b32_e32 v1, 3, v1
	scratch_load_b64 v[2:3], v1, off offset:-8
	scratch_load_b64 v[110:111], off, off offset:296
	s_wait_loadcnt 0x1
	scratch_store_b64 off, v[2:3], off offset:296
	s_wait_loadcnt 0x0
	scratch_store_b64 v1, v[110:111], off offset:-8
.LBB52_358:
	global_load_b32 v0, v0, s[16:17] offset:144
	s_wait_loadcnt 0x0
	v_cmp_eq_u32_e32 vcc_lo, 37, v0
	s_cbranch_vccnz .LBB52_360
; %bb.359:
	s_wait_xcnt 0x0
	v_lshlrev_b32_e32 v0, 3, v0
	s_delay_alu instid0(VALU_DEP_1)
	v_mov_b32_e32 v110, v0
	scratch_load_b64 v[0:1], v110, off offset:-8
	scratch_load_b64 v[2:3], off, off offset:288
	s_wait_loadcnt 0x1
	scratch_store_b64 off, v[0:1], off offset:288
	s_wait_loadcnt 0x0
	scratch_store_b64 v110, v[2:3], off offset:-8
.LBB52_360:
	s_wait_xcnt 0x0
	v_mov_b32_e32 v0, 0
	global_load_b32 v1, v0, s[16:17] offset:140
	s_wait_loadcnt 0x0
	v_cmp_eq_u32_e32 vcc_lo, 36, v1
	s_cbranch_vccnz .LBB52_362
; %bb.361:
	v_lshlrev_b32_e32 v1, 3, v1
	scratch_load_b64 v[2:3], v1, off offset:-8
	scratch_load_b64 v[110:111], off, off offset:280
	s_wait_loadcnt 0x1
	scratch_store_b64 off, v[2:3], off offset:280
	s_wait_loadcnt 0x0
	scratch_store_b64 v1, v[110:111], off offset:-8
.LBB52_362:
	global_load_b32 v0, v0, s[16:17] offset:136
	s_wait_loadcnt 0x0
	v_cmp_eq_u32_e32 vcc_lo, 35, v0
	s_cbranch_vccnz .LBB52_364
; %bb.363:
	s_wait_xcnt 0x0
	v_lshlrev_b32_e32 v0, 3, v0
	s_delay_alu instid0(VALU_DEP_1)
	v_mov_b32_e32 v110, v0
	scratch_load_b64 v[0:1], v110, off offset:-8
	scratch_load_b64 v[2:3], off, off offset:272
	s_wait_loadcnt 0x1
	scratch_store_b64 off, v[0:1], off offset:272
	s_wait_loadcnt 0x0
	scratch_store_b64 v110, v[2:3], off offset:-8
.LBB52_364:
	s_wait_xcnt 0x0
	v_mov_b32_e32 v0, 0
	global_load_b32 v1, v0, s[16:17] offset:132
	s_wait_loadcnt 0x0
	v_cmp_eq_u32_e32 vcc_lo, 34, v1
	s_cbranch_vccnz .LBB52_366
; %bb.365:
	v_lshlrev_b32_e32 v1, 3, v1
	scratch_load_b64 v[2:3], v1, off offset:-8
	scratch_load_b64 v[110:111], off, off offset:264
	s_wait_loadcnt 0x1
	scratch_store_b64 off, v[2:3], off offset:264
	s_wait_loadcnt 0x0
	scratch_store_b64 v1, v[110:111], off offset:-8
.LBB52_366:
	global_load_b32 v0, v0, s[16:17] offset:128
	s_wait_loadcnt 0x0
	v_cmp_eq_u32_e32 vcc_lo, 33, v0
	s_cbranch_vccnz .LBB52_368
; %bb.367:
	s_wait_xcnt 0x0
	v_lshlrev_b32_e32 v0, 3, v0
	s_delay_alu instid0(VALU_DEP_1)
	v_mov_b32_e32 v110, v0
	scratch_load_b64 v[0:1], v110, off offset:-8
	scratch_load_b64 v[2:3], off, off offset:256
	s_wait_loadcnt 0x1
	scratch_store_b64 off, v[0:1], off offset:256
	s_wait_loadcnt 0x0
	scratch_store_b64 v110, v[2:3], off offset:-8
.LBB52_368:
	s_wait_xcnt 0x0
	v_mov_b32_e32 v0, 0
	global_load_b32 v1, v0, s[16:17] offset:124
	s_wait_loadcnt 0x0
	v_cmp_eq_u32_e32 vcc_lo, 32, v1
	s_cbranch_vccnz .LBB52_370
; %bb.369:
	v_lshlrev_b32_e32 v1, 3, v1
	scratch_load_b64 v[2:3], v1, off offset:-8
	scratch_load_b64 v[110:111], off, off offset:248
	s_wait_loadcnt 0x1
	scratch_store_b64 off, v[2:3], off offset:248
	s_wait_loadcnt 0x0
	scratch_store_b64 v1, v[110:111], off offset:-8
.LBB52_370:
	global_load_b32 v0, v0, s[16:17] offset:120
	s_wait_loadcnt 0x0
	v_cmp_eq_u32_e32 vcc_lo, 31, v0
	s_cbranch_vccnz .LBB52_372
; %bb.371:
	s_wait_xcnt 0x0
	v_lshlrev_b32_e32 v0, 3, v0
	s_delay_alu instid0(VALU_DEP_1)
	v_mov_b32_e32 v110, v0
	scratch_load_b64 v[0:1], v110, off offset:-8
	scratch_load_b64 v[2:3], off, off offset:240
	s_wait_loadcnt 0x1
	scratch_store_b64 off, v[0:1], off offset:240
	s_wait_loadcnt 0x0
	scratch_store_b64 v110, v[2:3], off offset:-8
.LBB52_372:
	s_wait_xcnt 0x0
	v_mov_b32_e32 v0, 0
	global_load_b32 v1, v0, s[16:17] offset:116
	s_wait_loadcnt 0x0
	v_cmp_eq_u32_e32 vcc_lo, 30, v1
	s_cbranch_vccnz .LBB52_374
; %bb.373:
	v_lshlrev_b32_e32 v1, 3, v1
	scratch_load_b64 v[2:3], v1, off offset:-8
	scratch_load_b64 v[110:111], off, off offset:232
	s_wait_loadcnt 0x1
	scratch_store_b64 off, v[2:3], off offset:232
	s_wait_loadcnt 0x0
	scratch_store_b64 v1, v[110:111], off offset:-8
.LBB52_374:
	global_load_b32 v0, v0, s[16:17] offset:112
	s_wait_loadcnt 0x0
	v_cmp_eq_u32_e32 vcc_lo, 29, v0
	s_cbranch_vccnz .LBB52_376
; %bb.375:
	s_wait_xcnt 0x0
	v_lshlrev_b32_e32 v0, 3, v0
	s_delay_alu instid0(VALU_DEP_1)
	v_mov_b32_e32 v110, v0
	scratch_load_b64 v[0:1], v110, off offset:-8
	scratch_load_b64 v[2:3], off, off offset:224
	s_wait_loadcnt 0x1
	scratch_store_b64 off, v[0:1], off offset:224
	s_wait_loadcnt 0x0
	scratch_store_b64 v110, v[2:3], off offset:-8
.LBB52_376:
	s_wait_xcnt 0x0
	v_mov_b32_e32 v0, 0
	global_load_b32 v1, v0, s[16:17] offset:108
	s_wait_loadcnt 0x0
	v_cmp_eq_u32_e32 vcc_lo, 28, v1
	s_cbranch_vccnz .LBB52_378
; %bb.377:
	v_lshlrev_b32_e32 v1, 3, v1
	scratch_load_b64 v[2:3], v1, off offset:-8
	scratch_load_b64 v[110:111], off, off offset:216
	s_wait_loadcnt 0x1
	scratch_store_b64 off, v[2:3], off offset:216
	s_wait_loadcnt 0x0
	scratch_store_b64 v1, v[110:111], off offset:-8
.LBB52_378:
	global_load_b32 v0, v0, s[16:17] offset:104
	s_wait_loadcnt 0x0
	v_cmp_eq_u32_e32 vcc_lo, 27, v0
	s_cbranch_vccnz .LBB52_380
; %bb.379:
	s_wait_xcnt 0x0
	v_lshlrev_b32_e32 v0, 3, v0
	s_delay_alu instid0(VALU_DEP_1)
	v_mov_b32_e32 v110, v0
	scratch_load_b64 v[0:1], v110, off offset:-8
	scratch_load_b64 v[2:3], off, off offset:208
	s_wait_loadcnt 0x1
	scratch_store_b64 off, v[0:1], off offset:208
	s_wait_loadcnt 0x0
	scratch_store_b64 v110, v[2:3], off offset:-8
.LBB52_380:
	s_wait_xcnt 0x0
	v_mov_b32_e32 v0, 0
	global_load_b32 v1, v0, s[16:17] offset:100
	s_wait_loadcnt 0x0
	v_cmp_eq_u32_e32 vcc_lo, 26, v1
	s_cbranch_vccnz .LBB52_382
; %bb.381:
	v_lshlrev_b32_e32 v1, 3, v1
	scratch_load_b64 v[2:3], v1, off offset:-8
	scratch_load_b64 v[110:111], off, off offset:200
	s_wait_loadcnt 0x1
	scratch_store_b64 off, v[2:3], off offset:200
	s_wait_loadcnt 0x0
	scratch_store_b64 v1, v[110:111], off offset:-8
.LBB52_382:
	global_load_b32 v0, v0, s[16:17] offset:96
	s_wait_loadcnt 0x0
	v_cmp_eq_u32_e32 vcc_lo, 25, v0
	s_cbranch_vccnz .LBB52_384
; %bb.383:
	s_wait_xcnt 0x0
	v_lshlrev_b32_e32 v0, 3, v0
	s_delay_alu instid0(VALU_DEP_1)
	v_mov_b32_e32 v110, v0
	scratch_load_b64 v[0:1], v110, off offset:-8
	scratch_load_b64 v[2:3], off, off offset:192
	s_wait_loadcnt 0x1
	scratch_store_b64 off, v[0:1], off offset:192
	s_wait_loadcnt 0x0
	scratch_store_b64 v110, v[2:3], off offset:-8
.LBB52_384:
	s_wait_xcnt 0x0
	v_mov_b32_e32 v0, 0
	global_load_b32 v1, v0, s[16:17] offset:92
	s_wait_loadcnt 0x0
	v_cmp_eq_u32_e32 vcc_lo, 24, v1
	s_cbranch_vccnz .LBB52_386
; %bb.385:
	v_lshlrev_b32_e32 v1, 3, v1
	scratch_load_b64 v[2:3], v1, off offset:-8
	scratch_load_b64 v[110:111], off, off offset:184
	s_wait_loadcnt 0x1
	scratch_store_b64 off, v[2:3], off offset:184
	s_wait_loadcnt 0x0
	scratch_store_b64 v1, v[110:111], off offset:-8
.LBB52_386:
	global_load_b32 v0, v0, s[16:17] offset:88
	s_wait_loadcnt 0x0
	v_cmp_eq_u32_e32 vcc_lo, 23, v0
	s_cbranch_vccnz .LBB52_388
; %bb.387:
	s_wait_xcnt 0x0
	v_lshlrev_b32_e32 v0, 3, v0
	s_delay_alu instid0(VALU_DEP_1)
	v_mov_b32_e32 v110, v0
	scratch_load_b64 v[0:1], v110, off offset:-8
	scratch_load_b64 v[2:3], off, off offset:176
	s_wait_loadcnt 0x1
	scratch_store_b64 off, v[0:1], off offset:176
	s_wait_loadcnt 0x0
	scratch_store_b64 v110, v[2:3], off offset:-8
.LBB52_388:
	s_wait_xcnt 0x0
	v_mov_b32_e32 v0, 0
	global_load_b32 v1, v0, s[16:17] offset:84
	s_wait_loadcnt 0x0
	v_cmp_eq_u32_e32 vcc_lo, 22, v1
	s_cbranch_vccnz .LBB52_390
; %bb.389:
	v_lshlrev_b32_e32 v1, 3, v1
	scratch_load_b64 v[2:3], v1, off offset:-8
	scratch_load_b64 v[110:111], off, off offset:168
	s_wait_loadcnt 0x1
	scratch_store_b64 off, v[2:3], off offset:168
	s_wait_loadcnt 0x0
	scratch_store_b64 v1, v[110:111], off offset:-8
.LBB52_390:
	global_load_b32 v0, v0, s[16:17] offset:80
	s_wait_loadcnt 0x0
	v_cmp_eq_u32_e32 vcc_lo, 21, v0
	s_cbranch_vccnz .LBB52_392
; %bb.391:
	s_wait_xcnt 0x0
	v_lshlrev_b32_e32 v0, 3, v0
	s_delay_alu instid0(VALU_DEP_1)
	v_mov_b32_e32 v110, v0
	scratch_load_b64 v[0:1], v110, off offset:-8
	scratch_load_b64 v[2:3], off, off offset:160
	s_wait_loadcnt 0x1
	scratch_store_b64 off, v[0:1], off offset:160
	s_wait_loadcnt 0x0
	scratch_store_b64 v110, v[2:3], off offset:-8
.LBB52_392:
	s_wait_xcnt 0x0
	v_mov_b32_e32 v0, 0
	global_load_b32 v1, v0, s[16:17] offset:76
	s_wait_loadcnt 0x0
	v_cmp_eq_u32_e32 vcc_lo, 20, v1
	s_cbranch_vccnz .LBB52_394
; %bb.393:
	v_lshlrev_b32_e32 v1, 3, v1
	scratch_load_b64 v[2:3], v1, off offset:-8
	scratch_load_b64 v[110:111], off, off offset:152
	s_wait_loadcnt 0x1
	scratch_store_b64 off, v[2:3], off offset:152
	s_wait_loadcnt 0x0
	scratch_store_b64 v1, v[110:111], off offset:-8
.LBB52_394:
	global_load_b32 v0, v0, s[16:17] offset:72
	s_wait_loadcnt 0x0
	v_cmp_eq_u32_e32 vcc_lo, 19, v0
	s_cbranch_vccnz .LBB52_396
; %bb.395:
	s_wait_xcnt 0x0
	v_lshlrev_b32_e32 v0, 3, v0
	s_delay_alu instid0(VALU_DEP_1)
	v_mov_b32_e32 v110, v0
	scratch_load_b64 v[0:1], v110, off offset:-8
	scratch_load_b64 v[2:3], off, off offset:144
	s_wait_loadcnt 0x1
	scratch_store_b64 off, v[0:1], off offset:144
	s_wait_loadcnt 0x0
	scratch_store_b64 v110, v[2:3], off offset:-8
.LBB52_396:
	s_wait_xcnt 0x0
	v_mov_b32_e32 v0, 0
	global_load_b32 v1, v0, s[16:17] offset:68
	s_wait_loadcnt 0x0
	v_cmp_eq_u32_e32 vcc_lo, 18, v1
	s_cbranch_vccnz .LBB52_398
; %bb.397:
	v_lshlrev_b32_e32 v1, 3, v1
	scratch_load_b64 v[2:3], v1, off offset:-8
	scratch_load_b64 v[110:111], off, off offset:136
	s_wait_loadcnt 0x1
	scratch_store_b64 off, v[2:3], off offset:136
	s_wait_loadcnt 0x0
	scratch_store_b64 v1, v[110:111], off offset:-8
.LBB52_398:
	global_load_b32 v0, v0, s[16:17] offset:64
	s_wait_loadcnt 0x0
	v_cmp_eq_u32_e32 vcc_lo, 17, v0
	s_cbranch_vccnz .LBB52_400
; %bb.399:
	s_wait_xcnt 0x0
	v_lshlrev_b32_e32 v0, 3, v0
	s_delay_alu instid0(VALU_DEP_1)
	v_mov_b32_e32 v110, v0
	scratch_load_b64 v[0:1], v110, off offset:-8
	scratch_load_b64 v[2:3], off, off offset:128
	s_wait_loadcnt 0x1
	scratch_store_b64 off, v[0:1], off offset:128
	s_wait_loadcnt 0x0
	scratch_store_b64 v110, v[2:3], off offset:-8
.LBB52_400:
	s_wait_xcnt 0x0
	v_mov_b32_e32 v0, 0
	global_load_b32 v1, v0, s[16:17] offset:60
	s_wait_loadcnt 0x0
	v_cmp_eq_u32_e32 vcc_lo, 16, v1
	s_cbranch_vccnz .LBB52_402
; %bb.401:
	v_lshlrev_b32_e32 v1, 3, v1
	scratch_load_b64 v[2:3], v1, off offset:-8
	scratch_load_b64 v[110:111], off, off offset:120
	s_wait_loadcnt 0x1
	scratch_store_b64 off, v[2:3], off offset:120
	s_wait_loadcnt 0x0
	scratch_store_b64 v1, v[110:111], off offset:-8
.LBB52_402:
	global_load_b32 v0, v0, s[16:17] offset:56
	s_wait_loadcnt 0x0
	v_cmp_eq_u32_e32 vcc_lo, 15, v0
	s_cbranch_vccnz .LBB52_404
; %bb.403:
	s_wait_xcnt 0x0
	v_lshlrev_b32_e32 v0, 3, v0
	s_delay_alu instid0(VALU_DEP_1)
	v_mov_b32_e32 v110, v0
	scratch_load_b64 v[0:1], v110, off offset:-8
	scratch_load_b64 v[2:3], off, off offset:112
	s_wait_loadcnt 0x1
	scratch_store_b64 off, v[0:1], off offset:112
	s_wait_loadcnt 0x0
	scratch_store_b64 v110, v[2:3], off offset:-8
.LBB52_404:
	s_wait_xcnt 0x0
	v_mov_b32_e32 v0, 0
	global_load_b32 v1, v0, s[16:17] offset:52
	s_wait_loadcnt 0x0
	v_cmp_eq_u32_e32 vcc_lo, 14, v1
	s_cbranch_vccnz .LBB52_406
; %bb.405:
	v_lshlrev_b32_e32 v1, 3, v1
	scratch_load_b64 v[2:3], v1, off offset:-8
	scratch_load_b64 v[110:111], off, off offset:104
	s_wait_loadcnt 0x1
	scratch_store_b64 off, v[2:3], off offset:104
	s_wait_loadcnt 0x0
	scratch_store_b64 v1, v[110:111], off offset:-8
.LBB52_406:
	global_load_b32 v0, v0, s[16:17] offset:48
	s_wait_loadcnt 0x0
	v_cmp_eq_u32_e32 vcc_lo, 13, v0
	s_cbranch_vccnz .LBB52_408
; %bb.407:
	s_wait_xcnt 0x0
	v_lshlrev_b32_e32 v0, 3, v0
	s_delay_alu instid0(VALU_DEP_1)
	v_mov_b32_e32 v110, v0
	scratch_load_b64 v[0:1], v110, off offset:-8
	scratch_load_b64 v[2:3], off, off offset:96
	s_wait_loadcnt 0x1
	scratch_store_b64 off, v[0:1], off offset:96
	s_wait_loadcnt 0x0
	scratch_store_b64 v110, v[2:3], off offset:-8
.LBB52_408:
	s_wait_xcnt 0x0
	v_mov_b32_e32 v0, 0
	global_load_b32 v1, v0, s[16:17] offset:44
	s_wait_loadcnt 0x0
	v_cmp_eq_u32_e32 vcc_lo, 12, v1
	s_cbranch_vccnz .LBB52_410
; %bb.409:
	v_lshlrev_b32_e32 v1, 3, v1
	scratch_load_b64 v[2:3], v1, off offset:-8
	scratch_load_b64 v[110:111], off, off offset:88
	s_wait_loadcnt 0x1
	scratch_store_b64 off, v[2:3], off offset:88
	s_wait_loadcnt 0x0
	scratch_store_b64 v1, v[110:111], off offset:-8
.LBB52_410:
	global_load_b32 v0, v0, s[16:17] offset:40
	s_wait_loadcnt 0x0
	v_cmp_eq_u32_e32 vcc_lo, 11, v0
	s_cbranch_vccnz .LBB52_412
; %bb.411:
	s_wait_xcnt 0x0
	v_lshlrev_b32_e32 v0, 3, v0
	s_delay_alu instid0(VALU_DEP_1)
	v_mov_b32_e32 v110, v0
	scratch_load_b64 v[0:1], v110, off offset:-8
	scratch_load_b64 v[2:3], off, off offset:80
	s_wait_loadcnt 0x1
	scratch_store_b64 off, v[0:1], off offset:80
	s_wait_loadcnt 0x0
	scratch_store_b64 v110, v[2:3], off offset:-8
.LBB52_412:
	s_wait_xcnt 0x0
	v_mov_b32_e32 v0, 0
	global_load_b32 v1, v0, s[16:17] offset:36
	s_wait_loadcnt 0x0
	v_cmp_eq_u32_e32 vcc_lo, 10, v1
	s_cbranch_vccnz .LBB52_414
; %bb.413:
	v_lshlrev_b32_e32 v1, 3, v1
	scratch_load_b64 v[2:3], v1, off offset:-8
	scratch_load_b64 v[110:111], off, off offset:72
	s_wait_loadcnt 0x1
	scratch_store_b64 off, v[2:3], off offset:72
	s_wait_loadcnt 0x0
	scratch_store_b64 v1, v[110:111], off offset:-8
.LBB52_414:
	global_load_b32 v0, v0, s[16:17] offset:32
	s_wait_loadcnt 0x0
	v_cmp_eq_u32_e32 vcc_lo, 9, v0
	s_cbranch_vccnz .LBB52_416
; %bb.415:
	s_wait_xcnt 0x0
	v_lshlrev_b32_e32 v0, 3, v0
	s_delay_alu instid0(VALU_DEP_1)
	v_mov_b32_e32 v110, v0
	scratch_load_b64 v[0:1], v110, off offset:-8
	scratch_load_b64 v[2:3], off, off offset:64
	s_wait_loadcnt 0x1
	scratch_store_b64 off, v[0:1], off offset:64
	s_wait_loadcnt 0x0
	scratch_store_b64 v110, v[2:3], off offset:-8
.LBB52_416:
	s_wait_xcnt 0x0
	v_mov_b32_e32 v0, 0
	global_load_b32 v1, v0, s[16:17] offset:28
	s_wait_loadcnt 0x0
	v_cmp_eq_u32_e32 vcc_lo, 8, v1
	s_cbranch_vccnz .LBB52_418
; %bb.417:
	v_lshlrev_b32_e32 v1, 3, v1
	scratch_load_b64 v[2:3], v1, off offset:-8
	scratch_load_b64 v[110:111], off, off offset:56
	s_wait_loadcnt 0x1
	scratch_store_b64 off, v[2:3], off offset:56
	s_wait_loadcnt 0x0
	scratch_store_b64 v1, v[110:111], off offset:-8
.LBB52_418:
	global_load_b32 v0, v0, s[16:17] offset:24
	s_wait_loadcnt 0x0
	v_cmp_eq_u32_e32 vcc_lo, 7, v0
	s_cbranch_vccnz .LBB52_420
; %bb.419:
	s_wait_xcnt 0x0
	v_lshlrev_b32_e32 v0, 3, v0
	s_delay_alu instid0(VALU_DEP_1)
	v_mov_b32_e32 v110, v0
	scratch_load_b64 v[0:1], v110, off offset:-8
	scratch_load_b64 v[2:3], off, off offset:48
	s_wait_loadcnt 0x1
	scratch_store_b64 off, v[0:1], off offset:48
	s_wait_loadcnt 0x0
	scratch_store_b64 v110, v[2:3], off offset:-8
.LBB52_420:
	s_wait_xcnt 0x0
	v_mov_b32_e32 v0, 0
	global_load_b32 v1, v0, s[16:17] offset:20
	s_wait_loadcnt 0x0
	v_cmp_eq_u32_e32 vcc_lo, 6, v1
	s_cbranch_vccnz .LBB52_422
; %bb.421:
	v_lshlrev_b32_e32 v1, 3, v1
	scratch_load_b64 v[2:3], v1, off offset:-8
	scratch_load_b64 v[110:111], off, off offset:40
	s_wait_loadcnt 0x1
	scratch_store_b64 off, v[2:3], off offset:40
	s_wait_loadcnt 0x0
	scratch_store_b64 v1, v[110:111], off offset:-8
.LBB52_422:
	global_load_b32 v0, v0, s[16:17] offset:16
	s_wait_loadcnt 0x0
	v_cmp_eq_u32_e32 vcc_lo, 5, v0
	s_cbranch_vccnz .LBB52_424
; %bb.423:
	s_wait_xcnt 0x0
	v_lshlrev_b32_e32 v0, 3, v0
	s_delay_alu instid0(VALU_DEP_1)
	v_mov_b32_e32 v110, v0
	scratch_load_b64 v[0:1], v110, off offset:-8
	scratch_load_b64 v[2:3], off, off offset:32
	s_wait_loadcnt 0x1
	scratch_store_b64 off, v[0:1], off offset:32
	s_wait_loadcnt 0x0
	scratch_store_b64 v110, v[2:3], off offset:-8
.LBB52_424:
	s_wait_xcnt 0x0
	v_mov_b32_e32 v0, 0
	global_load_b32 v1, v0, s[16:17] offset:12
	s_wait_loadcnt 0x0
	v_cmp_eq_u32_e32 vcc_lo, 4, v1
	s_cbranch_vccnz .LBB52_426
; %bb.425:
	v_lshlrev_b32_e32 v1, 3, v1
	scratch_load_b64 v[2:3], v1, off offset:-8
	scratch_load_b64 v[110:111], off, off offset:24
	s_wait_loadcnt 0x1
	scratch_store_b64 off, v[2:3], off offset:24
	s_wait_loadcnt 0x0
	scratch_store_b64 v1, v[110:111], off offset:-8
.LBB52_426:
	global_load_b32 v0, v0, s[16:17] offset:8
	s_wait_loadcnt 0x0
	v_cmp_eq_u32_e32 vcc_lo, 3, v0
	s_cbranch_vccnz .LBB52_428
; %bb.427:
	s_wait_xcnt 0x0
	v_lshlrev_b32_e32 v0, 3, v0
	s_delay_alu instid0(VALU_DEP_1)
	v_mov_b32_e32 v110, v0
	scratch_load_b64 v[0:1], v110, off offset:-8
	scratch_load_b64 v[2:3], off, off offset:16
	s_wait_loadcnt 0x1
	scratch_store_b64 off, v[0:1], off offset:16
	s_wait_loadcnt 0x0
	scratch_store_b64 v110, v[2:3], off offset:-8
.LBB52_428:
	s_wait_xcnt 0x0
	v_mov_b32_e32 v0, 0
	global_load_b32 v1, v0, s[16:17] offset:4
	s_wait_loadcnt 0x0
	v_cmp_eq_u32_e32 vcc_lo, 2, v1
	s_cbranch_vccnz .LBB52_430
; %bb.429:
	v_lshlrev_b32_e32 v1, 3, v1
	scratch_load_b64 v[2:3], v1, off offset:-8
	scratch_load_b64 v[110:111], off, off offset:8
	s_wait_loadcnt 0x1
	scratch_store_b64 off, v[2:3], off offset:8
	s_wait_loadcnt 0x0
	scratch_store_b64 v1, v[110:111], off offset:-8
.LBB52_430:
	global_load_b32 v0, v0, s[16:17]
	scratch_load_b64 v[138:139], off, off
	s_wait_loadcnt 0x1
	v_cmp_eq_u32_e32 vcc_lo, 1, v0
	s_cbranch_vccnz .LBB52_432
; %bb.431:
	s_wait_xcnt 0x1
	v_lshlrev_b32_e32 v0, 3, v0
	s_delay_alu instid0(VALU_DEP_1)
	v_mov_b32_e32 v2, v0
	scratch_load_b64 v[0:1], v2, off offset:-8
	s_wait_loadcnt 0x0
	scratch_store_b64 off, v[0:1], off
	scratch_store_b64 v2, v[138:139], off offset:-8
	scratch_load_b64 v[138:139], off, off
.LBB52_432:
	v_lshl_add_u64 v[144:145], v[8:9], 3, s[2:3]
	v_lshl_add_u64 v[140:141], v[10:11], 3, s[2:3]
	;; [unrolled: 1-line block ×46, first 2 shown]
	s_clause 0x7
	scratch_load_b128 v[72:75], off, off offset:8
	scratch_load_b128 v[76:79], off, off offset:24
	scratch_load_b128 v[80:83], off, off offset:40
	scratch_load_b128 v[84:87], off, off offset:56
	scratch_load_b128 v[88:91], off, off offset:72
	scratch_load_b128 v[92:95], off, off offset:88
	scratch_load_b128 v[96:99], off, off offset:104
	scratch_load_b128 v[100:103], off, off offset:120
	v_lshl_add_u64 v[116:117], v[36:37], 3, s[2:3]
	v_lshl_add_u64 v[36:37], v[70:71], 3, s[2:3]
	v_lshl_add_u64 v[70:71], v[104:105], 3, s[2:3]
	s_wait_xcnt 0x9
	v_lshl_add_u64 v[0:1], v[106:107], 3, s[2:3]
	scratch_load_b128 v[104:107], off, off offset:136
	s_wait_loadcnt 0x9
	global_store_b64 v[4:5], v[138:139], off
	v_lshl_add_u64 v[2:3], v[108:109], 3, s[2:3]
	s_wait_loadcnt 0x8
	s_clause 0x1
	global_store_b64 v[6:7], v[72:73], off
	global_store_b64 v[144:145], v[74:75], off
	s_clause 0x1
	scratch_load_b128 v[4:7], off, off offset:152
	scratch_load_b128 v[72:75], off, off offset:168
	s_wait_loadcnt 0x9
	s_clause 0x1
	global_store_b64 v[140:141], v[76:77], off
	global_store_b64 v[142:143], v[78:79], off
	s_clause 0x1
	scratch_load_b128 v[76:79], off, off offset:184
	scratch_load_b128 v[138:141], off, off offset:200
	;; [unrolled: 7-line block ×8, first 2 shown]
	s_wait_loadcnt 0x10
	s_clause 0x1
	global_store_b64 v[110:111], v[104:105], off
	global_store_b64 v[112:113], v[106:107], off
	scratch_load_b128 v[104:107], off, off offset:408
	s_wait_loadcnt 0x10
	s_clause 0x1
	global_store_b64 v[8:9], v[4:5], off
	global_store_b64 v[10:11], v[6:7], off
	s_wait_loadcnt 0xf
	s_clause 0x1
	global_store_b64 v[12:13], v[72:73], off
	global_store_b64 v[14:15], v[74:75], off
	;; [unrolled: 4-line block ×17, first 2 shown]
	s_sendmsg sendmsg(MSG_DEALLOC_VGPRS)
	s_endpgm
	.section	.rodata,"a",@progbits
	.p2align	6, 0x0
	.amdhsa_kernel _ZN9rocsolver6v33100L18getri_kernel_smallILi53EdPdEEvT1_iilPiilS4_bb
		.amdhsa_group_segment_fixed_size 856
		.amdhsa_private_segment_fixed_size 432
		.amdhsa_kernarg_size 60
		.amdhsa_user_sgpr_count 2
		.amdhsa_user_sgpr_dispatch_ptr 0
		.amdhsa_user_sgpr_queue_ptr 0
		.amdhsa_user_sgpr_kernarg_segment_ptr 1
		.amdhsa_user_sgpr_dispatch_id 0
		.amdhsa_user_sgpr_kernarg_preload_length 0
		.amdhsa_user_sgpr_kernarg_preload_offset 0
		.amdhsa_user_sgpr_private_segment_size 0
		.amdhsa_wavefront_size32 1
		.amdhsa_uses_dynamic_stack 0
		.amdhsa_enable_private_segment 1
		.amdhsa_system_sgpr_workgroup_id_x 1
		.amdhsa_system_sgpr_workgroup_id_y 0
		.amdhsa_system_sgpr_workgroup_id_z 0
		.amdhsa_system_sgpr_workgroup_info 0
		.amdhsa_system_vgpr_workitem_id 0
		.amdhsa_next_free_vgpr 154
		.amdhsa_next_free_sgpr 21
		.amdhsa_named_barrier_count 0
		.amdhsa_reserve_vcc 1
		.amdhsa_float_round_mode_32 0
		.amdhsa_float_round_mode_16_64 0
		.amdhsa_float_denorm_mode_32 3
		.amdhsa_float_denorm_mode_16_64 3
		.amdhsa_fp16_overflow 0
		.amdhsa_memory_ordered 1
		.amdhsa_forward_progress 1
		.amdhsa_inst_pref_size 255
		.amdhsa_round_robin_scheduling 0
		.amdhsa_exception_fp_ieee_invalid_op 0
		.amdhsa_exception_fp_denorm_src 0
		.amdhsa_exception_fp_ieee_div_zero 0
		.amdhsa_exception_fp_ieee_overflow 0
		.amdhsa_exception_fp_ieee_underflow 0
		.amdhsa_exception_fp_ieee_inexact 0
		.amdhsa_exception_int_div_zero 0
	.end_amdhsa_kernel
	.section	.text._ZN9rocsolver6v33100L18getri_kernel_smallILi53EdPdEEvT1_iilPiilS4_bb,"axG",@progbits,_ZN9rocsolver6v33100L18getri_kernel_smallILi53EdPdEEvT1_iilPiilS4_bb,comdat
.Lfunc_end52:
	.size	_ZN9rocsolver6v33100L18getri_kernel_smallILi53EdPdEEvT1_iilPiilS4_bb, .Lfunc_end52-_ZN9rocsolver6v33100L18getri_kernel_smallILi53EdPdEEvT1_iilPiilS4_bb
                                        ; -- End function
	.set _ZN9rocsolver6v33100L18getri_kernel_smallILi53EdPdEEvT1_iilPiilS4_bb.num_vgpr, 154
	.set _ZN9rocsolver6v33100L18getri_kernel_smallILi53EdPdEEvT1_iilPiilS4_bb.num_agpr, 0
	.set _ZN9rocsolver6v33100L18getri_kernel_smallILi53EdPdEEvT1_iilPiilS4_bb.numbered_sgpr, 21
	.set _ZN9rocsolver6v33100L18getri_kernel_smallILi53EdPdEEvT1_iilPiilS4_bb.num_named_barrier, 0
	.set _ZN9rocsolver6v33100L18getri_kernel_smallILi53EdPdEEvT1_iilPiilS4_bb.private_seg_size, 432
	.set _ZN9rocsolver6v33100L18getri_kernel_smallILi53EdPdEEvT1_iilPiilS4_bb.uses_vcc, 1
	.set _ZN9rocsolver6v33100L18getri_kernel_smallILi53EdPdEEvT1_iilPiilS4_bb.uses_flat_scratch, 1
	.set _ZN9rocsolver6v33100L18getri_kernel_smallILi53EdPdEEvT1_iilPiilS4_bb.has_dyn_sized_stack, 0
	.set _ZN9rocsolver6v33100L18getri_kernel_smallILi53EdPdEEvT1_iilPiilS4_bb.has_recursion, 0
	.set _ZN9rocsolver6v33100L18getri_kernel_smallILi53EdPdEEvT1_iilPiilS4_bb.has_indirect_call, 0
	.section	.AMDGPU.csdata,"",@progbits
; Kernel info:
; codeLenInByte = 51976
; TotalNumSgprs: 23
; NumVgprs: 154
; ScratchSize: 432
; MemoryBound: 0
; FloatMode: 240
; IeeeMode: 1
; LDSByteSize: 856 bytes/workgroup (compile time only)
; SGPRBlocks: 0
; VGPRBlocks: 9
; NumSGPRsForWavesPerEU: 23
; NumVGPRsForWavesPerEU: 154
; NamedBarCnt: 0
; Occupancy: 6
; WaveLimiterHint : 1
; COMPUTE_PGM_RSRC2:SCRATCH_EN: 1
; COMPUTE_PGM_RSRC2:USER_SGPR: 2
; COMPUTE_PGM_RSRC2:TRAP_HANDLER: 0
; COMPUTE_PGM_RSRC2:TGID_X_EN: 1
; COMPUTE_PGM_RSRC2:TGID_Y_EN: 0
; COMPUTE_PGM_RSRC2:TGID_Z_EN: 0
; COMPUTE_PGM_RSRC2:TIDIG_COMP_CNT: 0
	.section	.text._ZN9rocsolver6v33100L18getri_kernel_smallILi54EdPdEEvT1_iilPiilS4_bb,"axG",@progbits,_ZN9rocsolver6v33100L18getri_kernel_smallILi54EdPdEEvT1_iilPiilS4_bb,comdat
	.globl	_ZN9rocsolver6v33100L18getri_kernel_smallILi54EdPdEEvT1_iilPiilS4_bb ; -- Begin function _ZN9rocsolver6v33100L18getri_kernel_smallILi54EdPdEEvT1_iilPiilS4_bb
	.p2align	8
	.type	_ZN9rocsolver6v33100L18getri_kernel_smallILi54EdPdEEvT1_iilPiilS4_bb,@function
_ZN9rocsolver6v33100L18getri_kernel_smallILi54EdPdEEvT1_iilPiilS4_bb: ; @_ZN9rocsolver6v33100L18getri_kernel_smallILi54EdPdEEvT1_iilPiilS4_bb
; %bb.0:
	s_mov_b32 s2, exec_lo
	v_cmpx_gt_u32_e32 54, v0
	s_cbranch_execz .LBB53_226
; %bb.1:
	s_clause 0x2
	s_load_b32 s2, s[0:1], 0x38
	s_load_b128 s[12:15], s[0:1], 0x10
	s_load_b128 s[4:7], s[0:1], 0x28
	s_getreg_b32 s9, hwreg(HW_REG_IB_STS2, 6, 4)
                                        ; implicit-def: $sgpr16_sgpr17
	s_wait_kmcnt 0x0
	s_bitcmp1_b32 s2, 8
	s_cselect_b32 s20, -1, 0
	s_bfe_u32 s3, ttmp6, 0x4000c
	s_and_b32 s8, ttmp6, 15
	s_add_co_i32 s3, s3, 1
	s_delay_alu instid0(SALU_CYCLE_1) | instskip(NEXT) | instid1(SALU_CYCLE_1)
	s_mul_i32 s3, ttmp9, s3
	s_add_co_i32 s8, s8, s3
	s_cmp_eq_u32 s9, 0
	s_cselect_b32 s18, ttmp9, s8
	s_bfe_u32 s2, s2, 0x10008
	s_ashr_i32 s19, s18, 31
	s_cmp_eq_u32 s2, 0
	s_cbranch_scc1 .LBB53_3
; %bb.2:
	s_load_b32 s2, s[0:1], 0x20
	s_mul_u64 s[4:5], s[4:5], s[18:19]
	s_delay_alu instid0(SALU_CYCLE_1) | instskip(NEXT) | instid1(SALU_CYCLE_1)
	s_lshl_b64 s[4:5], s[4:5], 2
	s_add_nc_u64 s[4:5], s[14:15], s[4:5]
	s_wait_kmcnt 0x0
	s_ashr_i32 s3, s2, 31
	s_delay_alu instid0(SALU_CYCLE_1) | instskip(NEXT) | instid1(SALU_CYCLE_1)
	s_lshl_b64 s[2:3], s[2:3], 2
	s_add_nc_u64 s[16:17], s[4:5], s[2:3]
.LBB53_3:
	s_clause 0x1
	s_load_b128 s[8:11], s[0:1], 0x0
	s_load_b32 s4, s[0:1], 0x38
	s_wait_xcnt 0x0
	s_mul_u64 s[0:1], s[12:13], s[18:19]
	v_mov_b32_e32 v3, 0
	s_lshl_b64 s[0:1], s[0:1], 3
	s_wait_kmcnt 0x0
	v_add3_u32 v8, s11, s11, v0
	s_ashr_i32 s3, s10, 31
	s_mov_b32 s2, s10
	s_add_nc_u64 s[0:1], s[8:9], s[0:1]
	s_lshl_b64 s[2:3], s[2:3], 3
	v_add_nc_u32_e32 v10, s11, v8
	v_lshlrev_b32_e32 v2, 3, v0
	s_add_nc_u64 s[2:3], s[0:1], s[2:3]
	s_ashr_i32 s1, s11, 31
	s_mov_b32 s0, s11
	v_add_nc_u32_e32 v12, s11, v10
	v_add_nc_u64_e32 v[4:5], s[2:3], v[2:3]
	s_bitcmp0_b32 s4, 0
	s_delay_alu instid0(VALU_DEP_2) | instskip(NEXT) | instid1(VALU_DEP_2)
	v_add_nc_u32_e32 v14, s11, v12
	v_lshl_add_u64 v[6:7], s[0:1], 3, v[4:5]
	s_mov_b32 s1, -1
	s_delay_alu instid0(VALU_DEP_2) | instskip(SKIP_4) | instid1(VALU_DEP_1)
	v_add_nc_u32_e32 v16, s11, v14
	s_clause 0x1
	global_load_b64 v[80:81], v0, s[2:3] scale_offset
	global_load_b64 v[82:83], v[6:7], off
	v_add_nc_u32_e32 v18, s11, v16
	v_add_nc_u32_e32 v20, s11, v18
	s_clause 0x3
	global_load_b64 v[84:85], v8, s[2:3] scale_offset
	global_load_b64 v[86:87], v10, s[2:3] scale_offset
	;; [unrolled: 1-line block ×4, first 2 shown]
	v_add_nc_u32_e32 v22, s11, v20
	s_delay_alu instid0(VALU_DEP_1) | instskip(SKIP_4) | instid1(VALU_DEP_1)
	v_add_nc_u32_e32 v24, s11, v22
	s_clause 0x1
	global_load_b64 v[92:93], v16, s[2:3] scale_offset
	global_load_b64 v[94:95], v18, s[2:3] scale_offset
	v_add_nc_u32_e32 v26, s11, v24
	v_add_nc_u32_e32 v28, s11, v26
	s_delay_alu instid0(VALU_DEP_1) | instskip(NEXT) | instid1(VALU_DEP_1)
	v_add_nc_u32_e32 v30, s11, v28
	v_add_nc_u32_e32 v32, s11, v30
	s_clause 0x3
	global_load_b64 v[96:97], v20, s[2:3] scale_offset
	global_load_b64 v[98:99], v22, s[2:3] scale_offset
	;; [unrolled: 1-line block ×4, first 2 shown]
	v_add_nc_u32_e32 v34, s11, v32
	s_delay_alu instid0(VALU_DEP_1)
	v_add_nc_u32_e32 v36, s11, v34
	s_clause 0x3
	global_load_b64 v[104:105], v28, s[2:3] scale_offset
	global_load_b64 v[106:107], v30, s[2:3] scale_offset
	;; [unrolled: 1-line block ×4, first 2 shown]
	v_add_nc_u32_e32 v38, s11, v36
	s_delay_alu instid0(VALU_DEP_1) | instskip(NEXT) | instid1(VALU_DEP_1)
	v_add_nc_u32_e32 v40, s11, v38
	v_add_nc_u32_e32 v42, s11, v40
	s_delay_alu instid0(VALU_DEP_1) | instskip(SKIP_4) | instid1(VALU_DEP_1)
	v_add_nc_u32_e32 v44, s11, v42
	s_clause 0x1
	global_load_b64 v[112:113], v36, s[2:3] scale_offset
	global_load_b64 v[114:115], v38, s[2:3] scale_offset
	v_add_nc_u32_e32 v46, s11, v44
	v_add_nc_u32_e32 v48, s11, v46
	s_clause 0x3
	global_load_b64 v[116:117], v40, s[2:3] scale_offset
	global_load_b64 v[118:119], v42, s[2:3] scale_offset
	;; [unrolled: 1-line block ×4, first 2 shown]
	v_add_nc_u32_e32 v50, s11, v48
	s_delay_alu instid0(VALU_DEP_1) | instskip(NEXT) | instid1(VALU_DEP_1)
	v_add_nc_u32_e32 v52, s11, v50
	v_add_nc_u32_e32 v54, s11, v52
	s_delay_alu instid0(VALU_DEP_1) | instskip(NEXT) | instid1(VALU_DEP_1)
	v_add_nc_u32_e32 v56, s11, v54
	v_add_nc_u32_e32 v58, s11, v56
	s_delay_alu instid0(VALU_DEP_1)
	v_add_nc_u32_e32 v60, s11, v58
	s_clause 0x3
	global_load_b64 v[124:125], v48, s[2:3] scale_offset
	global_load_b64 v[126:127], v50, s[2:3] scale_offset
	;; [unrolled: 1-line block ×4, first 2 shown]
	v_add_nc_u32_e32 v62, s11, v60
	s_delay_alu instid0(VALU_DEP_1) | instskip(NEXT) | instid1(VALU_DEP_1)
	v_add_nc_u32_e32 v64, s11, v62
	v_add_nc_u32_e32 v66, s11, v64
	s_delay_alu instid0(VALU_DEP_1)
	v_add_nc_u32_e32 v68, s11, v66
	s_clause 0x3
	global_load_b64 v[132:133], v56, s[2:3] scale_offset
	global_load_b64 v[134:135], v58, s[2:3] scale_offset
	;; [unrolled: 1-line block ×4, first 2 shown]
	s_wait_loadcnt 0x1c
	scratch_store_b128 off, v[80:83], off
	s_wait_loadcnt 0x1a
	scratch_store_b128 off, v[84:87], off offset:16
	v_add_nc_u32_e32 v70, s11, v68
	s_delay_alu instid0(VALU_DEP_1)
	v_add_nc_u32_e32 v72, s11, v70
	s_clause 0x3
	global_load_b64 v[140:141], v64, s[2:3] scale_offset
	global_load_b64 v[142:143], v66, s[2:3] scale_offset
	;; [unrolled: 1-line block ×4, first 2 shown]
	s_wait_loadcnt 0x1c
	scratch_store_b128 off, v[88:91], off offset:32
	v_add_nc_u32_e32 v74, s11, v72
	s_wait_loadcnt 0x1a
	scratch_store_b128 off, v[92:95], off offset:48
	v_add_nc_u32_e32 v76, s11, v74
	s_delay_alu instid0(VALU_DEP_1) | instskip(SKIP_1) | instid1(VALU_DEP_1)
	v_add_nc_u32_e32 v78, s11, v76
	s_wait_xcnt 0x7
	v_add_nc_u32_e32 v80, s11, v78
	s_clause 0x1
	global_load_b64 v[148:149], v72, s[2:3] scale_offset
	global_load_b64 v[150:151], v74, s[2:3] scale_offset
	s_wait_loadcnt 0x1a
	scratch_store_b128 off, v[96:99], off offset:64
	v_add_nc_u32_e32 v82, s11, v80
	s_wait_xcnt 0x9
	s_delay_alu instid0(VALU_DEP_1)
	v_add_nc_u32_e32 v84, s11, v82
	s_clause 0x1
	global_load_b64 v[152:153], v76, s[2:3] scale_offset
	global_load_b64 v[154:155], v78, s[2:3] scale_offset
	s_wait_loadcnt 0x1a
	scratch_store_b128 off, v[100:103], off offset:80
	s_clause 0x1
	global_load_b64 v[156:157], v80, s[2:3] scale_offset
	global_load_b64 v[158:159], v82, s[2:3] scale_offset
	v_add_nc_u32_e32 v86, s11, v84
	s_wait_loadcnt 0x1a
	scratch_store_b128 off, v[104:107], off offset:96
	s_wait_loadcnt 0x18
	scratch_store_b128 off, v[108:111], off offset:112
	s_wait_xcnt 0xb
	v_add_nc_u32_e32 v88, s11, v86
	s_delay_alu instid0(VALU_DEP_1) | instskip(SKIP_1) | instid1(VALU_DEP_1)
	v_add_nc_u32_e32 v90, s11, v88
	s_wait_xcnt 0xa
	v_add_nc_u32_e32 v92, s11, v90
	s_delay_alu instid0(VALU_DEP_1) | instskip(SKIP_4) | instid1(VALU_DEP_1)
	v_add_nc_u32_e32 v94, s11, v92
	s_wait_loadcnt 0x16
	scratch_store_b128 off, v[112:115], off offset:128
	s_wait_xcnt 0x8
	v_add_nc_u32_e32 v96, s11, v94
	v_add_nc_u32_e32 v98, s11, v96
	s_wait_loadcnt 0x14
	scratch_store_b128 off, v[116:119], off offset:144
	s_wait_loadcnt 0x12
	scratch_store_b128 off, v[120:123], off offset:160
	s_wait_xcnt 0x7
	v_add_nc_u32_e32 v100, s11, v98
	s_delay_alu instid0(VALU_DEP_1) | instskip(SKIP_1) | instid1(VALU_DEP_1)
	v_add_nc_u32_e32 v102, s11, v100
	s_wait_xcnt 0x4
	v_add_nc_u32_e32 v104, s11, v102
	s_delay_alu instid0(VALU_DEP_1) | instskip(SKIP_1) | instid1(VALU_DEP_1)
	v_add_nc_u32_e32 v106, s11, v104
	s_wait_xcnt 0x3
	v_add_nc_u32_e32 v108, s11, v106
	s_wait_loadcnt 0x10
	scratch_store_b128 off, v[124:127], off offset:176
	v_add_nc_u32_e32 v110, s11, v108
	s_wait_loadcnt 0xe
	scratch_store_b128 off, v[128:131], off offset:192
	s_clause 0x1
	global_load_b64 v[112:113], v84, s[2:3] scale_offset
	global_load_b64 v[114:115], v86, s[2:3] scale_offset
	s_wait_loadcnt 0xe
	scratch_store_b128 off, v[132:135], off offset:208
	s_wait_loadcnt 0xc
	scratch_store_b128 off, v[136:139], off offset:224
	s_clause 0x3
	global_load_b64 v[116:117], v88, s[2:3] scale_offset
	global_load_b64 v[118:119], v90, s[2:3] scale_offset
	;; [unrolled: 1-line block ×4, first 2 shown]
	s_wait_loadcnt 0xe
	scratch_store_b128 off, v[140:143], off offset:240
	s_wait_loadcnt 0xc
	scratch_store_b128 off, v[144:147], off offset:256
	;; [unrolled: 2-line block ×3, first 2 shown]
	s_clause 0x3
	global_load_b64 v[124:125], v96, s[2:3] scale_offset
	global_load_b64 v[126:127], v98, s[2:3] scale_offset
	global_load_b64 v[128:129], v100, s[2:3] scale_offset
	global_load_b64 v[130:131], v102, s[2:3] scale_offset
	s_wait_loadcnt 0xc
	scratch_store_b128 off, v[152:155], off offset:288
	s_clause 0x1
	global_load_b64 v[132:133], v104, s[2:3] scale_offset
	global_load_b64 v[134:135], v106, s[2:3] scale_offset
	s_wait_loadcnt 0xc
	scratch_store_b128 off, v[156:159], off offset:304
	s_clause 0x1
	global_load_b64 v[136:137], v108, s[2:3] scale_offset
	global_load_b64 v[138:139], v110, s[2:3] scale_offset
	s_wait_loadcnt 0xc
	scratch_store_b128 off, v[112:115], off offset:320
	s_wait_loadcnt 0xa
	scratch_store_b128 off, v[116:119], off offset:336
	;; [unrolled: 2-line block ×7, first 2 shown]
	s_cbranch_scc1 .LBB53_224
; %bb.4:
	v_cmp_eq_u32_e64 s0, 0, v0
	s_wait_xcnt 0x0
	s_and_saveexec_b32 s1, s0
; %bb.5:
	v_mov_b32_e32 v1, 0
	ds_store_b32 v1, v1 offset:864
; %bb.6:
	s_or_b32 exec_lo, exec_lo, s1
	s_wait_storecnt_dscnt 0x0
	s_barrier_signal -1
	s_barrier_wait -1
	scratch_load_b64 v[112:113], v0, off scale_offset
	s_mov_b32 s4, exec_lo
	s_wait_loadcnt 0x0
	v_cmpx_eq_f64_e32 0, v[112:113]
	s_cbranch_execz .LBB53_10
; %bb.7:
	v_mov_b32_e32 v1, 0
	s_mov_b32 s5, 0
	ds_load_b32 v3, v1 offset:864
	s_wait_dscnt 0x0
	v_readfirstlane_b32 s1, v3
	v_add_nc_u32_e32 v3, 1, v0
	s_cmp_eq_u32 s1, 0
	s_delay_alu instid0(VALU_DEP_1) | instskip(SKIP_1) | instid1(SALU_CYCLE_1)
	v_cmp_gt_i32_e32 vcc_lo, s1, v3
	s_cselect_b32 s8, -1, 0
	s_or_b32 s8, s8, vcc_lo
	s_delay_alu instid0(SALU_CYCLE_1)
	s_and_b32 exec_lo, exec_lo, s8
	s_cbranch_execz .LBB53_10
; %bb.8:
	v_mov_b32_e32 v9, s1
.LBB53_9:                               ; =>This Inner Loop Header: Depth=1
	ds_cmpstore_rtn_b32 v9, v1, v3, v9 offset:864
	s_wait_dscnt 0x0
	v_cmp_ne_u32_e32 vcc_lo, 0, v9
	v_cmp_le_i32_e64 s1, v9, v3
	s_and_b32 s1, vcc_lo, s1
	s_delay_alu instid0(SALU_CYCLE_1) | instskip(NEXT) | instid1(SALU_CYCLE_1)
	s_and_b32 s1, exec_lo, s1
	s_or_b32 s5, s1, s5
	s_delay_alu instid0(SALU_CYCLE_1)
	s_and_not1_b32 exec_lo, exec_lo, s5
	s_cbranch_execnz .LBB53_9
.LBB53_10:
	s_or_b32 exec_lo, exec_lo, s4
	v_mov_b32_e32 v1, 0
	s_barrier_signal -1
	s_barrier_wait -1
	ds_load_b32 v3, v1 offset:864
	s_and_saveexec_b32 s1, s0
	s_cbranch_execz .LBB53_12
; %bb.11:
	s_lshl_b64 s[4:5], s[18:19], 2
	s_delay_alu instid0(SALU_CYCLE_1)
	s_add_nc_u64 s[4:5], s[6:7], s[4:5]
	s_wait_dscnt 0x0
	global_store_b32 v1, v3, s[4:5]
.LBB53_12:
	s_wait_xcnt 0x0
	s_or_b32 exec_lo, exec_lo, s1
	s_wait_dscnt 0x0
	v_cmp_ne_u32_e32 vcc_lo, 0, v3
	s_mov_b32 s1, 0
	s_cbranch_vccnz .LBB53_224
; %bb.13:
	v_lshl_add_u32 v3, v0, 3, 0
	v_add_nc_u32_e32 v1, 0x1b0, v2
	scratch_load_b64 v[112:113], v3, off
	s_wait_loadcnt 0x0
	v_div_scale_f64 v[114:115], null, v[112:113], v[112:113], 1.0
	v_div_scale_f64 v[120:121], vcc_lo, 1.0, v[112:113], 1.0
	s_delay_alu instid0(VALU_DEP_2) | instskip(SKIP_1) | instid1(TRANS32_DEP_1)
	v_rcp_f64_e32 v[116:117], v[114:115]
	v_nop
	v_fma_f64 v[118:119], -v[114:115], v[116:117], 1.0
	s_delay_alu instid0(VALU_DEP_1) | instskip(NEXT) | instid1(VALU_DEP_1)
	v_fmac_f64_e32 v[116:117], v[116:117], v[118:119]
	v_fma_f64 v[118:119], -v[114:115], v[116:117], 1.0
	s_delay_alu instid0(VALU_DEP_1) | instskip(NEXT) | instid1(VALU_DEP_1)
	v_fmac_f64_e32 v[116:117], v[116:117], v[118:119]
	v_mul_f64_e32 v[118:119], v[120:121], v[116:117]
	s_delay_alu instid0(VALU_DEP_1) | instskip(NEXT) | instid1(VALU_DEP_1)
	v_fma_f64 v[114:115], -v[114:115], v[118:119], v[120:121]
	v_div_fmas_f64 v[114:115], v[114:115], v[116:117], v[118:119]
	s_delay_alu instid0(VALU_DEP_1)
	v_div_fixup_f64 v[112:113], v[114:115], v[112:113], 1.0
	scratch_store_b64 v3, v[112:113], off
	scratch_load_b64 v[114:115], off, off offset:8
	s_wait_xcnt 0x1
	v_xor_b32_e32 v113, 0x80000000, v113
	s_wait_loadcnt 0x0
	ds_store_2addr_b64 v2, v[112:113], v[114:115] offset1:54
	s_wait_storecnt_dscnt 0x0
	s_barrier_signal -1
	s_barrier_wait -1
	s_wait_xcnt 0x0
	s_and_saveexec_b32 s1, s0
	s_cbranch_execz .LBB53_15
; %bb.14:
	scratch_load_b64 v[112:113], v3, off
	ds_load_b64 v[114:115], v1
	s_wait_loadcnt_dscnt 0x0
	v_fma_f64 v[112:113], v[112:113], v[114:115], 0
	v_mov_b32_e32 v9, 0
	ds_load_b64 v[116:117], v9 offset:8
	s_wait_dscnt 0x0
	v_mul_f64_e32 v[112:113], v[112:113], v[116:117]
	scratch_store_b64 off, v[112:113], off offset:8
.LBB53_15:
	s_wait_xcnt 0x0
	s_or_b32 exec_lo, exec_lo, s1
	s_wait_storecnt 0x0
	s_barrier_signal -1
	s_barrier_wait -1
	scratch_load_b64 v[112:113], off, off offset:16
	s_mov_b32 s1, exec_lo
	s_wait_loadcnt 0x0
	ds_store_b64 v1, v[112:113]
	s_wait_dscnt 0x0
	s_barrier_signal -1
	s_barrier_wait -1
	v_cmpx_gt_u32_e32 2, v0
	s_cbranch_execz .LBB53_19
; %bb.16:
	scratch_load_b64 v[112:113], v3, off
	ds_load_b64 v[114:115], v1
	s_wait_loadcnt_dscnt 0x0
	v_fma_f64 v[112:113], v[112:113], v[114:115], 0
	s_and_saveexec_b32 s4, s0
	s_cbranch_execz .LBB53_18
; %bb.17:
	scratch_load_b64 v[114:115], off, off offset:8
	v_mov_b32_e32 v3, 0
	ds_load_b64 v[116:117], v3 offset:440
	s_wait_loadcnt_dscnt 0x0
	v_fmac_f64_e32 v[112:113], v[114:115], v[116:117]
.LBB53_18:
	s_or_b32 exec_lo, exec_lo, s4
	v_mov_b32_e32 v3, 0
	ds_load_b64 v[114:115], v3 offset:16
	s_wait_dscnt 0x0
	v_mul_f64_e32 v[112:113], v[112:113], v[114:115]
	scratch_store_b64 off, v[112:113], off offset:16
.LBB53_19:
	s_wait_xcnt 0x0
	s_or_b32 exec_lo, exec_lo, s1
	s_wait_storecnt 0x0
	s_barrier_signal -1
	s_barrier_wait -1
	scratch_load_b64 v[112:113], off, off offset:24
	v_add_nc_u32_e32 v3, -1, v0
	s_mov_b32 s0, exec_lo
	s_wait_loadcnt 0x0
	ds_store_b64 v1, v[112:113]
	s_wait_dscnt 0x0
	s_barrier_signal -1
	s_barrier_wait -1
	v_cmpx_gt_u32_e32 3, v0
	s_cbranch_execz .LBB53_23
; %bb.20:
	v_mov_b64_e32 v[112:113], 0
	v_dual_add_nc_u32 v9, -1, v0 :: v_dual_mov_b32 v13, v2
	v_add_nc_u32_e32 v11, 0x1b0, v2
	s_mov_b32 s1, 0
.LBB53_21:                              ; =>This Inner Loop Header: Depth=1
	scratch_load_b64 v[114:115], v13, off
	ds_load_b64 v[116:117], v11
	v_dual_add_nc_u32 v9, 1, v9 :: v_dual_add_nc_u32 v11, 8, v11
	s_wait_xcnt 0x0
	v_add_nc_u32_e32 v13, 8, v13
	s_delay_alu instid0(VALU_DEP_2)
	v_cmp_lt_u32_e32 vcc_lo, 1, v9
	s_or_b32 s1, vcc_lo, s1
	s_wait_loadcnt_dscnt 0x0
	v_fmac_f64_e32 v[112:113], v[114:115], v[116:117]
	s_and_not1_b32 exec_lo, exec_lo, s1
	s_cbranch_execnz .LBB53_21
; %bb.22:
	s_or_b32 exec_lo, exec_lo, s1
	v_mov_b32_e32 v9, 0
	ds_load_b64 v[114:115], v9 offset:24
	s_wait_dscnt 0x0
	v_mul_f64_e32 v[112:113], v[112:113], v[114:115]
	scratch_store_b64 off, v[112:113], off offset:24
.LBB53_23:
	s_wait_xcnt 0x0
	s_or_b32 exec_lo, exec_lo, s0
	s_wait_storecnt 0x0
	s_barrier_signal -1
	s_barrier_wait -1
	scratch_load_b64 v[112:113], off, off offset:32
	s_mov_b32 s0, exec_lo
	s_wait_loadcnt 0x0
	ds_store_b64 v1, v[112:113]
	s_wait_dscnt 0x0
	s_barrier_signal -1
	s_barrier_wait -1
	v_cmpx_gt_u32_e32 4, v0
	s_cbranch_execz .LBB53_27
; %bb.24:
	v_mov_b64_e32 v[112:113], 0
	v_dual_add_nc_u32 v9, -1, v0 :: v_dual_mov_b32 v13, v2
	v_add_nc_u32_e32 v11, 0x1b0, v2
	s_mov_b32 s1, 0
.LBB53_25:                              ; =>This Inner Loop Header: Depth=1
	scratch_load_b64 v[114:115], v13, off
	ds_load_b64 v[116:117], v11
	v_dual_add_nc_u32 v9, 1, v9 :: v_dual_add_nc_u32 v11, 8, v11
	s_wait_xcnt 0x0
	v_add_nc_u32_e32 v13, 8, v13
	s_delay_alu instid0(VALU_DEP_2)
	v_cmp_lt_u32_e32 vcc_lo, 2, v9
	s_or_b32 s1, vcc_lo, s1
	s_wait_loadcnt_dscnt 0x0
	v_fmac_f64_e32 v[112:113], v[114:115], v[116:117]
	s_and_not1_b32 exec_lo, exec_lo, s1
	s_cbranch_execnz .LBB53_25
; %bb.26:
	s_or_b32 exec_lo, exec_lo, s1
	v_mov_b32_e32 v9, 0
	ds_load_b64 v[114:115], v9 offset:32
	s_wait_dscnt 0x0
	v_mul_f64_e32 v[112:113], v[112:113], v[114:115]
	scratch_store_b64 off, v[112:113], off offset:32
.LBB53_27:
	s_wait_xcnt 0x0
	s_or_b32 exec_lo, exec_lo, s0
	s_wait_storecnt 0x0
	s_barrier_signal -1
	s_barrier_wait -1
	scratch_load_b64 v[112:113], off, off offset:40
	;; [unrolled: 40-line block ×20, first 2 shown]
	s_mov_b32 s0, exec_lo
	s_wait_loadcnt 0x0
	ds_store_b64 v1, v[112:113]
	s_wait_dscnt 0x0
	s_barrier_signal -1
	s_barrier_wait -1
	v_cmpx_gt_u32_e32 23, v0
	s_cbranch_execz .LBB53_103
; %bb.100:
	v_mov_b64_e32 v[112:113], 0
	v_dual_add_nc_u32 v9, -1, v0 :: v_dual_mov_b32 v13, v2
	v_add_nc_u32_e32 v11, 0x1b0, v2
	s_mov_b32 s1, 0
.LBB53_101:                             ; =>This Inner Loop Header: Depth=1
	scratch_load_b64 v[114:115], v13, off
	ds_load_b64 v[116:117], v11
	v_dual_add_nc_u32 v9, 1, v9 :: v_dual_add_nc_u32 v11, 8, v11
	s_wait_xcnt 0x0
	v_add_nc_u32_e32 v13, 8, v13
	s_delay_alu instid0(VALU_DEP_2)
	v_cmp_lt_u32_e32 vcc_lo, 21, v9
	s_or_b32 s1, vcc_lo, s1
	s_wait_loadcnt_dscnt 0x0
	v_fmac_f64_e32 v[112:113], v[114:115], v[116:117]
	s_and_not1_b32 exec_lo, exec_lo, s1
	s_cbranch_execnz .LBB53_101
; %bb.102:
	s_or_b32 exec_lo, exec_lo, s1
	v_mov_b32_e32 v9, 0
	ds_load_b64 v[114:115], v9 offset:184
	s_wait_dscnt 0x0
	v_mul_f64_e32 v[112:113], v[112:113], v[114:115]
	scratch_store_b64 off, v[112:113], off offset:184
.LBB53_103:
	s_wait_xcnt 0x0
	s_or_b32 exec_lo, exec_lo, s0
	s_wait_storecnt 0x0
	s_barrier_signal -1
	s_barrier_wait -1
	scratch_load_b64 v[112:113], off, off offset:192
	s_mov_b32 s0, exec_lo
	s_wait_loadcnt 0x0
	ds_store_b64 v1, v[112:113]
	s_wait_dscnt 0x0
	s_barrier_signal -1
	s_barrier_wait -1
	v_cmpx_gt_u32_e32 24, v0
	s_cbranch_execz .LBB53_107
; %bb.104:
	v_mov_b64_e32 v[112:113], 0
	v_dual_add_nc_u32 v9, -1, v0 :: v_dual_mov_b32 v13, v2
	v_add_nc_u32_e32 v11, 0x1b0, v2
	s_mov_b32 s1, 0
.LBB53_105:                             ; =>This Inner Loop Header: Depth=1
	scratch_load_b64 v[114:115], v13, off
	ds_load_b64 v[116:117], v11
	v_dual_add_nc_u32 v9, 1, v9 :: v_dual_add_nc_u32 v11, 8, v11
	s_wait_xcnt 0x0
	v_add_nc_u32_e32 v13, 8, v13
	s_delay_alu instid0(VALU_DEP_2)
	v_cmp_lt_u32_e32 vcc_lo, 22, v9
	s_or_b32 s1, vcc_lo, s1
	s_wait_loadcnt_dscnt 0x0
	v_fmac_f64_e32 v[112:113], v[114:115], v[116:117]
	s_and_not1_b32 exec_lo, exec_lo, s1
	s_cbranch_execnz .LBB53_105
; %bb.106:
	s_or_b32 exec_lo, exec_lo, s1
	v_mov_b32_e32 v9, 0
	ds_load_b64 v[114:115], v9 offset:192
	s_wait_dscnt 0x0
	v_mul_f64_e32 v[112:113], v[112:113], v[114:115]
	scratch_store_b64 off, v[112:113], off offset:192
.LBB53_107:
	s_wait_xcnt 0x0
	s_or_b32 exec_lo, exec_lo, s0
	s_wait_storecnt 0x0
	s_barrier_signal -1
	s_barrier_wait -1
	scratch_load_b64 v[112:113], off, off offset:200
	;; [unrolled: 40-line block ×30, first 2 shown]
	s_mov_b32 s0, exec_lo
	s_wait_loadcnt 0x0
	ds_store_b64 v1, v[112:113]
	s_wait_dscnt 0x0
	s_barrier_signal -1
	s_barrier_wait -1
	v_cmpx_ne_u32_e32 53, v0
	s_cbranch_execz .LBB53_223
; %bb.220:
	v_mov_b64_e32 v[112:113], 0
	s_mov_b32 s1, 0
.LBB53_221:                             ; =>This Inner Loop Header: Depth=1
	scratch_load_b64 v[114:115], v2, off
	ds_load_b64 v[116:117], v1
	v_dual_add_nc_u32 v3, 1, v3 :: v_dual_add_nc_u32 v1, 8, v1
	s_wait_xcnt 0x0
	v_add_nc_u32_e32 v2, 8, v2
	s_delay_alu instid0(VALU_DEP_2)
	v_cmp_lt_u32_e32 vcc_lo, 51, v3
	s_or_b32 s1, vcc_lo, s1
	s_wait_loadcnt_dscnt 0x0
	v_fmac_f64_e32 v[112:113], v[114:115], v[116:117]
	s_and_not1_b32 exec_lo, exec_lo, s1
	s_cbranch_execnz .LBB53_221
; %bb.222:
	s_or_b32 exec_lo, exec_lo, s1
	v_mov_b32_e32 v1, 0
	ds_load_b64 v[2:3], v1 offset:424
	s_wait_dscnt 0x0
	v_mul_f64_e32 v[2:3], v[112:113], v[2:3]
	scratch_store_b64 off, v[2:3], off offset:424
.LBB53_223:
	s_wait_xcnt 0x0
	s_or_b32 exec_lo, exec_lo, s0
	s_mov_b32 s1, -1
	s_wait_storecnt 0x0
	s_barrier_signal -1
	s_barrier_wait -1
.LBB53_224:
	s_and_b32 vcc_lo, exec_lo, s1
	s_cbranch_vccz .LBB53_226
; %bb.225:
	v_mov_b32_e32 v1, 0
	s_lshl_b64 s[0:1], s[18:19], 2
	s_delay_alu instid0(SALU_CYCLE_1)
	s_add_nc_u64 s[0:1], s[6:7], s[0:1]
	global_load_b32 v1, v1, s[0:1]
	s_wait_loadcnt 0x0
	v_cmp_ne_u32_e32 vcc_lo, 0, v1
	s_cbranch_vccz .LBB53_227
.LBB53_226:
	s_sendmsg sendmsg(MSG_DEALLOC_VGPRS)
	s_endpgm
.LBB53_227:
	s_wait_xcnt 0x0
	v_lshl_add_u32 v1, v0, 3, 0x1b0
	s_mov_b32 s0, exec_lo
	v_cmpx_eq_u32_e32 53, v0
	s_cbranch_execz .LBB53_229
; %bb.228:
	scratch_load_b64 v[2:3], off, off offset:416
	v_mov_b64_e32 v[112:113], 0
	scratch_store_b64 off, v[112:113], off offset:416
	s_wait_loadcnt 0x0
	ds_store_b64 v1, v[2:3]
.LBB53_229:
	s_wait_xcnt 0x0
	s_or_b32 exec_lo, exec_lo, s0
	s_wait_storecnt_dscnt 0x0
	s_barrier_signal -1
	s_barrier_wait -1
	scratch_load_b128 v[112:115], off, off offset:416
	v_mov_b32_e32 v2, 0
	s_mov_b32 s0, exec_lo
	ds_load_b64 v[116:117], v2 offset:856
	s_wait_loadcnt_dscnt 0x0
	v_fma_f64 v[114:115], v[114:115], v[116:117], 0
	s_delay_alu instid0(VALU_DEP_1)
	v_add_f64_e64 v[112:113], v[112:113], -v[114:115]
	scratch_store_b64 off, v[112:113], off offset:416
	s_wait_xcnt 0x0
	v_cmpx_lt_u32_e32 51, v0
	s_cbranch_execz .LBB53_231
; %bb.230:
	scratch_load_b64 v[112:113], off, off offset:408
	v_mov_b64_e32 v[114:115], 0
	scratch_store_b64 off, v[114:115], off offset:408
	s_wait_loadcnt 0x0
	ds_store_b64 v1, v[112:113]
.LBB53_231:
	s_wait_xcnt 0x0
	s_or_b32 exec_lo, exec_lo, s0
	s_wait_storecnt_dscnt 0x0
	s_barrier_signal -1
	s_barrier_wait -1
	s_clause 0x1
	scratch_load_b128 v[112:115], off, off offset:408
	scratch_load_b64 v[120:121], off, off offset:424
	ds_load_b128 v[116:119], v2 offset:848
	s_mov_b32 s0, exec_lo
	s_wait_loadcnt_dscnt 0x100
	v_fma_f64 v[2:3], v[114:115], v[116:117], 0
	s_wait_loadcnt 0x0
	s_delay_alu instid0(VALU_DEP_1) | instskip(NEXT) | instid1(VALU_DEP_1)
	v_fmac_f64_e32 v[2:3], v[120:121], v[118:119]
	v_add_f64_e64 v[2:3], v[112:113], -v[2:3]
	scratch_store_b64 off, v[2:3], off offset:408
	s_wait_xcnt 0x0
	v_cmpx_lt_u32_e32 50, v0
	s_cbranch_execz .LBB53_233
; %bb.232:
	scratch_load_b64 v[2:3], off, off offset:400
	v_mov_b64_e32 v[112:113], 0
	scratch_store_b64 off, v[112:113], off offset:400
	s_wait_loadcnt 0x0
	ds_store_b64 v1, v[2:3]
.LBB53_233:
	s_wait_xcnt 0x0
	s_or_b32 exec_lo, exec_lo, s0
	s_wait_storecnt_dscnt 0x0
	s_barrier_signal -1
	s_barrier_wait -1
	s_clause 0x1
	scratch_load_b128 v[112:115], off, off offset:400
	scratch_load_b128 v[116:119], off, off offset:416
	v_mov_b32_e32 v2, 0
	ds_load_2addr_b64 v[120:123], v2 offset0:105 offset1:106
	ds_load_b64 v[124:125], v2 offset:856
	s_mov_b32 s0, exec_lo
	s_wait_loadcnt_dscnt 0x101
	v_fma_f64 v[114:115], v[114:115], v[120:121], 0
	s_wait_loadcnt 0x0
	s_delay_alu instid0(VALU_DEP_1) | instskip(SKIP_1) | instid1(VALU_DEP_1)
	v_fmac_f64_e32 v[114:115], v[116:117], v[122:123]
	s_wait_dscnt 0x0
	v_fmac_f64_e32 v[114:115], v[118:119], v[124:125]
	s_delay_alu instid0(VALU_DEP_1)
	v_add_f64_e64 v[112:113], v[112:113], -v[114:115]
	scratch_store_b64 off, v[112:113], off offset:400
	s_wait_xcnt 0x0
	v_cmpx_lt_u32_e32 49, v0
	s_cbranch_execz .LBB53_235
; %bb.234:
	scratch_load_b64 v[112:113], off, off offset:392
	v_mov_b64_e32 v[114:115], 0
	scratch_store_b64 off, v[114:115], off offset:392
	s_wait_loadcnt 0x0
	ds_store_b64 v1, v[112:113]
.LBB53_235:
	s_wait_xcnt 0x0
	s_or_b32 exec_lo, exec_lo, s0
	s_wait_storecnt_dscnt 0x0
	s_barrier_signal -1
	s_barrier_wait -1
	s_clause 0x2
	scratch_load_b128 v[112:115], off, off offset:392
	scratch_load_b128 v[116:119], off, off offset:408
	scratch_load_b64 v[128:129], off, off offset:424
	ds_load_b128 v[120:123], v2 offset:832
	ds_load_b128 v[124:127], v2 offset:848
	s_mov_b32 s0, exec_lo
	s_wait_loadcnt_dscnt 0x201
	v_fma_f64 v[2:3], v[114:115], v[120:121], 0
	s_wait_loadcnt 0x1
	s_delay_alu instid0(VALU_DEP_1) | instskip(SKIP_1) | instid1(VALU_DEP_1)
	v_fmac_f64_e32 v[2:3], v[116:117], v[122:123]
	s_wait_dscnt 0x0
	v_fmac_f64_e32 v[2:3], v[118:119], v[124:125]
	s_wait_loadcnt 0x0
	s_delay_alu instid0(VALU_DEP_1) | instskip(NEXT) | instid1(VALU_DEP_1)
	v_fmac_f64_e32 v[2:3], v[128:129], v[126:127]
	v_add_f64_e64 v[2:3], v[112:113], -v[2:3]
	scratch_store_b64 off, v[2:3], off offset:392
	s_wait_xcnt 0x0
	v_cmpx_lt_u32_e32 48, v0
	s_cbranch_execz .LBB53_237
; %bb.236:
	scratch_load_b64 v[2:3], off, off offset:384
	v_mov_b64_e32 v[112:113], 0
	scratch_store_b64 off, v[112:113], off offset:384
	s_wait_loadcnt 0x0
	ds_store_b64 v1, v[2:3]
.LBB53_237:
	s_wait_xcnt 0x0
	s_or_b32 exec_lo, exec_lo, s0
	s_wait_storecnt_dscnt 0x0
	s_barrier_signal -1
	s_barrier_wait -1
	s_clause 0x2
	scratch_load_b128 v[112:115], off, off offset:384
	scratch_load_b128 v[116:119], off, off offset:400
	;; [unrolled: 1-line block ×3, first 2 shown]
	v_mov_b32_e32 v2, 0
	ds_load_2addr_b64 v[124:127], v2 offset0:103 offset1:104
	ds_load_2addr_b64 v[128:131], v2 offset0:105 offset1:106
	s_mov_b32 s0, exec_lo
	s_wait_loadcnt_dscnt 0x201
	v_fma_f64 v[114:115], v[114:115], v[124:125], 0
	s_wait_loadcnt 0x1
	s_delay_alu instid0(VALU_DEP_1) | instskip(SKIP_4) | instid1(VALU_DEP_1)
	v_fmac_f64_e32 v[114:115], v[116:117], v[126:127]
	ds_load_b64 v[116:117], v2 offset:856
	s_wait_dscnt 0x1
	v_fmac_f64_e32 v[114:115], v[118:119], v[128:129]
	s_wait_loadcnt 0x0
	v_fmac_f64_e32 v[114:115], v[120:121], v[130:131]
	s_wait_dscnt 0x0
	s_delay_alu instid0(VALU_DEP_1) | instskip(NEXT) | instid1(VALU_DEP_1)
	v_fmac_f64_e32 v[114:115], v[122:123], v[116:117]
	v_add_f64_e64 v[112:113], v[112:113], -v[114:115]
	scratch_store_b64 off, v[112:113], off offset:384
	s_wait_xcnt 0x0
	v_cmpx_lt_u32_e32 47, v0
	s_cbranch_execz .LBB53_239
; %bb.238:
	scratch_load_b64 v[112:113], off, off offset:376
	v_mov_b64_e32 v[114:115], 0
	scratch_store_b64 off, v[114:115], off offset:376
	s_wait_loadcnt 0x0
	ds_store_b64 v1, v[112:113]
.LBB53_239:
	s_wait_xcnt 0x0
	s_or_b32 exec_lo, exec_lo, s0
	s_wait_storecnt_dscnt 0x0
	s_barrier_signal -1
	s_barrier_wait -1
	s_clause 0x3
	scratch_load_b128 v[112:115], off, off offset:376
	scratch_load_b128 v[116:119], off, off offset:392
	;; [unrolled: 1-line block ×3, first 2 shown]
	scratch_load_b64 v[132:133], off, off offset:424
	ds_load_b128 v[124:127], v2 offset:816
	ds_load_b128 v[128:131], v2 offset:832
	s_mov_b32 s0, exec_lo
	s_wait_loadcnt_dscnt 0x301
	v_fma_f64 v[124:125], v[114:115], v[124:125], 0
	s_wait_loadcnt 0x2
	s_delay_alu instid0(VALU_DEP_1) | instskip(SKIP_4) | instid1(VALU_DEP_1)
	v_fmac_f64_e32 v[124:125], v[116:117], v[126:127]
	ds_load_b128 v[114:117], v2 offset:848
	s_wait_dscnt 0x1
	v_fmac_f64_e32 v[124:125], v[118:119], v[128:129]
	s_wait_loadcnt 0x1
	v_fmac_f64_e32 v[124:125], v[120:121], v[130:131]
	s_wait_dscnt 0x0
	s_delay_alu instid0(VALU_DEP_1) | instskip(SKIP_1) | instid1(VALU_DEP_1)
	v_fmac_f64_e32 v[124:125], v[122:123], v[114:115]
	s_wait_loadcnt 0x0
	v_fmac_f64_e32 v[124:125], v[132:133], v[116:117]
	s_delay_alu instid0(VALU_DEP_1)
	v_add_f64_e64 v[2:3], v[112:113], -v[124:125]
	scratch_store_b64 off, v[2:3], off offset:376
	s_wait_xcnt 0x0
	v_cmpx_lt_u32_e32 46, v0
	s_cbranch_execz .LBB53_241
; %bb.240:
	scratch_load_b64 v[2:3], off, off offset:368
	v_mov_b64_e32 v[112:113], 0
	scratch_store_b64 off, v[112:113], off offset:368
	s_wait_loadcnt 0x0
	ds_store_b64 v1, v[2:3]
.LBB53_241:
	s_wait_xcnt 0x0
	s_or_b32 exec_lo, exec_lo, s0
	s_wait_storecnt_dscnt 0x0
	s_barrier_signal -1
	s_barrier_wait -1
	s_clause 0x3
	scratch_load_b128 v[112:115], off, off offset:368
	scratch_load_b128 v[116:119], off, off offset:384
	;; [unrolled: 1-line block ×4, first 2 shown]
	v_mov_b32_e32 v2, 0
	ds_load_2addr_b64 v[128:131], v2 offset0:101 offset1:102
	ds_load_2addr_b64 v[132:135], v2 offset0:103 offset1:104
	s_mov_b32 s0, exec_lo
	s_wait_loadcnt_dscnt 0x301
	v_fma_f64 v[128:129], v[114:115], v[128:129], 0
	s_wait_loadcnt 0x2
	s_delay_alu instid0(VALU_DEP_1) | instskip(SKIP_1) | instid1(VALU_DEP_1)
	v_fmac_f64_e32 v[128:129], v[116:117], v[130:131]
	s_wait_dscnt 0x0
	v_fmac_f64_e32 v[128:129], v[118:119], v[132:133]
	ds_load_2addr_b64 v[114:117], v2 offset0:105 offset1:106
	ds_load_b64 v[118:119], v2 offset:856
	s_wait_loadcnt 0x1
	v_fmac_f64_e32 v[128:129], v[120:121], v[134:135]
	s_wait_dscnt 0x1
	s_delay_alu instid0(VALU_DEP_1) | instskip(SKIP_1) | instid1(VALU_DEP_1)
	v_fmac_f64_e32 v[128:129], v[122:123], v[114:115]
	s_wait_loadcnt 0x0
	v_fmac_f64_e32 v[128:129], v[124:125], v[116:117]
	s_wait_dscnt 0x0
	s_delay_alu instid0(VALU_DEP_1) | instskip(NEXT) | instid1(VALU_DEP_1)
	v_fmac_f64_e32 v[128:129], v[126:127], v[118:119]
	v_add_f64_e64 v[112:113], v[112:113], -v[128:129]
	scratch_store_b64 off, v[112:113], off offset:368
	s_wait_xcnt 0x0
	v_cmpx_lt_u32_e32 45, v0
	s_cbranch_execz .LBB53_243
; %bb.242:
	scratch_load_b64 v[112:113], off, off offset:360
	v_mov_b64_e32 v[114:115], 0
	scratch_store_b64 off, v[114:115], off offset:360
	s_wait_loadcnt 0x0
	ds_store_b64 v1, v[112:113]
.LBB53_243:
	s_wait_xcnt 0x0
	s_or_b32 exec_lo, exec_lo, s0
	s_wait_storecnt_dscnt 0x0
	s_barrier_signal -1
	s_barrier_wait -1
	s_clause 0x4
	scratch_load_b128 v[112:115], off, off offset:360
	scratch_load_b128 v[116:119], off, off offset:376
	scratch_load_b128 v[120:123], off, off offset:392
	scratch_load_b128 v[124:127], off, off offset:408
	scratch_load_b64 v[136:137], off, off offset:424
	ds_load_b128 v[128:131], v2 offset:800
	ds_load_b128 v[132:135], v2 offset:816
	s_mov_b32 s0, exec_lo
	s_wait_loadcnt_dscnt 0x401
	v_fma_f64 v[128:129], v[114:115], v[128:129], 0
	s_wait_loadcnt 0x3
	s_delay_alu instid0(VALU_DEP_1) | instskip(SKIP_1) | instid1(VALU_DEP_1)
	v_fmac_f64_e32 v[128:129], v[116:117], v[130:131]
	s_wait_dscnt 0x0
	v_fmac_f64_e32 v[128:129], v[118:119], v[132:133]
	s_wait_loadcnt 0x2
	s_delay_alu instid0(VALU_DEP_1)
	v_fmac_f64_e32 v[128:129], v[120:121], v[134:135]
	ds_load_b128 v[114:117], v2 offset:832
	ds_load_b128 v[118:121], v2 offset:848
	s_wait_dscnt 0x1
	v_fmac_f64_e32 v[128:129], v[122:123], v[114:115]
	s_wait_loadcnt 0x1
	s_delay_alu instid0(VALU_DEP_1) | instskip(SKIP_1) | instid1(VALU_DEP_1)
	v_fmac_f64_e32 v[128:129], v[124:125], v[116:117]
	s_wait_dscnt 0x0
	v_fmac_f64_e32 v[128:129], v[126:127], v[118:119]
	s_wait_loadcnt 0x0
	s_delay_alu instid0(VALU_DEP_1) | instskip(NEXT) | instid1(VALU_DEP_1)
	v_fmac_f64_e32 v[128:129], v[136:137], v[120:121]
	v_add_f64_e64 v[2:3], v[112:113], -v[128:129]
	scratch_store_b64 off, v[2:3], off offset:360
	s_wait_xcnt 0x0
	v_cmpx_lt_u32_e32 44, v0
	s_cbranch_execz .LBB53_245
; %bb.244:
	scratch_load_b64 v[2:3], off, off offset:352
	v_mov_b64_e32 v[112:113], 0
	scratch_store_b64 off, v[112:113], off offset:352
	s_wait_loadcnt 0x0
	ds_store_b64 v1, v[2:3]
.LBB53_245:
	s_wait_xcnt 0x0
	s_or_b32 exec_lo, exec_lo, s0
	s_wait_storecnt_dscnt 0x0
	s_barrier_signal -1
	s_barrier_wait -1
	s_clause 0x4
	scratch_load_b128 v[112:115], off, off offset:352
	scratch_load_b128 v[116:119], off, off offset:368
	scratch_load_b128 v[120:123], off, off offset:384
	scratch_load_b128 v[124:127], off, off offset:400
	scratch_load_b128 v[128:131], off, off offset:416
	v_mov_b32_e32 v2, 0
	ds_load_2addr_b64 v[132:135], v2 offset0:99 offset1:100
	ds_load_2addr_b64 v[136:139], v2 offset0:101 offset1:102
	s_mov_b32 s0, exec_lo
	s_wait_loadcnt_dscnt 0x401
	v_fma_f64 v[132:133], v[114:115], v[132:133], 0
	s_wait_loadcnt 0x3
	s_delay_alu instid0(VALU_DEP_1) | instskip(SKIP_1) | instid1(VALU_DEP_1)
	v_fmac_f64_e32 v[132:133], v[116:117], v[134:135]
	s_wait_dscnt 0x0
	v_fmac_f64_e32 v[132:133], v[118:119], v[136:137]
	s_wait_loadcnt 0x2
	s_delay_alu instid0(VALU_DEP_1)
	v_fmac_f64_e32 v[132:133], v[120:121], v[138:139]
	ds_load_2addr_b64 v[114:117], v2 offset0:103 offset1:104
	ds_load_2addr_b64 v[118:121], v2 offset0:105 offset1:106
	s_wait_dscnt 0x1
	v_fmac_f64_e32 v[132:133], v[122:123], v[114:115]
	ds_load_b64 v[114:115], v2 offset:856
	s_wait_loadcnt 0x1
	v_fmac_f64_e32 v[132:133], v[124:125], v[116:117]
	s_wait_dscnt 0x1
	s_delay_alu instid0(VALU_DEP_1) | instskip(SKIP_1) | instid1(VALU_DEP_1)
	v_fmac_f64_e32 v[132:133], v[126:127], v[118:119]
	s_wait_loadcnt 0x0
	v_fmac_f64_e32 v[132:133], v[128:129], v[120:121]
	s_wait_dscnt 0x0
	s_delay_alu instid0(VALU_DEP_1) | instskip(NEXT) | instid1(VALU_DEP_1)
	v_fmac_f64_e32 v[132:133], v[130:131], v[114:115]
	v_add_f64_e64 v[112:113], v[112:113], -v[132:133]
	scratch_store_b64 off, v[112:113], off offset:352
	s_wait_xcnt 0x0
	v_cmpx_lt_u32_e32 43, v0
	s_cbranch_execz .LBB53_247
; %bb.246:
	scratch_load_b64 v[112:113], off, off offset:344
	v_mov_b64_e32 v[114:115], 0
	scratch_store_b64 off, v[114:115], off offset:344
	s_wait_loadcnt 0x0
	ds_store_b64 v1, v[112:113]
.LBB53_247:
	s_wait_xcnt 0x0
	s_or_b32 exec_lo, exec_lo, s0
	s_wait_storecnt_dscnt 0x0
	s_barrier_signal -1
	s_barrier_wait -1
	s_clause 0x5
	scratch_load_b128 v[112:115], off, off offset:344
	scratch_load_b128 v[116:119], off, off offset:360
	;; [unrolled: 1-line block ×5, first 2 shown]
	scratch_load_b64 v[140:141], off, off offset:424
	ds_load_b128 v[132:135], v2 offset:784
	ds_load_b128 v[136:139], v2 offset:800
	s_mov_b32 s0, exec_lo
	s_wait_loadcnt_dscnt 0x501
	v_fma_f64 v[132:133], v[114:115], v[132:133], 0
	s_wait_loadcnt 0x4
	s_delay_alu instid0(VALU_DEP_1) | instskip(SKIP_1) | instid1(VALU_DEP_1)
	v_fmac_f64_e32 v[132:133], v[116:117], v[134:135]
	s_wait_dscnt 0x0
	v_fmac_f64_e32 v[132:133], v[118:119], v[136:137]
	s_wait_loadcnt 0x3
	s_delay_alu instid0(VALU_DEP_1)
	v_fmac_f64_e32 v[132:133], v[120:121], v[138:139]
	ds_load_b128 v[114:117], v2 offset:816
	ds_load_b128 v[118:121], v2 offset:832
	s_wait_dscnt 0x1
	v_fmac_f64_e32 v[132:133], v[122:123], v[114:115]
	s_wait_loadcnt 0x2
	s_delay_alu instid0(VALU_DEP_1) | instskip(SKIP_4) | instid1(VALU_DEP_1)
	v_fmac_f64_e32 v[132:133], v[124:125], v[116:117]
	ds_load_b128 v[114:117], v2 offset:848
	s_wait_dscnt 0x1
	v_fmac_f64_e32 v[132:133], v[126:127], v[118:119]
	s_wait_loadcnt 0x1
	v_fmac_f64_e32 v[132:133], v[128:129], v[120:121]
	s_wait_dscnt 0x0
	s_delay_alu instid0(VALU_DEP_1) | instskip(SKIP_1) | instid1(VALU_DEP_1)
	v_fmac_f64_e32 v[132:133], v[130:131], v[114:115]
	s_wait_loadcnt 0x0
	v_fmac_f64_e32 v[132:133], v[140:141], v[116:117]
	s_delay_alu instid0(VALU_DEP_1)
	v_add_f64_e64 v[2:3], v[112:113], -v[132:133]
	scratch_store_b64 off, v[2:3], off offset:344
	s_wait_xcnt 0x0
	v_cmpx_lt_u32_e32 42, v0
	s_cbranch_execz .LBB53_249
; %bb.248:
	scratch_load_b64 v[2:3], off, off offset:336
	v_mov_b64_e32 v[112:113], 0
	scratch_store_b64 off, v[112:113], off offset:336
	s_wait_loadcnt 0x0
	ds_store_b64 v1, v[2:3]
.LBB53_249:
	s_wait_xcnt 0x0
	s_or_b32 exec_lo, exec_lo, s0
	s_wait_storecnt_dscnt 0x0
	s_barrier_signal -1
	s_barrier_wait -1
	s_clause 0x5
	scratch_load_b128 v[112:115], off, off offset:336
	scratch_load_b128 v[116:119], off, off offset:352
	;; [unrolled: 1-line block ×6, first 2 shown]
	v_mov_b32_e32 v2, 0
	ds_load_2addr_b64 v[136:139], v2 offset0:97 offset1:98
	ds_load_2addr_b64 v[140:143], v2 offset0:99 offset1:100
	s_mov_b32 s0, exec_lo
	s_wait_loadcnt_dscnt 0x501
	v_fma_f64 v[136:137], v[114:115], v[136:137], 0
	s_wait_loadcnt 0x4
	s_delay_alu instid0(VALU_DEP_1) | instskip(SKIP_1) | instid1(VALU_DEP_1)
	v_fmac_f64_e32 v[136:137], v[116:117], v[138:139]
	s_wait_dscnt 0x0
	v_fmac_f64_e32 v[136:137], v[118:119], v[140:141]
	s_wait_loadcnt 0x3
	s_delay_alu instid0(VALU_DEP_1)
	v_fmac_f64_e32 v[136:137], v[120:121], v[142:143]
	ds_load_2addr_b64 v[114:117], v2 offset0:101 offset1:102
	ds_load_2addr_b64 v[118:121], v2 offset0:103 offset1:104
	s_wait_dscnt 0x1
	v_fmac_f64_e32 v[136:137], v[122:123], v[114:115]
	s_wait_loadcnt 0x2
	s_delay_alu instid0(VALU_DEP_1) | instskip(SKIP_1) | instid1(VALU_DEP_1)
	v_fmac_f64_e32 v[136:137], v[124:125], v[116:117]
	s_wait_dscnt 0x0
	v_fmac_f64_e32 v[136:137], v[126:127], v[118:119]
	ds_load_2addr_b64 v[114:117], v2 offset0:105 offset1:106
	ds_load_b64 v[118:119], v2 offset:856
	s_wait_loadcnt 0x1
	v_fmac_f64_e32 v[136:137], v[128:129], v[120:121]
	s_wait_dscnt 0x1
	s_delay_alu instid0(VALU_DEP_1) | instskip(SKIP_1) | instid1(VALU_DEP_1)
	v_fmac_f64_e32 v[136:137], v[130:131], v[114:115]
	s_wait_loadcnt 0x0
	v_fmac_f64_e32 v[136:137], v[132:133], v[116:117]
	s_wait_dscnt 0x0
	s_delay_alu instid0(VALU_DEP_1) | instskip(NEXT) | instid1(VALU_DEP_1)
	v_fmac_f64_e32 v[136:137], v[134:135], v[118:119]
	v_add_f64_e64 v[112:113], v[112:113], -v[136:137]
	scratch_store_b64 off, v[112:113], off offset:336
	s_wait_xcnt 0x0
	v_cmpx_lt_u32_e32 41, v0
	s_cbranch_execz .LBB53_251
; %bb.250:
	scratch_load_b64 v[112:113], off, off offset:328
	v_mov_b64_e32 v[114:115], 0
	scratch_store_b64 off, v[114:115], off offset:328
	s_wait_loadcnt 0x0
	ds_store_b64 v1, v[112:113]
.LBB53_251:
	s_wait_xcnt 0x0
	s_or_b32 exec_lo, exec_lo, s0
	s_wait_storecnt_dscnt 0x0
	s_barrier_signal -1
	s_barrier_wait -1
	s_clause 0x5
	scratch_load_b128 v[112:115], off, off offset:328
	scratch_load_b128 v[116:119], off, off offset:344
	;; [unrolled: 1-line block ×6, first 2 shown]
	ds_load_b128 v[136:139], v2 offset:768
	ds_load_b128 v[140:143], v2 offset:784
	s_mov_b32 s0, exec_lo
	s_wait_loadcnt_dscnt 0x501
	v_fma_f64 v[136:137], v[114:115], v[136:137], 0
	s_wait_loadcnt 0x4
	s_delay_alu instid0(VALU_DEP_1) | instskip(SKIP_4) | instid1(VALU_DEP_1)
	v_fmac_f64_e32 v[136:137], v[116:117], v[138:139]
	scratch_load_b64 v[138:139], off, off offset:424
	s_wait_dscnt 0x0
	v_fmac_f64_e32 v[136:137], v[118:119], v[140:141]
	s_wait_loadcnt 0x4
	v_fmac_f64_e32 v[136:137], v[120:121], v[142:143]
	ds_load_b128 v[114:117], v2 offset:800
	ds_load_b128 v[118:121], v2 offset:816
	s_wait_dscnt 0x1
	v_fmac_f64_e32 v[136:137], v[122:123], v[114:115]
	s_wait_loadcnt 0x3
	s_delay_alu instid0(VALU_DEP_1) | instskip(SKIP_1) | instid1(VALU_DEP_1)
	v_fmac_f64_e32 v[136:137], v[124:125], v[116:117]
	s_wait_dscnt 0x0
	v_fmac_f64_e32 v[136:137], v[126:127], v[118:119]
	s_wait_loadcnt 0x2
	s_delay_alu instid0(VALU_DEP_1)
	v_fmac_f64_e32 v[136:137], v[128:129], v[120:121]
	ds_load_b128 v[114:117], v2 offset:832
	ds_load_b128 v[118:121], v2 offset:848
	s_wait_dscnt 0x1
	v_fmac_f64_e32 v[136:137], v[130:131], v[114:115]
	s_wait_loadcnt 0x1
	s_delay_alu instid0(VALU_DEP_1) | instskip(SKIP_1) | instid1(VALU_DEP_1)
	v_fmac_f64_e32 v[136:137], v[132:133], v[116:117]
	s_wait_dscnt 0x0
	v_fmac_f64_e32 v[136:137], v[134:135], v[118:119]
	s_wait_loadcnt 0x0
	s_delay_alu instid0(VALU_DEP_1) | instskip(NEXT) | instid1(VALU_DEP_1)
	v_fmac_f64_e32 v[136:137], v[138:139], v[120:121]
	v_add_f64_e64 v[2:3], v[112:113], -v[136:137]
	scratch_store_b64 off, v[2:3], off offset:328
	s_wait_xcnt 0x0
	v_cmpx_lt_u32_e32 40, v0
	s_cbranch_execz .LBB53_253
; %bb.252:
	scratch_load_b64 v[2:3], off, off offset:320
	v_mov_b64_e32 v[112:113], 0
	scratch_store_b64 off, v[112:113], off offset:320
	s_wait_loadcnt 0x0
	ds_store_b64 v1, v[2:3]
.LBB53_253:
	s_wait_xcnt 0x0
	s_or_b32 exec_lo, exec_lo, s0
	s_wait_storecnt_dscnt 0x0
	s_barrier_signal -1
	s_barrier_wait -1
	s_clause 0x5
	scratch_load_b128 v[112:115], off, off offset:320
	scratch_load_b128 v[116:119], off, off offset:336
	;; [unrolled: 1-line block ×6, first 2 shown]
	v_mov_b32_e32 v2, 0
	ds_load_2addr_b64 v[136:139], v2 offset0:95 offset1:96
	ds_load_2addr_b64 v[140:143], v2 offset0:97 offset1:98
	s_mov_b32 s0, exec_lo
	s_wait_loadcnt_dscnt 0x501
	v_fma_f64 v[144:145], v[114:115], v[136:137], 0
	s_wait_loadcnt 0x4
	s_delay_alu instid0(VALU_DEP_1) | instskip(SKIP_4) | instid1(VALU_DEP_1)
	v_fmac_f64_e32 v[144:145], v[116:117], v[138:139]
	scratch_load_b128 v[114:117], off, off offset:416
	s_wait_dscnt 0x0
	v_fmac_f64_e32 v[144:145], v[118:119], v[140:141]
	s_wait_loadcnt 0x4
	v_fmac_f64_e32 v[144:145], v[120:121], v[142:143]
	ds_load_2addr_b64 v[118:121], v2 offset0:99 offset1:100
	ds_load_2addr_b64 v[136:139], v2 offset0:101 offset1:102
	s_wait_dscnt 0x1
	v_fmac_f64_e32 v[144:145], v[122:123], v[118:119]
	s_wait_loadcnt 0x3
	s_delay_alu instid0(VALU_DEP_1)
	v_fmac_f64_e32 v[144:145], v[124:125], v[120:121]
	ds_load_2addr_b64 v[118:121], v2 offset0:103 offset1:104
	ds_load_2addr_b64 v[122:125], v2 offset0:105 offset1:106
	s_wait_dscnt 0x2
	v_fmac_f64_e32 v[144:145], v[126:127], v[136:137]
	s_wait_loadcnt 0x2
	s_delay_alu instid0(VALU_DEP_1) | instskip(SKIP_1) | instid1(VALU_DEP_1)
	v_fmac_f64_e32 v[144:145], v[128:129], v[138:139]
	s_wait_dscnt 0x1
	v_fmac_f64_e32 v[144:145], v[130:131], v[118:119]
	s_wait_loadcnt 0x1
	s_delay_alu instid0(VALU_DEP_1) | instskip(SKIP_1) | instid1(VALU_DEP_1)
	v_fmac_f64_e32 v[144:145], v[132:133], v[120:121]
	s_wait_dscnt 0x0
	v_fmac_f64_e32 v[144:145], v[134:135], v[122:123]
	s_wait_loadcnt 0x0
	s_delay_alu instid0(VALU_DEP_1) | instskip(SKIP_3) | instid1(VALU_DEP_1)
	v_fmac_f64_e32 v[144:145], v[114:115], v[124:125]
	ds_load_b64 v[114:115], v2 offset:856
	s_wait_dscnt 0x0
	v_fmac_f64_e32 v[144:145], v[116:117], v[114:115]
	v_add_f64_e64 v[112:113], v[112:113], -v[144:145]
	scratch_store_b64 off, v[112:113], off offset:320
	s_wait_xcnt 0x0
	v_cmpx_lt_u32_e32 39, v0
	s_cbranch_execz .LBB53_255
; %bb.254:
	scratch_load_b64 v[112:113], off, off offset:312
	v_mov_b64_e32 v[114:115], 0
	scratch_store_b64 off, v[114:115], off offset:312
	s_wait_loadcnt 0x0
	ds_store_b64 v1, v[112:113]
.LBB53_255:
	s_wait_xcnt 0x0
	s_or_b32 exec_lo, exec_lo, s0
	s_wait_storecnt_dscnt 0x0
	s_barrier_signal -1
	s_barrier_wait -1
	s_clause 0x5
	scratch_load_b128 v[112:115], off, off offset:312
	scratch_load_b128 v[116:119], off, off offset:328
	;; [unrolled: 1-line block ×6, first 2 shown]
	ds_load_b128 v[136:139], v2 offset:752
	ds_load_b128 v[140:143], v2 offset:768
	s_mov_b32 s0, exec_lo
	s_wait_loadcnt_dscnt 0x501
	v_fma_f64 v[144:145], v[114:115], v[136:137], 0
	s_wait_loadcnt 0x4
	s_delay_alu instid0(VALU_DEP_1)
	v_fmac_f64_e32 v[144:145], v[116:117], v[138:139]
	scratch_load_b128 v[114:117], off, off offset:408
	s_wait_dscnt 0x0
	v_fmac_f64_e32 v[144:145], v[118:119], v[140:141]
	scratch_load_b64 v[140:141], off, off offset:424
	s_wait_loadcnt 0x5
	v_fmac_f64_e32 v[144:145], v[120:121], v[142:143]
	ds_load_b128 v[118:121], v2 offset:784
	ds_load_b128 v[136:139], v2 offset:800
	s_wait_dscnt 0x1
	v_fmac_f64_e32 v[144:145], v[122:123], v[118:119]
	s_wait_loadcnt 0x4
	s_delay_alu instid0(VALU_DEP_1)
	v_fmac_f64_e32 v[144:145], v[124:125], v[120:121]
	ds_load_b128 v[118:121], v2 offset:816
	ds_load_b128 v[122:125], v2 offset:832
	s_wait_dscnt 0x2
	v_fmac_f64_e32 v[144:145], v[126:127], v[136:137]
	s_wait_loadcnt 0x3
	s_delay_alu instid0(VALU_DEP_1) | instskip(SKIP_1) | instid1(VALU_DEP_1)
	v_fmac_f64_e32 v[144:145], v[128:129], v[138:139]
	s_wait_dscnt 0x1
	v_fmac_f64_e32 v[144:145], v[130:131], v[118:119]
	s_wait_loadcnt 0x2
	s_delay_alu instid0(VALU_DEP_1) | instskip(SKIP_4) | instid1(VALU_DEP_1)
	v_fmac_f64_e32 v[144:145], v[132:133], v[120:121]
	ds_load_b128 v[118:121], v2 offset:848
	s_wait_dscnt 0x1
	v_fmac_f64_e32 v[144:145], v[134:135], v[122:123]
	s_wait_loadcnt 0x1
	v_fmac_f64_e32 v[144:145], v[114:115], v[124:125]
	s_wait_dscnt 0x0
	s_delay_alu instid0(VALU_DEP_1) | instskip(SKIP_1) | instid1(VALU_DEP_1)
	v_fmac_f64_e32 v[144:145], v[116:117], v[118:119]
	s_wait_loadcnt 0x0
	v_fmac_f64_e32 v[144:145], v[140:141], v[120:121]
	s_delay_alu instid0(VALU_DEP_1)
	v_add_f64_e64 v[2:3], v[112:113], -v[144:145]
	scratch_store_b64 off, v[2:3], off offset:312
	s_wait_xcnt 0x0
	v_cmpx_lt_u32_e32 38, v0
	s_cbranch_execz .LBB53_257
; %bb.256:
	scratch_load_b64 v[2:3], off, off offset:304
	v_mov_b64_e32 v[112:113], 0
	scratch_store_b64 off, v[112:113], off offset:304
	s_wait_loadcnt 0x0
	ds_store_b64 v1, v[2:3]
.LBB53_257:
	s_wait_xcnt 0x0
	s_or_b32 exec_lo, exec_lo, s0
	s_wait_storecnt_dscnt 0x0
	s_barrier_signal -1
	s_barrier_wait -1
	s_clause 0x5
	scratch_load_b128 v[112:115], off, off offset:304
	scratch_load_b128 v[116:119], off, off offset:320
	;; [unrolled: 1-line block ×6, first 2 shown]
	v_mov_b32_e32 v2, 0
	ds_load_2addr_b64 v[136:139], v2 offset0:93 offset1:94
	ds_load_2addr_b64 v[140:143], v2 offset0:95 offset1:96
	s_mov_b32 s0, exec_lo
	s_wait_loadcnt_dscnt 0x501
	v_fma_f64 v[144:145], v[114:115], v[136:137], 0
	s_wait_loadcnt 0x4
	s_delay_alu instid0(VALU_DEP_1) | instskip(SKIP_4) | instid1(VALU_DEP_1)
	v_fmac_f64_e32 v[144:145], v[116:117], v[138:139]
	scratch_load_b128 v[114:117], off, off offset:400
	s_wait_dscnt 0x0
	v_fmac_f64_e32 v[144:145], v[118:119], v[140:141]
	s_wait_loadcnt 0x4
	v_fmac_f64_e32 v[144:145], v[120:121], v[142:143]
	scratch_load_b128 v[118:121], off, off offset:416
	ds_load_2addr_b64 v[136:139], v2 offset0:97 offset1:98
	ds_load_2addr_b64 v[140:143], v2 offset0:99 offset1:100
	s_wait_dscnt 0x1
	v_fmac_f64_e32 v[144:145], v[122:123], v[136:137]
	s_wait_loadcnt 0x4
	s_delay_alu instid0(VALU_DEP_1) | instskip(SKIP_1) | instid1(VALU_DEP_1)
	v_fmac_f64_e32 v[144:145], v[124:125], v[138:139]
	s_wait_dscnt 0x0
	v_fmac_f64_e32 v[144:145], v[126:127], v[140:141]
	s_wait_loadcnt 0x3
	s_delay_alu instid0(VALU_DEP_1)
	v_fmac_f64_e32 v[144:145], v[128:129], v[142:143]
	ds_load_2addr_b64 v[122:125], v2 offset0:101 offset1:102
	ds_load_2addr_b64 v[126:129], v2 offset0:103 offset1:104
	s_wait_dscnt 0x1
	v_fmac_f64_e32 v[144:145], v[130:131], v[122:123]
	s_wait_loadcnt 0x2
	s_delay_alu instid0(VALU_DEP_1) | instskip(SKIP_1) | instid1(VALU_DEP_1)
	v_fmac_f64_e32 v[144:145], v[132:133], v[124:125]
	s_wait_dscnt 0x0
	v_fmac_f64_e32 v[144:145], v[134:135], v[126:127]
	s_wait_loadcnt 0x1
	s_delay_alu instid0(VALU_DEP_1)
	v_fmac_f64_e32 v[144:145], v[114:115], v[128:129]
	ds_load_2addr_b64 v[122:125], v2 offset0:105 offset1:106
	ds_load_b64 v[114:115], v2 offset:856
	s_wait_dscnt 0x1
	v_fmac_f64_e32 v[144:145], v[116:117], v[122:123]
	s_wait_loadcnt 0x0
	s_delay_alu instid0(VALU_DEP_1) | instskip(SKIP_1) | instid1(VALU_DEP_1)
	v_fmac_f64_e32 v[144:145], v[118:119], v[124:125]
	s_wait_dscnt 0x0
	v_fmac_f64_e32 v[144:145], v[120:121], v[114:115]
	s_delay_alu instid0(VALU_DEP_1)
	v_add_f64_e64 v[112:113], v[112:113], -v[144:145]
	scratch_store_b64 off, v[112:113], off offset:304
	s_wait_xcnt 0x0
	v_cmpx_lt_u32_e32 37, v0
	s_cbranch_execz .LBB53_259
; %bb.258:
	scratch_load_b64 v[112:113], off, off offset:296
	v_mov_b64_e32 v[114:115], 0
	scratch_store_b64 off, v[114:115], off offset:296
	s_wait_loadcnt 0x0
	ds_store_b64 v1, v[112:113]
.LBB53_259:
	s_wait_xcnt 0x0
	s_or_b32 exec_lo, exec_lo, s0
	s_wait_storecnt_dscnt 0x0
	s_barrier_signal -1
	s_barrier_wait -1
	s_clause 0x5
	scratch_load_b128 v[112:115], off, off offset:296
	scratch_load_b128 v[116:119], off, off offset:312
	;; [unrolled: 1-line block ×6, first 2 shown]
	ds_load_b128 v[136:139], v2 offset:736
	ds_load_b128 v[140:143], v2 offset:752
	s_mov_b32 s0, exec_lo
	s_wait_loadcnt_dscnt 0x501
	v_fma_f64 v[144:145], v[114:115], v[136:137], 0
	s_wait_loadcnt 0x4
	s_delay_alu instid0(VALU_DEP_1) | instskip(SKIP_4) | instid1(VALU_DEP_1)
	v_fmac_f64_e32 v[144:145], v[116:117], v[138:139]
	scratch_load_b128 v[114:117], off, off offset:392
	s_wait_dscnt 0x0
	v_fmac_f64_e32 v[144:145], v[118:119], v[140:141]
	s_wait_loadcnt 0x4
	v_fmac_f64_e32 v[144:145], v[120:121], v[142:143]
	scratch_load_b128 v[118:121], off, off offset:408
	ds_load_b128 v[136:139], v2 offset:768
	ds_load_b128 v[140:143], v2 offset:784
	s_wait_dscnt 0x1
	v_fmac_f64_e32 v[144:145], v[122:123], v[136:137]
	scratch_load_b64 v[136:137], off, off offset:424
	s_wait_loadcnt 0x5
	v_fmac_f64_e32 v[144:145], v[124:125], v[138:139]
	s_wait_dscnt 0x0
	s_delay_alu instid0(VALU_DEP_1) | instskip(SKIP_1) | instid1(VALU_DEP_1)
	v_fmac_f64_e32 v[144:145], v[126:127], v[140:141]
	s_wait_loadcnt 0x4
	v_fmac_f64_e32 v[144:145], v[128:129], v[142:143]
	ds_load_b128 v[122:125], v2 offset:800
	ds_load_b128 v[126:129], v2 offset:816
	s_wait_dscnt 0x1
	v_fmac_f64_e32 v[144:145], v[130:131], v[122:123]
	s_wait_loadcnt 0x3
	s_delay_alu instid0(VALU_DEP_1) | instskip(SKIP_1) | instid1(VALU_DEP_1)
	v_fmac_f64_e32 v[144:145], v[132:133], v[124:125]
	s_wait_dscnt 0x0
	v_fmac_f64_e32 v[144:145], v[134:135], v[126:127]
	s_wait_loadcnt 0x2
	s_delay_alu instid0(VALU_DEP_1)
	v_fmac_f64_e32 v[144:145], v[114:115], v[128:129]
	ds_load_b128 v[122:125], v2 offset:832
	ds_load_b128 v[126:129], v2 offset:848
	s_wait_dscnt 0x1
	v_fmac_f64_e32 v[144:145], v[116:117], v[122:123]
	s_wait_loadcnt 0x1
	s_delay_alu instid0(VALU_DEP_1) | instskip(SKIP_1) | instid1(VALU_DEP_1)
	v_fmac_f64_e32 v[144:145], v[118:119], v[124:125]
	s_wait_dscnt 0x0
	v_fmac_f64_e32 v[144:145], v[120:121], v[126:127]
	s_wait_loadcnt 0x0
	s_delay_alu instid0(VALU_DEP_1) | instskip(NEXT) | instid1(VALU_DEP_1)
	v_fmac_f64_e32 v[144:145], v[136:137], v[128:129]
	v_add_f64_e64 v[2:3], v[112:113], -v[144:145]
	scratch_store_b64 off, v[2:3], off offset:296
	s_wait_xcnt 0x0
	v_cmpx_lt_u32_e32 36, v0
	s_cbranch_execz .LBB53_261
; %bb.260:
	scratch_load_b64 v[2:3], off, off offset:288
	v_mov_b64_e32 v[112:113], 0
	scratch_store_b64 off, v[112:113], off offset:288
	s_wait_loadcnt 0x0
	ds_store_b64 v1, v[2:3]
.LBB53_261:
	s_wait_xcnt 0x0
	s_or_b32 exec_lo, exec_lo, s0
	s_wait_storecnt_dscnt 0x0
	s_barrier_signal -1
	s_barrier_wait -1
	s_clause 0x5
	scratch_load_b128 v[112:115], off, off offset:288
	scratch_load_b128 v[116:119], off, off offset:304
	;; [unrolled: 1-line block ×6, first 2 shown]
	v_mov_b32_e32 v2, 0
	ds_load_2addr_b64 v[136:139], v2 offset0:91 offset1:92
	ds_load_2addr_b64 v[140:143], v2 offset0:93 offset1:94
	s_mov_b32 s0, exec_lo
	s_wait_loadcnt_dscnt 0x501
	v_fma_f64 v[144:145], v[114:115], v[136:137], 0
	s_wait_loadcnt 0x4
	s_delay_alu instid0(VALU_DEP_1) | instskip(SKIP_4) | instid1(VALU_DEP_1)
	v_fmac_f64_e32 v[144:145], v[116:117], v[138:139]
	scratch_load_b128 v[114:117], off, off offset:384
	s_wait_dscnt 0x0
	v_fmac_f64_e32 v[144:145], v[118:119], v[140:141]
	s_wait_loadcnt 0x4
	v_fmac_f64_e32 v[144:145], v[120:121], v[142:143]
	scratch_load_b128 v[118:121], off, off offset:400
	ds_load_2addr_b64 v[136:139], v2 offset0:95 offset1:96
	ds_load_2addr_b64 v[140:143], v2 offset0:97 offset1:98
	s_wait_dscnt 0x1
	v_fmac_f64_e32 v[144:145], v[122:123], v[136:137]
	s_wait_loadcnt 0x4
	s_delay_alu instid0(VALU_DEP_1) | instskip(SKIP_4) | instid1(VALU_DEP_1)
	v_fmac_f64_e32 v[144:145], v[124:125], v[138:139]
	scratch_load_b128 v[122:125], off, off offset:416
	s_wait_dscnt 0x0
	v_fmac_f64_e32 v[144:145], v[126:127], v[140:141]
	s_wait_loadcnt 0x4
	v_fmac_f64_e32 v[144:145], v[128:129], v[142:143]
	ds_load_2addr_b64 v[126:129], v2 offset0:99 offset1:100
	ds_load_2addr_b64 v[136:139], v2 offset0:101 offset1:102
	s_wait_dscnt 0x1
	v_fmac_f64_e32 v[144:145], v[130:131], v[126:127]
	s_wait_loadcnt 0x3
	s_delay_alu instid0(VALU_DEP_1)
	v_fmac_f64_e32 v[144:145], v[132:133], v[128:129]
	ds_load_2addr_b64 v[126:129], v2 offset0:103 offset1:104
	ds_load_2addr_b64 v[130:133], v2 offset0:105 offset1:106
	s_wait_dscnt 0x2
	v_fmac_f64_e32 v[144:145], v[134:135], v[136:137]
	s_wait_loadcnt 0x2
	s_delay_alu instid0(VALU_DEP_1) | instskip(SKIP_4) | instid1(VALU_DEP_1)
	v_fmac_f64_e32 v[144:145], v[114:115], v[138:139]
	ds_load_b64 v[114:115], v2 offset:856
	s_wait_dscnt 0x2
	v_fmac_f64_e32 v[144:145], v[116:117], v[126:127]
	s_wait_loadcnt 0x1
	v_fmac_f64_e32 v[144:145], v[118:119], v[128:129]
	s_wait_dscnt 0x1
	s_delay_alu instid0(VALU_DEP_1) | instskip(SKIP_1) | instid1(VALU_DEP_1)
	v_fmac_f64_e32 v[144:145], v[120:121], v[130:131]
	s_wait_loadcnt 0x0
	v_fmac_f64_e32 v[144:145], v[122:123], v[132:133]
	s_wait_dscnt 0x0
	s_delay_alu instid0(VALU_DEP_1) | instskip(NEXT) | instid1(VALU_DEP_1)
	v_fmac_f64_e32 v[144:145], v[124:125], v[114:115]
	v_add_f64_e64 v[112:113], v[112:113], -v[144:145]
	scratch_store_b64 off, v[112:113], off offset:288
	s_wait_xcnt 0x0
	v_cmpx_lt_u32_e32 35, v0
	s_cbranch_execz .LBB53_263
; %bb.262:
	scratch_load_b64 v[112:113], off, off offset:280
	v_mov_b64_e32 v[114:115], 0
	scratch_store_b64 off, v[114:115], off offset:280
	s_wait_loadcnt 0x0
	ds_store_b64 v1, v[112:113]
.LBB53_263:
	s_wait_xcnt 0x0
	s_or_b32 exec_lo, exec_lo, s0
	s_wait_storecnt_dscnt 0x0
	s_barrier_signal -1
	s_barrier_wait -1
	s_clause 0x5
	scratch_load_b128 v[112:115], off, off offset:280
	scratch_load_b128 v[116:119], off, off offset:296
	;; [unrolled: 1-line block ×6, first 2 shown]
	ds_load_b128 v[136:139], v2 offset:720
	ds_load_b128 v[140:143], v2 offset:736
	s_mov_b32 s0, exec_lo
	s_wait_loadcnt_dscnt 0x501
	v_fma_f64 v[144:145], v[114:115], v[136:137], 0
	s_wait_loadcnt 0x4
	s_delay_alu instid0(VALU_DEP_1) | instskip(SKIP_4) | instid1(VALU_DEP_1)
	v_fmac_f64_e32 v[144:145], v[116:117], v[138:139]
	scratch_load_b128 v[114:117], off, off offset:376
	s_wait_dscnt 0x0
	v_fmac_f64_e32 v[144:145], v[118:119], v[140:141]
	s_wait_loadcnt 0x4
	v_fmac_f64_e32 v[144:145], v[120:121], v[142:143]
	scratch_load_b128 v[118:121], off, off offset:392
	ds_load_b128 v[136:139], v2 offset:752
	ds_load_b128 v[140:143], v2 offset:768
	s_wait_dscnt 0x1
	v_fmac_f64_e32 v[144:145], v[122:123], v[136:137]
	s_wait_loadcnt 0x4
	s_delay_alu instid0(VALU_DEP_1)
	v_fmac_f64_e32 v[144:145], v[124:125], v[138:139]
	scratch_load_b128 v[122:125], off, off offset:408
	s_wait_dscnt 0x0
	v_fmac_f64_e32 v[144:145], v[126:127], v[140:141]
	scratch_load_b64 v[140:141], off, off offset:424
	s_wait_loadcnt 0x5
	v_fmac_f64_e32 v[144:145], v[128:129], v[142:143]
	ds_load_b128 v[126:129], v2 offset:784
	ds_load_b128 v[136:139], v2 offset:800
	s_wait_dscnt 0x1
	v_fmac_f64_e32 v[144:145], v[130:131], v[126:127]
	s_wait_loadcnt 0x4
	s_delay_alu instid0(VALU_DEP_1)
	v_fmac_f64_e32 v[144:145], v[132:133], v[128:129]
	ds_load_b128 v[126:129], v2 offset:816
	ds_load_b128 v[130:133], v2 offset:832
	s_wait_dscnt 0x2
	v_fmac_f64_e32 v[144:145], v[134:135], v[136:137]
	s_wait_loadcnt 0x3
	s_delay_alu instid0(VALU_DEP_1) | instskip(SKIP_1) | instid1(VALU_DEP_1)
	v_fmac_f64_e32 v[144:145], v[114:115], v[138:139]
	s_wait_dscnt 0x1
	v_fmac_f64_e32 v[144:145], v[116:117], v[126:127]
	ds_load_b128 v[114:117], v2 offset:848
	s_wait_loadcnt 0x2
	v_fmac_f64_e32 v[144:145], v[118:119], v[128:129]
	s_wait_dscnt 0x1
	s_delay_alu instid0(VALU_DEP_1) | instskip(SKIP_1) | instid1(VALU_DEP_1)
	v_fmac_f64_e32 v[144:145], v[120:121], v[130:131]
	s_wait_loadcnt 0x1
	v_fmac_f64_e32 v[144:145], v[122:123], v[132:133]
	s_wait_dscnt 0x0
	s_delay_alu instid0(VALU_DEP_1) | instskip(SKIP_1) | instid1(VALU_DEP_1)
	v_fmac_f64_e32 v[144:145], v[124:125], v[114:115]
	s_wait_loadcnt 0x0
	v_fmac_f64_e32 v[144:145], v[140:141], v[116:117]
	s_delay_alu instid0(VALU_DEP_1)
	v_add_f64_e64 v[2:3], v[112:113], -v[144:145]
	scratch_store_b64 off, v[2:3], off offset:280
	s_wait_xcnt 0x0
	v_cmpx_lt_u32_e32 34, v0
	s_cbranch_execz .LBB53_265
; %bb.264:
	scratch_load_b64 v[2:3], off, off offset:272
	v_mov_b64_e32 v[112:113], 0
	scratch_store_b64 off, v[112:113], off offset:272
	s_wait_loadcnt 0x0
	ds_store_b64 v1, v[2:3]
.LBB53_265:
	s_wait_xcnt 0x0
	s_or_b32 exec_lo, exec_lo, s0
	s_wait_storecnt_dscnt 0x0
	s_barrier_signal -1
	s_barrier_wait -1
	s_clause 0x5
	scratch_load_b128 v[112:115], off, off offset:272
	scratch_load_b128 v[116:119], off, off offset:288
	;; [unrolled: 1-line block ×6, first 2 shown]
	v_mov_b32_e32 v2, 0
	ds_load_2addr_b64 v[136:139], v2 offset0:89 offset1:90
	ds_load_2addr_b64 v[140:143], v2 offset0:91 offset1:92
	s_mov_b32 s0, exec_lo
	s_wait_loadcnt_dscnt 0x501
	v_fma_f64 v[144:145], v[114:115], v[136:137], 0
	s_wait_loadcnt 0x4
	s_delay_alu instid0(VALU_DEP_1) | instskip(SKIP_4) | instid1(VALU_DEP_1)
	v_fmac_f64_e32 v[144:145], v[116:117], v[138:139]
	scratch_load_b128 v[114:117], off, off offset:368
	s_wait_dscnt 0x0
	v_fmac_f64_e32 v[144:145], v[118:119], v[140:141]
	s_wait_loadcnt 0x4
	v_fmac_f64_e32 v[144:145], v[120:121], v[142:143]
	scratch_load_b128 v[118:121], off, off offset:384
	ds_load_2addr_b64 v[136:139], v2 offset0:93 offset1:94
	ds_load_2addr_b64 v[140:143], v2 offset0:95 offset1:96
	s_wait_dscnt 0x1
	v_fmac_f64_e32 v[144:145], v[122:123], v[136:137]
	s_wait_loadcnt 0x4
	s_delay_alu instid0(VALU_DEP_1) | instskip(SKIP_4) | instid1(VALU_DEP_1)
	v_fmac_f64_e32 v[144:145], v[124:125], v[138:139]
	scratch_load_b128 v[122:125], off, off offset:400
	s_wait_dscnt 0x0
	v_fmac_f64_e32 v[144:145], v[126:127], v[140:141]
	s_wait_loadcnt 0x4
	v_fmac_f64_e32 v[144:145], v[128:129], v[142:143]
	scratch_load_b128 v[126:129], off, off offset:416
	ds_load_2addr_b64 v[136:139], v2 offset0:97 offset1:98
	ds_load_2addr_b64 v[140:143], v2 offset0:99 offset1:100
	s_wait_dscnt 0x1
	v_fmac_f64_e32 v[144:145], v[130:131], v[136:137]
	s_wait_loadcnt 0x4
	s_delay_alu instid0(VALU_DEP_1) | instskip(SKIP_1) | instid1(VALU_DEP_1)
	v_fmac_f64_e32 v[144:145], v[132:133], v[138:139]
	s_wait_dscnt 0x0
	v_fmac_f64_e32 v[144:145], v[134:135], v[140:141]
	ds_load_2addr_b64 v[130:133], v2 offset0:101 offset1:102
	ds_load_2addr_b64 v[134:137], v2 offset0:103 offset1:104
	s_wait_loadcnt 0x3
	v_fmac_f64_e32 v[144:145], v[114:115], v[142:143]
	s_wait_dscnt 0x1
	s_delay_alu instid0(VALU_DEP_1) | instskip(SKIP_1) | instid1(VALU_DEP_1)
	v_fmac_f64_e32 v[144:145], v[116:117], v[130:131]
	s_wait_loadcnt 0x2
	v_fmac_f64_e32 v[144:145], v[118:119], v[132:133]
	ds_load_2addr_b64 v[114:117], v2 offset0:105 offset1:106
	ds_load_b64 v[118:119], v2 offset:856
	s_wait_dscnt 0x2
	v_fmac_f64_e32 v[144:145], v[120:121], v[134:135]
	s_wait_loadcnt 0x1
	s_delay_alu instid0(VALU_DEP_1) | instskip(SKIP_1) | instid1(VALU_DEP_1)
	v_fmac_f64_e32 v[144:145], v[122:123], v[136:137]
	s_wait_dscnt 0x1
	v_fmac_f64_e32 v[144:145], v[124:125], v[114:115]
	s_wait_loadcnt 0x0
	s_delay_alu instid0(VALU_DEP_1) | instskip(SKIP_1) | instid1(VALU_DEP_1)
	v_fmac_f64_e32 v[144:145], v[126:127], v[116:117]
	s_wait_dscnt 0x0
	v_fmac_f64_e32 v[144:145], v[128:129], v[118:119]
	s_delay_alu instid0(VALU_DEP_1)
	v_add_f64_e64 v[112:113], v[112:113], -v[144:145]
	scratch_store_b64 off, v[112:113], off offset:272
	s_wait_xcnt 0x0
	v_cmpx_lt_u32_e32 33, v0
	s_cbranch_execz .LBB53_267
; %bb.266:
	scratch_load_b64 v[112:113], off, off offset:264
	v_mov_b64_e32 v[114:115], 0
	scratch_store_b64 off, v[114:115], off offset:264
	s_wait_loadcnt 0x0
	ds_store_b64 v1, v[112:113]
.LBB53_267:
	s_wait_xcnt 0x0
	s_or_b32 exec_lo, exec_lo, s0
	s_wait_storecnt_dscnt 0x0
	s_barrier_signal -1
	s_barrier_wait -1
	s_clause 0x5
	scratch_load_b128 v[112:115], off, off offset:264
	scratch_load_b128 v[116:119], off, off offset:280
	;; [unrolled: 1-line block ×6, first 2 shown]
	ds_load_b128 v[136:139], v2 offset:704
	ds_load_b128 v[140:143], v2 offset:720
	s_mov_b32 s0, exec_lo
	s_wait_loadcnt_dscnt 0x501
	v_fma_f64 v[144:145], v[114:115], v[136:137], 0
	s_wait_loadcnt 0x4
	s_delay_alu instid0(VALU_DEP_1) | instskip(SKIP_4) | instid1(VALU_DEP_1)
	v_fmac_f64_e32 v[144:145], v[116:117], v[138:139]
	scratch_load_b128 v[114:117], off, off offset:360
	s_wait_dscnt 0x0
	v_fmac_f64_e32 v[144:145], v[118:119], v[140:141]
	s_wait_loadcnt 0x4
	v_fmac_f64_e32 v[144:145], v[120:121], v[142:143]
	scratch_load_b128 v[118:121], off, off offset:376
	ds_load_b128 v[136:139], v2 offset:736
	ds_load_b128 v[140:143], v2 offset:752
	s_wait_dscnt 0x1
	v_fmac_f64_e32 v[144:145], v[122:123], v[136:137]
	s_wait_loadcnt 0x4
	s_delay_alu instid0(VALU_DEP_1) | instskip(SKIP_4) | instid1(VALU_DEP_1)
	v_fmac_f64_e32 v[144:145], v[124:125], v[138:139]
	scratch_load_b128 v[122:125], off, off offset:392
	s_wait_dscnt 0x0
	v_fmac_f64_e32 v[144:145], v[126:127], v[140:141]
	s_wait_loadcnt 0x4
	v_fmac_f64_e32 v[144:145], v[128:129], v[142:143]
	scratch_load_b128 v[126:129], off, off offset:408
	ds_load_b128 v[136:139], v2 offset:768
	ds_load_b128 v[140:143], v2 offset:784
	s_wait_dscnt 0x1
	v_fmac_f64_e32 v[144:145], v[130:131], v[136:137]
	s_wait_loadcnt 0x4
	s_delay_alu instid0(VALU_DEP_1)
	v_fmac_f64_e32 v[144:145], v[132:133], v[138:139]
	scratch_load_b64 v[138:139], off, off offset:424
	s_wait_dscnt 0x0
	v_fmac_f64_e32 v[144:145], v[134:135], v[140:141]
	ds_load_b128 v[130:133], v2 offset:800
	ds_load_b128 v[134:137], v2 offset:816
	s_wait_loadcnt 0x4
	v_fmac_f64_e32 v[144:145], v[114:115], v[142:143]
	s_wait_dscnt 0x1
	s_delay_alu instid0(VALU_DEP_1) | instskip(SKIP_1) | instid1(VALU_DEP_1)
	v_fmac_f64_e32 v[144:145], v[116:117], v[130:131]
	s_wait_loadcnt 0x3
	v_fmac_f64_e32 v[144:145], v[118:119], v[132:133]
	s_wait_dscnt 0x0
	s_delay_alu instid0(VALU_DEP_1)
	v_fmac_f64_e32 v[144:145], v[120:121], v[134:135]
	ds_load_b128 v[114:117], v2 offset:832
	ds_load_b128 v[118:121], v2 offset:848
	s_wait_loadcnt 0x2
	v_fmac_f64_e32 v[144:145], v[122:123], v[136:137]
	s_wait_dscnt 0x1
	s_delay_alu instid0(VALU_DEP_1) | instskip(SKIP_1) | instid1(VALU_DEP_1)
	v_fmac_f64_e32 v[144:145], v[124:125], v[114:115]
	s_wait_loadcnt 0x1
	v_fmac_f64_e32 v[144:145], v[126:127], v[116:117]
	s_wait_dscnt 0x0
	s_delay_alu instid0(VALU_DEP_1) | instskip(SKIP_1) | instid1(VALU_DEP_1)
	v_fmac_f64_e32 v[144:145], v[128:129], v[118:119]
	s_wait_loadcnt 0x0
	v_fmac_f64_e32 v[144:145], v[138:139], v[120:121]
	s_delay_alu instid0(VALU_DEP_1)
	v_add_f64_e64 v[2:3], v[112:113], -v[144:145]
	scratch_store_b64 off, v[2:3], off offset:264
	s_wait_xcnt 0x0
	v_cmpx_lt_u32_e32 32, v0
	s_cbranch_execz .LBB53_269
; %bb.268:
	scratch_load_b64 v[2:3], off, off offset:256
	v_mov_b64_e32 v[112:113], 0
	scratch_store_b64 off, v[112:113], off offset:256
	s_wait_loadcnt 0x0
	ds_store_b64 v1, v[2:3]
.LBB53_269:
	s_wait_xcnt 0x0
	s_or_b32 exec_lo, exec_lo, s0
	s_wait_storecnt_dscnt 0x0
	s_barrier_signal -1
	s_barrier_wait -1
	s_clause 0x5
	scratch_load_b128 v[112:115], off, off offset:256
	scratch_load_b128 v[116:119], off, off offset:272
	;; [unrolled: 1-line block ×6, first 2 shown]
	v_mov_b32_e32 v2, 0
	ds_load_2addr_b64 v[136:139], v2 offset0:87 offset1:88
	ds_load_2addr_b64 v[140:143], v2 offset0:89 offset1:90
	s_mov_b32 s0, exec_lo
	s_wait_loadcnt_dscnt 0x501
	v_fma_f64 v[144:145], v[114:115], v[136:137], 0
	s_wait_loadcnt 0x4
	s_delay_alu instid0(VALU_DEP_1) | instskip(SKIP_4) | instid1(VALU_DEP_1)
	v_fmac_f64_e32 v[144:145], v[116:117], v[138:139]
	scratch_load_b128 v[114:117], off, off offset:352
	s_wait_dscnt 0x0
	v_fmac_f64_e32 v[144:145], v[118:119], v[140:141]
	s_wait_loadcnt 0x4
	v_fmac_f64_e32 v[144:145], v[120:121], v[142:143]
	scratch_load_b128 v[118:121], off, off offset:368
	ds_load_2addr_b64 v[136:139], v2 offset0:91 offset1:92
	ds_load_2addr_b64 v[140:143], v2 offset0:93 offset1:94
	s_wait_dscnt 0x1
	v_fmac_f64_e32 v[144:145], v[122:123], v[136:137]
	s_wait_loadcnt 0x4
	s_delay_alu instid0(VALU_DEP_1) | instskip(SKIP_4) | instid1(VALU_DEP_1)
	v_fmac_f64_e32 v[144:145], v[124:125], v[138:139]
	scratch_load_b128 v[122:125], off, off offset:384
	s_wait_dscnt 0x0
	v_fmac_f64_e32 v[144:145], v[126:127], v[140:141]
	s_wait_loadcnt 0x4
	v_fmac_f64_e32 v[144:145], v[128:129], v[142:143]
	scratch_load_b128 v[126:129], off, off offset:400
	ds_load_2addr_b64 v[136:139], v2 offset0:95 offset1:96
	ds_load_2addr_b64 v[140:143], v2 offset0:97 offset1:98
	s_wait_dscnt 0x1
	v_fmac_f64_e32 v[144:145], v[130:131], v[136:137]
	s_wait_loadcnt 0x4
	s_delay_alu instid0(VALU_DEP_1)
	v_fmac_f64_e32 v[144:145], v[132:133], v[138:139]
	scratch_load_b128 v[130:133], off, off offset:416
	s_wait_dscnt 0x0
	v_fmac_f64_e32 v[144:145], v[134:135], v[140:141]
	ds_load_2addr_b64 v[134:137], v2 offset0:99 offset1:100
	ds_load_2addr_b64 v[138:141], v2 offset0:101 offset1:102
	s_wait_loadcnt 0x4
	v_fmac_f64_e32 v[144:145], v[114:115], v[142:143]
	s_wait_dscnt 0x1
	s_delay_alu instid0(VALU_DEP_1) | instskip(SKIP_1) | instid1(VALU_DEP_1)
	v_fmac_f64_e32 v[144:145], v[116:117], v[134:135]
	s_wait_loadcnt 0x3
	v_fmac_f64_e32 v[144:145], v[118:119], v[136:137]
	s_wait_dscnt 0x0
	s_delay_alu instid0(VALU_DEP_1)
	v_fmac_f64_e32 v[144:145], v[120:121], v[138:139]
	ds_load_2addr_b64 v[114:117], v2 offset0:103 offset1:104
	ds_load_2addr_b64 v[118:121], v2 offset0:105 offset1:106
	s_wait_loadcnt 0x2
	v_fmac_f64_e32 v[144:145], v[122:123], v[140:141]
	s_wait_dscnt 0x1
	s_delay_alu instid0(VALU_DEP_1) | instskip(SKIP_4) | instid1(VALU_DEP_1)
	v_fmac_f64_e32 v[144:145], v[124:125], v[114:115]
	ds_load_b64 v[114:115], v2 offset:856
	s_wait_loadcnt 0x1
	v_fmac_f64_e32 v[144:145], v[126:127], v[116:117]
	s_wait_dscnt 0x1
	v_fmac_f64_e32 v[144:145], v[128:129], v[118:119]
	s_wait_loadcnt 0x0
	s_delay_alu instid0(VALU_DEP_1) | instskip(SKIP_1) | instid1(VALU_DEP_1)
	v_fmac_f64_e32 v[144:145], v[130:131], v[120:121]
	s_wait_dscnt 0x0
	v_fmac_f64_e32 v[144:145], v[132:133], v[114:115]
	s_delay_alu instid0(VALU_DEP_1)
	v_add_f64_e64 v[112:113], v[112:113], -v[144:145]
	scratch_store_b64 off, v[112:113], off offset:256
	s_wait_xcnt 0x0
	v_cmpx_lt_u32_e32 31, v0
	s_cbranch_execz .LBB53_271
; %bb.270:
	scratch_load_b64 v[112:113], off, off offset:248
	v_mov_b64_e32 v[114:115], 0
	scratch_store_b64 off, v[114:115], off offset:248
	s_wait_loadcnt 0x0
	ds_store_b64 v1, v[112:113]
.LBB53_271:
	s_wait_xcnt 0x0
	s_or_b32 exec_lo, exec_lo, s0
	s_wait_storecnt_dscnt 0x0
	s_barrier_signal -1
	s_barrier_wait -1
	s_clause 0x5
	scratch_load_b128 v[112:115], off, off offset:248
	scratch_load_b128 v[116:119], off, off offset:264
	;; [unrolled: 1-line block ×6, first 2 shown]
	ds_load_b128 v[136:139], v2 offset:688
	ds_load_b128 v[140:143], v2 offset:704
	scratch_load_b128 v[144:147], off, off offset:344
	s_mov_b32 s0, exec_lo
	s_wait_loadcnt_dscnt 0x601
	v_fma_f64 v[148:149], v[114:115], v[136:137], 0
	s_wait_loadcnt 0x5
	s_delay_alu instid0(VALU_DEP_1) | instskip(SKIP_4) | instid1(VALU_DEP_1)
	v_fmac_f64_e32 v[148:149], v[116:117], v[138:139]
	scratch_load_b128 v[114:117], off, off offset:360
	s_wait_dscnt 0x0
	v_fmac_f64_e32 v[148:149], v[118:119], v[140:141]
	s_wait_loadcnt 0x5
	v_fmac_f64_e32 v[148:149], v[120:121], v[142:143]
	ds_load_b128 v[118:121], v2 offset:720
	ds_load_b128 v[136:139], v2 offset:736
	s_wait_dscnt 0x1
	v_fmac_f64_e32 v[148:149], v[122:123], v[118:119]
	s_wait_loadcnt 0x4
	s_delay_alu instid0(VALU_DEP_1)
	v_fmac_f64_e32 v[148:149], v[124:125], v[120:121]
	s_clause 0x1
	scratch_load_b128 v[118:121], off, off offset:376
	scratch_load_b128 v[122:125], off, off offset:392
	s_wait_dscnt 0x0
	v_fmac_f64_e32 v[148:149], v[126:127], v[136:137]
	s_wait_loadcnt 0x5
	s_delay_alu instid0(VALU_DEP_1)
	v_fmac_f64_e32 v[148:149], v[128:129], v[138:139]
	ds_load_b128 v[126:129], v2 offset:752
	ds_load_b128 v[136:139], v2 offset:768
	s_wait_dscnt 0x1
	v_fmac_f64_e32 v[148:149], v[130:131], v[126:127]
	s_wait_loadcnt 0x4
	s_delay_alu instid0(VALU_DEP_1) | instskip(SKIP_4) | instid1(VALU_DEP_1)
	v_fmac_f64_e32 v[148:149], v[132:133], v[128:129]
	scratch_load_b128 v[126:129], off, off offset:408
	s_wait_dscnt 0x0
	v_fmac_f64_e32 v[148:149], v[134:135], v[136:137]
	s_wait_loadcnt 0x4
	v_fmac_f64_e32 v[148:149], v[144:145], v[138:139]
	scratch_load_b64 v[138:139], off, off offset:424
	ds_load_b128 v[130:133], v2 offset:784
	ds_load_b128 v[134:137], v2 offset:800
	s_wait_dscnt 0x1
	v_fmac_f64_e32 v[148:149], v[146:147], v[130:131]
	s_wait_loadcnt 0x4
	s_delay_alu instid0(VALU_DEP_1) | instskip(SKIP_1) | instid1(VALU_DEP_1)
	v_fmac_f64_e32 v[148:149], v[114:115], v[132:133]
	s_wait_dscnt 0x0
	v_fmac_f64_e32 v[148:149], v[116:117], v[134:135]
	ds_load_b128 v[114:117], v2 offset:816
	ds_load_b128 v[130:133], v2 offset:832
	s_wait_loadcnt 0x3
	v_fmac_f64_e32 v[148:149], v[118:119], v[136:137]
	s_wait_dscnt 0x1
	s_delay_alu instid0(VALU_DEP_1) | instskip(SKIP_1) | instid1(VALU_DEP_1)
	v_fmac_f64_e32 v[148:149], v[120:121], v[114:115]
	s_wait_loadcnt 0x2
	v_fmac_f64_e32 v[148:149], v[122:123], v[116:117]
	ds_load_b128 v[114:117], v2 offset:848
	s_wait_dscnt 0x1
	v_fmac_f64_e32 v[148:149], v[124:125], v[130:131]
	s_wait_loadcnt 0x1
	s_delay_alu instid0(VALU_DEP_1) | instskip(SKIP_1) | instid1(VALU_DEP_1)
	v_fmac_f64_e32 v[148:149], v[126:127], v[132:133]
	s_wait_dscnt 0x0
	v_fmac_f64_e32 v[148:149], v[128:129], v[114:115]
	s_wait_loadcnt 0x0
	s_delay_alu instid0(VALU_DEP_1) | instskip(NEXT) | instid1(VALU_DEP_1)
	v_fmac_f64_e32 v[148:149], v[138:139], v[116:117]
	v_add_f64_e64 v[2:3], v[112:113], -v[148:149]
	scratch_store_b64 off, v[2:3], off offset:248
	s_wait_xcnt 0x0
	v_cmpx_lt_u32_e32 30, v0
	s_cbranch_execz .LBB53_273
; %bb.272:
	scratch_load_b64 v[2:3], off, off offset:240
	v_mov_b64_e32 v[112:113], 0
	scratch_store_b64 off, v[112:113], off offset:240
	s_wait_loadcnt 0x0
	ds_store_b64 v1, v[2:3]
.LBB53_273:
	s_wait_xcnt 0x0
	s_or_b32 exec_lo, exec_lo, s0
	s_wait_storecnt_dscnt 0x0
	s_barrier_signal -1
	s_barrier_wait -1
	s_clause 0x5
	scratch_load_b128 v[112:115], off, off offset:240
	scratch_load_b128 v[116:119], off, off offset:256
	;; [unrolled: 1-line block ×6, first 2 shown]
	v_mov_b32_e32 v2, 0
	ds_load_2addr_b64 v[136:139], v2 offset0:85 offset1:86
	ds_load_2addr_b64 v[140:143], v2 offset0:87 offset1:88
	scratch_load_b128 v[144:147], off, off offset:336
	s_mov_b32 s0, exec_lo
	s_wait_loadcnt_dscnt 0x601
	v_fma_f64 v[148:149], v[114:115], v[136:137], 0
	s_wait_loadcnt 0x5
	s_delay_alu instid0(VALU_DEP_1) | instskip(SKIP_4) | instid1(VALU_DEP_1)
	v_fmac_f64_e32 v[148:149], v[116:117], v[138:139]
	scratch_load_b128 v[114:117], off, off offset:352
	s_wait_dscnt 0x0
	v_fmac_f64_e32 v[148:149], v[118:119], v[140:141]
	s_wait_loadcnt 0x5
	v_fmac_f64_e32 v[148:149], v[120:121], v[142:143]
	ds_load_2addr_b64 v[118:121], v2 offset0:89 offset1:90
	ds_load_2addr_b64 v[136:139], v2 offset0:91 offset1:92
	s_wait_dscnt 0x1
	v_fmac_f64_e32 v[148:149], v[122:123], v[118:119]
	s_wait_loadcnt 0x4
	s_delay_alu instid0(VALU_DEP_1)
	v_fmac_f64_e32 v[148:149], v[124:125], v[120:121]
	s_clause 0x1
	scratch_load_b128 v[118:121], off, off offset:368
	scratch_load_b128 v[122:125], off, off offset:384
	s_wait_dscnt 0x0
	v_fmac_f64_e32 v[148:149], v[126:127], v[136:137]
	s_wait_loadcnt 0x5
	s_delay_alu instid0(VALU_DEP_1)
	v_fmac_f64_e32 v[148:149], v[128:129], v[138:139]
	ds_load_2addr_b64 v[126:129], v2 offset0:93 offset1:94
	ds_load_2addr_b64 v[136:139], v2 offset0:95 offset1:96
	s_wait_dscnt 0x1
	v_fmac_f64_e32 v[148:149], v[130:131], v[126:127]
	s_wait_loadcnt 0x4
	s_delay_alu instid0(VALU_DEP_1)
	v_fmac_f64_e32 v[148:149], v[132:133], v[128:129]
	s_clause 0x1
	scratch_load_b128 v[126:129], off, off offset:400
	scratch_load_b128 v[130:133], off, off offset:416
	s_wait_dscnt 0x0
	v_fmac_f64_e32 v[148:149], v[134:135], v[136:137]
	s_wait_loadcnt 0x5
	s_delay_alu instid0(VALU_DEP_1)
	v_fmac_f64_e32 v[148:149], v[144:145], v[138:139]
	ds_load_2addr_b64 v[134:137], v2 offset0:97 offset1:98
	ds_load_2addr_b64 v[138:141], v2 offset0:99 offset1:100
	s_wait_dscnt 0x1
	v_fmac_f64_e32 v[148:149], v[146:147], v[134:135]
	s_wait_loadcnt 0x4
	s_delay_alu instid0(VALU_DEP_1) | instskip(SKIP_1) | instid1(VALU_DEP_1)
	v_fmac_f64_e32 v[148:149], v[114:115], v[136:137]
	s_wait_dscnt 0x0
	v_fmac_f64_e32 v[148:149], v[116:117], v[138:139]
	ds_load_2addr_b64 v[114:117], v2 offset0:101 offset1:102
	ds_load_2addr_b64 v[134:137], v2 offset0:103 offset1:104
	s_wait_loadcnt 0x3
	v_fmac_f64_e32 v[148:149], v[118:119], v[140:141]
	s_wait_dscnt 0x1
	s_delay_alu instid0(VALU_DEP_1) | instskip(SKIP_1) | instid1(VALU_DEP_1)
	v_fmac_f64_e32 v[148:149], v[120:121], v[114:115]
	s_wait_loadcnt 0x2
	v_fmac_f64_e32 v[148:149], v[122:123], v[116:117]
	ds_load_2addr_b64 v[114:117], v2 offset0:105 offset1:106
	ds_load_b64 v[118:119], v2 offset:856
	s_wait_dscnt 0x2
	v_fmac_f64_e32 v[148:149], v[124:125], v[134:135]
	s_wait_loadcnt 0x1
	s_delay_alu instid0(VALU_DEP_1) | instskip(SKIP_1) | instid1(VALU_DEP_1)
	v_fmac_f64_e32 v[148:149], v[126:127], v[136:137]
	s_wait_dscnt 0x1
	v_fmac_f64_e32 v[148:149], v[128:129], v[114:115]
	s_wait_loadcnt 0x0
	s_delay_alu instid0(VALU_DEP_1) | instskip(SKIP_1) | instid1(VALU_DEP_1)
	v_fmac_f64_e32 v[148:149], v[130:131], v[116:117]
	s_wait_dscnt 0x0
	v_fmac_f64_e32 v[148:149], v[132:133], v[118:119]
	s_delay_alu instid0(VALU_DEP_1)
	v_add_f64_e64 v[112:113], v[112:113], -v[148:149]
	scratch_store_b64 off, v[112:113], off offset:240
	s_wait_xcnt 0x0
	v_cmpx_lt_u32_e32 29, v0
	s_cbranch_execz .LBB53_275
; %bb.274:
	scratch_load_b64 v[112:113], off, off offset:232
	v_mov_b64_e32 v[114:115], 0
	scratch_store_b64 off, v[114:115], off offset:232
	s_wait_loadcnt 0x0
	ds_store_b64 v1, v[112:113]
.LBB53_275:
	s_wait_xcnt 0x0
	s_or_b32 exec_lo, exec_lo, s0
	s_wait_storecnt_dscnt 0x0
	s_barrier_signal -1
	s_barrier_wait -1
	s_clause 0x5
	scratch_load_b128 v[112:115], off, off offset:232
	scratch_load_b128 v[116:119], off, off offset:248
	;; [unrolled: 1-line block ×6, first 2 shown]
	ds_load_b128 v[136:139], v2 offset:672
	ds_load_b128 v[140:143], v2 offset:688
	scratch_load_b128 v[144:147], off, off offset:328
	s_mov_b32 s0, exec_lo
	s_wait_loadcnt_dscnt 0x601
	v_fma_f64 v[148:149], v[114:115], v[136:137], 0
	s_wait_loadcnt 0x5
	s_delay_alu instid0(VALU_DEP_1) | instskip(SKIP_4) | instid1(VALU_DEP_1)
	v_fmac_f64_e32 v[148:149], v[116:117], v[138:139]
	scratch_load_b128 v[114:117], off, off offset:344
	s_wait_dscnt 0x0
	v_fmac_f64_e32 v[148:149], v[118:119], v[140:141]
	s_wait_loadcnt 0x5
	v_fmac_f64_e32 v[148:149], v[120:121], v[142:143]
	ds_load_b128 v[118:121], v2 offset:704
	ds_load_b128 v[136:139], v2 offset:720
	s_wait_dscnt 0x1
	v_fmac_f64_e32 v[148:149], v[122:123], v[118:119]
	s_wait_loadcnt 0x4
	s_delay_alu instid0(VALU_DEP_1)
	v_fmac_f64_e32 v[148:149], v[124:125], v[120:121]
	s_clause 0x1
	scratch_load_b128 v[118:121], off, off offset:360
	scratch_load_b128 v[122:125], off, off offset:376
	s_wait_dscnt 0x0
	v_fmac_f64_e32 v[148:149], v[126:127], v[136:137]
	s_wait_loadcnt 0x5
	s_delay_alu instid0(VALU_DEP_1)
	v_fmac_f64_e32 v[148:149], v[128:129], v[138:139]
	ds_load_b128 v[126:129], v2 offset:736
	ds_load_b128 v[136:139], v2 offset:752
	s_wait_dscnt 0x1
	v_fmac_f64_e32 v[148:149], v[130:131], v[126:127]
	s_wait_loadcnt 0x4
	s_delay_alu instid0(VALU_DEP_1)
	v_fmac_f64_e32 v[148:149], v[132:133], v[128:129]
	s_clause 0x1
	scratch_load_b128 v[126:129], off, off offset:392
	scratch_load_b128 v[130:133], off, off offset:408
	s_wait_dscnt 0x0
	v_fmac_f64_e32 v[148:149], v[134:135], v[136:137]
	s_wait_loadcnt 0x5
	s_delay_alu instid0(VALU_DEP_1)
	v_fmac_f64_e32 v[148:149], v[144:145], v[138:139]
	ds_load_b128 v[134:137], v2 offset:768
	ds_load_b128 v[138:141], v2 offset:784
	scratch_load_b64 v[142:143], off, off offset:424
	s_wait_dscnt 0x1
	v_fmac_f64_e32 v[148:149], v[146:147], v[134:135]
	s_wait_loadcnt 0x5
	s_delay_alu instid0(VALU_DEP_1) | instskip(SKIP_1) | instid1(VALU_DEP_1)
	v_fmac_f64_e32 v[148:149], v[114:115], v[136:137]
	s_wait_dscnt 0x0
	v_fmac_f64_e32 v[148:149], v[116:117], v[138:139]
	ds_load_b128 v[114:117], v2 offset:800
	ds_load_b128 v[134:137], v2 offset:816
	s_wait_loadcnt 0x4
	v_fmac_f64_e32 v[148:149], v[118:119], v[140:141]
	s_wait_dscnt 0x1
	s_delay_alu instid0(VALU_DEP_1) | instskip(SKIP_1) | instid1(VALU_DEP_1)
	v_fmac_f64_e32 v[148:149], v[120:121], v[114:115]
	s_wait_loadcnt 0x3
	v_fmac_f64_e32 v[148:149], v[122:123], v[116:117]
	ds_load_b128 v[114:117], v2 offset:832
	ds_load_b128 v[118:121], v2 offset:848
	s_wait_dscnt 0x2
	v_fmac_f64_e32 v[148:149], v[124:125], v[134:135]
	s_wait_loadcnt 0x2
	s_delay_alu instid0(VALU_DEP_1) | instskip(SKIP_1) | instid1(VALU_DEP_1)
	v_fmac_f64_e32 v[148:149], v[126:127], v[136:137]
	s_wait_dscnt 0x1
	v_fmac_f64_e32 v[148:149], v[128:129], v[114:115]
	s_wait_loadcnt 0x1
	s_delay_alu instid0(VALU_DEP_1) | instskip(SKIP_1) | instid1(VALU_DEP_1)
	v_fmac_f64_e32 v[148:149], v[130:131], v[116:117]
	s_wait_dscnt 0x0
	v_fmac_f64_e32 v[148:149], v[132:133], v[118:119]
	s_wait_loadcnt 0x0
	s_delay_alu instid0(VALU_DEP_1) | instskip(NEXT) | instid1(VALU_DEP_1)
	v_fmac_f64_e32 v[148:149], v[142:143], v[120:121]
	v_add_f64_e64 v[2:3], v[112:113], -v[148:149]
	scratch_store_b64 off, v[2:3], off offset:232
	s_wait_xcnt 0x0
	v_cmpx_lt_u32_e32 28, v0
	s_cbranch_execz .LBB53_277
; %bb.276:
	scratch_load_b64 v[2:3], off, off offset:224
	v_mov_b64_e32 v[112:113], 0
	scratch_store_b64 off, v[112:113], off offset:224
	s_wait_loadcnt 0x0
	ds_store_b64 v1, v[2:3]
.LBB53_277:
	s_wait_xcnt 0x0
	s_or_b32 exec_lo, exec_lo, s0
	s_wait_storecnt_dscnt 0x0
	s_barrier_signal -1
	s_barrier_wait -1
	s_clause 0x5
	scratch_load_b128 v[112:115], off, off offset:224
	scratch_load_b128 v[116:119], off, off offset:240
	;; [unrolled: 1-line block ×6, first 2 shown]
	v_mov_b32_e32 v2, 0
	ds_load_2addr_b64 v[136:139], v2 offset0:83 offset1:84
	ds_load_2addr_b64 v[140:143], v2 offset0:85 offset1:86
	scratch_load_b128 v[144:147], off, off offset:320
	s_mov_b32 s0, exec_lo
	s_wait_loadcnt_dscnt 0x601
	v_fma_f64 v[148:149], v[114:115], v[136:137], 0
	s_wait_loadcnt 0x5
	s_delay_alu instid0(VALU_DEP_1) | instskip(SKIP_4) | instid1(VALU_DEP_1)
	v_fmac_f64_e32 v[148:149], v[116:117], v[138:139]
	scratch_load_b128 v[114:117], off, off offset:336
	s_wait_dscnt 0x0
	v_fmac_f64_e32 v[148:149], v[118:119], v[140:141]
	s_wait_loadcnt 0x5
	v_fmac_f64_e32 v[148:149], v[120:121], v[142:143]
	ds_load_2addr_b64 v[118:121], v2 offset0:87 offset1:88
	ds_load_2addr_b64 v[136:139], v2 offset0:89 offset1:90
	s_wait_dscnt 0x1
	v_fmac_f64_e32 v[148:149], v[122:123], v[118:119]
	s_wait_loadcnt 0x4
	s_delay_alu instid0(VALU_DEP_1)
	v_fmac_f64_e32 v[148:149], v[124:125], v[120:121]
	s_clause 0x1
	scratch_load_b128 v[118:121], off, off offset:352
	scratch_load_b128 v[122:125], off, off offset:368
	s_wait_dscnt 0x0
	v_fmac_f64_e32 v[148:149], v[126:127], v[136:137]
	s_wait_loadcnt 0x5
	s_delay_alu instid0(VALU_DEP_1)
	v_fmac_f64_e32 v[148:149], v[128:129], v[138:139]
	ds_load_2addr_b64 v[126:129], v2 offset0:91 offset1:92
	ds_load_2addr_b64 v[136:139], v2 offset0:93 offset1:94
	s_wait_dscnt 0x1
	v_fmac_f64_e32 v[148:149], v[130:131], v[126:127]
	s_wait_loadcnt 0x4
	s_delay_alu instid0(VALU_DEP_1)
	v_fmac_f64_e32 v[148:149], v[132:133], v[128:129]
	s_clause 0x1
	scratch_load_b128 v[126:129], off, off offset:384
	scratch_load_b128 v[130:133], off, off offset:400
	s_wait_dscnt 0x0
	v_fmac_f64_e32 v[148:149], v[134:135], v[136:137]
	s_wait_loadcnt 0x5
	s_delay_alu instid0(VALU_DEP_1)
	v_fmac_f64_e32 v[148:149], v[144:145], v[138:139]
	ds_load_2addr_b64 v[134:137], v2 offset0:95 offset1:96
	ds_load_2addr_b64 v[138:141], v2 offset0:97 offset1:98
	s_wait_dscnt 0x1
	v_fmac_f64_e32 v[148:149], v[146:147], v[134:135]
	s_wait_loadcnt 0x4
	s_delay_alu instid0(VALU_DEP_1) | instskip(SKIP_4) | instid1(VALU_DEP_1)
	v_fmac_f64_e32 v[148:149], v[114:115], v[136:137]
	scratch_load_b128 v[134:137], off, off offset:416
	s_wait_dscnt 0x0
	v_fmac_f64_e32 v[148:149], v[116:117], v[138:139]
	s_wait_loadcnt 0x4
	v_fmac_f64_e32 v[148:149], v[118:119], v[140:141]
	ds_load_2addr_b64 v[114:117], v2 offset0:99 offset1:100
	ds_load_2addr_b64 v[138:141], v2 offset0:101 offset1:102
	s_wait_dscnt 0x1
	v_fmac_f64_e32 v[148:149], v[120:121], v[114:115]
	s_wait_loadcnt 0x3
	s_delay_alu instid0(VALU_DEP_1)
	v_fmac_f64_e32 v[148:149], v[122:123], v[116:117]
	ds_load_2addr_b64 v[114:117], v2 offset0:103 offset1:104
	ds_load_2addr_b64 v[118:121], v2 offset0:105 offset1:106
	s_wait_dscnt 0x2
	v_fmac_f64_e32 v[148:149], v[124:125], v[138:139]
	s_wait_loadcnt 0x2
	s_delay_alu instid0(VALU_DEP_1) | instskip(SKIP_1) | instid1(VALU_DEP_1)
	v_fmac_f64_e32 v[148:149], v[126:127], v[140:141]
	s_wait_dscnt 0x1
	v_fmac_f64_e32 v[148:149], v[128:129], v[114:115]
	ds_load_b64 v[114:115], v2 offset:856
	s_wait_loadcnt 0x1
	v_fmac_f64_e32 v[148:149], v[130:131], v[116:117]
	s_wait_dscnt 0x1
	s_delay_alu instid0(VALU_DEP_1) | instskip(SKIP_1) | instid1(VALU_DEP_1)
	v_fmac_f64_e32 v[148:149], v[132:133], v[118:119]
	s_wait_loadcnt 0x0
	v_fmac_f64_e32 v[148:149], v[134:135], v[120:121]
	s_wait_dscnt 0x0
	s_delay_alu instid0(VALU_DEP_1) | instskip(NEXT) | instid1(VALU_DEP_1)
	v_fmac_f64_e32 v[148:149], v[136:137], v[114:115]
	v_add_f64_e64 v[112:113], v[112:113], -v[148:149]
	scratch_store_b64 off, v[112:113], off offset:224
	s_wait_xcnt 0x0
	v_cmpx_lt_u32_e32 27, v0
	s_cbranch_execz .LBB53_279
; %bb.278:
	scratch_load_b64 v[112:113], off, off offset:216
	v_mov_b64_e32 v[114:115], 0
	scratch_store_b64 off, v[114:115], off offset:216
	s_wait_loadcnt 0x0
	ds_store_b64 v1, v[112:113]
.LBB53_279:
	s_wait_xcnt 0x0
	s_or_b32 exec_lo, exec_lo, s0
	s_wait_storecnt_dscnt 0x0
	s_barrier_signal -1
	s_barrier_wait -1
	s_clause 0x5
	scratch_load_b128 v[112:115], off, off offset:216
	scratch_load_b128 v[116:119], off, off offset:232
	;; [unrolled: 1-line block ×6, first 2 shown]
	ds_load_b128 v[136:139], v2 offset:656
	ds_load_b128 v[140:143], v2 offset:672
	scratch_load_b128 v[144:147], off, off offset:312
	s_mov_b32 s0, exec_lo
	s_wait_loadcnt_dscnt 0x601
	v_fma_f64 v[148:149], v[114:115], v[136:137], 0
	s_wait_loadcnt 0x5
	s_delay_alu instid0(VALU_DEP_1) | instskip(SKIP_4) | instid1(VALU_DEP_1)
	v_fmac_f64_e32 v[148:149], v[116:117], v[138:139]
	scratch_load_b128 v[114:117], off, off offset:328
	s_wait_dscnt 0x0
	v_fmac_f64_e32 v[148:149], v[118:119], v[140:141]
	s_wait_loadcnt 0x5
	v_fmac_f64_e32 v[148:149], v[120:121], v[142:143]
	ds_load_b128 v[118:121], v2 offset:688
	ds_load_b128 v[136:139], v2 offset:704
	scratch_load_b128 v[140:143], off, off offset:344
	s_wait_dscnt 0x1
	v_fmac_f64_e32 v[148:149], v[122:123], v[118:119]
	s_wait_loadcnt 0x5
	s_delay_alu instid0(VALU_DEP_1) | instskip(SKIP_4) | instid1(VALU_DEP_1)
	v_fmac_f64_e32 v[148:149], v[124:125], v[120:121]
	scratch_load_b128 v[118:121], off, off offset:360
	s_wait_dscnt 0x0
	v_fmac_f64_e32 v[148:149], v[126:127], v[136:137]
	s_wait_loadcnt 0x5
	v_fmac_f64_e32 v[148:149], v[128:129], v[138:139]
	ds_load_b128 v[122:125], v2 offset:720
	ds_load_b128 v[126:129], v2 offset:736
	s_wait_dscnt 0x1
	v_fmac_f64_e32 v[148:149], v[130:131], v[122:123]
	s_wait_loadcnt 0x4
	s_delay_alu instid0(VALU_DEP_1) | instskip(SKIP_4) | instid1(VALU_DEP_1)
	v_fmac_f64_e32 v[148:149], v[132:133], v[124:125]
	scratch_load_b128 v[122:125], off, off offset:376
	s_wait_dscnt 0x0
	v_fmac_f64_e32 v[148:149], v[134:135], v[126:127]
	s_wait_loadcnt 0x4
	v_fmac_f64_e32 v[148:149], v[144:145], v[128:129]
	scratch_load_b128 v[126:129], off, off offset:392
	ds_load_b128 v[130:133], v2 offset:752
	ds_load_b128 v[134:137], v2 offset:768
	scratch_load_b64 v[138:139], off, off offset:424
	s_wait_dscnt 0x1
	v_fmac_f64_e32 v[148:149], v[146:147], v[130:131]
	s_wait_loadcnt 0x5
	s_delay_alu instid0(VALU_DEP_1) | instskip(SKIP_4) | instid1(VALU_DEP_1)
	v_fmac_f64_e32 v[148:149], v[114:115], v[132:133]
	scratch_load_b128 v[130:133], off, off offset:408
	s_wait_dscnt 0x0
	v_fmac_f64_e32 v[148:149], v[116:117], v[134:135]
	s_wait_loadcnt 0x5
	v_fmac_f64_e32 v[148:149], v[140:141], v[136:137]
	ds_load_b128 v[114:117], v2 offset:784
	ds_load_b128 v[134:137], v2 offset:800
	s_wait_dscnt 0x1
	v_fmac_f64_e32 v[148:149], v[142:143], v[114:115]
	s_wait_loadcnt 0x4
	s_delay_alu instid0(VALU_DEP_1) | instskip(SKIP_1) | instid1(VALU_DEP_1)
	v_fmac_f64_e32 v[148:149], v[118:119], v[116:117]
	s_wait_dscnt 0x0
	v_fmac_f64_e32 v[148:149], v[120:121], v[134:135]
	ds_load_b128 v[114:117], v2 offset:816
	ds_load_b128 v[118:121], v2 offset:832
	s_wait_loadcnt 0x3
	v_fmac_f64_e32 v[148:149], v[122:123], v[136:137]
	s_wait_dscnt 0x1
	s_delay_alu instid0(VALU_DEP_1) | instskip(SKIP_1) | instid1(VALU_DEP_1)
	v_fmac_f64_e32 v[148:149], v[124:125], v[114:115]
	s_wait_loadcnt 0x2
	v_fmac_f64_e32 v[148:149], v[126:127], v[116:117]
	ds_load_b128 v[114:117], v2 offset:848
	s_wait_dscnt 0x1
	v_fmac_f64_e32 v[148:149], v[128:129], v[118:119]
	s_wait_loadcnt 0x0
	s_delay_alu instid0(VALU_DEP_1) | instskip(SKIP_1) | instid1(VALU_DEP_1)
	v_fmac_f64_e32 v[148:149], v[130:131], v[120:121]
	s_wait_dscnt 0x0
	v_fmac_f64_e32 v[148:149], v[132:133], v[114:115]
	s_delay_alu instid0(VALU_DEP_1) | instskip(NEXT) | instid1(VALU_DEP_1)
	v_fmac_f64_e32 v[148:149], v[138:139], v[116:117]
	v_add_f64_e64 v[2:3], v[112:113], -v[148:149]
	scratch_store_b64 off, v[2:3], off offset:216
	s_wait_xcnt 0x0
	v_cmpx_lt_u32_e32 26, v0
	s_cbranch_execz .LBB53_281
; %bb.280:
	scratch_load_b64 v[2:3], off, off offset:208
	v_mov_b64_e32 v[112:113], 0
	scratch_store_b64 off, v[112:113], off offset:208
	s_wait_loadcnt 0x0
	ds_store_b64 v1, v[2:3]
.LBB53_281:
	s_wait_xcnt 0x0
	s_or_b32 exec_lo, exec_lo, s0
	s_wait_storecnt_dscnt 0x0
	s_barrier_signal -1
	s_barrier_wait -1
	s_clause 0x5
	scratch_load_b128 v[112:115], off, off offset:208
	scratch_load_b128 v[116:119], off, off offset:224
	;; [unrolled: 1-line block ×6, first 2 shown]
	v_mov_b32_e32 v2, 0
	ds_load_2addr_b64 v[136:139], v2 offset0:81 offset1:82
	ds_load_2addr_b64 v[140:143], v2 offset0:83 offset1:84
	scratch_load_b128 v[144:147], off, off offset:304
	s_mov_b32 s0, exec_lo
	s_wait_loadcnt_dscnt 0x601
	v_fma_f64 v[148:149], v[114:115], v[136:137], 0
	s_wait_loadcnt 0x5
	s_delay_alu instid0(VALU_DEP_1) | instskip(SKIP_4) | instid1(VALU_DEP_1)
	v_fmac_f64_e32 v[148:149], v[116:117], v[138:139]
	scratch_load_b128 v[114:117], off, off offset:320
	s_wait_dscnt 0x0
	v_fmac_f64_e32 v[148:149], v[118:119], v[140:141]
	s_wait_loadcnt 0x5
	v_fmac_f64_e32 v[148:149], v[120:121], v[142:143]
	ds_load_2addr_b64 v[118:121], v2 offset0:85 offset1:86
	ds_load_2addr_b64 v[136:139], v2 offset0:87 offset1:88
	scratch_load_b128 v[140:143], off, off offset:336
	s_wait_dscnt 0x1
	v_fmac_f64_e32 v[148:149], v[122:123], v[118:119]
	s_wait_loadcnt 0x5
	s_delay_alu instid0(VALU_DEP_1) | instskip(SKIP_4) | instid1(VALU_DEP_1)
	v_fmac_f64_e32 v[148:149], v[124:125], v[120:121]
	scratch_load_b128 v[118:121], off, off offset:352
	s_wait_dscnt 0x0
	v_fmac_f64_e32 v[148:149], v[126:127], v[136:137]
	s_wait_loadcnt 0x5
	v_fmac_f64_e32 v[148:149], v[128:129], v[138:139]
	ds_load_2addr_b64 v[122:125], v2 offset0:89 offset1:90
	ds_load_2addr_b64 v[126:129], v2 offset0:91 offset1:92
	s_wait_dscnt 0x1
	v_fmac_f64_e32 v[148:149], v[130:131], v[122:123]
	s_wait_loadcnt 0x4
	s_delay_alu instid0(VALU_DEP_1) | instskip(SKIP_4) | instid1(VALU_DEP_1)
	v_fmac_f64_e32 v[148:149], v[132:133], v[124:125]
	scratch_load_b128 v[122:125], off, off offset:368
	s_wait_dscnt 0x0
	v_fmac_f64_e32 v[148:149], v[134:135], v[126:127]
	s_wait_loadcnt 0x4
	v_fmac_f64_e32 v[148:149], v[144:145], v[128:129]
	scratch_load_b128 v[126:129], off, off offset:384
	ds_load_2addr_b64 v[130:133], v2 offset0:93 offset1:94
	ds_load_2addr_b64 v[134:137], v2 offset0:95 offset1:96
	s_wait_dscnt 0x1
	v_fmac_f64_e32 v[148:149], v[146:147], v[130:131]
	s_wait_loadcnt 0x4
	s_delay_alu instid0(VALU_DEP_1)
	v_fmac_f64_e32 v[148:149], v[114:115], v[132:133]
	scratch_load_b128 v[130:133], off, off offset:400
	s_wait_dscnt 0x0
	v_fmac_f64_e32 v[148:149], v[116:117], v[134:135]
	scratch_load_b128 v[114:117], off, off offset:416
	s_wait_loadcnt 0x5
	v_fmac_f64_e32 v[148:149], v[140:141], v[136:137]
	ds_load_2addr_b64 v[134:137], v2 offset0:97 offset1:98
	ds_load_2addr_b64 v[138:141], v2 offset0:99 offset1:100
	s_wait_dscnt 0x1
	v_fmac_f64_e32 v[148:149], v[142:143], v[134:135]
	s_wait_loadcnt 0x4
	s_delay_alu instid0(VALU_DEP_1) | instskip(SKIP_1) | instid1(VALU_DEP_1)
	v_fmac_f64_e32 v[148:149], v[118:119], v[136:137]
	s_wait_dscnt 0x0
	v_fmac_f64_e32 v[148:149], v[120:121], v[138:139]
	ds_load_2addr_b64 v[118:121], v2 offset0:101 offset1:102
	ds_load_2addr_b64 v[134:137], v2 offset0:103 offset1:104
	s_wait_loadcnt 0x3
	v_fmac_f64_e32 v[148:149], v[122:123], v[140:141]
	s_wait_dscnt 0x1
	s_delay_alu instid0(VALU_DEP_1) | instskip(SKIP_1) | instid1(VALU_DEP_1)
	v_fmac_f64_e32 v[148:149], v[124:125], v[118:119]
	s_wait_loadcnt 0x2
	v_fmac_f64_e32 v[148:149], v[126:127], v[120:121]
	ds_load_2addr_b64 v[118:121], v2 offset0:105 offset1:106
	ds_load_b64 v[122:123], v2 offset:856
	s_wait_dscnt 0x2
	v_fmac_f64_e32 v[148:149], v[128:129], v[134:135]
	s_wait_loadcnt 0x1
	s_delay_alu instid0(VALU_DEP_1) | instskip(SKIP_1) | instid1(VALU_DEP_1)
	v_fmac_f64_e32 v[148:149], v[130:131], v[136:137]
	s_wait_dscnt 0x1
	v_fmac_f64_e32 v[148:149], v[132:133], v[118:119]
	s_wait_loadcnt 0x0
	s_delay_alu instid0(VALU_DEP_1) | instskip(SKIP_1) | instid1(VALU_DEP_1)
	v_fmac_f64_e32 v[148:149], v[114:115], v[120:121]
	s_wait_dscnt 0x0
	v_fmac_f64_e32 v[148:149], v[116:117], v[122:123]
	s_delay_alu instid0(VALU_DEP_1)
	v_add_f64_e64 v[112:113], v[112:113], -v[148:149]
	scratch_store_b64 off, v[112:113], off offset:208
	s_wait_xcnt 0x0
	v_cmpx_lt_u32_e32 25, v0
	s_cbranch_execz .LBB53_283
; %bb.282:
	scratch_load_b64 v[112:113], off, off offset:200
	v_mov_b64_e32 v[114:115], 0
	scratch_store_b64 off, v[114:115], off offset:200
	s_wait_loadcnt 0x0
	ds_store_b64 v1, v[112:113]
.LBB53_283:
	s_wait_xcnt 0x0
	s_or_b32 exec_lo, exec_lo, s0
	s_wait_storecnt_dscnt 0x0
	s_barrier_signal -1
	s_barrier_wait -1
	s_clause 0x5
	scratch_load_b128 v[112:115], off, off offset:200
	scratch_load_b128 v[116:119], off, off offset:216
	;; [unrolled: 1-line block ×6, first 2 shown]
	ds_load_b128 v[136:139], v2 offset:640
	ds_load_b128 v[140:143], v2 offset:656
	scratch_load_b128 v[144:147], off, off offset:296
	s_mov_b32 s0, exec_lo
	s_wait_loadcnt_dscnt 0x601
	v_fma_f64 v[148:149], v[114:115], v[136:137], 0
	s_wait_loadcnt 0x5
	s_delay_alu instid0(VALU_DEP_1) | instskip(SKIP_4) | instid1(VALU_DEP_1)
	v_fmac_f64_e32 v[148:149], v[116:117], v[138:139]
	scratch_load_b128 v[114:117], off, off offset:312
	s_wait_dscnt 0x0
	v_fmac_f64_e32 v[148:149], v[118:119], v[140:141]
	s_wait_loadcnt 0x5
	v_fmac_f64_e32 v[148:149], v[120:121], v[142:143]
	ds_load_b128 v[118:121], v2 offset:672
	ds_load_b128 v[136:139], v2 offset:688
	scratch_load_b128 v[140:143], off, off offset:328
	s_wait_dscnt 0x1
	v_fmac_f64_e32 v[148:149], v[122:123], v[118:119]
	s_wait_loadcnt 0x5
	s_delay_alu instid0(VALU_DEP_1) | instskip(SKIP_4) | instid1(VALU_DEP_1)
	v_fmac_f64_e32 v[148:149], v[124:125], v[120:121]
	scratch_load_b128 v[118:121], off, off offset:344
	s_wait_dscnt 0x0
	v_fmac_f64_e32 v[148:149], v[126:127], v[136:137]
	s_wait_loadcnt 0x5
	v_fmac_f64_e32 v[148:149], v[128:129], v[138:139]
	ds_load_b128 v[122:125], v2 offset:704
	ds_load_b128 v[126:129], v2 offset:720
	s_wait_dscnt 0x1
	v_fmac_f64_e32 v[148:149], v[130:131], v[122:123]
	s_wait_loadcnt 0x4
	s_delay_alu instid0(VALU_DEP_1) | instskip(SKIP_4) | instid1(VALU_DEP_1)
	v_fmac_f64_e32 v[148:149], v[132:133], v[124:125]
	scratch_load_b128 v[122:125], off, off offset:360
	s_wait_dscnt 0x0
	v_fmac_f64_e32 v[148:149], v[134:135], v[126:127]
	s_wait_loadcnt 0x4
	v_fmac_f64_e32 v[148:149], v[144:145], v[128:129]
	scratch_load_b128 v[126:129], off, off offset:376
	ds_load_b128 v[130:133], v2 offset:736
	ds_load_b128 v[134:137], v2 offset:752
	s_wait_dscnt 0x1
	v_fmac_f64_e32 v[148:149], v[146:147], v[130:131]
	s_wait_loadcnt 0x4
	s_delay_alu instid0(VALU_DEP_1)
	v_fmac_f64_e32 v[148:149], v[114:115], v[132:133]
	scratch_load_b128 v[130:133], off, off offset:392
	s_wait_dscnt 0x0
	v_fmac_f64_e32 v[148:149], v[116:117], v[134:135]
	scratch_load_b128 v[114:117], off, off offset:408
	s_wait_loadcnt 0x5
	v_fmac_f64_e32 v[148:149], v[140:141], v[136:137]
	ds_load_b128 v[134:137], v2 offset:768
	ds_load_b128 v[138:141], v2 offset:784
	s_wait_dscnt 0x1
	v_fmac_f64_e32 v[148:149], v[142:143], v[134:135]
	scratch_load_b64 v[142:143], off, off offset:424
	s_wait_loadcnt 0x5
	v_fmac_f64_e32 v[148:149], v[118:119], v[136:137]
	s_wait_dscnt 0x0
	s_delay_alu instid0(VALU_DEP_1)
	v_fmac_f64_e32 v[148:149], v[120:121], v[138:139]
	ds_load_b128 v[118:121], v2 offset:800
	ds_load_b128 v[134:137], v2 offset:816
	s_wait_loadcnt 0x4
	v_fmac_f64_e32 v[148:149], v[122:123], v[140:141]
	s_wait_dscnt 0x1
	s_delay_alu instid0(VALU_DEP_1) | instskip(SKIP_1) | instid1(VALU_DEP_1)
	v_fmac_f64_e32 v[148:149], v[124:125], v[118:119]
	s_wait_loadcnt 0x3
	v_fmac_f64_e32 v[148:149], v[126:127], v[120:121]
	ds_load_b128 v[118:121], v2 offset:832
	ds_load_b128 v[122:125], v2 offset:848
	s_wait_dscnt 0x2
	v_fmac_f64_e32 v[148:149], v[128:129], v[134:135]
	s_wait_loadcnt 0x2
	s_delay_alu instid0(VALU_DEP_1) | instskip(SKIP_1) | instid1(VALU_DEP_1)
	v_fmac_f64_e32 v[148:149], v[130:131], v[136:137]
	s_wait_dscnt 0x1
	v_fmac_f64_e32 v[148:149], v[132:133], v[118:119]
	s_wait_loadcnt 0x1
	s_delay_alu instid0(VALU_DEP_1) | instskip(SKIP_1) | instid1(VALU_DEP_1)
	v_fmac_f64_e32 v[148:149], v[114:115], v[120:121]
	s_wait_dscnt 0x0
	v_fmac_f64_e32 v[148:149], v[116:117], v[122:123]
	s_wait_loadcnt 0x0
	s_delay_alu instid0(VALU_DEP_1) | instskip(NEXT) | instid1(VALU_DEP_1)
	v_fmac_f64_e32 v[148:149], v[142:143], v[124:125]
	v_add_f64_e64 v[2:3], v[112:113], -v[148:149]
	scratch_store_b64 off, v[2:3], off offset:200
	s_wait_xcnt 0x0
	v_cmpx_lt_u32_e32 24, v0
	s_cbranch_execz .LBB53_285
; %bb.284:
	scratch_load_b64 v[2:3], off, off offset:192
	v_mov_b64_e32 v[112:113], 0
	scratch_store_b64 off, v[112:113], off offset:192
	s_wait_loadcnt 0x0
	ds_store_b64 v1, v[2:3]
.LBB53_285:
	s_wait_xcnt 0x0
	s_or_b32 exec_lo, exec_lo, s0
	s_wait_storecnt_dscnt 0x0
	s_barrier_signal -1
	s_barrier_wait -1
	s_clause 0x5
	scratch_load_b128 v[112:115], off, off offset:192
	scratch_load_b128 v[116:119], off, off offset:208
	;; [unrolled: 1-line block ×6, first 2 shown]
	v_mov_b32_e32 v2, 0
	ds_load_2addr_b64 v[136:139], v2 offset0:79 offset1:80
	ds_load_2addr_b64 v[140:143], v2 offset0:81 offset1:82
	scratch_load_b128 v[144:147], off, off offset:288
	s_mov_b32 s0, exec_lo
	s_wait_loadcnt_dscnt 0x601
	v_fma_f64 v[148:149], v[114:115], v[136:137], 0
	s_wait_loadcnt 0x5
	s_delay_alu instid0(VALU_DEP_1) | instskip(SKIP_4) | instid1(VALU_DEP_1)
	v_fmac_f64_e32 v[148:149], v[116:117], v[138:139]
	scratch_load_b128 v[114:117], off, off offset:304
	s_wait_dscnt 0x0
	v_fmac_f64_e32 v[148:149], v[118:119], v[140:141]
	s_wait_loadcnt 0x5
	v_fmac_f64_e32 v[148:149], v[120:121], v[142:143]
	ds_load_2addr_b64 v[118:121], v2 offset0:83 offset1:84
	ds_load_2addr_b64 v[136:139], v2 offset0:85 offset1:86
	scratch_load_b128 v[140:143], off, off offset:320
	s_wait_dscnt 0x1
	v_fmac_f64_e32 v[148:149], v[122:123], v[118:119]
	s_wait_loadcnt 0x5
	s_delay_alu instid0(VALU_DEP_1) | instskip(SKIP_4) | instid1(VALU_DEP_1)
	v_fmac_f64_e32 v[148:149], v[124:125], v[120:121]
	scratch_load_b128 v[118:121], off, off offset:336
	s_wait_dscnt 0x0
	v_fmac_f64_e32 v[148:149], v[126:127], v[136:137]
	s_wait_loadcnt 0x5
	v_fmac_f64_e32 v[148:149], v[128:129], v[138:139]
	ds_load_2addr_b64 v[122:125], v2 offset0:87 offset1:88
	ds_load_2addr_b64 v[126:129], v2 offset0:89 offset1:90
	s_wait_dscnt 0x1
	v_fmac_f64_e32 v[148:149], v[130:131], v[122:123]
	s_wait_loadcnt 0x4
	s_delay_alu instid0(VALU_DEP_1) | instskip(SKIP_4) | instid1(VALU_DEP_1)
	v_fmac_f64_e32 v[148:149], v[132:133], v[124:125]
	scratch_load_b128 v[122:125], off, off offset:352
	s_wait_dscnt 0x0
	v_fmac_f64_e32 v[148:149], v[134:135], v[126:127]
	s_wait_loadcnt 0x4
	v_fmac_f64_e32 v[148:149], v[144:145], v[128:129]
	scratch_load_b128 v[126:129], off, off offset:368
	ds_load_2addr_b64 v[130:133], v2 offset0:91 offset1:92
	ds_load_2addr_b64 v[134:137], v2 offset0:93 offset1:94
	s_wait_dscnt 0x1
	v_fmac_f64_e32 v[148:149], v[146:147], v[130:131]
	s_wait_loadcnt 0x4
	s_delay_alu instid0(VALU_DEP_1)
	v_fmac_f64_e32 v[148:149], v[114:115], v[132:133]
	scratch_load_b128 v[130:133], off, off offset:384
	s_wait_dscnt 0x0
	v_fmac_f64_e32 v[148:149], v[116:117], v[134:135]
	scratch_load_b128 v[114:117], off, off offset:400
	s_wait_loadcnt 0x5
	v_fmac_f64_e32 v[148:149], v[140:141], v[136:137]
	ds_load_2addr_b64 v[134:137], v2 offset0:95 offset1:96
	ds_load_2addr_b64 v[138:141], v2 offset0:97 offset1:98
	s_wait_dscnt 0x1
	v_fmac_f64_e32 v[148:149], v[142:143], v[134:135]
	s_wait_loadcnt 0x4
	s_delay_alu instid0(VALU_DEP_1) | instskip(SKIP_4) | instid1(VALU_DEP_1)
	v_fmac_f64_e32 v[148:149], v[118:119], v[136:137]
	scratch_load_b128 v[134:137], off, off offset:416
	s_wait_dscnt 0x0
	v_fmac_f64_e32 v[148:149], v[120:121], v[138:139]
	s_wait_loadcnt 0x4
	v_fmac_f64_e32 v[148:149], v[122:123], v[140:141]
	ds_load_2addr_b64 v[118:121], v2 offset0:99 offset1:100
	ds_load_2addr_b64 v[138:141], v2 offset0:101 offset1:102
	s_wait_dscnt 0x1
	v_fmac_f64_e32 v[148:149], v[124:125], v[118:119]
	s_wait_loadcnt 0x3
	s_delay_alu instid0(VALU_DEP_1)
	v_fmac_f64_e32 v[148:149], v[126:127], v[120:121]
	ds_load_2addr_b64 v[118:121], v2 offset0:103 offset1:104
	ds_load_2addr_b64 v[122:125], v2 offset0:105 offset1:106
	s_wait_dscnt 0x2
	v_fmac_f64_e32 v[148:149], v[128:129], v[138:139]
	s_wait_loadcnt 0x2
	s_delay_alu instid0(VALU_DEP_1) | instskip(SKIP_1) | instid1(VALU_DEP_1)
	v_fmac_f64_e32 v[148:149], v[130:131], v[140:141]
	s_wait_dscnt 0x1
	v_fmac_f64_e32 v[148:149], v[132:133], v[118:119]
	s_wait_loadcnt 0x1
	s_delay_alu instid0(VALU_DEP_1) | instskip(SKIP_4) | instid1(VALU_DEP_1)
	v_fmac_f64_e32 v[148:149], v[114:115], v[120:121]
	ds_load_b64 v[114:115], v2 offset:856
	s_wait_dscnt 0x1
	v_fmac_f64_e32 v[148:149], v[116:117], v[122:123]
	s_wait_loadcnt 0x0
	v_fmac_f64_e32 v[148:149], v[134:135], v[124:125]
	s_wait_dscnt 0x0
	s_delay_alu instid0(VALU_DEP_1) | instskip(NEXT) | instid1(VALU_DEP_1)
	v_fmac_f64_e32 v[148:149], v[136:137], v[114:115]
	v_add_f64_e64 v[112:113], v[112:113], -v[148:149]
	scratch_store_b64 off, v[112:113], off offset:192
	s_wait_xcnt 0x0
	v_cmpx_lt_u32_e32 23, v0
	s_cbranch_execz .LBB53_287
; %bb.286:
	scratch_load_b64 v[112:113], off, off offset:184
	v_mov_b64_e32 v[114:115], 0
	scratch_store_b64 off, v[114:115], off offset:184
	s_wait_loadcnt 0x0
	ds_store_b64 v1, v[112:113]
.LBB53_287:
	s_wait_xcnt 0x0
	s_or_b32 exec_lo, exec_lo, s0
	s_wait_storecnt_dscnt 0x0
	s_barrier_signal -1
	s_barrier_wait -1
	s_clause 0x5
	scratch_load_b128 v[112:115], off, off offset:184
	scratch_load_b128 v[116:119], off, off offset:200
	;; [unrolled: 1-line block ×6, first 2 shown]
	ds_load_b128 v[136:139], v2 offset:624
	ds_load_b128 v[140:143], v2 offset:640
	scratch_load_b128 v[144:147], off, off offset:280
	s_mov_b32 s0, exec_lo
	s_wait_loadcnt_dscnt 0x601
	v_fma_f64 v[148:149], v[114:115], v[136:137], 0
	s_wait_loadcnt 0x5
	s_delay_alu instid0(VALU_DEP_1) | instskip(SKIP_4) | instid1(VALU_DEP_1)
	v_fmac_f64_e32 v[148:149], v[116:117], v[138:139]
	scratch_load_b128 v[114:117], off, off offset:296
	s_wait_dscnt 0x0
	v_fmac_f64_e32 v[148:149], v[118:119], v[140:141]
	s_wait_loadcnt 0x5
	v_fmac_f64_e32 v[148:149], v[120:121], v[142:143]
	ds_load_b128 v[118:121], v2 offset:656
	ds_load_b128 v[136:139], v2 offset:672
	scratch_load_b128 v[140:143], off, off offset:312
	s_wait_dscnt 0x1
	v_fmac_f64_e32 v[148:149], v[122:123], v[118:119]
	s_wait_loadcnt 0x5
	s_delay_alu instid0(VALU_DEP_1) | instskip(SKIP_4) | instid1(VALU_DEP_1)
	v_fmac_f64_e32 v[148:149], v[124:125], v[120:121]
	scratch_load_b128 v[118:121], off, off offset:328
	s_wait_dscnt 0x0
	v_fmac_f64_e32 v[148:149], v[126:127], v[136:137]
	s_wait_loadcnt 0x5
	v_fmac_f64_e32 v[148:149], v[128:129], v[138:139]
	ds_load_b128 v[122:125], v2 offset:688
	ds_load_b128 v[126:129], v2 offset:704
	scratch_load_b128 v[136:139], off, off offset:344
	s_wait_dscnt 0x1
	v_fmac_f64_e32 v[148:149], v[130:131], v[122:123]
	s_wait_loadcnt 0x5
	s_delay_alu instid0(VALU_DEP_1) | instskip(SKIP_4) | instid1(VALU_DEP_1)
	v_fmac_f64_e32 v[148:149], v[132:133], v[124:125]
	scratch_load_b128 v[122:125], off, off offset:360
	s_wait_dscnt 0x0
	v_fmac_f64_e32 v[148:149], v[134:135], v[126:127]
	s_wait_loadcnt 0x5
	v_fmac_f64_e32 v[148:149], v[144:145], v[128:129]
	ds_load_b128 v[126:129], v2 offset:720
	ds_load_b128 v[130:133], v2 offset:736
	s_wait_dscnt 0x1
	v_fmac_f64_e32 v[148:149], v[146:147], v[126:127]
	s_wait_loadcnt 0x4
	s_delay_alu instid0(VALU_DEP_1)
	v_fmac_f64_e32 v[148:149], v[114:115], v[128:129]
	scratch_load_b128 v[126:129], off, off offset:376
	s_wait_dscnt 0x0
	v_fmac_f64_e32 v[148:149], v[116:117], v[130:131]
	scratch_load_b128 v[114:117], off, off offset:392
	s_wait_loadcnt 0x5
	v_fmac_f64_e32 v[148:149], v[140:141], v[132:133]
	ds_load_b128 v[130:133], v2 offset:752
	ds_load_b128 v[144:147], v2 offset:768
	scratch_load_b64 v[140:141], off, off offset:424
	s_wait_dscnt 0x1
	v_fmac_f64_e32 v[148:149], v[142:143], v[130:131]
	s_wait_loadcnt 0x5
	s_delay_alu instid0(VALU_DEP_1) | instskip(SKIP_4) | instid1(VALU_DEP_1)
	v_fmac_f64_e32 v[148:149], v[118:119], v[132:133]
	scratch_load_b128 v[130:133], off, off offset:408
	s_wait_dscnt 0x0
	v_fmac_f64_e32 v[148:149], v[120:121], v[144:145]
	s_wait_loadcnt 0x5
	v_fmac_f64_e32 v[148:149], v[136:137], v[146:147]
	ds_load_b128 v[118:121], v2 offset:784
	ds_load_b128 v[134:137], v2 offset:800
	s_wait_dscnt 0x1
	v_fmac_f64_e32 v[148:149], v[138:139], v[118:119]
	s_wait_loadcnt 0x4
	s_delay_alu instid0(VALU_DEP_1) | instskip(SKIP_1) | instid1(VALU_DEP_1)
	v_fmac_f64_e32 v[148:149], v[122:123], v[120:121]
	s_wait_dscnt 0x0
	v_fmac_f64_e32 v[148:149], v[124:125], v[134:135]
	ds_load_b128 v[118:121], v2 offset:816
	ds_load_b128 v[122:125], v2 offset:832
	s_wait_loadcnt 0x3
	v_fmac_f64_e32 v[148:149], v[126:127], v[136:137]
	s_wait_dscnt 0x1
	s_delay_alu instid0(VALU_DEP_1) | instskip(SKIP_1) | instid1(VALU_DEP_1)
	v_fmac_f64_e32 v[148:149], v[128:129], v[118:119]
	s_wait_loadcnt 0x2
	v_fmac_f64_e32 v[148:149], v[114:115], v[120:121]
	s_wait_dscnt 0x0
	s_delay_alu instid0(VALU_DEP_1) | instskip(SKIP_4) | instid1(VALU_DEP_1)
	v_fmac_f64_e32 v[148:149], v[116:117], v[122:123]
	ds_load_b128 v[114:117], v2 offset:848
	s_wait_loadcnt 0x0
	v_fmac_f64_e32 v[148:149], v[130:131], v[124:125]
	s_wait_dscnt 0x0
	v_fmac_f64_e32 v[148:149], v[132:133], v[114:115]
	s_delay_alu instid0(VALU_DEP_1) | instskip(NEXT) | instid1(VALU_DEP_1)
	v_fmac_f64_e32 v[148:149], v[140:141], v[116:117]
	v_add_f64_e64 v[2:3], v[112:113], -v[148:149]
	scratch_store_b64 off, v[2:3], off offset:184
	s_wait_xcnt 0x0
	v_cmpx_lt_u32_e32 22, v0
	s_cbranch_execz .LBB53_289
; %bb.288:
	scratch_load_b64 v[2:3], off, off offset:176
	v_mov_b64_e32 v[112:113], 0
	scratch_store_b64 off, v[112:113], off offset:176
	s_wait_loadcnt 0x0
	ds_store_b64 v1, v[2:3]
.LBB53_289:
	s_wait_xcnt 0x0
	s_or_b32 exec_lo, exec_lo, s0
	s_wait_storecnt_dscnt 0x0
	s_barrier_signal -1
	s_barrier_wait -1
	s_clause 0x5
	scratch_load_b128 v[112:115], off, off offset:176
	scratch_load_b128 v[116:119], off, off offset:192
	;; [unrolled: 1-line block ×6, first 2 shown]
	v_mov_b32_e32 v2, 0
	ds_load_2addr_b64 v[136:139], v2 offset0:77 offset1:78
	ds_load_2addr_b64 v[140:143], v2 offset0:79 offset1:80
	scratch_load_b128 v[144:147], off, off offset:272
	s_mov_b32 s0, exec_lo
	s_wait_loadcnt_dscnt 0x601
	v_fma_f64 v[148:149], v[114:115], v[136:137], 0
	s_wait_loadcnt 0x5
	s_delay_alu instid0(VALU_DEP_1) | instskip(SKIP_4) | instid1(VALU_DEP_1)
	v_fmac_f64_e32 v[148:149], v[116:117], v[138:139]
	scratch_load_b128 v[114:117], off, off offset:288
	s_wait_dscnt 0x0
	v_fmac_f64_e32 v[148:149], v[118:119], v[140:141]
	s_wait_loadcnt 0x5
	v_fmac_f64_e32 v[148:149], v[120:121], v[142:143]
	ds_load_2addr_b64 v[118:121], v2 offset0:81 offset1:82
	ds_load_2addr_b64 v[136:139], v2 offset0:83 offset1:84
	scratch_load_b128 v[140:143], off, off offset:304
	s_wait_dscnt 0x1
	v_fmac_f64_e32 v[148:149], v[122:123], v[118:119]
	s_wait_loadcnt 0x5
	s_delay_alu instid0(VALU_DEP_1) | instskip(SKIP_4) | instid1(VALU_DEP_1)
	v_fmac_f64_e32 v[148:149], v[124:125], v[120:121]
	scratch_load_b128 v[118:121], off, off offset:320
	s_wait_dscnt 0x0
	v_fmac_f64_e32 v[148:149], v[126:127], v[136:137]
	s_wait_loadcnt 0x5
	v_fmac_f64_e32 v[148:149], v[128:129], v[138:139]
	ds_load_2addr_b64 v[122:125], v2 offset0:85 offset1:86
	ds_load_2addr_b64 v[126:129], v2 offset0:87 offset1:88
	scratch_load_b128 v[136:139], off, off offset:336
	s_wait_dscnt 0x1
	v_fmac_f64_e32 v[148:149], v[130:131], v[122:123]
	s_wait_loadcnt 0x5
	s_delay_alu instid0(VALU_DEP_1) | instskip(SKIP_4) | instid1(VALU_DEP_1)
	v_fmac_f64_e32 v[148:149], v[132:133], v[124:125]
	scratch_load_b128 v[122:125], off, off offset:352
	s_wait_dscnt 0x0
	v_fmac_f64_e32 v[148:149], v[134:135], v[126:127]
	s_wait_loadcnt 0x5
	v_fmac_f64_e32 v[148:149], v[144:145], v[128:129]
	ds_load_2addr_b64 v[126:129], v2 offset0:89 offset1:90
	ds_load_2addr_b64 v[130:133], v2 offset0:91 offset1:92
	s_wait_dscnt 0x1
	v_fmac_f64_e32 v[148:149], v[146:147], v[126:127]
	s_wait_loadcnt 0x4
	s_delay_alu instid0(VALU_DEP_1)
	v_fmac_f64_e32 v[148:149], v[114:115], v[128:129]
	scratch_load_b128 v[126:129], off, off offset:368
	s_wait_dscnt 0x0
	v_fmac_f64_e32 v[148:149], v[116:117], v[130:131]
	scratch_load_b128 v[114:117], off, off offset:384
	s_wait_loadcnt 0x5
	v_fmac_f64_e32 v[148:149], v[140:141], v[132:133]
	ds_load_2addr_b64 v[130:133], v2 offset0:93 offset1:94
	ds_load_2addr_b64 v[144:147], v2 offset0:95 offset1:96
	s_wait_dscnt 0x1
	v_fmac_f64_e32 v[148:149], v[142:143], v[130:131]
	s_wait_loadcnt 0x4
	s_delay_alu instid0(VALU_DEP_1)
	v_fmac_f64_e32 v[148:149], v[118:119], v[132:133]
	scratch_load_b128 v[130:133], off, off offset:400
	s_wait_dscnt 0x0
	v_fmac_f64_e32 v[148:149], v[120:121], v[144:145]
	scratch_load_b128 v[118:121], off, off offset:416
	s_wait_loadcnt 0x5
	v_fmac_f64_e32 v[148:149], v[136:137], v[146:147]
	ds_load_2addr_b64 v[134:137], v2 offset0:97 offset1:98
	ds_load_2addr_b64 v[140:143], v2 offset0:99 offset1:100
	s_wait_dscnt 0x1
	v_fmac_f64_e32 v[148:149], v[138:139], v[134:135]
	s_wait_loadcnt 0x4
	s_delay_alu instid0(VALU_DEP_1) | instskip(SKIP_1) | instid1(VALU_DEP_1)
	v_fmac_f64_e32 v[148:149], v[122:123], v[136:137]
	s_wait_dscnt 0x0
	v_fmac_f64_e32 v[148:149], v[124:125], v[140:141]
	ds_load_2addr_b64 v[122:125], v2 offset0:101 offset1:102
	ds_load_2addr_b64 v[134:137], v2 offset0:103 offset1:104
	s_wait_loadcnt 0x3
	v_fmac_f64_e32 v[148:149], v[126:127], v[142:143]
	s_wait_dscnt 0x1
	s_delay_alu instid0(VALU_DEP_1) | instskip(SKIP_1) | instid1(VALU_DEP_1)
	v_fmac_f64_e32 v[148:149], v[128:129], v[122:123]
	s_wait_loadcnt 0x2
	v_fmac_f64_e32 v[148:149], v[114:115], v[124:125]
	s_wait_dscnt 0x0
	s_delay_alu instid0(VALU_DEP_1)
	v_fmac_f64_e32 v[148:149], v[116:117], v[134:135]
	ds_load_2addr_b64 v[114:117], v2 offset0:105 offset1:106
	ds_load_b64 v[122:123], v2 offset:856
	s_wait_loadcnt 0x1
	v_fmac_f64_e32 v[148:149], v[130:131], v[136:137]
	s_wait_dscnt 0x1
	s_delay_alu instid0(VALU_DEP_1) | instskip(SKIP_1) | instid1(VALU_DEP_1)
	v_fmac_f64_e32 v[148:149], v[132:133], v[114:115]
	s_wait_loadcnt 0x0
	v_fmac_f64_e32 v[148:149], v[118:119], v[116:117]
	s_wait_dscnt 0x0
	s_delay_alu instid0(VALU_DEP_1) | instskip(NEXT) | instid1(VALU_DEP_1)
	v_fmac_f64_e32 v[148:149], v[120:121], v[122:123]
	v_add_f64_e64 v[112:113], v[112:113], -v[148:149]
	scratch_store_b64 off, v[112:113], off offset:176
	s_wait_xcnt 0x0
	v_cmpx_lt_u32_e32 21, v0
	s_cbranch_execz .LBB53_291
; %bb.290:
	scratch_load_b64 v[112:113], off, off offset:168
	v_mov_b64_e32 v[114:115], 0
	scratch_store_b64 off, v[114:115], off offset:168
	s_wait_loadcnt 0x0
	ds_store_b64 v1, v[112:113]
.LBB53_291:
	s_wait_xcnt 0x0
	s_or_b32 exec_lo, exec_lo, s0
	s_wait_storecnt_dscnt 0x0
	s_barrier_signal -1
	s_barrier_wait -1
	s_clause 0x5
	scratch_load_b128 v[112:115], off, off offset:168
	scratch_load_b128 v[116:119], off, off offset:184
	;; [unrolled: 1-line block ×6, first 2 shown]
	ds_load_b128 v[136:139], v2 offset:608
	ds_load_b128 v[140:143], v2 offset:624
	scratch_load_b128 v[144:147], off, off offset:264
	s_mov_b32 s0, exec_lo
	s_wait_loadcnt_dscnt 0x601
	v_fma_f64 v[148:149], v[114:115], v[136:137], 0
	s_wait_loadcnt 0x5
	s_delay_alu instid0(VALU_DEP_1) | instskip(SKIP_4) | instid1(VALU_DEP_1)
	v_fmac_f64_e32 v[148:149], v[116:117], v[138:139]
	scratch_load_b128 v[114:117], off, off offset:280
	s_wait_dscnt 0x0
	v_fmac_f64_e32 v[148:149], v[118:119], v[140:141]
	s_wait_loadcnt 0x5
	v_fmac_f64_e32 v[148:149], v[120:121], v[142:143]
	ds_load_b128 v[118:121], v2 offset:640
	ds_load_b128 v[136:139], v2 offset:656
	scratch_load_b128 v[140:143], off, off offset:296
	s_wait_dscnt 0x1
	v_fmac_f64_e32 v[148:149], v[122:123], v[118:119]
	s_wait_loadcnt 0x5
	s_delay_alu instid0(VALU_DEP_1) | instskip(SKIP_4) | instid1(VALU_DEP_1)
	v_fmac_f64_e32 v[148:149], v[124:125], v[120:121]
	scratch_load_b128 v[118:121], off, off offset:312
	s_wait_dscnt 0x0
	v_fmac_f64_e32 v[148:149], v[126:127], v[136:137]
	s_wait_loadcnt 0x5
	v_fmac_f64_e32 v[148:149], v[128:129], v[138:139]
	ds_load_b128 v[122:125], v2 offset:672
	ds_load_b128 v[126:129], v2 offset:688
	scratch_load_b128 v[136:139], off, off offset:328
	s_wait_dscnt 0x1
	v_fmac_f64_e32 v[148:149], v[130:131], v[122:123]
	s_wait_loadcnt 0x5
	s_delay_alu instid0(VALU_DEP_1) | instskip(SKIP_4) | instid1(VALU_DEP_1)
	v_fmac_f64_e32 v[148:149], v[132:133], v[124:125]
	scratch_load_b128 v[122:125], off, off offset:344
	s_wait_dscnt 0x0
	v_fmac_f64_e32 v[148:149], v[134:135], v[126:127]
	s_wait_loadcnt 0x5
	v_fmac_f64_e32 v[148:149], v[144:145], v[128:129]
	ds_load_b128 v[126:129], v2 offset:704
	ds_load_b128 v[130:133], v2 offset:720
	s_wait_dscnt 0x1
	v_fmac_f64_e32 v[148:149], v[146:147], v[126:127]
	s_wait_loadcnt 0x4
	s_delay_alu instid0(VALU_DEP_1)
	v_fmac_f64_e32 v[148:149], v[114:115], v[128:129]
	scratch_load_b128 v[126:129], off, off offset:360
	s_wait_dscnt 0x0
	v_fmac_f64_e32 v[148:149], v[116:117], v[130:131]
	scratch_load_b128 v[114:117], off, off offset:376
	s_wait_loadcnt 0x5
	v_fmac_f64_e32 v[148:149], v[140:141], v[132:133]
	ds_load_b128 v[130:133], v2 offset:736
	ds_load_b128 v[144:147], v2 offset:752
	s_wait_dscnt 0x1
	v_fmac_f64_e32 v[148:149], v[142:143], v[130:131]
	s_wait_loadcnt 0x4
	s_delay_alu instid0(VALU_DEP_1)
	v_fmac_f64_e32 v[148:149], v[118:119], v[132:133]
	scratch_load_b128 v[130:133], off, off offset:392
	s_wait_dscnt 0x0
	v_fmac_f64_e32 v[148:149], v[120:121], v[144:145]
	scratch_load_b128 v[118:121], off, off offset:408
	s_wait_loadcnt 0x5
	v_fmac_f64_e32 v[148:149], v[136:137], v[146:147]
	ds_load_b128 v[134:137], v2 offset:768
	ds_load_b128 v[140:143], v2 offset:784
	s_wait_dscnt 0x1
	v_fmac_f64_e32 v[148:149], v[138:139], v[134:135]
	scratch_load_b64 v[138:139], off, off offset:424
	s_wait_loadcnt 0x5
	v_fmac_f64_e32 v[148:149], v[122:123], v[136:137]
	s_wait_dscnt 0x0
	s_delay_alu instid0(VALU_DEP_1)
	v_fmac_f64_e32 v[148:149], v[124:125], v[140:141]
	ds_load_b128 v[122:125], v2 offset:800
	ds_load_b128 v[134:137], v2 offset:816
	s_wait_loadcnt 0x4
	v_fmac_f64_e32 v[148:149], v[126:127], v[142:143]
	s_wait_dscnt 0x1
	s_delay_alu instid0(VALU_DEP_1) | instskip(SKIP_1) | instid1(VALU_DEP_1)
	v_fmac_f64_e32 v[148:149], v[128:129], v[122:123]
	s_wait_loadcnt 0x3
	v_fmac_f64_e32 v[148:149], v[114:115], v[124:125]
	s_wait_dscnt 0x0
	s_delay_alu instid0(VALU_DEP_1)
	v_fmac_f64_e32 v[148:149], v[116:117], v[134:135]
	ds_load_b128 v[114:117], v2 offset:832
	ds_load_b128 v[122:125], v2 offset:848
	s_wait_loadcnt 0x2
	v_fmac_f64_e32 v[148:149], v[130:131], v[136:137]
	s_wait_dscnt 0x1
	s_delay_alu instid0(VALU_DEP_1) | instskip(SKIP_1) | instid1(VALU_DEP_1)
	v_fmac_f64_e32 v[148:149], v[132:133], v[114:115]
	s_wait_loadcnt 0x1
	v_fmac_f64_e32 v[148:149], v[118:119], v[116:117]
	s_wait_dscnt 0x0
	s_delay_alu instid0(VALU_DEP_1) | instskip(SKIP_1) | instid1(VALU_DEP_1)
	v_fmac_f64_e32 v[148:149], v[120:121], v[122:123]
	s_wait_loadcnt 0x0
	v_fmac_f64_e32 v[148:149], v[138:139], v[124:125]
	s_delay_alu instid0(VALU_DEP_1)
	v_add_f64_e64 v[2:3], v[112:113], -v[148:149]
	scratch_store_b64 off, v[2:3], off offset:168
	s_wait_xcnt 0x0
	v_cmpx_lt_u32_e32 20, v0
	s_cbranch_execz .LBB53_293
; %bb.292:
	scratch_load_b64 v[2:3], off, off offset:160
	v_mov_b64_e32 v[112:113], 0
	scratch_store_b64 off, v[112:113], off offset:160
	s_wait_loadcnt 0x0
	ds_store_b64 v1, v[2:3]
.LBB53_293:
	s_wait_xcnt 0x0
	s_or_b32 exec_lo, exec_lo, s0
	s_wait_storecnt_dscnt 0x0
	s_barrier_signal -1
	s_barrier_wait -1
	s_clause 0x5
	scratch_load_b128 v[112:115], off, off offset:160
	scratch_load_b128 v[116:119], off, off offset:176
	;; [unrolled: 1-line block ×6, first 2 shown]
	v_mov_b32_e32 v2, 0
	ds_load_2addr_b64 v[136:139], v2 offset0:75 offset1:76
	ds_load_2addr_b64 v[140:143], v2 offset0:77 offset1:78
	scratch_load_b128 v[144:147], off, off offset:256
	s_mov_b32 s0, exec_lo
	s_wait_loadcnt_dscnt 0x601
	v_fma_f64 v[148:149], v[114:115], v[136:137], 0
	s_wait_loadcnt 0x5
	s_delay_alu instid0(VALU_DEP_1) | instskip(SKIP_4) | instid1(VALU_DEP_1)
	v_fmac_f64_e32 v[148:149], v[116:117], v[138:139]
	scratch_load_b128 v[114:117], off, off offset:272
	s_wait_dscnt 0x0
	v_fmac_f64_e32 v[148:149], v[118:119], v[140:141]
	s_wait_loadcnt 0x5
	v_fmac_f64_e32 v[148:149], v[120:121], v[142:143]
	ds_load_2addr_b64 v[118:121], v2 offset0:79 offset1:80
	ds_load_2addr_b64 v[136:139], v2 offset0:81 offset1:82
	scratch_load_b128 v[140:143], off, off offset:288
	s_wait_dscnt 0x1
	v_fmac_f64_e32 v[148:149], v[122:123], v[118:119]
	s_wait_loadcnt 0x5
	s_delay_alu instid0(VALU_DEP_1) | instskip(SKIP_4) | instid1(VALU_DEP_1)
	v_fmac_f64_e32 v[148:149], v[124:125], v[120:121]
	scratch_load_b128 v[118:121], off, off offset:304
	s_wait_dscnt 0x0
	v_fmac_f64_e32 v[148:149], v[126:127], v[136:137]
	s_wait_loadcnt 0x5
	v_fmac_f64_e32 v[148:149], v[128:129], v[138:139]
	ds_load_2addr_b64 v[122:125], v2 offset0:83 offset1:84
	ds_load_2addr_b64 v[126:129], v2 offset0:85 offset1:86
	scratch_load_b128 v[136:139], off, off offset:320
	s_wait_dscnt 0x1
	v_fmac_f64_e32 v[148:149], v[130:131], v[122:123]
	s_wait_loadcnt 0x5
	s_delay_alu instid0(VALU_DEP_1) | instskip(SKIP_4) | instid1(VALU_DEP_1)
	v_fmac_f64_e32 v[148:149], v[132:133], v[124:125]
	scratch_load_b128 v[122:125], off, off offset:336
	s_wait_dscnt 0x0
	v_fmac_f64_e32 v[148:149], v[134:135], v[126:127]
	s_wait_loadcnt 0x5
	v_fmac_f64_e32 v[148:149], v[144:145], v[128:129]
	ds_load_2addr_b64 v[126:129], v2 offset0:87 offset1:88
	ds_load_2addr_b64 v[130:133], v2 offset0:89 offset1:90
	s_wait_dscnt 0x1
	v_fmac_f64_e32 v[148:149], v[146:147], v[126:127]
	s_wait_loadcnt 0x4
	s_delay_alu instid0(VALU_DEP_1)
	v_fmac_f64_e32 v[148:149], v[114:115], v[128:129]
	scratch_load_b128 v[126:129], off, off offset:352
	s_wait_dscnt 0x0
	v_fmac_f64_e32 v[148:149], v[116:117], v[130:131]
	scratch_load_b128 v[114:117], off, off offset:368
	s_wait_loadcnt 0x5
	v_fmac_f64_e32 v[148:149], v[140:141], v[132:133]
	ds_load_2addr_b64 v[130:133], v2 offset0:91 offset1:92
	ds_load_2addr_b64 v[144:147], v2 offset0:93 offset1:94
	s_wait_dscnt 0x1
	v_fmac_f64_e32 v[148:149], v[142:143], v[130:131]
	s_wait_loadcnt 0x4
	s_delay_alu instid0(VALU_DEP_1)
	v_fmac_f64_e32 v[148:149], v[118:119], v[132:133]
	scratch_load_b128 v[130:133], off, off offset:384
	s_wait_dscnt 0x0
	v_fmac_f64_e32 v[148:149], v[120:121], v[144:145]
	scratch_load_b128 v[118:121], off, off offset:400
	s_wait_loadcnt 0x5
	v_fmac_f64_e32 v[148:149], v[136:137], v[146:147]
	ds_load_2addr_b64 v[134:137], v2 offset0:95 offset1:96
	ds_load_2addr_b64 v[140:143], v2 offset0:97 offset1:98
	s_wait_dscnt 0x1
	v_fmac_f64_e32 v[148:149], v[138:139], v[134:135]
	s_wait_loadcnt 0x4
	s_delay_alu instid0(VALU_DEP_1)
	v_fmac_f64_e32 v[148:149], v[122:123], v[136:137]
	scratch_load_b128 v[134:137], off, off offset:416
	s_wait_dscnt 0x0
	v_fmac_f64_e32 v[148:149], v[124:125], v[140:141]
	ds_load_2addr_b64 v[122:125], v2 offset0:99 offset1:100
	ds_load_2addr_b64 v[138:141], v2 offset0:101 offset1:102
	s_wait_loadcnt 0x4
	v_fmac_f64_e32 v[148:149], v[126:127], v[142:143]
	s_wait_dscnt 0x1
	s_delay_alu instid0(VALU_DEP_1) | instskip(SKIP_1) | instid1(VALU_DEP_1)
	v_fmac_f64_e32 v[148:149], v[128:129], v[122:123]
	s_wait_loadcnt 0x3
	v_fmac_f64_e32 v[148:149], v[114:115], v[124:125]
	s_wait_dscnt 0x0
	s_delay_alu instid0(VALU_DEP_1)
	v_fmac_f64_e32 v[148:149], v[116:117], v[138:139]
	ds_load_2addr_b64 v[114:117], v2 offset0:103 offset1:104
	ds_load_2addr_b64 v[122:125], v2 offset0:105 offset1:106
	s_wait_loadcnt 0x2
	v_fmac_f64_e32 v[148:149], v[130:131], v[140:141]
	s_wait_dscnt 0x1
	s_delay_alu instid0(VALU_DEP_1) | instskip(SKIP_4) | instid1(VALU_DEP_1)
	v_fmac_f64_e32 v[148:149], v[132:133], v[114:115]
	ds_load_b64 v[114:115], v2 offset:856
	s_wait_loadcnt 0x1
	v_fmac_f64_e32 v[148:149], v[118:119], v[116:117]
	s_wait_dscnt 0x1
	v_fmac_f64_e32 v[148:149], v[120:121], v[122:123]
	s_wait_loadcnt 0x0
	s_delay_alu instid0(VALU_DEP_1) | instskip(SKIP_1) | instid1(VALU_DEP_1)
	v_fmac_f64_e32 v[148:149], v[134:135], v[124:125]
	s_wait_dscnt 0x0
	v_fmac_f64_e32 v[148:149], v[136:137], v[114:115]
	s_delay_alu instid0(VALU_DEP_1)
	v_add_f64_e64 v[112:113], v[112:113], -v[148:149]
	scratch_store_b64 off, v[112:113], off offset:160
	s_wait_xcnt 0x0
	v_cmpx_lt_u32_e32 19, v0
	s_cbranch_execz .LBB53_295
; %bb.294:
	scratch_load_b64 v[112:113], off, off offset:152
	v_mov_b64_e32 v[114:115], 0
	scratch_store_b64 off, v[114:115], off offset:152
	s_wait_loadcnt 0x0
	ds_store_b64 v1, v[112:113]
.LBB53_295:
	s_wait_xcnt 0x0
	s_or_b32 exec_lo, exec_lo, s0
	s_wait_storecnt_dscnt 0x0
	s_barrier_signal -1
	s_barrier_wait -1
	s_clause 0x5
	scratch_load_b128 v[112:115], off, off offset:152
	scratch_load_b128 v[116:119], off, off offset:168
	;; [unrolled: 1-line block ×6, first 2 shown]
	ds_load_b128 v[136:139], v2 offset:592
	ds_load_b128 v[140:143], v2 offset:608
	scratch_load_b128 v[144:147], off, off offset:248
	s_mov_b32 s0, exec_lo
	s_wait_loadcnt_dscnt 0x601
	v_fma_f64 v[148:149], v[114:115], v[136:137], 0
	s_wait_loadcnt 0x5
	s_delay_alu instid0(VALU_DEP_1) | instskip(SKIP_4) | instid1(VALU_DEP_1)
	v_fmac_f64_e32 v[148:149], v[116:117], v[138:139]
	scratch_load_b128 v[114:117], off, off offset:264
	s_wait_dscnt 0x0
	v_fmac_f64_e32 v[148:149], v[118:119], v[140:141]
	s_wait_loadcnt 0x5
	v_fmac_f64_e32 v[148:149], v[120:121], v[142:143]
	ds_load_b128 v[118:121], v2 offset:624
	ds_load_b128 v[136:139], v2 offset:640
	scratch_load_b128 v[140:143], off, off offset:280
	s_wait_dscnt 0x1
	v_fmac_f64_e32 v[148:149], v[122:123], v[118:119]
	s_wait_loadcnt 0x5
	s_delay_alu instid0(VALU_DEP_1) | instskip(SKIP_4) | instid1(VALU_DEP_1)
	v_fmac_f64_e32 v[148:149], v[124:125], v[120:121]
	scratch_load_b128 v[118:121], off, off offset:296
	s_wait_dscnt 0x0
	v_fmac_f64_e32 v[148:149], v[126:127], v[136:137]
	s_wait_loadcnt 0x5
	v_fmac_f64_e32 v[148:149], v[128:129], v[138:139]
	ds_load_b128 v[122:125], v2 offset:656
	ds_load_b128 v[126:129], v2 offset:672
	scratch_load_b128 v[136:139], off, off offset:312
	s_wait_dscnt 0x1
	v_fmac_f64_e32 v[148:149], v[130:131], v[122:123]
	s_wait_loadcnt 0x5
	s_delay_alu instid0(VALU_DEP_1) | instskip(SKIP_4) | instid1(VALU_DEP_1)
	v_fmac_f64_e32 v[148:149], v[132:133], v[124:125]
	scratch_load_b128 v[122:125], off, off offset:328
	s_wait_dscnt 0x0
	v_fmac_f64_e32 v[148:149], v[134:135], v[126:127]
	s_wait_loadcnt 0x5
	v_fmac_f64_e32 v[148:149], v[144:145], v[128:129]
	ds_load_b128 v[126:129], v2 offset:688
	ds_load_b128 v[130:133], v2 offset:704
	s_wait_dscnt 0x1
	v_fmac_f64_e32 v[148:149], v[146:147], v[126:127]
	scratch_load_b128 v[144:147], off, off offset:344
	s_wait_loadcnt 0x5
	v_fmac_f64_e32 v[148:149], v[114:115], v[128:129]
	s_wait_dscnt 0x0
	s_delay_alu instid0(VALU_DEP_1)
	v_fmac_f64_e32 v[148:149], v[116:117], v[130:131]
	scratch_load_b128 v[114:117], off, off offset:360
	s_wait_loadcnt 0x5
	v_fmac_f64_e32 v[148:149], v[140:141], v[132:133]
	ds_load_b128 v[126:129], v2 offset:720
	ds_load_b128 v[130:133], v2 offset:736
	s_wait_dscnt 0x1
	v_fmac_f64_e32 v[148:149], v[142:143], v[126:127]
	s_wait_loadcnt 0x4
	s_delay_alu instid0(VALU_DEP_1)
	v_fmac_f64_e32 v[148:149], v[118:119], v[128:129]
	scratch_load_b128 v[126:129], off, off offset:376
	s_wait_dscnt 0x0
	v_fmac_f64_e32 v[148:149], v[120:121], v[130:131]
	scratch_load_b128 v[118:121], off, off offset:392
	s_wait_loadcnt 0x5
	v_fmac_f64_e32 v[148:149], v[136:137], v[132:133]
	ds_load_b128 v[130:133], v2 offset:752
	ds_load_b128 v[134:137], v2 offset:768
	s_wait_dscnt 0x1
	v_fmac_f64_e32 v[148:149], v[138:139], v[130:131]
	scratch_load_b64 v[138:139], off, off offset:424
	s_wait_loadcnt 0x5
	v_fmac_f64_e32 v[148:149], v[122:123], v[132:133]
	scratch_load_b128 v[130:133], off, off offset:408
	s_wait_dscnt 0x0
	v_fmac_f64_e32 v[148:149], v[124:125], v[134:135]
	s_wait_loadcnt 0x5
	s_delay_alu instid0(VALU_DEP_1)
	v_fmac_f64_e32 v[148:149], v[144:145], v[136:137]
	ds_load_b128 v[122:125], v2 offset:784
	ds_load_b128 v[134:137], v2 offset:800
	s_wait_dscnt 0x1
	v_fmac_f64_e32 v[148:149], v[146:147], v[122:123]
	s_wait_loadcnt 0x4
	s_delay_alu instid0(VALU_DEP_1) | instskip(SKIP_1) | instid1(VALU_DEP_1)
	v_fmac_f64_e32 v[148:149], v[114:115], v[124:125]
	s_wait_dscnt 0x0
	v_fmac_f64_e32 v[148:149], v[116:117], v[134:135]
	ds_load_b128 v[114:117], v2 offset:816
	ds_load_b128 v[122:125], v2 offset:832
	s_wait_loadcnt 0x3
	v_fmac_f64_e32 v[148:149], v[126:127], v[136:137]
	s_wait_dscnt 0x1
	s_delay_alu instid0(VALU_DEP_1) | instskip(SKIP_1) | instid1(VALU_DEP_1)
	v_fmac_f64_e32 v[148:149], v[128:129], v[114:115]
	s_wait_loadcnt 0x2
	v_fmac_f64_e32 v[148:149], v[118:119], v[116:117]
	ds_load_b128 v[114:117], v2 offset:848
	s_wait_dscnt 0x1
	v_fmac_f64_e32 v[148:149], v[120:121], v[122:123]
	s_wait_loadcnt 0x0
	s_delay_alu instid0(VALU_DEP_1) | instskip(SKIP_1) | instid1(VALU_DEP_1)
	v_fmac_f64_e32 v[148:149], v[130:131], v[124:125]
	s_wait_dscnt 0x0
	v_fmac_f64_e32 v[148:149], v[132:133], v[114:115]
	s_delay_alu instid0(VALU_DEP_1) | instskip(NEXT) | instid1(VALU_DEP_1)
	v_fmac_f64_e32 v[148:149], v[138:139], v[116:117]
	v_add_f64_e64 v[2:3], v[112:113], -v[148:149]
	scratch_store_b64 off, v[2:3], off offset:152
	s_wait_xcnt 0x0
	v_cmpx_lt_u32_e32 18, v0
	s_cbranch_execz .LBB53_297
; %bb.296:
	scratch_load_b64 v[2:3], off, off offset:144
	v_mov_b64_e32 v[112:113], 0
	scratch_store_b64 off, v[112:113], off offset:144
	s_wait_loadcnt 0x0
	ds_store_b64 v1, v[2:3]
.LBB53_297:
	s_wait_xcnt 0x0
	s_or_b32 exec_lo, exec_lo, s0
	s_wait_storecnt_dscnt 0x0
	s_barrier_signal -1
	s_barrier_wait -1
	s_clause 0x5
	scratch_load_b128 v[112:115], off, off offset:144
	scratch_load_b128 v[116:119], off, off offset:160
	;; [unrolled: 1-line block ×6, first 2 shown]
	v_mov_b32_e32 v2, 0
	ds_load_2addr_b64 v[136:139], v2 offset0:73 offset1:74
	ds_load_2addr_b64 v[140:143], v2 offset0:75 offset1:76
	scratch_load_b128 v[144:147], off, off offset:240
	s_mov_b32 s0, exec_lo
	s_wait_loadcnt_dscnt 0x601
	v_fma_f64 v[148:149], v[114:115], v[136:137], 0
	s_wait_loadcnt 0x5
	s_delay_alu instid0(VALU_DEP_1) | instskip(SKIP_4) | instid1(VALU_DEP_1)
	v_fmac_f64_e32 v[148:149], v[116:117], v[138:139]
	scratch_load_b128 v[114:117], off, off offset:256
	s_wait_dscnt 0x0
	v_fmac_f64_e32 v[148:149], v[118:119], v[140:141]
	s_wait_loadcnt 0x5
	v_fmac_f64_e32 v[148:149], v[120:121], v[142:143]
	ds_load_2addr_b64 v[118:121], v2 offset0:77 offset1:78
	ds_load_2addr_b64 v[136:139], v2 offset0:79 offset1:80
	scratch_load_b128 v[140:143], off, off offset:272
	s_wait_dscnt 0x1
	v_fmac_f64_e32 v[148:149], v[122:123], v[118:119]
	s_wait_loadcnt 0x5
	s_delay_alu instid0(VALU_DEP_1) | instskip(SKIP_4) | instid1(VALU_DEP_1)
	v_fmac_f64_e32 v[148:149], v[124:125], v[120:121]
	scratch_load_b128 v[118:121], off, off offset:288
	s_wait_dscnt 0x0
	v_fmac_f64_e32 v[148:149], v[126:127], v[136:137]
	s_wait_loadcnt 0x5
	v_fmac_f64_e32 v[148:149], v[128:129], v[138:139]
	ds_load_2addr_b64 v[122:125], v2 offset0:81 offset1:82
	ds_load_2addr_b64 v[126:129], v2 offset0:83 offset1:84
	scratch_load_b128 v[136:139], off, off offset:304
	s_wait_dscnt 0x1
	v_fmac_f64_e32 v[148:149], v[130:131], v[122:123]
	s_wait_loadcnt 0x5
	s_delay_alu instid0(VALU_DEP_1) | instskip(SKIP_4) | instid1(VALU_DEP_1)
	v_fmac_f64_e32 v[148:149], v[132:133], v[124:125]
	scratch_load_b128 v[122:125], off, off offset:320
	s_wait_dscnt 0x0
	v_fmac_f64_e32 v[148:149], v[134:135], v[126:127]
	s_wait_loadcnt 0x5
	v_fmac_f64_e32 v[148:149], v[144:145], v[128:129]
	ds_load_2addr_b64 v[126:129], v2 offset0:85 offset1:86
	ds_load_2addr_b64 v[130:133], v2 offset0:87 offset1:88
	s_wait_dscnt 0x1
	v_fmac_f64_e32 v[148:149], v[146:147], v[126:127]
	scratch_load_b128 v[144:147], off, off offset:336
	s_wait_loadcnt 0x5
	v_fmac_f64_e32 v[148:149], v[114:115], v[128:129]
	s_wait_dscnt 0x0
	s_delay_alu instid0(VALU_DEP_1)
	v_fmac_f64_e32 v[148:149], v[116:117], v[130:131]
	scratch_load_b128 v[114:117], off, off offset:352
	s_wait_loadcnt 0x5
	v_fmac_f64_e32 v[148:149], v[140:141], v[132:133]
	ds_load_2addr_b64 v[126:129], v2 offset0:89 offset1:90
	ds_load_2addr_b64 v[130:133], v2 offset0:91 offset1:92
	s_wait_dscnt 0x1
	v_fmac_f64_e32 v[148:149], v[142:143], v[126:127]
	s_wait_loadcnt 0x4
	s_delay_alu instid0(VALU_DEP_1)
	v_fmac_f64_e32 v[148:149], v[118:119], v[128:129]
	scratch_load_b128 v[126:129], off, off offset:368
	s_wait_dscnt 0x0
	v_fmac_f64_e32 v[148:149], v[120:121], v[130:131]
	scratch_load_b128 v[118:121], off, off offset:384
	s_wait_loadcnt 0x5
	v_fmac_f64_e32 v[148:149], v[136:137], v[132:133]
	ds_load_2addr_b64 v[130:133], v2 offset0:93 offset1:94
	ds_load_2addr_b64 v[134:137], v2 offset0:95 offset1:96
	s_wait_dscnt 0x1
	v_fmac_f64_e32 v[148:149], v[138:139], v[130:131]
	s_wait_loadcnt 0x4
	s_delay_alu instid0(VALU_DEP_1)
	v_fmac_f64_e32 v[148:149], v[122:123], v[132:133]
	scratch_load_b128 v[130:133], off, off offset:400
	s_wait_dscnt 0x0
	v_fmac_f64_e32 v[148:149], v[124:125], v[134:135]
	scratch_load_b128 v[122:125], off, off offset:416
	s_wait_loadcnt 0x5
	v_fmac_f64_e32 v[148:149], v[144:145], v[136:137]
	ds_load_2addr_b64 v[134:137], v2 offset0:97 offset1:98
	ds_load_2addr_b64 v[138:141], v2 offset0:99 offset1:100
	s_wait_dscnt 0x1
	v_fmac_f64_e32 v[148:149], v[146:147], v[134:135]
	s_wait_loadcnt 0x4
	s_delay_alu instid0(VALU_DEP_1) | instskip(SKIP_1) | instid1(VALU_DEP_1)
	v_fmac_f64_e32 v[148:149], v[114:115], v[136:137]
	s_wait_dscnt 0x0
	v_fmac_f64_e32 v[148:149], v[116:117], v[138:139]
	ds_load_2addr_b64 v[114:117], v2 offset0:101 offset1:102
	ds_load_2addr_b64 v[134:137], v2 offset0:103 offset1:104
	s_wait_loadcnt 0x3
	v_fmac_f64_e32 v[148:149], v[126:127], v[140:141]
	s_wait_dscnt 0x1
	s_delay_alu instid0(VALU_DEP_1) | instskip(SKIP_1) | instid1(VALU_DEP_1)
	v_fmac_f64_e32 v[148:149], v[128:129], v[114:115]
	s_wait_loadcnt 0x2
	v_fmac_f64_e32 v[148:149], v[118:119], v[116:117]
	ds_load_2addr_b64 v[114:117], v2 offset0:105 offset1:106
	ds_load_b64 v[118:119], v2 offset:856
	s_wait_dscnt 0x2
	v_fmac_f64_e32 v[148:149], v[120:121], v[134:135]
	s_wait_loadcnt 0x1
	s_delay_alu instid0(VALU_DEP_1) | instskip(SKIP_1) | instid1(VALU_DEP_1)
	v_fmac_f64_e32 v[148:149], v[130:131], v[136:137]
	s_wait_dscnt 0x1
	v_fmac_f64_e32 v[148:149], v[132:133], v[114:115]
	s_wait_loadcnt 0x0
	s_delay_alu instid0(VALU_DEP_1) | instskip(SKIP_1) | instid1(VALU_DEP_1)
	v_fmac_f64_e32 v[148:149], v[122:123], v[116:117]
	s_wait_dscnt 0x0
	v_fmac_f64_e32 v[148:149], v[124:125], v[118:119]
	s_delay_alu instid0(VALU_DEP_1)
	v_add_f64_e64 v[112:113], v[112:113], -v[148:149]
	scratch_store_b64 off, v[112:113], off offset:144
	s_wait_xcnt 0x0
	v_cmpx_lt_u32_e32 17, v0
	s_cbranch_execz .LBB53_299
; %bb.298:
	scratch_load_b64 v[112:113], off, off offset:136
	v_mov_b64_e32 v[114:115], 0
	scratch_store_b64 off, v[114:115], off offset:136
	s_wait_loadcnt 0x0
	ds_store_b64 v1, v[112:113]
.LBB53_299:
	s_wait_xcnt 0x0
	s_or_b32 exec_lo, exec_lo, s0
	s_wait_storecnt_dscnt 0x0
	s_barrier_signal -1
	s_barrier_wait -1
	s_clause 0x5
	scratch_load_b128 v[112:115], off, off offset:136
	scratch_load_b128 v[116:119], off, off offset:152
	;; [unrolled: 1-line block ×6, first 2 shown]
	ds_load_b128 v[136:139], v2 offset:576
	ds_load_b128 v[140:143], v2 offset:592
	scratch_load_b128 v[144:147], off, off offset:232
	s_mov_b32 s0, exec_lo
	s_wait_loadcnt_dscnt 0x601
	v_fma_f64 v[148:149], v[114:115], v[136:137], 0
	s_wait_loadcnt 0x5
	s_delay_alu instid0(VALU_DEP_1) | instskip(SKIP_4) | instid1(VALU_DEP_1)
	v_fmac_f64_e32 v[148:149], v[116:117], v[138:139]
	scratch_load_b128 v[114:117], off, off offset:248
	s_wait_dscnt 0x0
	v_fmac_f64_e32 v[148:149], v[118:119], v[140:141]
	s_wait_loadcnt 0x5
	v_fmac_f64_e32 v[148:149], v[120:121], v[142:143]
	ds_load_b128 v[118:121], v2 offset:608
	ds_load_b128 v[136:139], v2 offset:624
	scratch_load_b128 v[140:143], off, off offset:264
	s_wait_dscnt 0x1
	v_fmac_f64_e32 v[148:149], v[122:123], v[118:119]
	s_wait_loadcnt 0x5
	s_delay_alu instid0(VALU_DEP_1) | instskip(SKIP_4) | instid1(VALU_DEP_1)
	v_fmac_f64_e32 v[148:149], v[124:125], v[120:121]
	scratch_load_b128 v[118:121], off, off offset:280
	s_wait_dscnt 0x0
	v_fmac_f64_e32 v[148:149], v[126:127], v[136:137]
	s_wait_loadcnt 0x5
	v_fmac_f64_e32 v[148:149], v[128:129], v[138:139]
	ds_load_b128 v[122:125], v2 offset:640
	ds_load_b128 v[126:129], v2 offset:656
	scratch_load_b128 v[136:139], off, off offset:296
	s_wait_dscnt 0x1
	v_fmac_f64_e32 v[148:149], v[130:131], v[122:123]
	s_wait_loadcnt 0x5
	s_delay_alu instid0(VALU_DEP_1) | instskip(SKIP_4) | instid1(VALU_DEP_1)
	v_fmac_f64_e32 v[148:149], v[132:133], v[124:125]
	scratch_load_b128 v[122:125], off, off offset:312
	s_wait_dscnt 0x0
	v_fmac_f64_e32 v[148:149], v[134:135], v[126:127]
	s_wait_loadcnt 0x5
	v_fmac_f64_e32 v[148:149], v[144:145], v[128:129]
	ds_load_b128 v[126:129], v2 offset:672
	ds_load_b128 v[130:133], v2 offset:688
	s_wait_dscnt 0x1
	v_fmac_f64_e32 v[148:149], v[146:147], v[126:127]
	scratch_load_b128 v[144:147], off, off offset:328
	s_wait_loadcnt 0x5
	v_fmac_f64_e32 v[148:149], v[114:115], v[128:129]
	s_wait_dscnt 0x0
	s_delay_alu instid0(VALU_DEP_1)
	v_fmac_f64_e32 v[148:149], v[116:117], v[130:131]
	scratch_load_b128 v[114:117], off, off offset:344
	s_wait_loadcnt 0x5
	v_fmac_f64_e32 v[148:149], v[140:141], v[132:133]
	ds_load_b128 v[126:129], v2 offset:704
	ds_load_b128 v[130:133], v2 offset:720
	s_wait_dscnt 0x1
	v_fmac_f64_e32 v[148:149], v[142:143], v[126:127]
	s_wait_loadcnt 0x4
	s_delay_alu instid0(VALU_DEP_1)
	v_fmac_f64_e32 v[148:149], v[118:119], v[128:129]
	scratch_load_b128 v[126:129], off, off offset:360
	s_wait_dscnt 0x0
	v_fmac_f64_e32 v[148:149], v[120:121], v[130:131]
	scratch_load_b128 v[118:121], off, off offset:376
	s_wait_loadcnt 0x5
	v_fmac_f64_e32 v[148:149], v[136:137], v[132:133]
	ds_load_b128 v[130:133], v2 offset:736
	ds_load_b128 v[134:137], v2 offset:752
	s_wait_dscnt 0x1
	v_fmac_f64_e32 v[148:149], v[138:139], v[130:131]
	s_wait_loadcnt 0x4
	s_delay_alu instid0(VALU_DEP_1)
	v_fmac_f64_e32 v[148:149], v[122:123], v[132:133]
	scratch_load_b128 v[130:133], off, off offset:392
	s_wait_dscnt 0x0
	v_fmac_f64_e32 v[148:149], v[124:125], v[134:135]
	scratch_load_b128 v[122:125], off, off offset:408
	s_wait_loadcnt 0x5
	v_fmac_f64_e32 v[148:149], v[144:145], v[136:137]
	ds_load_b128 v[134:137], v2 offset:768
	ds_load_b128 v[138:141], v2 offset:784
	scratch_load_b64 v[142:143], off, off offset:424
	s_wait_dscnt 0x1
	v_fmac_f64_e32 v[148:149], v[146:147], v[134:135]
	s_wait_loadcnt 0x5
	s_delay_alu instid0(VALU_DEP_1) | instskip(SKIP_1) | instid1(VALU_DEP_1)
	v_fmac_f64_e32 v[148:149], v[114:115], v[136:137]
	s_wait_dscnt 0x0
	v_fmac_f64_e32 v[148:149], v[116:117], v[138:139]
	ds_load_b128 v[114:117], v2 offset:800
	ds_load_b128 v[134:137], v2 offset:816
	s_wait_loadcnt 0x4
	v_fmac_f64_e32 v[148:149], v[126:127], v[140:141]
	s_wait_dscnt 0x1
	s_delay_alu instid0(VALU_DEP_1) | instskip(SKIP_1) | instid1(VALU_DEP_1)
	v_fmac_f64_e32 v[148:149], v[128:129], v[114:115]
	s_wait_loadcnt 0x3
	v_fmac_f64_e32 v[148:149], v[118:119], v[116:117]
	s_wait_dscnt 0x0
	s_delay_alu instid0(VALU_DEP_1)
	v_fmac_f64_e32 v[148:149], v[120:121], v[134:135]
	ds_load_b128 v[114:117], v2 offset:832
	ds_load_b128 v[118:121], v2 offset:848
	s_wait_loadcnt 0x2
	v_fmac_f64_e32 v[148:149], v[130:131], v[136:137]
	s_wait_dscnt 0x1
	s_delay_alu instid0(VALU_DEP_1) | instskip(SKIP_1) | instid1(VALU_DEP_1)
	v_fmac_f64_e32 v[148:149], v[132:133], v[114:115]
	s_wait_loadcnt 0x1
	v_fmac_f64_e32 v[148:149], v[122:123], v[116:117]
	s_wait_dscnt 0x0
	s_delay_alu instid0(VALU_DEP_1) | instskip(SKIP_1) | instid1(VALU_DEP_1)
	v_fmac_f64_e32 v[148:149], v[124:125], v[118:119]
	s_wait_loadcnt 0x0
	v_fmac_f64_e32 v[148:149], v[142:143], v[120:121]
	s_delay_alu instid0(VALU_DEP_1)
	v_add_f64_e64 v[2:3], v[112:113], -v[148:149]
	scratch_store_b64 off, v[2:3], off offset:136
	s_wait_xcnt 0x0
	v_cmpx_lt_u32_e32 16, v0
	s_cbranch_execz .LBB53_301
; %bb.300:
	scratch_load_b64 v[2:3], off, off offset:128
	v_mov_b64_e32 v[112:113], 0
	scratch_store_b64 off, v[112:113], off offset:128
	s_wait_loadcnt 0x0
	ds_store_b64 v1, v[2:3]
.LBB53_301:
	s_wait_xcnt 0x0
	s_or_b32 exec_lo, exec_lo, s0
	s_wait_storecnt_dscnt 0x0
	s_barrier_signal -1
	s_barrier_wait -1
	s_clause 0x5
	scratch_load_b128 v[112:115], off, off offset:128
	scratch_load_b128 v[116:119], off, off offset:144
	;; [unrolled: 1-line block ×6, first 2 shown]
	v_mov_b32_e32 v2, 0
	ds_load_2addr_b64 v[136:139], v2 offset0:71 offset1:72
	ds_load_2addr_b64 v[140:143], v2 offset0:73 offset1:74
	scratch_load_b128 v[144:147], off, off offset:224
	s_mov_b32 s0, exec_lo
	s_wait_loadcnt_dscnt 0x601
	v_fma_f64 v[148:149], v[114:115], v[136:137], 0
	s_wait_loadcnt 0x5
	s_delay_alu instid0(VALU_DEP_1) | instskip(SKIP_4) | instid1(VALU_DEP_1)
	v_fmac_f64_e32 v[148:149], v[116:117], v[138:139]
	scratch_load_b128 v[114:117], off, off offset:240
	s_wait_dscnt 0x0
	v_fmac_f64_e32 v[148:149], v[118:119], v[140:141]
	s_wait_loadcnt 0x5
	v_fmac_f64_e32 v[148:149], v[120:121], v[142:143]
	ds_load_2addr_b64 v[118:121], v2 offset0:75 offset1:76
	ds_load_2addr_b64 v[136:139], v2 offset0:77 offset1:78
	scratch_load_b128 v[140:143], off, off offset:256
	s_wait_dscnt 0x1
	v_fmac_f64_e32 v[148:149], v[122:123], v[118:119]
	s_wait_loadcnt 0x5
	s_delay_alu instid0(VALU_DEP_1) | instskip(SKIP_4) | instid1(VALU_DEP_1)
	v_fmac_f64_e32 v[148:149], v[124:125], v[120:121]
	scratch_load_b128 v[118:121], off, off offset:272
	s_wait_dscnt 0x0
	v_fmac_f64_e32 v[148:149], v[126:127], v[136:137]
	s_wait_loadcnt 0x5
	v_fmac_f64_e32 v[148:149], v[128:129], v[138:139]
	ds_load_2addr_b64 v[122:125], v2 offset0:79 offset1:80
	ds_load_2addr_b64 v[126:129], v2 offset0:81 offset1:82
	scratch_load_b128 v[136:139], off, off offset:288
	s_wait_dscnt 0x1
	v_fmac_f64_e32 v[148:149], v[130:131], v[122:123]
	s_wait_loadcnt 0x5
	s_delay_alu instid0(VALU_DEP_1) | instskip(SKIP_4) | instid1(VALU_DEP_1)
	v_fmac_f64_e32 v[148:149], v[132:133], v[124:125]
	scratch_load_b128 v[122:125], off, off offset:304
	s_wait_dscnt 0x0
	v_fmac_f64_e32 v[148:149], v[134:135], v[126:127]
	s_wait_loadcnt 0x5
	v_fmac_f64_e32 v[148:149], v[144:145], v[128:129]
	ds_load_2addr_b64 v[126:129], v2 offset0:83 offset1:84
	ds_load_2addr_b64 v[130:133], v2 offset0:85 offset1:86
	s_wait_dscnt 0x1
	v_fmac_f64_e32 v[148:149], v[146:147], v[126:127]
	scratch_load_b128 v[144:147], off, off offset:320
	s_wait_loadcnt 0x5
	v_fmac_f64_e32 v[148:149], v[114:115], v[128:129]
	s_wait_dscnt 0x0
	s_delay_alu instid0(VALU_DEP_1)
	v_fmac_f64_e32 v[148:149], v[116:117], v[130:131]
	scratch_load_b128 v[114:117], off, off offset:336
	s_wait_loadcnt 0x5
	v_fmac_f64_e32 v[148:149], v[140:141], v[132:133]
	ds_load_2addr_b64 v[126:129], v2 offset0:87 offset1:88
	ds_load_2addr_b64 v[130:133], v2 offset0:89 offset1:90
	s_wait_dscnt 0x1
	v_fmac_f64_e32 v[148:149], v[142:143], v[126:127]
	s_wait_loadcnt 0x4
	s_delay_alu instid0(VALU_DEP_1)
	v_fmac_f64_e32 v[148:149], v[118:119], v[128:129]
	scratch_load_b128 v[126:129], off, off offset:352
	s_wait_dscnt 0x0
	v_fmac_f64_e32 v[148:149], v[120:121], v[130:131]
	scratch_load_b128 v[118:121], off, off offset:368
	s_wait_loadcnt 0x5
	v_fmac_f64_e32 v[148:149], v[136:137], v[132:133]
	ds_load_2addr_b64 v[130:133], v2 offset0:91 offset1:92
	ds_load_2addr_b64 v[134:137], v2 offset0:93 offset1:94
	s_wait_dscnt 0x1
	v_fmac_f64_e32 v[148:149], v[138:139], v[130:131]
	s_wait_loadcnt 0x4
	s_delay_alu instid0(VALU_DEP_1)
	v_fmac_f64_e32 v[148:149], v[122:123], v[132:133]
	scratch_load_b128 v[130:133], off, off offset:384
	s_wait_dscnt 0x0
	v_fmac_f64_e32 v[148:149], v[124:125], v[134:135]
	scratch_load_b128 v[122:125], off, off offset:400
	s_wait_loadcnt 0x5
	v_fmac_f64_e32 v[148:149], v[144:145], v[136:137]
	ds_load_2addr_b64 v[134:137], v2 offset0:95 offset1:96
	ds_load_2addr_b64 v[138:141], v2 offset0:97 offset1:98
	s_wait_dscnt 0x1
	v_fmac_f64_e32 v[148:149], v[146:147], v[134:135]
	s_wait_loadcnt 0x4
	s_delay_alu instid0(VALU_DEP_1) | instskip(SKIP_4) | instid1(VALU_DEP_1)
	v_fmac_f64_e32 v[148:149], v[114:115], v[136:137]
	scratch_load_b128 v[134:137], off, off offset:416
	s_wait_dscnt 0x0
	v_fmac_f64_e32 v[148:149], v[116:117], v[138:139]
	s_wait_loadcnt 0x4
	v_fmac_f64_e32 v[148:149], v[126:127], v[140:141]
	ds_load_2addr_b64 v[114:117], v2 offset0:99 offset1:100
	ds_load_2addr_b64 v[138:141], v2 offset0:101 offset1:102
	s_wait_dscnt 0x1
	v_fmac_f64_e32 v[148:149], v[128:129], v[114:115]
	s_wait_loadcnt 0x3
	s_delay_alu instid0(VALU_DEP_1) | instskip(SKIP_1) | instid1(VALU_DEP_1)
	v_fmac_f64_e32 v[148:149], v[118:119], v[116:117]
	s_wait_dscnt 0x0
	v_fmac_f64_e32 v[148:149], v[120:121], v[138:139]
	ds_load_2addr_b64 v[114:117], v2 offset0:103 offset1:104
	ds_load_2addr_b64 v[118:121], v2 offset0:105 offset1:106
	s_wait_loadcnt 0x2
	v_fmac_f64_e32 v[148:149], v[130:131], v[140:141]
	s_wait_dscnt 0x1
	s_delay_alu instid0(VALU_DEP_1) | instskip(SKIP_4) | instid1(VALU_DEP_1)
	v_fmac_f64_e32 v[148:149], v[132:133], v[114:115]
	ds_load_b64 v[114:115], v2 offset:856
	s_wait_loadcnt 0x1
	v_fmac_f64_e32 v[148:149], v[122:123], v[116:117]
	s_wait_dscnt 0x1
	v_fmac_f64_e32 v[148:149], v[124:125], v[118:119]
	s_wait_loadcnt 0x0
	s_delay_alu instid0(VALU_DEP_1) | instskip(SKIP_1) | instid1(VALU_DEP_1)
	v_fmac_f64_e32 v[148:149], v[134:135], v[120:121]
	s_wait_dscnt 0x0
	v_fmac_f64_e32 v[148:149], v[136:137], v[114:115]
	s_delay_alu instid0(VALU_DEP_1)
	v_add_f64_e64 v[112:113], v[112:113], -v[148:149]
	scratch_store_b64 off, v[112:113], off offset:128
	s_wait_xcnt 0x0
	v_cmpx_lt_u32_e32 15, v0
	s_cbranch_execz .LBB53_303
; %bb.302:
	scratch_load_b64 v[112:113], off, off offset:120
	v_mov_b64_e32 v[114:115], 0
	scratch_store_b64 off, v[114:115], off offset:120
	s_wait_loadcnt 0x0
	ds_store_b64 v1, v[112:113]
.LBB53_303:
	s_wait_xcnt 0x0
	s_or_b32 exec_lo, exec_lo, s0
	s_wait_storecnt_dscnt 0x0
	s_barrier_signal -1
	s_barrier_wait -1
	s_clause 0x5
	scratch_load_b128 v[112:115], off, off offset:120
	scratch_load_b128 v[116:119], off, off offset:136
	;; [unrolled: 1-line block ×6, first 2 shown]
	ds_load_b128 v[136:139], v2 offset:560
	ds_load_b128 v[140:143], v2 offset:576
	scratch_load_b128 v[144:147], off, off offset:216
	s_mov_b32 s0, exec_lo
	s_wait_loadcnt_dscnt 0x601
	v_fma_f64 v[148:149], v[114:115], v[136:137], 0
	s_wait_loadcnt 0x5
	s_delay_alu instid0(VALU_DEP_1) | instskip(SKIP_4) | instid1(VALU_DEP_1)
	v_fmac_f64_e32 v[148:149], v[116:117], v[138:139]
	scratch_load_b128 v[114:117], off, off offset:232
	s_wait_dscnt 0x0
	v_fmac_f64_e32 v[148:149], v[118:119], v[140:141]
	s_wait_loadcnt 0x5
	v_fmac_f64_e32 v[148:149], v[120:121], v[142:143]
	ds_load_b128 v[118:121], v2 offset:592
	ds_load_b128 v[136:139], v2 offset:608
	scratch_load_b128 v[140:143], off, off offset:248
	s_wait_dscnt 0x1
	v_fmac_f64_e32 v[148:149], v[122:123], v[118:119]
	s_wait_loadcnt 0x5
	s_delay_alu instid0(VALU_DEP_1) | instskip(SKIP_4) | instid1(VALU_DEP_1)
	v_fmac_f64_e32 v[148:149], v[124:125], v[120:121]
	scratch_load_b128 v[118:121], off, off offset:264
	s_wait_dscnt 0x0
	v_fmac_f64_e32 v[148:149], v[126:127], v[136:137]
	s_wait_loadcnt 0x5
	v_fmac_f64_e32 v[148:149], v[128:129], v[138:139]
	ds_load_b128 v[122:125], v2 offset:624
	ds_load_b128 v[126:129], v2 offset:640
	scratch_load_b128 v[136:139], off, off offset:280
	s_wait_dscnt 0x1
	v_fmac_f64_e32 v[148:149], v[130:131], v[122:123]
	s_wait_loadcnt 0x5
	s_delay_alu instid0(VALU_DEP_1) | instskip(SKIP_4) | instid1(VALU_DEP_1)
	v_fmac_f64_e32 v[148:149], v[132:133], v[124:125]
	scratch_load_b128 v[122:125], off, off offset:296
	s_wait_dscnt 0x0
	v_fmac_f64_e32 v[148:149], v[134:135], v[126:127]
	s_wait_loadcnt 0x5
	v_fmac_f64_e32 v[148:149], v[144:145], v[128:129]
	ds_load_b128 v[126:129], v2 offset:656
	ds_load_b128 v[130:133], v2 offset:672
	s_wait_dscnt 0x1
	v_fmac_f64_e32 v[148:149], v[146:147], v[126:127]
	scratch_load_b128 v[144:147], off, off offset:312
	s_wait_loadcnt 0x5
	v_fmac_f64_e32 v[148:149], v[114:115], v[128:129]
	s_wait_dscnt 0x0
	s_delay_alu instid0(VALU_DEP_1)
	v_fmac_f64_e32 v[148:149], v[116:117], v[130:131]
	scratch_load_b128 v[114:117], off, off offset:328
	s_wait_loadcnt 0x5
	v_fmac_f64_e32 v[148:149], v[140:141], v[132:133]
	ds_load_b128 v[126:129], v2 offset:688
	ds_load_b128 v[130:133], v2 offset:704
	s_wait_dscnt 0x1
	v_fmac_f64_e32 v[148:149], v[142:143], v[126:127]
	scratch_load_b128 v[140:143], off, off offset:344
	s_wait_loadcnt 0x5
	v_fmac_f64_e32 v[148:149], v[118:119], v[128:129]
	s_wait_dscnt 0x0
	s_delay_alu instid0(VALU_DEP_1)
	v_fmac_f64_e32 v[148:149], v[120:121], v[130:131]
	scratch_load_b128 v[118:121], off, off offset:360
	s_wait_loadcnt 0x5
	v_fmac_f64_e32 v[148:149], v[136:137], v[132:133]
	ds_load_b128 v[126:129], v2 offset:720
	ds_load_b128 v[130:133], v2 offset:736
	s_wait_dscnt 0x1
	v_fmac_f64_e32 v[148:149], v[138:139], v[126:127]
	s_wait_loadcnt 0x4
	s_delay_alu instid0(VALU_DEP_1)
	v_fmac_f64_e32 v[148:149], v[122:123], v[128:129]
	scratch_load_b128 v[126:129], off, off offset:376
	s_wait_dscnt 0x0
	v_fmac_f64_e32 v[148:149], v[124:125], v[130:131]
	scratch_load_b128 v[122:125], off, off offset:392
	s_wait_loadcnt 0x5
	v_fmac_f64_e32 v[148:149], v[144:145], v[132:133]
	ds_load_b128 v[130:133], v2 offset:752
	ds_load_b128 v[134:137], v2 offset:768
	scratch_load_b64 v[138:139], off, off offset:424
	s_wait_dscnt 0x1
	v_fmac_f64_e32 v[148:149], v[146:147], v[130:131]
	s_wait_loadcnt 0x5
	s_delay_alu instid0(VALU_DEP_1) | instskip(SKIP_4) | instid1(VALU_DEP_1)
	v_fmac_f64_e32 v[148:149], v[114:115], v[132:133]
	scratch_load_b128 v[130:133], off, off offset:408
	s_wait_dscnt 0x0
	v_fmac_f64_e32 v[148:149], v[116:117], v[134:135]
	s_wait_loadcnt 0x5
	v_fmac_f64_e32 v[148:149], v[140:141], v[136:137]
	ds_load_b128 v[114:117], v2 offset:784
	ds_load_b128 v[134:137], v2 offset:800
	s_wait_dscnt 0x1
	v_fmac_f64_e32 v[148:149], v[142:143], v[114:115]
	s_wait_loadcnt 0x4
	s_delay_alu instid0(VALU_DEP_1) | instskip(SKIP_1) | instid1(VALU_DEP_1)
	v_fmac_f64_e32 v[148:149], v[118:119], v[116:117]
	s_wait_dscnt 0x0
	v_fmac_f64_e32 v[148:149], v[120:121], v[134:135]
	ds_load_b128 v[114:117], v2 offset:816
	ds_load_b128 v[118:121], v2 offset:832
	s_wait_loadcnt 0x3
	v_fmac_f64_e32 v[148:149], v[126:127], v[136:137]
	s_wait_dscnt 0x1
	s_delay_alu instid0(VALU_DEP_1) | instskip(SKIP_1) | instid1(VALU_DEP_1)
	v_fmac_f64_e32 v[148:149], v[128:129], v[114:115]
	s_wait_loadcnt 0x2
	v_fmac_f64_e32 v[148:149], v[122:123], v[116:117]
	ds_load_b128 v[114:117], v2 offset:848
	s_wait_dscnt 0x1
	v_fmac_f64_e32 v[148:149], v[124:125], v[118:119]
	s_wait_loadcnt 0x0
	s_delay_alu instid0(VALU_DEP_1) | instskip(SKIP_1) | instid1(VALU_DEP_1)
	v_fmac_f64_e32 v[148:149], v[130:131], v[120:121]
	s_wait_dscnt 0x0
	v_fmac_f64_e32 v[148:149], v[132:133], v[114:115]
	s_delay_alu instid0(VALU_DEP_1) | instskip(NEXT) | instid1(VALU_DEP_1)
	v_fmac_f64_e32 v[148:149], v[138:139], v[116:117]
	v_add_f64_e64 v[2:3], v[112:113], -v[148:149]
	scratch_store_b64 off, v[2:3], off offset:120
	s_wait_xcnt 0x0
	v_cmpx_lt_u32_e32 14, v0
	s_cbranch_execz .LBB53_305
; %bb.304:
	scratch_load_b64 v[2:3], off, off offset:112
	v_mov_b64_e32 v[112:113], 0
	scratch_store_b64 off, v[112:113], off offset:112
	s_wait_loadcnt 0x0
	ds_store_b64 v1, v[2:3]
.LBB53_305:
	s_wait_xcnt 0x0
	s_or_b32 exec_lo, exec_lo, s0
	s_wait_storecnt_dscnt 0x0
	s_barrier_signal -1
	s_barrier_wait -1
	s_clause 0x5
	scratch_load_b128 v[112:115], off, off offset:112
	scratch_load_b128 v[116:119], off, off offset:128
	;; [unrolled: 1-line block ×6, first 2 shown]
	v_mov_b32_e32 v2, 0
	ds_load_2addr_b64 v[136:139], v2 offset0:69 offset1:70
	ds_load_2addr_b64 v[140:143], v2 offset0:71 offset1:72
	scratch_load_b128 v[144:147], off, off offset:208
	s_mov_b32 s0, exec_lo
	s_wait_loadcnt_dscnt 0x601
	v_fma_f64 v[148:149], v[114:115], v[136:137], 0
	s_wait_loadcnt 0x5
	s_delay_alu instid0(VALU_DEP_1) | instskip(SKIP_4) | instid1(VALU_DEP_1)
	v_fmac_f64_e32 v[148:149], v[116:117], v[138:139]
	scratch_load_b128 v[114:117], off, off offset:224
	s_wait_dscnt 0x0
	v_fmac_f64_e32 v[148:149], v[118:119], v[140:141]
	s_wait_loadcnt 0x5
	v_fmac_f64_e32 v[148:149], v[120:121], v[142:143]
	ds_load_2addr_b64 v[118:121], v2 offset0:73 offset1:74
	ds_load_2addr_b64 v[136:139], v2 offset0:75 offset1:76
	scratch_load_b128 v[140:143], off, off offset:240
	s_wait_dscnt 0x1
	v_fmac_f64_e32 v[148:149], v[122:123], v[118:119]
	s_wait_loadcnt 0x5
	s_delay_alu instid0(VALU_DEP_1) | instskip(SKIP_4) | instid1(VALU_DEP_1)
	v_fmac_f64_e32 v[148:149], v[124:125], v[120:121]
	scratch_load_b128 v[118:121], off, off offset:256
	s_wait_dscnt 0x0
	v_fmac_f64_e32 v[148:149], v[126:127], v[136:137]
	s_wait_loadcnt 0x5
	v_fmac_f64_e32 v[148:149], v[128:129], v[138:139]
	ds_load_2addr_b64 v[122:125], v2 offset0:77 offset1:78
	ds_load_2addr_b64 v[126:129], v2 offset0:79 offset1:80
	scratch_load_b128 v[136:139], off, off offset:272
	s_wait_dscnt 0x1
	v_fmac_f64_e32 v[148:149], v[130:131], v[122:123]
	s_wait_loadcnt 0x5
	s_delay_alu instid0(VALU_DEP_1) | instskip(SKIP_4) | instid1(VALU_DEP_1)
	v_fmac_f64_e32 v[148:149], v[132:133], v[124:125]
	scratch_load_b128 v[122:125], off, off offset:288
	s_wait_dscnt 0x0
	v_fmac_f64_e32 v[148:149], v[134:135], v[126:127]
	s_wait_loadcnt 0x5
	v_fmac_f64_e32 v[148:149], v[144:145], v[128:129]
	ds_load_2addr_b64 v[126:129], v2 offset0:81 offset1:82
	ds_load_2addr_b64 v[130:133], v2 offset0:83 offset1:84
	s_wait_dscnt 0x1
	v_fmac_f64_e32 v[148:149], v[146:147], v[126:127]
	scratch_load_b128 v[144:147], off, off offset:304
	s_wait_loadcnt 0x5
	v_fmac_f64_e32 v[148:149], v[114:115], v[128:129]
	s_wait_dscnt 0x0
	s_delay_alu instid0(VALU_DEP_1)
	v_fmac_f64_e32 v[148:149], v[116:117], v[130:131]
	scratch_load_b128 v[114:117], off, off offset:320
	s_wait_loadcnt 0x5
	v_fmac_f64_e32 v[148:149], v[140:141], v[132:133]
	ds_load_2addr_b64 v[126:129], v2 offset0:85 offset1:86
	ds_load_2addr_b64 v[130:133], v2 offset0:87 offset1:88
	s_wait_dscnt 0x1
	v_fmac_f64_e32 v[148:149], v[142:143], v[126:127]
	scratch_load_b128 v[140:143], off, off offset:336
	s_wait_loadcnt 0x5
	v_fmac_f64_e32 v[148:149], v[118:119], v[128:129]
	s_wait_dscnt 0x0
	s_delay_alu instid0(VALU_DEP_1)
	v_fmac_f64_e32 v[148:149], v[120:121], v[130:131]
	scratch_load_b128 v[118:121], off, off offset:352
	s_wait_loadcnt 0x5
	v_fmac_f64_e32 v[148:149], v[136:137], v[132:133]
	ds_load_2addr_b64 v[126:129], v2 offset0:89 offset1:90
	ds_load_2addr_b64 v[130:133], v2 offset0:91 offset1:92
	s_wait_dscnt 0x1
	v_fmac_f64_e32 v[148:149], v[138:139], v[126:127]
	s_wait_loadcnt 0x4
	s_delay_alu instid0(VALU_DEP_1)
	v_fmac_f64_e32 v[148:149], v[122:123], v[128:129]
	scratch_load_b128 v[126:129], off, off offset:368
	s_wait_dscnt 0x0
	v_fmac_f64_e32 v[148:149], v[124:125], v[130:131]
	scratch_load_b128 v[122:125], off, off offset:384
	s_wait_loadcnt 0x5
	v_fmac_f64_e32 v[148:149], v[144:145], v[132:133]
	ds_load_2addr_b64 v[130:133], v2 offset0:93 offset1:94
	ds_load_2addr_b64 v[134:137], v2 offset0:95 offset1:96
	s_wait_dscnt 0x1
	v_fmac_f64_e32 v[148:149], v[146:147], v[130:131]
	s_wait_loadcnt 0x4
	s_delay_alu instid0(VALU_DEP_1)
	v_fmac_f64_e32 v[148:149], v[114:115], v[132:133]
	scratch_load_b128 v[130:133], off, off offset:400
	s_wait_dscnt 0x0
	v_fmac_f64_e32 v[148:149], v[116:117], v[134:135]
	scratch_load_b128 v[114:117], off, off offset:416
	s_wait_loadcnt 0x5
	v_fmac_f64_e32 v[148:149], v[140:141], v[136:137]
	ds_load_2addr_b64 v[134:137], v2 offset0:97 offset1:98
	ds_load_2addr_b64 v[138:141], v2 offset0:99 offset1:100
	s_wait_dscnt 0x1
	v_fmac_f64_e32 v[148:149], v[142:143], v[134:135]
	s_wait_loadcnt 0x4
	s_delay_alu instid0(VALU_DEP_1) | instskip(SKIP_1) | instid1(VALU_DEP_1)
	v_fmac_f64_e32 v[148:149], v[118:119], v[136:137]
	s_wait_dscnt 0x0
	v_fmac_f64_e32 v[148:149], v[120:121], v[138:139]
	ds_load_2addr_b64 v[118:121], v2 offset0:101 offset1:102
	ds_load_2addr_b64 v[134:137], v2 offset0:103 offset1:104
	s_wait_loadcnt 0x3
	v_fmac_f64_e32 v[148:149], v[126:127], v[140:141]
	s_wait_dscnt 0x1
	s_delay_alu instid0(VALU_DEP_1) | instskip(SKIP_1) | instid1(VALU_DEP_1)
	v_fmac_f64_e32 v[148:149], v[128:129], v[118:119]
	s_wait_loadcnt 0x2
	v_fmac_f64_e32 v[148:149], v[122:123], v[120:121]
	ds_load_2addr_b64 v[118:121], v2 offset0:105 offset1:106
	ds_load_b64 v[122:123], v2 offset:856
	s_wait_dscnt 0x2
	v_fmac_f64_e32 v[148:149], v[124:125], v[134:135]
	s_wait_loadcnt 0x1
	s_delay_alu instid0(VALU_DEP_1) | instskip(SKIP_1) | instid1(VALU_DEP_1)
	v_fmac_f64_e32 v[148:149], v[130:131], v[136:137]
	s_wait_dscnt 0x1
	v_fmac_f64_e32 v[148:149], v[132:133], v[118:119]
	s_wait_loadcnt 0x0
	s_delay_alu instid0(VALU_DEP_1) | instskip(SKIP_1) | instid1(VALU_DEP_1)
	v_fmac_f64_e32 v[148:149], v[114:115], v[120:121]
	s_wait_dscnt 0x0
	v_fmac_f64_e32 v[148:149], v[116:117], v[122:123]
	s_delay_alu instid0(VALU_DEP_1)
	v_add_f64_e64 v[112:113], v[112:113], -v[148:149]
	scratch_store_b64 off, v[112:113], off offset:112
	s_wait_xcnt 0x0
	v_cmpx_lt_u32_e32 13, v0
	s_cbranch_execz .LBB53_307
; %bb.306:
	scratch_load_b64 v[112:113], off, off offset:104
	v_mov_b64_e32 v[114:115], 0
	scratch_store_b64 off, v[114:115], off offset:104
	s_wait_loadcnt 0x0
	ds_store_b64 v1, v[112:113]
.LBB53_307:
	s_wait_xcnt 0x0
	s_or_b32 exec_lo, exec_lo, s0
	s_wait_storecnt_dscnt 0x0
	s_barrier_signal -1
	s_barrier_wait -1
	s_clause 0x5
	scratch_load_b128 v[112:115], off, off offset:104
	scratch_load_b128 v[116:119], off, off offset:120
	;; [unrolled: 1-line block ×6, first 2 shown]
	ds_load_b128 v[136:139], v2 offset:544
	ds_load_b128 v[140:143], v2 offset:560
	scratch_load_b128 v[144:147], off, off offset:200
	s_mov_b32 s0, exec_lo
	s_wait_loadcnt_dscnt 0x601
	v_fma_f64 v[148:149], v[114:115], v[136:137], 0
	s_wait_loadcnt 0x5
	s_delay_alu instid0(VALU_DEP_1) | instskip(SKIP_4) | instid1(VALU_DEP_1)
	v_fmac_f64_e32 v[148:149], v[116:117], v[138:139]
	scratch_load_b128 v[114:117], off, off offset:216
	s_wait_dscnt 0x0
	v_fmac_f64_e32 v[148:149], v[118:119], v[140:141]
	s_wait_loadcnt 0x5
	v_fmac_f64_e32 v[148:149], v[120:121], v[142:143]
	ds_load_b128 v[118:121], v2 offset:576
	ds_load_b128 v[136:139], v2 offset:592
	scratch_load_b128 v[140:143], off, off offset:232
	s_wait_dscnt 0x1
	v_fmac_f64_e32 v[148:149], v[122:123], v[118:119]
	s_wait_loadcnt 0x5
	s_delay_alu instid0(VALU_DEP_1) | instskip(SKIP_4) | instid1(VALU_DEP_1)
	v_fmac_f64_e32 v[148:149], v[124:125], v[120:121]
	scratch_load_b128 v[118:121], off, off offset:248
	s_wait_dscnt 0x0
	v_fmac_f64_e32 v[148:149], v[126:127], v[136:137]
	s_wait_loadcnt 0x5
	v_fmac_f64_e32 v[148:149], v[128:129], v[138:139]
	ds_load_b128 v[122:125], v2 offset:608
	ds_load_b128 v[126:129], v2 offset:624
	scratch_load_b128 v[136:139], off, off offset:264
	s_wait_dscnt 0x1
	v_fmac_f64_e32 v[148:149], v[130:131], v[122:123]
	s_wait_loadcnt 0x5
	s_delay_alu instid0(VALU_DEP_1) | instskip(SKIP_4) | instid1(VALU_DEP_1)
	v_fmac_f64_e32 v[148:149], v[132:133], v[124:125]
	scratch_load_b128 v[122:125], off, off offset:280
	s_wait_dscnt 0x0
	v_fmac_f64_e32 v[148:149], v[134:135], v[126:127]
	s_wait_loadcnt 0x5
	v_fmac_f64_e32 v[148:149], v[144:145], v[128:129]
	ds_load_b128 v[126:129], v2 offset:640
	ds_load_b128 v[130:133], v2 offset:656
	s_wait_dscnt 0x1
	v_fmac_f64_e32 v[148:149], v[146:147], v[126:127]
	scratch_load_b128 v[144:147], off, off offset:296
	s_wait_loadcnt 0x5
	v_fmac_f64_e32 v[148:149], v[114:115], v[128:129]
	s_wait_dscnt 0x0
	s_delay_alu instid0(VALU_DEP_1)
	v_fmac_f64_e32 v[148:149], v[116:117], v[130:131]
	scratch_load_b128 v[114:117], off, off offset:312
	s_wait_loadcnt 0x5
	v_fmac_f64_e32 v[148:149], v[140:141], v[132:133]
	ds_load_b128 v[126:129], v2 offset:672
	ds_load_b128 v[130:133], v2 offset:688
	s_wait_dscnt 0x1
	v_fmac_f64_e32 v[148:149], v[142:143], v[126:127]
	scratch_load_b128 v[140:143], off, off offset:328
	s_wait_loadcnt 0x5
	v_fmac_f64_e32 v[148:149], v[118:119], v[128:129]
	s_wait_dscnt 0x0
	s_delay_alu instid0(VALU_DEP_1)
	v_fmac_f64_e32 v[148:149], v[120:121], v[130:131]
	scratch_load_b128 v[118:121], off, off offset:344
	s_wait_loadcnt 0x5
	v_fmac_f64_e32 v[148:149], v[136:137], v[132:133]
	ds_load_b128 v[126:129], v2 offset:704
	ds_load_b128 v[130:133], v2 offset:720
	s_wait_dscnt 0x1
	v_fmac_f64_e32 v[148:149], v[138:139], v[126:127]
	s_wait_loadcnt 0x4
	s_delay_alu instid0(VALU_DEP_1)
	v_fmac_f64_e32 v[148:149], v[122:123], v[128:129]
	scratch_load_b128 v[126:129], off, off offset:360
	s_wait_dscnt 0x0
	v_fmac_f64_e32 v[148:149], v[124:125], v[130:131]
	scratch_load_b128 v[122:125], off, off offset:376
	s_wait_loadcnt 0x5
	v_fmac_f64_e32 v[148:149], v[144:145], v[132:133]
	ds_load_b128 v[130:133], v2 offset:736
	ds_load_b128 v[134:137], v2 offset:752
	s_wait_dscnt 0x1
	v_fmac_f64_e32 v[148:149], v[146:147], v[130:131]
	s_wait_loadcnt 0x4
	s_delay_alu instid0(VALU_DEP_1)
	v_fmac_f64_e32 v[148:149], v[114:115], v[132:133]
	scratch_load_b128 v[130:133], off, off offset:392
	s_wait_dscnt 0x0
	v_fmac_f64_e32 v[148:149], v[116:117], v[134:135]
	scratch_load_b128 v[114:117], off, off offset:408
	s_wait_loadcnt 0x5
	v_fmac_f64_e32 v[148:149], v[140:141], v[136:137]
	ds_load_b128 v[134:137], v2 offset:768
	ds_load_b128 v[138:141], v2 offset:784
	s_wait_dscnt 0x1
	v_fmac_f64_e32 v[148:149], v[142:143], v[134:135]
	scratch_load_b64 v[142:143], off, off offset:424
	s_wait_loadcnt 0x5
	v_fmac_f64_e32 v[148:149], v[118:119], v[136:137]
	s_wait_dscnt 0x0
	s_delay_alu instid0(VALU_DEP_1)
	v_fmac_f64_e32 v[148:149], v[120:121], v[138:139]
	ds_load_b128 v[118:121], v2 offset:800
	ds_load_b128 v[134:137], v2 offset:816
	s_wait_loadcnt 0x4
	v_fmac_f64_e32 v[148:149], v[126:127], v[140:141]
	s_wait_dscnt 0x1
	s_delay_alu instid0(VALU_DEP_1) | instskip(SKIP_1) | instid1(VALU_DEP_1)
	v_fmac_f64_e32 v[148:149], v[128:129], v[118:119]
	s_wait_loadcnt 0x3
	v_fmac_f64_e32 v[148:149], v[122:123], v[120:121]
	s_wait_dscnt 0x0
	s_delay_alu instid0(VALU_DEP_1)
	v_fmac_f64_e32 v[148:149], v[124:125], v[134:135]
	ds_load_b128 v[118:121], v2 offset:832
	ds_load_b128 v[122:125], v2 offset:848
	s_wait_loadcnt 0x2
	v_fmac_f64_e32 v[148:149], v[130:131], v[136:137]
	s_wait_dscnt 0x1
	s_delay_alu instid0(VALU_DEP_1) | instskip(SKIP_1) | instid1(VALU_DEP_1)
	v_fmac_f64_e32 v[148:149], v[132:133], v[118:119]
	s_wait_loadcnt 0x1
	v_fmac_f64_e32 v[148:149], v[114:115], v[120:121]
	s_wait_dscnt 0x0
	s_delay_alu instid0(VALU_DEP_1) | instskip(SKIP_1) | instid1(VALU_DEP_1)
	v_fmac_f64_e32 v[148:149], v[116:117], v[122:123]
	s_wait_loadcnt 0x0
	v_fmac_f64_e32 v[148:149], v[142:143], v[124:125]
	s_delay_alu instid0(VALU_DEP_1)
	v_add_f64_e64 v[2:3], v[112:113], -v[148:149]
	scratch_store_b64 off, v[2:3], off offset:104
	s_wait_xcnt 0x0
	v_cmpx_lt_u32_e32 12, v0
	s_cbranch_execz .LBB53_309
; %bb.308:
	scratch_load_b64 v[2:3], off, off offset:96
	v_mov_b64_e32 v[112:113], 0
	scratch_store_b64 off, v[112:113], off offset:96
	s_wait_loadcnt 0x0
	ds_store_b64 v1, v[2:3]
.LBB53_309:
	s_wait_xcnt 0x0
	s_or_b32 exec_lo, exec_lo, s0
	s_wait_storecnt_dscnt 0x0
	s_barrier_signal -1
	s_barrier_wait -1
	s_clause 0x5
	scratch_load_b128 v[112:115], off, off offset:96
	scratch_load_b128 v[116:119], off, off offset:112
	;; [unrolled: 1-line block ×6, first 2 shown]
	v_mov_b32_e32 v2, 0
	ds_load_2addr_b64 v[136:139], v2 offset0:67 offset1:68
	ds_load_2addr_b64 v[140:143], v2 offset0:69 offset1:70
	scratch_load_b128 v[144:147], off, off offset:192
	s_mov_b32 s0, exec_lo
	s_wait_loadcnt_dscnt 0x601
	v_fma_f64 v[148:149], v[114:115], v[136:137], 0
	s_wait_loadcnt 0x5
	s_delay_alu instid0(VALU_DEP_1) | instskip(SKIP_4) | instid1(VALU_DEP_1)
	v_fmac_f64_e32 v[148:149], v[116:117], v[138:139]
	scratch_load_b128 v[114:117], off, off offset:208
	s_wait_dscnt 0x0
	v_fmac_f64_e32 v[148:149], v[118:119], v[140:141]
	s_wait_loadcnt 0x5
	v_fmac_f64_e32 v[148:149], v[120:121], v[142:143]
	ds_load_2addr_b64 v[118:121], v2 offset0:71 offset1:72
	ds_load_2addr_b64 v[136:139], v2 offset0:73 offset1:74
	scratch_load_b128 v[140:143], off, off offset:224
	s_wait_dscnt 0x1
	v_fmac_f64_e32 v[148:149], v[122:123], v[118:119]
	s_wait_loadcnt 0x5
	s_delay_alu instid0(VALU_DEP_1) | instskip(SKIP_4) | instid1(VALU_DEP_1)
	v_fmac_f64_e32 v[148:149], v[124:125], v[120:121]
	scratch_load_b128 v[118:121], off, off offset:240
	s_wait_dscnt 0x0
	v_fmac_f64_e32 v[148:149], v[126:127], v[136:137]
	s_wait_loadcnt 0x5
	v_fmac_f64_e32 v[148:149], v[128:129], v[138:139]
	ds_load_2addr_b64 v[122:125], v2 offset0:75 offset1:76
	ds_load_2addr_b64 v[126:129], v2 offset0:77 offset1:78
	scratch_load_b128 v[136:139], off, off offset:256
	s_wait_dscnt 0x1
	v_fmac_f64_e32 v[148:149], v[130:131], v[122:123]
	s_wait_loadcnt 0x5
	s_delay_alu instid0(VALU_DEP_1) | instskip(SKIP_4) | instid1(VALU_DEP_1)
	v_fmac_f64_e32 v[148:149], v[132:133], v[124:125]
	scratch_load_b128 v[122:125], off, off offset:272
	s_wait_dscnt 0x0
	v_fmac_f64_e32 v[148:149], v[134:135], v[126:127]
	s_wait_loadcnt 0x5
	v_fmac_f64_e32 v[148:149], v[144:145], v[128:129]
	ds_load_2addr_b64 v[126:129], v2 offset0:79 offset1:80
	ds_load_2addr_b64 v[130:133], v2 offset0:81 offset1:82
	s_wait_dscnt 0x1
	v_fmac_f64_e32 v[148:149], v[146:147], v[126:127]
	scratch_load_b128 v[144:147], off, off offset:288
	s_wait_loadcnt 0x5
	v_fmac_f64_e32 v[148:149], v[114:115], v[128:129]
	s_wait_dscnt 0x0
	s_delay_alu instid0(VALU_DEP_1)
	v_fmac_f64_e32 v[148:149], v[116:117], v[130:131]
	scratch_load_b128 v[114:117], off, off offset:304
	s_wait_loadcnt 0x5
	v_fmac_f64_e32 v[148:149], v[140:141], v[132:133]
	ds_load_2addr_b64 v[126:129], v2 offset0:83 offset1:84
	ds_load_2addr_b64 v[130:133], v2 offset0:85 offset1:86
	s_wait_dscnt 0x1
	v_fmac_f64_e32 v[148:149], v[142:143], v[126:127]
	scratch_load_b128 v[140:143], off, off offset:320
	s_wait_loadcnt 0x5
	v_fmac_f64_e32 v[148:149], v[118:119], v[128:129]
	s_wait_dscnt 0x0
	s_delay_alu instid0(VALU_DEP_1)
	v_fmac_f64_e32 v[148:149], v[120:121], v[130:131]
	scratch_load_b128 v[118:121], off, off offset:336
	s_wait_loadcnt 0x5
	v_fmac_f64_e32 v[148:149], v[136:137], v[132:133]
	ds_load_2addr_b64 v[126:129], v2 offset0:87 offset1:88
	ds_load_2addr_b64 v[130:133], v2 offset0:89 offset1:90
	s_wait_dscnt 0x1
	v_fmac_f64_e32 v[148:149], v[138:139], v[126:127]
	s_wait_loadcnt 0x4
	s_delay_alu instid0(VALU_DEP_1)
	v_fmac_f64_e32 v[148:149], v[122:123], v[128:129]
	scratch_load_b128 v[126:129], off, off offset:352
	s_wait_dscnt 0x0
	v_fmac_f64_e32 v[148:149], v[124:125], v[130:131]
	scratch_load_b128 v[122:125], off, off offset:368
	s_wait_loadcnt 0x5
	v_fmac_f64_e32 v[148:149], v[144:145], v[132:133]
	ds_load_2addr_b64 v[130:133], v2 offset0:91 offset1:92
	ds_load_2addr_b64 v[134:137], v2 offset0:93 offset1:94
	s_wait_dscnt 0x1
	v_fmac_f64_e32 v[148:149], v[146:147], v[130:131]
	s_wait_loadcnt 0x4
	s_delay_alu instid0(VALU_DEP_1)
	v_fmac_f64_e32 v[148:149], v[114:115], v[132:133]
	scratch_load_b128 v[130:133], off, off offset:384
	s_wait_dscnt 0x0
	v_fmac_f64_e32 v[148:149], v[116:117], v[134:135]
	scratch_load_b128 v[114:117], off, off offset:400
	s_wait_loadcnt 0x5
	v_fmac_f64_e32 v[148:149], v[140:141], v[136:137]
	ds_load_2addr_b64 v[134:137], v2 offset0:95 offset1:96
	ds_load_2addr_b64 v[138:141], v2 offset0:97 offset1:98
	s_wait_dscnt 0x1
	v_fmac_f64_e32 v[148:149], v[142:143], v[134:135]
	s_wait_loadcnt 0x4
	s_delay_alu instid0(VALU_DEP_1) | instskip(SKIP_4) | instid1(VALU_DEP_1)
	v_fmac_f64_e32 v[148:149], v[118:119], v[136:137]
	scratch_load_b128 v[134:137], off, off offset:416
	s_wait_dscnt 0x0
	v_fmac_f64_e32 v[148:149], v[120:121], v[138:139]
	s_wait_loadcnt 0x4
	v_fmac_f64_e32 v[148:149], v[126:127], v[140:141]
	ds_load_2addr_b64 v[118:121], v2 offset0:99 offset1:100
	ds_load_2addr_b64 v[138:141], v2 offset0:101 offset1:102
	s_wait_dscnt 0x1
	v_fmac_f64_e32 v[148:149], v[128:129], v[118:119]
	s_wait_loadcnt 0x3
	s_delay_alu instid0(VALU_DEP_1) | instskip(SKIP_1) | instid1(VALU_DEP_1)
	v_fmac_f64_e32 v[148:149], v[122:123], v[120:121]
	s_wait_dscnt 0x0
	v_fmac_f64_e32 v[148:149], v[124:125], v[138:139]
	ds_load_2addr_b64 v[118:121], v2 offset0:103 offset1:104
	ds_load_2addr_b64 v[122:125], v2 offset0:105 offset1:106
	s_wait_loadcnt 0x2
	v_fmac_f64_e32 v[148:149], v[130:131], v[140:141]
	s_wait_dscnt 0x1
	s_delay_alu instid0(VALU_DEP_1) | instskip(SKIP_1) | instid1(VALU_DEP_1)
	v_fmac_f64_e32 v[148:149], v[132:133], v[118:119]
	s_wait_loadcnt 0x1
	v_fmac_f64_e32 v[148:149], v[114:115], v[120:121]
	ds_load_b64 v[114:115], v2 offset:856
	s_wait_dscnt 0x1
	v_fmac_f64_e32 v[148:149], v[116:117], v[122:123]
	s_wait_loadcnt 0x0
	s_delay_alu instid0(VALU_DEP_1) | instskip(SKIP_1) | instid1(VALU_DEP_1)
	v_fmac_f64_e32 v[148:149], v[134:135], v[124:125]
	s_wait_dscnt 0x0
	v_fmac_f64_e32 v[148:149], v[136:137], v[114:115]
	s_delay_alu instid0(VALU_DEP_1)
	v_add_f64_e64 v[112:113], v[112:113], -v[148:149]
	scratch_store_b64 off, v[112:113], off offset:96
	s_wait_xcnt 0x0
	v_cmpx_lt_u32_e32 11, v0
	s_cbranch_execz .LBB53_311
; %bb.310:
	scratch_load_b64 v[112:113], off, off offset:88
	v_mov_b64_e32 v[114:115], 0
	scratch_store_b64 off, v[114:115], off offset:88
	s_wait_loadcnt 0x0
	ds_store_b64 v1, v[112:113]
.LBB53_311:
	s_wait_xcnt 0x0
	s_or_b32 exec_lo, exec_lo, s0
	s_wait_storecnt_dscnt 0x0
	s_barrier_signal -1
	s_barrier_wait -1
	s_clause 0x5
	scratch_load_b128 v[112:115], off, off offset:88
	scratch_load_b128 v[116:119], off, off offset:104
	;; [unrolled: 1-line block ×6, first 2 shown]
	ds_load_b128 v[136:139], v2 offset:528
	ds_load_b128 v[140:143], v2 offset:544
	scratch_load_b128 v[144:147], off, off offset:184
	s_mov_b32 s0, exec_lo
	s_wait_loadcnt_dscnt 0x601
	v_fma_f64 v[148:149], v[114:115], v[136:137], 0
	s_wait_loadcnt 0x5
	s_delay_alu instid0(VALU_DEP_1) | instskip(SKIP_4) | instid1(VALU_DEP_1)
	v_fmac_f64_e32 v[148:149], v[116:117], v[138:139]
	scratch_load_b128 v[114:117], off, off offset:200
	s_wait_dscnt 0x0
	v_fmac_f64_e32 v[148:149], v[118:119], v[140:141]
	s_wait_loadcnt 0x5
	v_fmac_f64_e32 v[148:149], v[120:121], v[142:143]
	ds_load_b128 v[118:121], v2 offset:560
	ds_load_b128 v[136:139], v2 offset:576
	scratch_load_b128 v[140:143], off, off offset:216
	s_wait_dscnt 0x1
	v_fmac_f64_e32 v[148:149], v[122:123], v[118:119]
	s_wait_loadcnt 0x5
	s_delay_alu instid0(VALU_DEP_1) | instskip(SKIP_4) | instid1(VALU_DEP_1)
	v_fmac_f64_e32 v[148:149], v[124:125], v[120:121]
	scratch_load_b128 v[118:121], off, off offset:232
	s_wait_dscnt 0x0
	v_fmac_f64_e32 v[148:149], v[126:127], v[136:137]
	s_wait_loadcnt 0x5
	v_fmac_f64_e32 v[148:149], v[128:129], v[138:139]
	ds_load_b128 v[122:125], v2 offset:592
	ds_load_b128 v[126:129], v2 offset:608
	scratch_load_b128 v[136:139], off, off offset:248
	s_wait_dscnt 0x1
	v_fmac_f64_e32 v[148:149], v[130:131], v[122:123]
	s_wait_loadcnt 0x5
	s_delay_alu instid0(VALU_DEP_1) | instskip(SKIP_4) | instid1(VALU_DEP_1)
	v_fmac_f64_e32 v[148:149], v[132:133], v[124:125]
	scratch_load_b128 v[122:125], off, off offset:264
	s_wait_dscnt 0x0
	v_fmac_f64_e32 v[148:149], v[134:135], v[126:127]
	s_wait_loadcnt 0x5
	v_fmac_f64_e32 v[148:149], v[144:145], v[128:129]
	ds_load_b128 v[126:129], v2 offset:624
	ds_load_b128 v[130:133], v2 offset:640
	s_wait_dscnt 0x1
	v_fmac_f64_e32 v[148:149], v[146:147], v[126:127]
	scratch_load_b128 v[144:147], off, off offset:280
	s_wait_loadcnt 0x5
	v_fmac_f64_e32 v[148:149], v[114:115], v[128:129]
	s_wait_dscnt 0x0
	s_delay_alu instid0(VALU_DEP_1)
	v_fmac_f64_e32 v[148:149], v[116:117], v[130:131]
	scratch_load_b128 v[114:117], off, off offset:296
	s_wait_loadcnt 0x5
	v_fmac_f64_e32 v[148:149], v[140:141], v[132:133]
	ds_load_b128 v[126:129], v2 offset:656
	ds_load_b128 v[130:133], v2 offset:672
	s_wait_dscnt 0x1
	v_fmac_f64_e32 v[148:149], v[142:143], v[126:127]
	scratch_load_b128 v[140:143], off, off offset:312
	s_wait_loadcnt 0x5
	v_fmac_f64_e32 v[148:149], v[118:119], v[128:129]
	s_wait_dscnt 0x0
	s_delay_alu instid0(VALU_DEP_1)
	v_fmac_f64_e32 v[148:149], v[120:121], v[130:131]
	scratch_load_b128 v[118:121], off, off offset:328
	s_wait_loadcnt 0x5
	v_fmac_f64_e32 v[148:149], v[136:137], v[132:133]
	ds_load_b128 v[126:129], v2 offset:688
	ds_load_b128 v[130:133], v2 offset:704
	scratch_load_b128 v[134:137], off, off offset:344
	s_wait_dscnt 0x1
	v_fmac_f64_e32 v[148:149], v[138:139], v[126:127]
	s_wait_loadcnt 0x5
	s_delay_alu instid0(VALU_DEP_1) | instskip(SKIP_1) | instid1(VALU_DEP_1)
	v_fmac_f64_e32 v[148:149], v[122:123], v[128:129]
	s_wait_dscnt 0x0
	v_fmac_f64_e32 v[148:149], v[124:125], v[130:131]
	scratch_load_b128 v[122:125], off, off offset:360
	s_wait_loadcnt 0x5
	v_fmac_f64_e32 v[148:149], v[144:145], v[132:133]
	ds_load_b128 v[126:129], v2 offset:720
	ds_load_b128 v[130:133], v2 offset:736
	s_wait_dscnt 0x1
	v_fmac_f64_e32 v[148:149], v[146:147], v[126:127]
	s_wait_loadcnt 0x4
	s_delay_alu instid0(VALU_DEP_1)
	v_fmac_f64_e32 v[148:149], v[114:115], v[128:129]
	scratch_load_b128 v[126:129], off, off offset:376
	s_wait_dscnt 0x0
	v_fmac_f64_e32 v[148:149], v[116:117], v[130:131]
	scratch_load_b128 v[114:117], off, off offset:392
	s_wait_loadcnt 0x5
	v_fmac_f64_e32 v[148:149], v[140:141], v[132:133]
	ds_load_b128 v[130:133], v2 offset:752
	ds_load_b128 v[138:141], v2 offset:768
	s_wait_dscnt 0x1
	v_fmac_f64_e32 v[148:149], v[142:143], v[130:131]
	s_wait_loadcnt 0x4
	s_delay_alu instid0(VALU_DEP_1) | instskip(SKIP_4) | instid1(VALU_DEP_1)
	v_fmac_f64_e32 v[148:149], v[118:119], v[132:133]
	scratch_load_b128 v[130:133], off, off offset:408
	s_wait_dscnt 0x0
	v_fmac_f64_e32 v[148:149], v[120:121], v[138:139]
	s_wait_loadcnt 0x4
	v_fmac_f64_e32 v[148:149], v[134:135], v[140:141]
	scratch_load_b64 v[134:135], off, off offset:424
	ds_load_b128 v[118:121], v2 offset:784
	ds_load_b128 v[138:141], v2 offset:800
	s_wait_dscnt 0x1
	v_fmac_f64_e32 v[148:149], v[136:137], v[118:119]
	s_wait_loadcnt 0x4
	s_delay_alu instid0(VALU_DEP_1) | instskip(SKIP_1) | instid1(VALU_DEP_1)
	v_fmac_f64_e32 v[148:149], v[122:123], v[120:121]
	s_wait_dscnt 0x0
	v_fmac_f64_e32 v[148:149], v[124:125], v[138:139]
	ds_load_b128 v[118:121], v2 offset:816
	ds_load_b128 v[122:125], v2 offset:832
	s_wait_loadcnt 0x3
	v_fmac_f64_e32 v[148:149], v[126:127], v[140:141]
	s_wait_dscnt 0x1
	s_delay_alu instid0(VALU_DEP_1) | instskip(SKIP_1) | instid1(VALU_DEP_1)
	v_fmac_f64_e32 v[148:149], v[128:129], v[118:119]
	s_wait_loadcnt 0x2
	v_fmac_f64_e32 v[148:149], v[114:115], v[120:121]
	s_wait_dscnt 0x0
	s_delay_alu instid0(VALU_DEP_1) | instskip(SKIP_4) | instid1(VALU_DEP_1)
	v_fmac_f64_e32 v[148:149], v[116:117], v[122:123]
	ds_load_b128 v[114:117], v2 offset:848
	s_wait_loadcnt 0x1
	v_fmac_f64_e32 v[148:149], v[130:131], v[124:125]
	s_wait_dscnt 0x0
	v_fmac_f64_e32 v[148:149], v[132:133], v[114:115]
	s_wait_loadcnt 0x0
	s_delay_alu instid0(VALU_DEP_1) | instskip(NEXT) | instid1(VALU_DEP_1)
	v_fmac_f64_e32 v[148:149], v[134:135], v[116:117]
	v_add_f64_e64 v[2:3], v[112:113], -v[148:149]
	scratch_store_b64 off, v[2:3], off offset:88
	s_wait_xcnt 0x0
	v_cmpx_lt_u32_e32 10, v0
	s_cbranch_execz .LBB53_313
; %bb.312:
	scratch_load_b64 v[2:3], off, off offset:80
	v_mov_b64_e32 v[112:113], 0
	scratch_store_b64 off, v[112:113], off offset:80
	s_wait_loadcnt 0x0
	ds_store_b64 v1, v[2:3]
.LBB53_313:
	s_wait_xcnt 0x0
	s_or_b32 exec_lo, exec_lo, s0
	s_wait_storecnt_dscnt 0x0
	s_barrier_signal -1
	s_barrier_wait -1
	s_clause 0x5
	scratch_load_b128 v[112:115], off, off offset:80
	scratch_load_b128 v[116:119], off, off offset:96
	;; [unrolled: 1-line block ×6, first 2 shown]
	v_mov_b32_e32 v2, 0
	ds_load_2addr_b64 v[136:139], v2 offset0:65 offset1:66
	ds_load_2addr_b64 v[140:143], v2 offset0:67 offset1:68
	scratch_load_b128 v[144:147], off, off offset:176
	s_mov_b32 s0, exec_lo
	s_wait_loadcnt_dscnt 0x601
	v_fma_f64 v[148:149], v[114:115], v[136:137], 0
	s_wait_loadcnt 0x5
	s_delay_alu instid0(VALU_DEP_1) | instskip(SKIP_4) | instid1(VALU_DEP_1)
	v_fmac_f64_e32 v[148:149], v[116:117], v[138:139]
	scratch_load_b128 v[114:117], off, off offset:192
	s_wait_dscnt 0x0
	v_fmac_f64_e32 v[148:149], v[118:119], v[140:141]
	s_wait_loadcnt 0x5
	v_fmac_f64_e32 v[148:149], v[120:121], v[142:143]
	ds_load_2addr_b64 v[118:121], v2 offset0:69 offset1:70
	ds_load_2addr_b64 v[136:139], v2 offset0:71 offset1:72
	scratch_load_b128 v[140:143], off, off offset:208
	s_wait_dscnt 0x1
	v_fmac_f64_e32 v[148:149], v[122:123], v[118:119]
	s_wait_loadcnt 0x5
	s_delay_alu instid0(VALU_DEP_1) | instskip(SKIP_4) | instid1(VALU_DEP_1)
	v_fmac_f64_e32 v[148:149], v[124:125], v[120:121]
	scratch_load_b128 v[118:121], off, off offset:224
	s_wait_dscnt 0x0
	v_fmac_f64_e32 v[148:149], v[126:127], v[136:137]
	s_wait_loadcnt 0x5
	v_fmac_f64_e32 v[148:149], v[128:129], v[138:139]
	ds_load_2addr_b64 v[122:125], v2 offset0:73 offset1:74
	ds_load_2addr_b64 v[126:129], v2 offset0:75 offset1:76
	scratch_load_b128 v[136:139], off, off offset:240
	s_wait_dscnt 0x1
	v_fmac_f64_e32 v[148:149], v[130:131], v[122:123]
	s_wait_loadcnt 0x5
	s_delay_alu instid0(VALU_DEP_1) | instskip(SKIP_4) | instid1(VALU_DEP_1)
	v_fmac_f64_e32 v[148:149], v[132:133], v[124:125]
	scratch_load_b128 v[122:125], off, off offset:256
	s_wait_dscnt 0x0
	v_fmac_f64_e32 v[148:149], v[134:135], v[126:127]
	s_wait_loadcnt 0x5
	v_fmac_f64_e32 v[148:149], v[144:145], v[128:129]
	ds_load_2addr_b64 v[126:129], v2 offset0:77 offset1:78
	ds_load_2addr_b64 v[130:133], v2 offset0:79 offset1:80
	s_wait_dscnt 0x1
	v_fmac_f64_e32 v[148:149], v[146:147], v[126:127]
	scratch_load_b128 v[144:147], off, off offset:272
	s_wait_loadcnt 0x5
	v_fmac_f64_e32 v[148:149], v[114:115], v[128:129]
	s_wait_dscnt 0x0
	s_delay_alu instid0(VALU_DEP_1)
	v_fmac_f64_e32 v[148:149], v[116:117], v[130:131]
	scratch_load_b128 v[114:117], off, off offset:288
	s_wait_loadcnt 0x5
	v_fmac_f64_e32 v[148:149], v[140:141], v[132:133]
	ds_load_2addr_b64 v[126:129], v2 offset0:81 offset1:82
	ds_load_2addr_b64 v[130:133], v2 offset0:83 offset1:84
	s_wait_dscnt 0x1
	v_fmac_f64_e32 v[148:149], v[142:143], v[126:127]
	scratch_load_b128 v[140:143], off, off offset:304
	s_wait_loadcnt 0x5
	v_fmac_f64_e32 v[148:149], v[118:119], v[128:129]
	s_wait_dscnt 0x0
	s_delay_alu instid0(VALU_DEP_1)
	v_fmac_f64_e32 v[148:149], v[120:121], v[130:131]
	scratch_load_b128 v[118:121], off, off offset:320
	s_wait_loadcnt 0x5
	v_fmac_f64_e32 v[148:149], v[136:137], v[132:133]
	ds_load_2addr_b64 v[126:129], v2 offset0:85 offset1:86
	ds_load_2addr_b64 v[130:133], v2 offset0:87 offset1:88
	scratch_load_b128 v[134:137], off, off offset:336
	s_wait_dscnt 0x1
	v_fmac_f64_e32 v[148:149], v[138:139], v[126:127]
	s_wait_loadcnt 0x5
	s_delay_alu instid0(VALU_DEP_1) | instskip(SKIP_1) | instid1(VALU_DEP_1)
	v_fmac_f64_e32 v[148:149], v[122:123], v[128:129]
	s_wait_dscnt 0x0
	v_fmac_f64_e32 v[148:149], v[124:125], v[130:131]
	scratch_load_b128 v[122:125], off, off offset:352
	s_wait_loadcnt 0x5
	v_fmac_f64_e32 v[148:149], v[144:145], v[132:133]
	ds_load_2addr_b64 v[126:129], v2 offset0:89 offset1:90
	ds_load_2addr_b64 v[130:133], v2 offset0:91 offset1:92
	s_wait_dscnt 0x1
	v_fmac_f64_e32 v[148:149], v[146:147], v[126:127]
	s_wait_loadcnt 0x4
	s_delay_alu instid0(VALU_DEP_1)
	v_fmac_f64_e32 v[148:149], v[114:115], v[128:129]
	scratch_load_b128 v[126:129], off, off offset:368
	s_wait_dscnt 0x0
	v_fmac_f64_e32 v[148:149], v[116:117], v[130:131]
	scratch_load_b128 v[114:117], off, off offset:384
	s_wait_loadcnt 0x5
	v_fmac_f64_e32 v[148:149], v[140:141], v[132:133]
	ds_load_2addr_b64 v[130:133], v2 offset0:93 offset1:94
	ds_load_2addr_b64 v[138:141], v2 offset0:95 offset1:96
	s_wait_dscnt 0x1
	v_fmac_f64_e32 v[148:149], v[142:143], v[130:131]
	s_wait_loadcnt 0x4
	s_delay_alu instid0(VALU_DEP_1)
	v_fmac_f64_e32 v[148:149], v[118:119], v[132:133]
	scratch_load_b128 v[130:133], off, off offset:400
	s_wait_dscnt 0x0
	v_fmac_f64_e32 v[148:149], v[120:121], v[138:139]
	scratch_load_b128 v[118:121], off, off offset:416
	s_wait_loadcnt 0x5
	v_fmac_f64_e32 v[148:149], v[134:135], v[140:141]
	ds_load_2addr_b64 v[138:141], v2 offset0:97 offset1:98
	ds_load_2addr_b64 v[142:145], v2 offset0:99 offset1:100
	s_wait_dscnt 0x1
	v_fmac_f64_e32 v[148:149], v[136:137], v[138:139]
	s_wait_loadcnt 0x4
	s_delay_alu instid0(VALU_DEP_1) | instskip(SKIP_1) | instid1(VALU_DEP_1)
	v_fmac_f64_e32 v[148:149], v[122:123], v[140:141]
	s_wait_dscnt 0x0
	v_fmac_f64_e32 v[148:149], v[124:125], v[142:143]
	ds_load_2addr_b64 v[122:125], v2 offset0:101 offset1:102
	ds_load_2addr_b64 v[134:137], v2 offset0:103 offset1:104
	s_wait_loadcnt 0x3
	v_fmac_f64_e32 v[148:149], v[126:127], v[144:145]
	s_wait_dscnt 0x1
	s_delay_alu instid0(VALU_DEP_1) | instskip(SKIP_1) | instid1(VALU_DEP_1)
	v_fmac_f64_e32 v[148:149], v[128:129], v[122:123]
	s_wait_loadcnt 0x2
	v_fmac_f64_e32 v[148:149], v[114:115], v[124:125]
	s_wait_dscnt 0x0
	s_delay_alu instid0(VALU_DEP_1)
	v_fmac_f64_e32 v[148:149], v[116:117], v[134:135]
	ds_load_2addr_b64 v[114:117], v2 offset0:105 offset1:106
	ds_load_b64 v[122:123], v2 offset:856
	s_wait_loadcnt 0x1
	v_fmac_f64_e32 v[148:149], v[130:131], v[136:137]
	s_wait_dscnt 0x1
	s_delay_alu instid0(VALU_DEP_1) | instskip(SKIP_1) | instid1(VALU_DEP_1)
	v_fmac_f64_e32 v[148:149], v[132:133], v[114:115]
	s_wait_loadcnt 0x0
	v_fmac_f64_e32 v[148:149], v[118:119], v[116:117]
	s_wait_dscnt 0x0
	s_delay_alu instid0(VALU_DEP_1) | instskip(NEXT) | instid1(VALU_DEP_1)
	v_fmac_f64_e32 v[148:149], v[120:121], v[122:123]
	v_add_f64_e64 v[112:113], v[112:113], -v[148:149]
	scratch_store_b64 off, v[112:113], off offset:80
	s_wait_xcnt 0x0
	v_cmpx_lt_u32_e32 9, v0
	s_cbranch_execz .LBB53_315
; %bb.314:
	scratch_load_b64 v[112:113], off, off offset:72
	v_mov_b64_e32 v[114:115], 0
	scratch_store_b64 off, v[114:115], off offset:72
	s_wait_loadcnt 0x0
	ds_store_b64 v1, v[112:113]
.LBB53_315:
	s_wait_xcnt 0x0
	s_or_b32 exec_lo, exec_lo, s0
	s_wait_storecnt_dscnt 0x0
	s_barrier_signal -1
	s_barrier_wait -1
	s_clause 0x5
	scratch_load_b128 v[112:115], off, off offset:72
	scratch_load_b128 v[116:119], off, off offset:88
	;; [unrolled: 1-line block ×6, first 2 shown]
	ds_load_b128 v[136:139], v2 offset:512
	ds_load_b128 v[140:143], v2 offset:528
	scratch_load_b128 v[144:147], off, off offset:168
	s_mov_b32 s0, exec_lo
	s_wait_loadcnt_dscnt 0x601
	v_fma_f64 v[148:149], v[114:115], v[136:137], 0
	s_wait_loadcnt 0x5
	s_delay_alu instid0(VALU_DEP_1) | instskip(SKIP_4) | instid1(VALU_DEP_1)
	v_fmac_f64_e32 v[148:149], v[116:117], v[138:139]
	scratch_load_b128 v[114:117], off, off offset:184
	s_wait_dscnt 0x0
	v_fmac_f64_e32 v[148:149], v[118:119], v[140:141]
	s_wait_loadcnt 0x5
	v_fmac_f64_e32 v[148:149], v[120:121], v[142:143]
	ds_load_b128 v[118:121], v2 offset:544
	ds_load_b128 v[136:139], v2 offset:560
	scratch_load_b128 v[140:143], off, off offset:200
	s_wait_dscnt 0x1
	v_fmac_f64_e32 v[148:149], v[122:123], v[118:119]
	s_wait_loadcnt 0x5
	s_delay_alu instid0(VALU_DEP_1) | instskip(SKIP_4) | instid1(VALU_DEP_1)
	v_fmac_f64_e32 v[148:149], v[124:125], v[120:121]
	scratch_load_b128 v[118:121], off, off offset:216
	s_wait_dscnt 0x0
	v_fmac_f64_e32 v[148:149], v[126:127], v[136:137]
	s_wait_loadcnt 0x5
	v_fmac_f64_e32 v[148:149], v[128:129], v[138:139]
	ds_load_b128 v[122:125], v2 offset:576
	ds_load_b128 v[126:129], v2 offset:592
	scratch_load_b128 v[136:139], off, off offset:232
	s_wait_dscnt 0x1
	v_fmac_f64_e32 v[148:149], v[130:131], v[122:123]
	s_wait_loadcnt 0x5
	s_delay_alu instid0(VALU_DEP_1) | instskip(SKIP_4) | instid1(VALU_DEP_1)
	v_fmac_f64_e32 v[148:149], v[132:133], v[124:125]
	scratch_load_b128 v[122:125], off, off offset:248
	s_wait_dscnt 0x0
	v_fmac_f64_e32 v[148:149], v[134:135], v[126:127]
	s_wait_loadcnt 0x5
	v_fmac_f64_e32 v[148:149], v[144:145], v[128:129]
	ds_load_b128 v[126:129], v2 offset:608
	ds_load_b128 v[130:133], v2 offset:624
	s_wait_dscnt 0x1
	v_fmac_f64_e32 v[148:149], v[146:147], v[126:127]
	scratch_load_b128 v[144:147], off, off offset:264
	s_wait_loadcnt 0x5
	v_fmac_f64_e32 v[148:149], v[114:115], v[128:129]
	s_wait_dscnt 0x0
	s_delay_alu instid0(VALU_DEP_1)
	v_fmac_f64_e32 v[148:149], v[116:117], v[130:131]
	scratch_load_b128 v[114:117], off, off offset:280
	s_wait_loadcnt 0x5
	v_fmac_f64_e32 v[148:149], v[140:141], v[132:133]
	ds_load_b128 v[126:129], v2 offset:640
	ds_load_b128 v[130:133], v2 offset:656
	s_wait_dscnt 0x1
	v_fmac_f64_e32 v[148:149], v[142:143], v[126:127]
	scratch_load_b128 v[140:143], off, off offset:296
	s_wait_loadcnt 0x5
	v_fmac_f64_e32 v[148:149], v[118:119], v[128:129]
	s_wait_dscnt 0x0
	s_delay_alu instid0(VALU_DEP_1)
	v_fmac_f64_e32 v[148:149], v[120:121], v[130:131]
	scratch_load_b128 v[118:121], off, off offset:312
	s_wait_loadcnt 0x5
	v_fmac_f64_e32 v[148:149], v[136:137], v[132:133]
	ds_load_b128 v[126:129], v2 offset:672
	ds_load_b128 v[130:133], v2 offset:688
	scratch_load_b128 v[134:137], off, off offset:328
	s_wait_dscnt 0x1
	v_fmac_f64_e32 v[148:149], v[138:139], v[126:127]
	s_wait_loadcnt 0x5
	s_delay_alu instid0(VALU_DEP_1) | instskip(SKIP_1) | instid1(VALU_DEP_1)
	v_fmac_f64_e32 v[148:149], v[122:123], v[128:129]
	s_wait_dscnt 0x0
	v_fmac_f64_e32 v[148:149], v[124:125], v[130:131]
	scratch_load_b128 v[122:125], off, off offset:344
	s_wait_loadcnt 0x5
	v_fmac_f64_e32 v[148:149], v[144:145], v[132:133]
	ds_load_b128 v[126:129], v2 offset:704
	ds_load_b128 v[130:133], v2 offset:720
	s_wait_dscnt 0x1
	v_fmac_f64_e32 v[148:149], v[146:147], v[126:127]
	s_wait_loadcnt 0x4
	s_delay_alu instid0(VALU_DEP_1)
	v_fmac_f64_e32 v[148:149], v[114:115], v[128:129]
	scratch_load_b128 v[126:129], off, off offset:360
	s_wait_dscnt 0x0
	v_fmac_f64_e32 v[148:149], v[116:117], v[130:131]
	scratch_load_b128 v[114:117], off, off offset:376
	s_wait_loadcnt 0x5
	v_fmac_f64_e32 v[148:149], v[140:141], v[132:133]
	ds_load_b128 v[130:133], v2 offset:736
	ds_load_b128 v[138:141], v2 offset:752
	s_wait_dscnt 0x1
	v_fmac_f64_e32 v[148:149], v[142:143], v[130:131]
	s_wait_loadcnt 0x4
	s_delay_alu instid0(VALU_DEP_1)
	v_fmac_f64_e32 v[148:149], v[118:119], v[132:133]
	scratch_load_b128 v[130:133], off, off offset:392
	s_wait_dscnt 0x0
	v_fmac_f64_e32 v[148:149], v[120:121], v[138:139]
	scratch_load_b128 v[118:121], off, off offset:408
	s_wait_loadcnt 0x5
	v_fmac_f64_e32 v[148:149], v[134:135], v[140:141]
	ds_load_b128 v[138:141], v2 offset:768
	ds_load_b128 v[142:145], v2 offset:784
	s_wait_dscnt 0x1
	v_fmac_f64_e32 v[148:149], v[136:137], v[138:139]
	scratch_load_b64 v[138:139], off, off offset:424
	s_wait_loadcnt 0x5
	v_fmac_f64_e32 v[148:149], v[122:123], v[140:141]
	s_wait_dscnt 0x0
	s_delay_alu instid0(VALU_DEP_1)
	v_fmac_f64_e32 v[148:149], v[124:125], v[142:143]
	ds_load_b128 v[122:125], v2 offset:800
	ds_load_b128 v[134:137], v2 offset:816
	s_wait_loadcnt 0x4
	v_fmac_f64_e32 v[148:149], v[126:127], v[144:145]
	s_wait_dscnt 0x1
	s_delay_alu instid0(VALU_DEP_1) | instskip(SKIP_1) | instid1(VALU_DEP_1)
	v_fmac_f64_e32 v[148:149], v[128:129], v[122:123]
	s_wait_loadcnt 0x3
	v_fmac_f64_e32 v[148:149], v[114:115], v[124:125]
	s_wait_dscnt 0x0
	s_delay_alu instid0(VALU_DEP_1)
	v_fmac_f64_e32 v[148:149], v[116:117], v[134:135]
	ds_load_b128 v[114:117], v2 offset:832
	ds_load_b128 v[122:125], v2 offset:848
	s_wait_loadcnt 0x2
	v_fmac_f64_e32 v[148:149], v[130:131], v[136:137]
	s_wait_dscnt 0x1
	s_delay_alu instid0(VALU_DEP_1) | instskip(SKIP_1) | instid1(VALU_DEP_1)
	v_fmac_f64_e32 v[148:149], v[132:133], v[114:115]
	s_wait_loadcnt 0x1
	v_fmac_f64_e32 v[148:149], v[118:119], v[116:117]
	s_wait_dscnt 0x0
	s_delay_alu instid0(VALU_DEP_1) | instskip(SKIP_1) | instid1(VALU_DEP_1)
	v_fmac_f64_e32 v[148:149], v[120:121], v[122:123]
	s_wait_loadcnt 0x0
	v_fmac_f64_e32 v[148:149], v[138:139], v[124:125]
	s_delay_alu instid0(VALU_DEP_1)
	v_add_f64_e64 v[2:3], v[112:113], -v[148:149]
	scratch_store_b64 off, v[2:3], off offset:72
	s_wait_xcnt 0x0
	v_cmpx_lt_u32_e32 8, v0
	s_cbranch_execz .LBB53_317
; %bb.316:
	scratch_load_b64 v[2:3], off, off offset:64
	v_mov_b64_e32 v[112:113], 0
	scratch_store_b64 off, v[112:113], off offset:64
	s_wait_loadcnt 0x0
	ds_store_b64 v1, v[2:3]
.LBB53_317:
	s_wait_xcnt 0x0
	s_or_b32 exec_lo, exec_lo, s0
	s_wait_storecnt_dscnt 0x0
	s_barrier_signal -1
	s_barrier_wait -1
	s_clause 0x5
	scratch_load_b128 v[112:115], off, off offset:64
	scratch_load_b128 v[116:119], off, off offset:80
	;; [unrolled: 1-line block ×6, first 2 shown]
	v_mov_b32_e32 v2, 0
	ds_load_2addr_b64 v[136:139], v2 offset0:63 offset1:64
	ds_load_2addr_b64 v[140:143], v2 offset0:65 offset1:66
	scratch_load_b128 v[144:147], off, off offset:160
	s_mov_b32 s0, exec_lo
	s_wait_loadcnt_dscnt 0x601
	v_fma_f64 v[148:149], v[114:115], v[136:137], 0
	s_wait_loadcnt 0x5
	s_delay_alu instid0(VALU_DEP_1) | instskip(SKIP_4) | instid1(VALU_DEP_1)
	v_fmac_f64_e32 v[148:149], v[116:117], v[138:139]
	scratch_load_b128 v[114:117], off, off offset:176
	s_wait_dscnt 0x0
	v_fmac_f64_e32 v[148:149], v[118:119], v[140:141]
	s_wait_loadcnt 0x5
	v_fmac_f64_e32 v[148:149], v[120:121], v[142:143]
	ds_load_2addr_b64 v[118:121], v2 offset0:67 offset1:68
	ds_load_2addr_b64 v[136:139], v2 offset0:69 offset1:70
	scratch_load_b128 v[140:143], off, off offset:192
	s_wait_dscnt 0x1
	v_fmac_f64_e32 v[148:149], v[122:123], v[118:119]
	s_wait_loadcnt 0x5
	s_delay_alu instid0(VALU_DEP_1) | instskip(SKIP_4) | instid1(VALU_DEP_1)
	v_fmac_f64_e32 v[148:149], v[124:125], v[120:121]
	scratch_load_b128 v[118:121], off, off offset:208
	s_wait_dscnt 0x0
	v_fmac_f64_e32 v[148:149], v[126:127], v[136:137]
	s_wait_loadcnt 0x5
	v_fmac_f64_e32 v[148:149], v[128:129], v[138:139]
	ds_load_2addr_b64 v[122:125], v2 offset0:71 offset1:72
	ds_load_2addr_b64 v[126:129], v2 offset0:73 offset1:74
	scratch_load_b128 v[136:139], off, off offset:224
	s_wait_dscnt 0x1
	v_fmac_f64_e32 v[148:149], v[130:131], v[122:123]
	s_wait_loadcnt 0x5
	s_delay_alu instid0(VALU_DEP_1) | instskip(SKIP_4) | instid1(VALU_DEP_1)
	v_fmac_f64_e32 v[148:149], v[132:133], v[124:125]
	scratch_load_b128 v[122:125], off, off offset:240
	s_wait_dscnt 0x0
	v_fmac_f64_e32 v[148:149], v[134:135], v[126:127]
	s_wait_loadcnt 0x5
	v_fmac_f64_e32 v[148:149], v[144:145], v[128:129]
	ds_load_2addr_b64 v[126:129], v2 offset0:75 offset1:76
	ds_load_2addr_b64 v[130:133], v2 offset0:77 offset1:78
	s_wait_dscnt 0x1
	v_fmac_f64_e32 v[148:149], v[146:147], v[126:127]
	scratch_load_b128 v[144:147], off, off offset:256
	s_wait_loadcnt 0x5
	v_fmac_f64_e32 v[148:149], v[114:115], v[128:129]
	s_wait_dscnt 0x0
	s_delay_alu instid0(VALU_DEP_1)
	v_fmac_f64_e32 v[148:149], v[116:117], v[130:131]
	scratch_load_b128 v[114:117], off, off offset:272
	s_wait_loadcnt 0x5
	v_fmac_f64_e32 v[148:149], v[140:141], v[132:133]
	ds_load_2addr_b64 v[126:129], v2 offset0:79 offset1:80
	ds_load_2addr_b64 v[130:133], v2 offset0:81 offset1:82
	s_wait_dscnt 0x1
	v_fmac_f64_e32 v[148:149], v[142:143], v[126:127]
	scratch_load_b128 v[140:143], off, off offset:288
	s_wait_loadcnt 0x5
	v_fmac_f64_e32 v[148:149], v[118:119], v[128:129]
	s_wait_dscnt 0x0
	s_delay_alu instid0(VALU_DEP_1)
	v_fmac_f64_e32 v[148:149], v[120:121], v[130:131]
	scratch_load_b128 v[118:121], off, off offset:304
	s_wait_loadcnt 0x5
	v_fmac_f64_e32 v[148:149], v[136:137], v[132:133]
	ds_load_2addr_b64 v[126:129], v2 offset0:83 offset1:84
	ds_load_2addr_b64 v[130:133], v2 offset0:85 offset1:86
	scratch_load_b128 v[134:137], off, off offset:320
	s_wait_dscnt 0x1
	v_fmac_f64_e32 v[148:149], v[138:139], v[126:127]
	s_wait_loadcnt 0x5
	s_delay_alu instid0(VALU_DEP_1) | instskip(SKIP_1) | instid1(VALU_DEP_1)
	v_fmac_f64_e32 v[148:149], v[122:123], v[128:129]
	s_wait_dscnt 0x0
	v_fmac_f64_e32 v[148:149], v[124:125], v[130:131]
	scratch_load_b128 v[122:125], off, off offset:336
	s_wait_loadcnt 0x5
	v_fmac_f64_e32 v[148:149], v[144:145], v[132:133]
	ds_load_2addr_b64 v[126:129], v2 offset0:87 offset1:88
	ds_load_2addr_b64 v[130:133], v2 offset0:89 offset1:90
	s_wait_dscnt 0x1
	v_fmac_f64_e32 v[148:149], v[146:147], v[126:127]
	s_wait_loadcnt 0x4
	s_delay_alu instid0(VALU_DEP_1)
	v_fmac_f64_e32 v[148:149], v[114:115], v[128:129]
	scratch_load_b128 v[126:129], off, off offset:352
	s_wait_dscnt 0x0
	v_fmac_f64_e32 v[148:149], v[116:117], v[130:131]
	scratch_load_b128 v[114:117], off, off offset:368
	s_wait_loadcnt 0x5
	v_fmac_f64_e32 v[148:149], v[140:141], v[132:133]
	ds_load_2addr_b64 v[130:133], v2 offset0:91 offset1:92
	ds_load_2addr_b64 v[138:141], v2 offset0:93 offset1:94
	s_wait_dscnt 0x1
	v_fmac_f64_e32 v[148:149], v[142:143], v[130:131]
	s_wait_loadcnt 0x4
	s_delay_alu instid0(VALU_DEP_1)
	v_fmac_f64_e32 v[148:149], v[118:119], v[132:133]
	scratch_load_b128 v[130:133], off, off offset:384
	s_wait_dscnt 0x0
	v_fmac_f64_e32 v[148:149], v[120:121], v[138:139]
	scratch_load_b128 v[118:121], off, off offset:400
	s_wait_loadcnt 0x5
	v_fmac_f64_e32 v[148:149], v[134:135], v[140:141]
	ds_load_2addr_b64 v[138:141], v2 offset0:95 offset1:96
	ds_load_2addr_b64 v[142:145], v2 offset0:97 offset1:98
	s_wait_dscnt 0x1
	v_fmac_f64_e32 v[148:149], v[136:137], v[138:139]
	scratch_load_b128 v[134:137], off, off offset:416
	s_wait_loadcnt 0x5
	v_fmac_f64_e32 v[148:149], v[122:123], v[140:141]
	s_wait_dscnt 0x0
	s_delay_alu instid0(VALU_DEP_1)
	v_fmac_f64_e32 v[148:149], v[124:125], v[142:143]
	ds_load_2addr_b64 v[122:125], v2 offset0:99 offset1:100
	ds_load_2addr_b64 v[138:141], v2 offset0:101 offset1:102
	s_wait_loadcnt 0x4
	v_fmac_f64_e32 v[148:149], v[126:127], v[144:145]
	s_wait_dscnt 0x1
	s_delay_alu instid0(VALU_DEP_1) | instskip(SKIP_1) | instid1(VALU_DEP_1)
	v_fmac_f64_e32 v[148:149], v[128:129], v[122:123]
	s_wait_loadcnt 0x3
	v_fmac_f64_e32 v[148:149], v[114:115], v[124:125]
	s_wait_dscnt 0x0
	s_delay_alu instid0(VALU_DEP_1)
	v_fmac_f64_e32 v[148:149], v[116:117], v[138:139]
	ds_load_2addr_b64 v[114:117], v2 offset0:103 offset1:104
	ds_load_2addr_b64 v[122:125], v2 offset0:105 offset1:106
	s_wait_loadcnt 0x2
	v_fmac_f64_e32 v[148:149], v[130:131], v[140:141]
	s_wait_dscnt 0x1
	s_delay_alu instid0(VALU_DEP_1) | instskip(SKIP_4) | instid1(VALU_DEP_1)
	v_fmac_f64_e32 v[148:149], v[132:133], v[114:115]
	ds_load_b64 v[114:115], v2 offset:856
	s_wait_loadcnt 0x1
	v_fmac_f64_e32 v[148:149], v[118:119], v[116:117]
	s_wait_dscnt 0x1
	v_fmac_f64_e32 v[148:149], v[120:121], v[122:123]
	s_wait_loadcnt 0x0
	s_delay_alu instid0(VALU_DEP_1) | instskip(SKIP_1) | instid1(VALU_DEP_1)
	v_fmac_f64_e32 v[148:149], v[134:135], v[124:125]
	s_wait_dscnt 0x0
	v_fmac_f64_e32 v[148:149], v[136:137], v[114:115]
	s_delay_alu instid0(VALU_DEP_1)
	v_add_f64_e64 v[112:113], v[112:113], -v[148:149]
	scratch_store_b64 off, v[112:113], off offset:64
	s_wait_xcnt 0x0
	v_cmpx_lt_u32_e32 7, v0
	s_cbranch_execz .LBB53_319
; %bb.318:
	scratch_load_b64 v[112:113], off, off offset:56
	v_mov_b64_e32 v[114:115], 0
	scratch_store_b64 off, v[114:115], off offset:56
	s_wait_loadcnt 0x0
	ds_store_b64 v1, v[112:113]
.LBB53_319:
	s_wait_xcnt 0x0
	s_or_b32 exec_lo, exec_lo, s0
	s_wait_storecnt_dscnt 0x0
	s_barrier_signal -1
	s_barrier_wait -1
	s_clause 0x5
	scratch_load_b128 v[112:115], off, off offset:56
	scratch_load_b128 v[116:119], off, off offset:72
	;; [unrolled: 1-line block ×6, first 2 shown]
	ds_load_b128 v[136:139], v2 offset:496
	ds_load_b128 v[140:143], v2 offset:512
	scratch_load_b128 v[144:147], off, off offset:152
	s_mov_b32 s0, exec_lo
	s_wait_loadcnt_dscnt 0x601
	v_fma_f64 v[148:149], v[114:115], v[136:137], 0
	s_wait_loadcnt 0x5
	s_delay_alu instid0(VALU_DEP_1) | instskip(SKIP_4) | instid1(VALU_DEP_1)
	v_fmac_f64_e32 v[148:149], v[116:117], v[138:139]
	scratch_load_b128 v[114:117], off, off offset:168
	s_wait_dscnt 0x0
	v_fmac_f64_e32 v[148:149], v[118:119], v[140:141]
	s_wait_loadcnt 0x5
	v_fmac_f64_e32 v[148:149], v[120:121], v[142:143]
	ds_load_b128 v[118:121], v2 offset:528
	ds_load_b128 v[136:139], v2 offset:544
	scratch_load_b128 v[140:143], off, off offset:184
	s_wait_dscnt 0x1
	v_fmac_f64_e32 v[148:149], v[122:123], v[118:119]
	s_wait_loadcnt 0x5
	s_delay_alu instid0(VALU_DEP_1) | instskip(SKIP_4) | instid1(VALU_DEP_1)
	v_fmac_f64_e32 v[148:149], v[124:125], v[120:121]
	scratch_load_b128 v[118:121], off, off offset:200
	s_wait_dscnt 0x0
	v_fmac_f64_e32 v[148:149], v[126:127], v[136:137]
	s_wait_loadcnt 0x5
	v_fmac_f64_e32 v[148:149], v[128:129], v[138:139]
	ds_load_b128 v[122:125], v2 offset:560
	ds_load_b128 v[126:129], v2 offset:576
	scratch_load_b128 v[136:139], off, off offset:216
	s_wait_dscnt 0x1
	v_fmac_f64_e32 v[148:149], v[130:131], v[122:123]
	s_wait_loadcnt 0x5
	s_delay_alu instid0(VALU_DEP_1) | instskip(SKIP_4) | instid1(VALU_DEP_1)
	v_fmac_f64_e32 v[148:149], v[132:133], v[124:125]
	scratch_load_b128 v[122:125], off, off offset:232
	s_wait_dscnt 0x0
	v_fmac_f64_e32 v[148:149], v[134:135], v[126:127]
	s_wait_loadcnt 0x5
	v_fmac_f64_e32 v[148:149], v[144:145], v[128:129]
	ds_load_b128 v[126:129], v2 offset:592
	ds_load_b128 v[130:133], v2 offset:608
	s_wait_dscnt 0x1
	v_fmac_f64_e32 v[148:149], v[146:147], v[126:127]
	scratch_load_b128 v[144:147], off, off offset:248
	s_wait_loadcnt 0x5
	v_fmac_f64_e32 v[148:149], v[114:115], v[128:129]
	s_wait_dscnt 0x0
	s_delay_alu instid0(VALU_DEP_1)
	v_fmac_f64_e32 v[148:149], v[116:117], v[130:131]
	scratch_load_b128 v[114:117], off, off offset:264
	s_wait_loadcnt 0x5
	v_fmac_f64_e32 v[148:149], v[140:141], v[132:133]
	ds_load_b128 v[126:129], v2 offset:624
	ds_load_b128 v[130:133], v2 offset:640
	s_wait_dscnt 0x1
	v_fmac_f64_e32 v[148:149], v[142:143], v[126:127]
	scratch_load_b128 v[140:143], off, off offset:280
	s_wait_loadcnt 0x5
	v_fmac_f64_e32 v[148:149], v[118:119], v[128:129]
	s_wait_dscnt 0x0
	s_delay_alu instid0(VALU_DEP_1)
	v_fmac_f64_e32 v[148:149], v[120:121], v[130:131]
	scratch_load_b128 v[118:121], off, off offset:296
	s_wait_loadcnt 0x5
	v_fmac_f64_e32 v[148:149], v[136:137], v[132:133]
	ds_load_b128 v[126:129], v2 offset:656
	ds_load_b128 v[130:133], v2 offset:672
	scratch_load_b128 v[134:137], off, off offset:312
	s_wait_dscnt 0x1
	v_fmac_f64_e32 v[148:149], v[138:139], v[126:127]
	s_wait_loadcnt 0x5
	s_delay_alu instid0(VALU_DEP_1) | instskip(SKIP_1) | instid1(VALU_DEP_1)
	v_fmac_f64_e32 v[148:149], v[122:123], v[128:129]
	s_wait_dscnt 0x0
	v_fmac_f64_e32 v[148:149], v[124:125], v[130:131]
	scratch_load_b128 v[122:125], off, off offset:328
	s_wait_loadcnt 0x5
	v_fmac_f64_e32 v[148:149], v[144:145], v[132:133]
	ds_load_b128 v[126:129], v2 offset:688
	ds_load_b128 v[130:133], v2 offset:704
	s_wait_dscnt 0x1
	v_fmac_f64_e32 v[148:149], v[146:147], v[126:127]
	scratch_load_b128 v[144:147], off, off offset:344
	s_wait_loadcnt 0x5
	v_fmac_f64_e32 v[148:149], v[114:115], v[128:129]
	s_wait_dscnt 0x0
	s_delay_alu instid0(VALU_DEP_1)
	v_fmac_f64_e32 v[148:149], v[116:117], v[130:131]
	scratch_load_b128 v[114:117], off, off offset:360
	s_wait_loadcnt 0x5
	v_fmac_f64_e32 v[148:149], v[140:141], v[132:133]
	ds_load_b128 v[126:129], v2 offset:720
	ds_load_b128 v[130:133], v2 offset:736
	s_wait_dscnt 0x1
	v_fmac_f64_e32 v[148:149], v[142:143], v[126:127]
	s_wait_loadcnt 0x4
	s_delay_alu instid0(VALU_DEP_1)
	v_fmac_f64_e32 v[148:149], v[118:119], v[128:129]
	scratch_load_b128 v[126:129], off, off offset:376
	s_wait_dscnt 0x0
	v_fmac_f64_e32 v[148:149], v[120:121], v[130:131]
	scratch_load_b128 v[118:121], off, off offset:392
	s_wait_loadcnt 0x5
	v_fmac_f64_e32 v[148:149], v[134:135], v[132:133]
	ds_load_b128 v[130:133], v2 offset:752
	ds_load_b128 v[138:141], v2 offset:768
	s_wait_dscnt 0x1
	v_fmac_f64_e32 v[148:149], v[136:137], v[130:131]
	s_wait_loadcnt 0x4
	s_delay_alu instid0(VALU_DEP_1)
	v_fmac_f64_e32 v[148:149], v[122:123], v[132:133]
	scratch_load_b128 v[130:133], off, off offset:408
	s_wait_dscnt 0x0
	v_fmac_f64_e32 v[148:149], v[124:125], v[138:139]
	scratch_load_b64 v[138:139], off, off offset:424
	ds_load_b128 v[122:125], v2 offset:784
	ds_load_b128 v[134:137], v2 offset:800
	s_wait_loadcnt 0x5
	v_fmac_f64_e32 v[148:149], v[144:145], v[140:141]
	s_wait_dscnt 0x1
	s_delay_alu instid0(VALU_DEP_1) | instskip(SKIP_1) | instid1(VALU_DEP_1)
	v_fmac_f64_e32 v[148:149], v[146:147], v[122:123]
	s_wait_loadcnt 0x4
	v_fmac_f64_e32 v[148:149], v[114:115], v[124:125]
	s_wait_dscnt 0x0
	s_delay_alu instid0(VALU_DEP_1)
	v_fmac_f64_e32 v[148:149], v[116:117], v[134:135]
	ds_load_b128 v[114:117], v2 offset:816
	ds_load_b128 v[122:125], v2 offset:832
	s_wait_loadcnt 0x3
	v_fmac_f64_e32 v[148:149], v[126:127], v[136:137]
	s_wait_dscnt 0x1
	s_delay_alu instid0(VALU_DEP_1) | instskip(SKIP_1) | instid1(VALU_DEP_1)
	v_fmac_f64_e32 v[148:149], v[128:129], v[114:115]
	s_wait_loadcnt 0x2
	v_fmac_f64_e32 v[148:149], v[118:119], v[116:117]
	ds_load_b128 v[114:117], v2 offset:848
	s_wait_dscnt 0x1
	v_fmac_f64_e32 v[148:149], v[120:121], v[122:123]
	s_wait_loadcnt 0x1
	s_delay_alu instid0(VALU_DEP_1) | instskip(SKIP_1) | instid1(VALU_DEP_1)
	v_fmac_f64_e32 v[148:149], v[130:131], v[124:125]
	s_wait_dscnt 0x0
	v_fmac_f64_e32 v[148:149], v[132:133], v[114:115]
	s_wait_loadcnt 0x0
	s_delay_alu instid0(VALU_DEP_1) | instskip(NEXT) | instid1(VALU_DEP_1)
	v_fmac_f64_e32 v[148:149], v[138:139], v[116:117]
	v_add_f64_e64 v[2:3], v[112:113], -v[148:149]
	scratch_store_b64 off, v[2:3], off offset:56
	s_wait_xcnt 0x0
	v_cmpx_lt_u32_e32 6, v0
	s_cbranch_execz .LBB53_321
; %bb.320:
	scratch_load_b64 v[2:3], off, off offset:48
	v_mov_b64_e32 v[112:113], 0
	scratch_store_b64 off, v[112:113], off offset:48
	s_wait_loadcnt 0x0
	ds_store_b64 v1, v[2:3]
.LBB53_321:
	s_wait_xcnt 0x0
	s_or_b32 exec_lo, exec_lo, s0
	s_wait_storecnt_dscnt 0x0
	s_barrier_signal -1
	s_barrier_wait -1
	s_clause 0x5
	scratch_load_b128 v[112:115], off, off offset:48
	scratch_load_b128 v[116:119], off, off offset:64
	;; [unrolled: 1-line block ×6, first 2 shown]
	v_mov_b32_e32 v2, 0
	ds_load_2addr_b64 v[136:139], v2 offset0:61 offset1:62
	ds_load_2addr_b64 v[140:143], v2 offset0:63 offset1:64
	scratch_load_b128 v[144:147], off, off offset:144
	s_mov_b32 s0, exec_lo
	s_wait_loadcnt_dscnt 0x601
	v_fma_f64 v[148:149], v[114:115], v[136:137], 0
	s_wait_loadcnt 0x5
	s_delay_alu instid0(VALU_DEP_1) | instskip(SKIP_4) | instid1(VALU_DEP_1)
	v_fmac_f64_e32 v[148:149], v[116:117], v[138:139]
	scratch_load_b128 v[114:117], off, off offset:160
	s_wait_dscnt 0x0
	v_fmac_f64_e32 v[148:149], v[118:119], v[140:141]
	s_wait_loadcnt 0x5
	v_fmac_f64_e32 v[148:149], v[120:121], v[142:143]
	ds_load_2addr_b64 v[118:121], v2 offset0:65 offset1:66
	ds_load_2addr_b64 v[136:139], v2 offset0:67 offset1:68
	scratch_load_b128 v[140:143], off, off offset:176
	s_wait_dscnt 0x1
	v_fmac_f64_e32 v[148:149], v[122:123], v[118:119]
	s_wait_loadcnt 0x5
	s_delay_alu instid0(VALU_DEP_1) | instskip(SKIP_4) | instid1(VALU_DEP_1)
	v_fmac_f64_e32 v[148:149], v[124:125], v[120:121]
	scratch_load_b128 v[118:121], off, off offset:192
	s_wait_dscnt 0x0
	v_fmac_f64_e32 v[148:149], v[126:127], v[136:137]
	s_wait_loadcnt 0x5
	v_fmac_f64_e32 v[148:149], v[128:129], v[138:139]
	ds_load_2addr_b64 v[122:125], v2 offset0:69 offset1:70
	ds_load_2addr_b64 v[126:129], v2 offset0:71 offset1:72
	scratch_load_b128 v[136:139], off, off offset:208
	s_wait_dscnt 0x1
	v_fmac_f64_e32 v[148:149], v[130:131], v[122:123]
	s_wait_loadcnt 0x5
	s_delay_alu instid0(VALU_DEP_1) | instskip(SKIP_4) | instid1(VALU_DEP_1)
	v_fmac_f64_e32 v[148:149], v[132:133], v[124:125]
	scratch_load_b128 v[122:125], off, off offset:224
	s_wait_dscnt 0x0
	v_fmac_f64_e32 v[148:149], v[134:135], v[126:127]
	s_wait_loadcnt 0x5
	v_fmac_f64_e32 v[148:149], v[144:145], v[128:129]
	ds_load_2addr_b64 v[126:129], v2 offset0:73 offset1:74
	ds_load_2addr_b64 v[130:133], v2 offset0:75 offset1:76
	s_wait_dscnt 0x1
	v_fmac_f64_e32 v[148:149], v[146:147], v[126:127]
	scratch_load_b128 v[144:147], off, off offset:240
	s_wait_loadcnt 0x5
	v_fmac_f64_e32 v[148:149], v[114:115], v[128:129]
	s_wait_dscnt 0x0
	s_delay_alu instid0(VALU_DEP_1)
	v_fmac_f64_e32 v[148:149], v[116:117], v[130:131]
	scratch_load_b128 v[114:117], off, off offset:256
	s_wait_loadcnt 0x5
	v_fmac_f64_e32 v[148:149], v[140:141], v[132:133]
	ds_load_2addr_b64 v[126:129], v2 offset0:77 offset1:78
	ds_load_2addr_b64 v[130:133], v2 offset0:79 offset1:80
	s_wait_dscnt 0x1
	v_fmac_f64_e32 v[148:149], v[142:143], v[126:127]
	scratch_load_b128 v[140:143], off, off offset:272
	s_wait_loadcnt 0x5
	v_fmac_f64_e32 v[148:149], v[118:119], v[128:129]
	s_wait_dscnt 0x0
	s_delay_alu instid0(VALU_DEP_1)
	v_fmac_f64_e32 v[148:149], v[120:121], v[130:131]
	scratch_load_b128 v[118:121], off, off offset:288
	s_wait_loadcnt 0x5
	v_fmac_f64_e32 v[148:149], v[136:137], v[132:133]
	ds_load_2addr_b64 v[126:129], v2 offset0:81 offset1:82
	ds_load_2addr_b64 v[130:133], v2 offset0:83 offset1:84
	scratch_load_b128 v[134:137], off, off offset:304
	s_wait_dscnt 0x1
	v_fmac_f64_e32 v[148:149], v[138:139], v[126:127]
	s_wait_loadcnt 0x5
	s_delay_alu instid0(VALU_DEP_1) | instskip(SKIP_1) | instid1(VALU_DEP_1)
	v_fmac_f64_e32 v[148:149], v[122:123], v[128:129]
	s_wait_dscnt 0x0
	v_fmac_f64_e32 v[148:149], v[124:125], v[130:131]
	scratch_load_b128 v[122:125], off, off offset:320
	s_wait_loadcnt 0x5
	v_fmac_f64_e32 v[148:149], v[144:145], v[132:133]
	ds_load_2addr_b64 v[126:129], v2 offset0:85 offset1:86
	ds_load_2addr_b64 v[130:133], v2 offset0:87 offset1:88
	s_wait_dscnt 0x1
	v_fmac_f64_e32 v[148:149], v[146:147], v[126:127]
	scratch_load_b128 v[144:147], off, off offset:336
	s_wait_loadcnt 0x5
	v_fmac_f64_e32 v[148:149], v[114:115], v[128:129]
	s_wait_dscnt 0x0
	s_delay_alu instid0(VALU_DEP_1)
	v_fmac_f64_e32 v[148:149], v[116:117], v[130:131]
	scratch_load_b128 v[114:117], off, off offset:352
	s_wait_loadcnt 0x5
	v_fmac_f64_e32 v[148:149], v[140:141], v[132:133]
	ds_load_2addr_b64 v[126:129], v2 offset0:89 offset1:90
	ds_load_2addr_b64 v[130:133], v2 offset0:91 offset1:92
	s_wait_dscnt 0x1
	v_fmac_f64_e32 v[148:149], v[142:143], v[126:127]
	s_wait_loadcnt 0x4
	s_delay_alu instid0(VALU_DEP_1)
	v_fmac_f64_e32 v[148:149], v[118:119], v[128:129]
	scratch_load_b128 v[126:129], off, off offset:368
	s_wait_dscnt 0x0
	v_fmac_f64_e32 v[148:149], v[120:121], v[130:131]
	scratch_load_b128 v[118:121], off, off offset:384
	s_wait_loadcnt 0x5
	v_fmac_f64_e32 v[148:149], v[134:135], v[132:133]
	ds_load_2addr_b64 v[130:133], v2 offset0:93 offset1:94
	ds_load_2addr_b64 v[138:141], v2 offset0:95 offset1:96
	s_wait_dscnt 0x1
	v_fmac_f64_e32 v[148:149], v[136:137], v[130:131]
	s_wait_loadcnt 0x4
	s_delay_alu instid0(VALU_DEP_1)
	v_fmac_f64_e32 v[148:149], v[122:123], v[132:133]
	scratch_load_b128 v[130:133], off, off offset:400
	s_wait_dscnt 0x0
	v_fmac_f64_e32 v[148:149], v[124:125], v[138:139]
	scratch_load_b128 v[122:125], off, off offset:416
	s_wait_loadcnt 0x5
	v_fmac_f64_e32 v[148:149], v[144:145], v[140:141]
	ds_load_2addr_b64 v[134:137], v2 offset0:97 offset1:98
	ds_load_2addr_b64 v[138:141], v2 offset0:99 offset1:100
	s_wait_dscnt 0x1
	v_fmac_f64_e32 v[148:149], v[146:147], v[134:135]
	s_wait_loadcnt 0x4
	s_delay_alu instid0(VALU_DEP_1) | instskip(SKIP_1) | instid1(VALU_DEP_1)
	v_fmac_f64_e32 v[148:149], v[114:115], v[136:137]
	s_wait_dscnt 0x0
	v_fmac_f64_e32 v[148:149], v[116:117], v[138:139]
	ds_load_2addr_b64 v[114:117], v2 offset0:101 offset1:102
	ds_load_2addr_b64 v[134:137], v2 offset0:103 offset1:104
	s_wait_loadcnt 0x3
	v_fmac_f64_e32 v[148:149], v[126:127], v[140:141]
	s_wait_dscnt 0x1
	s_delay_alu instid0(VALU_DEP_1) | instskip(SKIP_1) | instid1(VALU_DEP_1)
	v_fmac_f64_e32 v[148:149], v[128:129], v[114:115]
	s_wait_loadcnt 0x2
	v_fmac_f64_e32 v[148:149], v[118:119], v[116:117]
	ds_load_2addr_b64 v[114:117], v2 offset0:105 offset1:106
	ds_load_b64 v[118:119], v2 offset:856
	s_wait_dscnt 0x2
	v_fmac_f64_e32 v[148:149], v[120:121], v[134:135]
	s_wait_loadcnt 0x1
	s_delay_alu instid0(VALU_DEP_1) | instskip(SKIP_1) | instid1(VALU_DEP_1)
	v_fmac_f64_e32 v[148:149], v[130:131], v[136:137]
	s_wait_dscnt 0x1
	v_fmac_f64_e32 v[148:149], v[132:133], v[114:115]
	s_wait_loadcnt 0x0
	s_delay_alu instid0(VALU_DEP_1) | instskip(SKIP_1) | instid1(VALU_DEP_1)
	v_fmac_f64_e32 v[148:149], v[122:123], v[116:117]
	s_wait_dscnt 0x0
	v_fmac_f64_e32 v[148:149], v[124:125], v[118:119]
	s_delay_alu instid0(VALU_DEP_1)
	v_add_f64_e64 v[112:113], v[112:113], -v[148:149]
	scratch_store_b64 off, v[112:113], off offset:48
	s_wait_xcnt 0x0
	v_cmpx_lt_u32_e32 5, v0
	s_cbranch_execz .LBB53_323
; %bb.322:
	scratch_load_b64 v[112:113], off, off offset:40
	v_mov_b64_e32 v[114:115], 0
	scratch_store_b64 off, v[114:115], off offset:40
	s_wait_loadcnt 0x0
	ds_store_b64 v1, v[112:113]
.LBB53_323:
	s_wait_xcnt 0x0
	s_or_b32 exec_lo, exec_lo, s0
	s_wait_storecnt_dscnt 0x0
	s_barrier_signal -1
	s_barrier_wait -1
	s_clause 0x5
	scratch_load_b128 v[112:115], off, off offset:40
	scratch_load_b128 v[116:119], off, off offset:56
	;; [unrolled: 1-line block ×6, first 2 shown]
	ds_load_b128 v[136:139], v2 offset:480
	ds_load_b128 v[140:143], v2 offset:496
	scratch_load_b128 v[144:147], off, off offset:136
	s_mov_b32 s0, exec_lo
	s_wait_loadcnt_dscnt 0x601
	v_fma_f64 v[148:149], v[114:115], v[136:137], 0
	s_wait_loadcnt 0x5
	s_delay_alu instid0(VALU_DEP_1) | instskip(SKIP_4) | instid1(VALU_DEP_1)
	v_fmac_f64_e32 v[148:149], v[116:117], v[138:139]
	scratch_load_b128 v[114:117], off, off offset:152
	s_wait_dscnt 0x0
	v_fmac_f64_e32 v[148:149], v[118:119], v[140:141]
	s_wait_loadcnt 0x5
	v_fmac_f64_e32 v[148:149], v[120:121], v[142:143]
	ds_load_b128 v[118:121], v2 offset:512
	ds_load_b128 v[136:139], v2 offset:528
	scratch_load_b128 v[140:143], off, off offset:168
	s_wait_dscnt 0x1
	v_fmac_f64_e32 v[148:149], v[122:123], v[118:119]
	s_wait_loadcnt 0x5
	s_delay_alu instid0(VALU_DEP_1) | instskip(SKIP_4) | instid1(VALU_DEP_1)
	v_fmac_f64_e32 v[148:149], v[124:125], v[120:121]
	scratch_load_b128 v[118:121], off, off offset:184
	s_wait_dscnt 0x0
	v_fmac_f64_e32 v[148:149], v[126:127], v[136:137]
	s_wait_loadcnt 0x5
	v_fmac_f64_e32 v[148:149], v[128:129], v[138:139]
	ds_load_b128 v[122:125], v2 offset:544
	ds_load_b128 v[126:129], v2 offset:560
	scratch_load_b128 v[136:139], off, off offset:200
	s_wait_dscnt 0x1
	v_fmac_f64_e32 v[148:149], v[130:131], v[122:123]
	s_wait_loadcnt 0x5
	s_delay_alu instid0(VALU_DEP_1) | instskip(SKIP_4) | instid1(VALU_DEP_1)
	v_fmac_f64_e32 v[148:149], v[132:133], v[124:125]
	scratch_load_b128 v[122:125], off, off offset:216
	s_wait_dscnt 0x0
	v_fmac_f64_e32 v[148:149], v[134:135], v[126:127]
	s_wait_loadcnt 0x5
	v_fmac_f64_e32 v[148:149], v[144:145], v[128:129]
	ds_load_b128 v[126:129], v2 offset:576
	ds_load_b128 v[130:133], v2 offset:592
	s_wait_dscnt 0x1
	v_fmac_f64_e32 v[148:149], v[146:147], v[126:127]
	scratch_load_b128 v[144:147], off, off offset:232
	s_wait_loadcnt 0x5
	v_fmac_f64_e32 v[148:149], v[114:115], v[128:129]
	s_wait_dscnt 0x0
	s_delay_alu instid0(VALU_DEP_1)
	v_fmac_f64_e32 v[148:149], v[116:117], v[130:131]
	scratch_load_b128 v[114:117], off, off offset:248
	s_wait_loadcnt 0x5
	v_fmac_f64_e32 v[148:149], v[140:141], v[132:133]
	ds_load_b128 v[126:129], v2 offset:608
	ds_load_b128 v[130:133], v2 offset:624
	s_wait_dscnt 0x1
	v_fmac_f64_e32 v[148:149], v[142:143], v[126:127]
	scratch_load_b128 v[140:143], off, off offset:264
	s_wait_loadcnt 0x5
	v_fmac_f64_e32 v[148:149], v[118:119], v[128:129]
	s_wait_dscnt 0x0
	s_delay_alu instid0(VALU_DEP_1)
	v_fmac_f64_e32 v[148:149], v[120:121], v[130:131]
	scratch_load_b128 v[118:121], off, off offset:280
	s_wait_loadcnt 0x5
	v_fmac_f64_e32 v[148:149], v[136:137], v[132:133]
	ds_load_b128 v[126:129], v2 offset:640
	ds_load_b128 v[130:133], v2 offset:656
	scratch_load_b128 v[134:137], off, off offset:296
	s_wait_dscnt 0x1
	v_fmac_f64_e32 v[148:149], v[138:139], v[126:127]
	s_wait_loadcnt 0x5
	s_delay_alu instid0(VALU_DEP_1) | instskip(SKIP_1) | instid1(VALU_DEP_1)
	v_fmac_f64_e32 v[148:149], v[122:123], v[128:129]
	s_wait_dscnt 0x0
	v_fmac_f64_e32 v[148:149], v[124:125], v[130:131]
	scratch_load_b128 v[122:125], off, off offset:312
	s_wait_loadcnt 0x5
	v_fmac_f64_e32 v[148:149], v[144:145], v[132:133]
	ds_load_b128 v[126:129], v2 offset:672
	ds_load_b128 v[130:133], v2 offset:688
	s_wait_dscnt 0x1
	v_fmac_f64_e32 v[148:149], v[146:147], v[126:127]
	scratch_load_b128 v[144:147], off, off offset:328
	s_wait_loadcnt 0x5
	v_fmac_f64_e32 v[148:149], v[114:115], v[128:129]
	s_wait_dscnt 0x0
	s_delay_alu instid0(VALU_DEP_1)
	v_fmac_f64_e32 v[148:149], v[116:117], v[130:131]
	scratch_load_b128 v[114:117], off, off offset:344
	s_wait_loadcnt 0x5
	v_fmac_f64_e32 v[148:149], v[140:141], v[132:133]
	ds_load_b128 v[126:129], v2 offset:704
	ds_load_b128 v[130:133], v2 offset:720
	s_wait_dscnt 0x1
	v_fmac_f64_e32 v[148:149], v[142:143], v[126:127]
	s_wait_loadcnt 0x4
	s_delay_alu instid0(VALU_DEP_1)
	v_fmac_f64_e32 v[148:149], v[118:119], v[128:129]
	scratch_load_b128 v[126:129], off, off offset:360
	s_wait_dscnt 0x0
	v_fmac_f64_e32 v[148:149], v[120:121], v[130:131]
	scratch_load_b128 v[118:121], off, off offset:376
	s_wait_loadcnt 0x5
	v_fmac_f64_e32 v[148:149], v[134:135], v[132:133]
	ds_load_b128 v[130:133], v2 offset:736
	ds_load_b128 v[138:141], v2 offset:752
	s_wait_dscnt 0x1
	v_fmac_f64_e32 v[148:149], v[136:137], v[130:131]
	s_wait_loadcnt 0x4
	s_delay_alu instid0(VALU_DEP_1)
	v_fmac_f64_e32 v[148:149], v[122:123], v[132:133]
	scratch_load_b128 v[130:133], off, off offset:392
	s_wait_dscnt 0x0
	v_fmac_f64_e32 v[148:149], v[124:125], v[138:139]
	scratch_load_b128 v[122:125], off, off offset:408
	s_wait_loadcnt 0x5
	v_fmac_f64_e32 v[148:149], v[144:145], v[140:141]
	ds_load_b128 v[134:137], v2 offset:768
	ds_load_b128 v[138:141], v2 offset:784
	scratch_load_b64 v[142:143], off, off offset:424
	s_wait_dscnt 0x1
	v_fmac_f64_e32 v[148:149], v[146:147], v[134:135]
	s_wait_loadcnt 0x5
	s_delay_alu instid0(VALU_DEP_1) | instskip(SKIP_1) | instid1(VALU_DEP_1)
	v_fmac_f64_e32 v[148:149], v[114:115], v[136:137]
	s_wait_dscnt 0x0
	v_fmac_f64_e32 v[148:149], v[116:117], v[138:139]
	ds_load_b128 v[114:117], v2 offset:800
	ds_load_b128 v[134:137], v2 offset:816
	s_wait_loadcnt 0x4
	v_fmac_f64_e32 v[148:149], v[126:127], v[140:141]
	s_wait_dscnt 0x1
	s_delay_alu instid0(VALU_DEP_1) | instskip(SKIP_1) | instid1(VALU_DEP_1)
	v_fmac_f64_e32 v[148:149], v[128:129], v[114:115]
	s_wait_loadcnt 0x3
	v_fmac_f64_e32 v[148:149], v[118:119], v[116:117]
	s_wait_dscnt 0x0
	s_delay_alu instid0(VALU_DEP_1)
	v_fmac_f64_e32 v[148:149], v[120:121], v[134:135]
	ds_load_b128 v[114:117], v2 offset:832
	ds_load_b128 v[118:121], v2 offset:848
	s_wait_loadcnt 0x2
	v_fmac_f64_e32 v[148:149], v[130:131], v[136:137]
	s_wait_dscnt 0x1
	s_delay_alu instid0(VALU_DEP_1) | instskip(SKIP_1) | instid1(VALU_DEP_1)
	v_fmac_f64_e32 v[148:149], v[132:133], v[114:115]
	s_wait_loadcnt 0x1
	v_fmac_f64_e32 v[148:149], v[122:123], v[116:117]
	s_wait_dscnt 0x0
	s_delay_alu instid0(VALU_DEP_1) | instskip(SKIP_1) | instid1(VALU_DEP_1)
	v_fmac_f64_e32 v[148:149], v[124:125], v[118:119]
	s_wait_loadcnt 0x0
	v_fmac_f64_e32 v[148:149], v[142:143], v[120:121]
	s_delay_alu instid0(VALU_DEP_1)
	v_add_f64_e64 v[2:3], v[112:113], -v[148:149]
	scratch_store_b64 off, v[2:3], off offset:40
	s_wait_xcnt 0x0
	v_cmpx_lt_u32_e32 4, v0
	s_cbranch_execz .LBB53_325
; %bb.324:
	scratch_load_b64 v[2:3], off, off offset:32
	v_mov_b64_e32 v[112:113], 0
	scratch_store_b64 off, v[112:113], off offset:32
	s_wait_loadcnt 0x0
	ds_store_b64 v1, v[2:3]
.LBB53_325:
	s_wait_xcnt 0x0
	s_or_b32 exec_lo, exec_lo, s0
	s_wait_storecnt_dscnt 0x0
	s_barrier_signal -1
	s_barrier_wait -1
	s_clause 0x5
	scratch_load_b128 v[112:115], off, off offset:32
	scratch_load_b128 v[116:119], off, off offset:48
	;; [unrolled: 1-line block ×6, first 2 shown]
	v_mov_b32_e32 v2, 0
	ds_load_2addr_b64 v[136:139], v2 offset0:59 offset1:60
	ds_load_2addr_b64 v[140:143], v2 offset0:61 offset1:62
	scratch_load_b128 v[144:147], off, off offset:128
	s_mov_b32 s0, exec_lo
	s_wait_loadcnt_dscnt 0x601
	v_fma_f64 v[148:149], v[114:115], v[136:137], 0
	s_wait_loadcnt 0x5
	s_delay_alu instid0(VALU_DEP_1) | instskip(SKIP_4) | instid1(VALU_DEP_1)
	v_fmac_f64_e32 v[148:149], v[116:117], v[138:139]
	scratch_load_b128 v[114:117], off, off offset:144
	s_wait_dscnt 0x0
	v_fmac_f64_e32 v[148:149], v[118:119], v[140:141]
	s_wait_loadcnt 0x5
	v_fmac_f64_e32 v[148:149], v[120:121], v[142:143]
	ds_load_2addr_b64 v[118:121], v2 offset0:63 offset1:64
	ds_load_2addr_b64 v[136:139], v2 offset0:65 offset1:66
	scratch_load_b128 v[140:143], off, off offset:160
	s_wait_dscnt 0x1
	v_fmac_f64_e32 v[148:149], v[122:123], v[118:119]
	s_wait_loadcnt 0x5
	s_delay_alu instid0(VALU_DEP_1) | instskip(SKIP_4) | instid1(VALU_DEP_1)
	v_fmac_f64_e32 v[148:149], v[124:125], v[120:121]
	scratch_load_b128 v[118:121], off, off offset:176
	s_wait_dscnt 0x0
	v_fmac_f64_e32 v[148:149], v[126:127], v[136:137]
	s_wait_loadcnt 0x5
	v_fmac_f64_e32 v[148:149], v[128:129], v[138:139]
	ds_load_2addr_b64 v[122:125], v2 offset0:67 offset1:68
	ds_load_2addr_b64 v[126:129], v2 offset0:69 offset1:70
	scratch_load_b128 v[136:139], off, off offset:192
	s_wait_dscnt 0x1
	v_fmac_f64_e32 v[148:149], v[130:131], v[122:123]
	s_wait_loadcnt 0x5
	s_delay_alu instid0(VALU_DEP_1) | instskip(SKIP_4) | instid1(VALU_DEP_1)
	v_fmac_f64_e32 v[148:149], v[132:133], v[124:125]
	scratch_load_b128 v[122:125], off, off offset:208
	s_wait_dscnt 0x0
	v_fmac_f64_e32 v[148:149], v[134:135], v[126:127]
	s_wait_loadcnt 0x5
	v_fmac_f64_e32 v[148:149], v[144:145], v[128:129]
	ds_load_2addr_b64 v[126:129], v2 offset0:71 offset1:72
	ds_load_2addr_b64 v[130:133], v2 offset0:73 offset1:74
	s_wait_dscnt 0x1
	v_fmac_f64_e32 v[148:149], v[146:147], v[126:127]
	scratch_load_b128 v[144:147], off, off offset:224
	s_wait_loadcnt 0x5
	v_fmac_f64_e32 v[148:149], v[114:115], v[128:129]
	s_wait_dscnt 0x0
	s_delay_alu instid0(VALU_DEP_1)
	v_fmac_f64_e32 v[148:149], v[116:117], v[130:131]
	scratch_load_b128 v[114:117], off, off offset:240
	s_wait_loadcnt 0x5
	v_fmac_f64_e32 v[148:149], v[140:141], v[132:133]
	ds_load_2addr_b64 v[126:129], v2 offset0:75 offset1:76
	ds_load_2addr_b64 v[130:133], v2 offset0:77 offset1:78
	s_wait_dscnt 0x1
	v_fmac_f64_e32 v[148:149], v[142:143], v[126:127]
	scratch_load_b128 v[140:143], off, off offset:256
	s_wait_loadcnt 0x5
	v_fmac_f64_e32 v[148:149], v[118:119], v[128:129]
	s_wait_dscnt 0x0
	s_delay_alu instid0(VALU_DEP_1)
	v_fmac_f64_e32 v[148:149], v[120:121], v[130:131]
	scratch_load_b128 v[118:121], off, off offset:272
	s_wait_loadcnt 0x5
	v_fmac_f64_e32 v[148:149], v[136:137], v[132:133]
	ds_load_2addr_b64 v[126:129], v2 offset0:79 offset1:80
	ds_load_2addr_b64 v[130:133], v2 offset0:81 offset1:82
	scratch_load_b128 v[134:137], off, off offset:288
	s_wait_dscnt 0x1
	v_fmac_f64_e32 v[148:149], v[138:139], v[126:127]
	s_wait_loadcnt 0x5
	s_delay_alu instid0(VALU_DEP_1) | instskip(SKIP_1) | instid1(VALU_DEP_1)
	v_fmac_f64_e32 v[148:149], v[122:123], v[128:129]
	s_wait_dscnt 0x0
	v_fmac_f64_e32 v[148:149], v[124:125], v[130:131]
	scratch_load_b128 v[122:125], off, off offset:304
	s_wait_loadcnt 0x5
	v_fmac_f64_e32 v[148:149], v[144:145], v[132:133]
	ds_load_2addr_b64 v[126:129], v2 offset0:83 offset1:84
	ds_load_2addr_b64 v[130:133], v2 offset0:85 offset1:86
	s_wait_dscnt 0x1
	v_fmac_f64_e32 v[148:149], v[146:147], v[126:127]
	scratch_load_b128 v[144:147], off, off offset:320
	s_wait_loadcnt 0x5
	v_fmac_f64_e32 v[148:149], v[114:115], v[128:129]
	s_wait_dscnt 0x0
	s_delay_alu instid0(VALU_DEP_1)
	v_fmac_f64_e32 v[148:149], v[116:117], v[130:131]
	scratch_load_b128 v[114:117], off, off offset:336
	s_wait_loadcnt 0x5
	v_fmac_f64_e32 v[148:149], v[140:141], v[132:133]
	ds_load_2addr_b64 v[126:129], v2 offset0:87 offset1:88
	ds_load_2addr_b64 v[130:133], v2 offset0:89 offset1:90
	s_wait_dscnt 0x1
	v_fmac_f64_e32 v[148:149], v[142:143], v[126:127]
	s_wait_loadcnt 0x4
	s_delay_alu instid0(VALU_DEP_1)
	v_fmac_f64_e32 v[148:149], v[118:119], v[128:129]
	scratch_load_b128 v[126:129], off, off offset:352
	s_wait_dscnt 0x0
	v_fmac_f64_e32 v[148:149], v[120:121], v[130:131]
	scratch_load_b128 v[118:121], off, off offset:368
	s_wait_loadcnt 0x5
	v_fmac_f64_e32 v[148:149], v[134:135], v[132:133]
	ds_load_2addr_b64 v[130:133], v2 offset0:91 offset1:92
	ds_load_2addr_b64 v[138:141], v2 offset0:93 offset1:94
	s_wait_dscnt 0x1
	v_fmac_f64_e32 v[148:149], v[136:137], v[130:131]
	s_wait_loadcnt 0x4
	s_delay_alu instid0(VALU_DEP_1)
	v_fmac_f64_e32 v[148:149], v[122:123], v[132:133]
	scratch_load_b128 v[130:133], off, off offset:384
	s_wait_dscnt 0x0
	v_fmac_f64_e32 v[148:149], v[124:125], v[138:139]
	scratch_load_b128 v[122:125], off, off offset:400
	s_wait_loadcnt 0x5
	v_fmac_f64_e32 v[148:149], v[144:145], v[140:141]
	ds_load_2addr_b64 v[134:137], v2 offset0:95 offset1:96
	ds_load_2addr_b64 v[138:141], v2 offset0:97 offset1:98
	s_wait_dscnt 0x1
	v_fmac_f64_e32 v[148:149], v[146:147], v[134:135]
	s_wait_loadcnt 0x4
	s_delay_alu instid0(VALU_DEP_1) | instskip(SKIP_4) | instid1(VALU_DEP_1)
	v_fmac_f64_e32 v[148:149], v[114:115], v[136:137]
	scratch_load_b128 v[134:137], off, off offset:416
	s_wait_dscnt 0x0
	v_fmac_f64_e32 v[148:149], v[116:117], v[138:139]
	s_wait_loadcnt 0x4
	v_fmac_f64_e32 v[148:149], v[126:127], v[140:141]
	ds_load_2addr_b64 v[114:117], v2 offset0:99 offset1:100
	ds_load_2addr_b64 v[138:141], v2 offset0:101 offset1:102
	s_wait_dscnt 0x1
	v_fmac_f64_e32 v[148:149], v[128:129], v[114:115]
	s_wait_loadcnt 0x3
	s_delay_alu instid0(VALU_DEP_1) | instskip(SKIP_1) | instid1(VALU_DEP_1)
	v_fmac_f64_e32 v[148:149], v[118:119], v[116:117]
	s_wait_dscnt 0x0
	v_fmac_f64_e32 v[148:149], v[120:121], v[138:139]
	ds_load_2addr_b64 v[114:117], v2 offset0:103 offset1:104
	ds_load_2addr_b64 v[118:121], v2 offset0:105 offset1:106
	s_wait_loadcnt 0x2
	v_fmac_f64_e32 v[148:149], v[130:131], v[140:141]
	s_wait_dscnt 0x1
	s_delay_alu instid0(VALU_DEP_1) | instskip(SKIP_4) | instid1(VALU_DEP_1)
	v_fmac_f64_e32 v[148:149], v[132:133], v[114:115]
	ds_load_b64 v[114:115], v2 offset:856
	s_wait_loadcnt 0x1
	v_fmac_f64_e32 v[148:149], v[122:123], v[116:117]
	s_wait_dscnt 0x1
	v_fmac_f64_e32 v[148:149], v[124:125], v[118:119]
	s_wait_loadcnt 0x0
	s_delay_alu instid0(VALU_DEP_1) | instskip(SKIP_1) | instid1(VALU_DEP_1)
	v_fmac_f64_e32 v[148:149], v[134:135], v[120:121]
	s_wait_dscnt 0x0
	v_fmac_f64_e32 v[148:149], v[136:137], v[114:115]
	s_delay_alu instid0(VALU_DEP_1)
	v_add_f64_e64 v[112:113], v[112:113], -v[148:149]
	scratch_store_b64 off, v[112:113], off offset:32
	s_wait_xcnt 0x0
	v_cmpx_lt_u32_e32 3, v0
	s_cbranch_execz .LBB53_327
; %bb.326:
	scratch_load_b64 v[112:113], off, off offset:24
	v_mov_b64_e32 v[114:115], 0
	scratch_store_b64 off, v[114:115], off offset:24
	s_wait_loadcnt 0x0
	ds_store_b64 v1, v[112:113]
.LBB53_327:
	s_wait_xcnt 0x0
	s_or_b32 exec_lo, exec_lo, s0
	s_wait_storecnt_dscnt 0x0
	s_barrier_signal -1
	s_barrier_wait -1
	s_clause 0x5
	scratch_load_b128 v[112:115], off, off offset:24
	scratch_load_b128 v[116:119], off, off offset:40
	;; [unrolled: 1-line block ×6, first 2 shown]
	ds_load_b128 v[136:139], v2 offset:464
	ds_load_b128 v[140:143], v2 offset:480
	scratch_load_b128 v[144:147], off, off offset:120
	s_mov_b32 s0, exec_lo
	s_wait_loadcnt_dscnt 0x601
	v_fma_f64 v[148:149], v[114:115], v[136:137], 0
	s_wait_loadcnt 0x5
	s_delay_alu instid0(VALU_DEP_1) | instskip(SKIP_4) | instid1(VALU_DEP_1)
	v_fmac_f64_e32 v[148:149], v[116:117], v[138:139]
	scratch_load_b128 v[114:117], off, off offset:136
	s_wait_dscnt 0x0
	v_fmac_f64_e32 v[148:149], v[118:119], v[140:141]
	s_wait_loadcnt 0x5
	v_fmac_f64_e32 v[148:149], v[120:121], v[142:143]
	ds_load_b128 v[118:121], v2 offset:496
	ds_load_b128 v[136:139], v2 offset:512
	scratch_load_b128 v[140:143], off, off offset:152
	s_wait_dscnt 0x1
	v_fmac_f64_e32 v[148:149], v[122:123], v[118:119]
	s_wait_loadcnt 0x5
	s_delay_alu instid0(VALU_DEP_1) | instskip(SKIP_4) | instid1(VALU_DEP_1)
	v_fmac_f64_e32 v[148:149], v[124:125], v[120:121]
	scratch_load_b128 v[118:121], off, off offset:168
	s_wait_dscnt 0x0
	v_fmac_f64_e32 v[148:149], v[126:127], v[136:137]
	s_wait_loadcnt 0x5
	v_fmac_f64_e32 v[148:149], v[128:129], v[138:139]
	ds_load_b128 v[122:125], v2 offset:528
	ds_load_b128 v[126:129], v2 offset:544
	scratch_load_b128 v[136:139], off, off offset:184
	s_wait_dscnt 0x1
	v_fmac_f64_e32 v[148:149], v[130:131], v[122:123]
	s_wait_loadcnt 0x5
	s_delay_alu instid0(VALU_DEP_1) | instskip(SKIP_4) | instid1(VALU_DEP_1)
	v_fmac_f64_e32 v[148:149], v[132:133], v[124:125]
	scratch_load_b128 v[122:125], off, off offset:200
	s_wait_dscnt 0x0
	v_fmac_f64_e32 v[148:149], v[134:135], v[126:127]
	s_wait_loadcnt 0x5
	v_fmac_f64_e32 v[148:149], v[144:145], v[128:129]
	ds_load_b128 v[126:129], v2 offset:560
	ds_load_b128 v[130:133], v2 offset:576
	s_wait_dscnt 0x1
	v_fmac_f64_e32 v[148:149], v[146:147], v[126:127]
	scratch_load_b128 v[144:147], off, off offset:216
	s_wait_loadcnt 0x5
	v_fmac_f64_e32 v[148:149], v[114:115], v[128:129]
	s_wait_dscnt 0x0
	s_delay_alu instid0(VALU_DEP_1)
	v_fmac_f64_e32 v[148:149], v[116:117], v[130:131]
	scratch_load_b128 v[114:117], off, off offset:232
	s_wait_loadcnt 0x5
	v_fmac_f64_e32 v[148:149], v[140:141], v[132:133]
	ds_load_b128 v[126:129], v2 offset:592
	ds_load_b128 v[130:133], v2 offset:608
	s_wait_dscnt 0x1
	v_fmac_f64_e32 v[148:149], v[142:143], v[126:127]
	scratch_load_b128 v[140:143], off, off offset:248
	s_wait_loadcnt 0x5
	v_fmac_f64_e32 v[148:149], v[118:119], v[128:129]
	s_wait_dscnt 0x0
	s_delay_alu instid0(VALU_DEP_1)
	v_fmac_f64_e32 v[148:149], v[120:121], v[130:131]
	scratch_load_b128 v[118:121], off, off offset:264
	s_wait_loadcnt 0x5
	v_fmac_f64_e32 v[148:149], v[136:137], v[132:133]
	ds_load_b128 v[126:129], v2 offset:624
	ds_load_b128 v[130:133], v2 offset:640
	scratch_load_b128 v[134:137], off, off offset:280
	s_wait_dscnt 0x1
	v_fmac_f64_e32 v[148:149], v[138:139], v[126:127]
	s_wait_loadcnt 0x5
	s_delay_alu instid0(VALU_DEP_1) | instskip(SKIP_1) | instid1(VALU_DEP_1)
	v_fmac_f64_e32 v[148:149], v[122:123], v[128:129]
	s_wait_dscnt 0x0
	v_fmac_f64_e32 v[148:149], v[124:125], v[130:131]
	scratch_load_b128 v[122:125], off, off offset:296
	s_wait_loadcnt 0x5
	v_fmac_f64_e32 v[148:149], v[144:145], v[132:133]
	ds_load_b128 v[126:129], v2 offset:656
	ds_load_b128 v[130:133], v2 offset:672
	s_wait_dscnt 0x1
	v_fmac_f64_e32 v[148:149], v[146:147], v[126:127]
	scratch_load_b128 v[144:147], off, off offset:312
	s_wait_loadcnt 0x5
	v_fmac_f64_e32 v[148:149], v[114:115], v[128:129]
	s_wait_dscnt 0x0
	s_delay_alu instid0(VALU_DEP_1)
	v_fmac_f64_e32 v[148:149], v[116:117], v[130:131]
	scratch_load_b128 v[114:117], off, off offset:328
	s_wait_loadcnt 0x5
	v_fmac_f64_e32 v[148:149], v[140:141], v[132:133]
	ds_load_b128 v[126:129], v2 offset:688
	ds_load_b128 v[130:133], v2 offset:704
	scratch_load_b128 v[138:141], off, off offset:344
	s_wait_dscnt 0x1
	v_fmac_f64_e32 v[148:149], v[142:143], v[126:127]
	s_wait_loadcnt 0x5
	s_delay_alu instid0(VALU_DEP_1) | instskip(SKIP_1) | instid1(VALU_DEP_1)
	v_fmac_f64_e32 v[148:149], v[118:119], v[128:129]
	s_wait_dscnt 0x0
	v_fmac_f64_e32 v[148:149], v[120:121], v[130:131]
	scratch_load_b128 v[118:121], off, off offset:360
	s_wait_loadcnt 0x5
	v_fmac_f64_e32 v[148:149], v[134:135], v[132:133]
	ds_load_b128 v[126:129], v2 offset:720
	ds_load_b128 v[130:133], v2 offset:736
	s_wait_dscnt 0x1
	v_fmac_f64_e32 v[148:149], v[136:137], v[126:127]
	s_wait_loadcnt 0x4
	s_delay_alu instid0(VALU_DEP_1)
	v_fmac_f64_e32 v[148:149], v[122:123], v[128:129]
	scratch_load_b128 v[126:129], off, off offset:376
	s_wait_dscnt 0x0
	v_fmac_f64_e32 v[148:149], v[124:125], v[130:131]
	scratch_load_b128 v[122:125], off, off offset:392
	s_wait_loadcnt 0x5
	v_fmac_f64_e32 v[148:149], v[144:145], v[132:133]
	ds_load_b128 v[130:133], v2 offset:752
	ds_load_b128 v[134:137], v2 offset:768
	s_wait_dscnt 0x1
	v_fmac_f64_e32 v[148:149], v[146:147], v[130:131]
	s_wait_loadcnt 0x4
	s_delay_alu instid0(VALU_DEP_1) | instskip(SKIP_4) | instid1(VALU_DEP_1)
	v_fmac_f64_e32 v[148:149], v[114:115], v[132:133]
	scratch_load_b128 v[130:133], off, off offset:408
	s_wait_dscnt 0x0
	v_fmac_f64_e32 v[148:149], v[116:117], v[134:135]
	s_wait_loadcnt 0x4
	v_fmac_f64_e32 v[148:149], v[138:139], v[136:137]
	scratch_load_b64 v[138:139], off, off offset:424
	ds_load_b128 v[114:117], v2 offset:784
	ds_load_b128 v[134:137], v2 offset:800
	s_wait_dscnt 0x1
	v_fmac_f64_e32 v[148:149], v[140:141], v[114:115]
	s_wait_loadcnt 0x4
	s_delay_alu instid0(VALU_DEP_1) | instskip(SKIP_1) | instid1(VALU_DEP_1)
	v_fmac_f64_e32 v[148:149], v[118:119], v[116:117]
	s_wait_dscnt 0x0
	v_fmac_f64_e32 v[148:149], v[120:121], v[134:135]
	ds_load_b128 v[114:117], v2 offset:816
	ds_load_b128 v[118:121], v2 offset:832
	s_wait_loadcnt 0x3
	v_fmac_f64_e32 v[148:149], v[126:127], v[136:137]
	s_wait_dscnt 0x1
	s_delay_alu instid0(VALU_DEP_1) | instskip(SKIP_1) | instid1(VALU_DEP_1)
	v_fmac_f64_e32 v[148:149], v[128:129], v[114:115]
	s_wait_loadcnt 0x2
	v_fmac_f64_e32 v[148:149], v[122:123], v[116:117]
	ds_load_b128 v[114:117], v2 offset:848
	s_wait_dscnt 0x1
	v_fmac_f64_e32 v[148:149], v[124:125], v[118:119]
	s_wait_loadcnt 0x1
	s_delay_alu instid0(VALU_DEP_1) | instskip(SKIP_1) | instid1(VALU_DEP_1)
	v_fmac_f64_e32 v[148:149], v[130:131], v[120:121]
	s_wait_dscnt 0x0
	v_fmac_f64_e32 v[148:149], v[132:133], v[114:115]
	s_wait_loadcnt 0x0
	s_delay_alu instid0(VALU_DEP_1) | instskip(NEXT) | instid1(VALU_DEP_1)
	v_fmac_f64_e32 v[148:149], v[138:139], v[116:117]
	v_add_f64_e64 v[2:3], v[112:113], -v[148:149]
	scratch_store_b64 off, v[2:3], off offset:24
	s_wait_xcnt 0x0
	v_cmpx_lt_u32_e32 2, v0
	s_cbranch_execz .LBB53_329
; %bb.328:
	scratch_load_b64 v[2:3], off, off offset:16
	v_mov_b64_e32 v[112:113], 0
	scratch_store_b64 off, v[112:113], off offset:16
	s_wait_loadcnt 0x0
	ds_store_b64 v1, v[2:3]
.LBB53_329:
	s_wait_xcnt 0x0
	s_or_b32 exec_lo, exec_lo, s0
	s_wait_storecnt_dscnt 0x0
	s_barrier_signal -1
	s_barrier_wait -1
	s_clause 0x5
	scratch_load_b128 v[112:115], off, off offset:16
	scratch_load_b128 v[116:119], off, off offset:32
	;; [unrolled: 1-line block ×6, first 2 shown]
	v_mov_b32_e32 v2, 0
	ds_load_2addr_b64 v[136:139], v2 offset0:57 offset1:58
	ds_load_2addr_b64 v[140:143], v2 offset0:59 offset1:60
	scratch_load_b128 v[144:147], off, off offset:112
	s_mov_b32 s0, exec_lo
	s_wait_loadcnt_dscnt 0x601
	v_fma_f64 v[148:149], v[114:115], v[136:137], 0
	s_wait_loadcnt 0x5
	s_delay_alu instid0(VALU_DEP_1) | instskip(SKIP_4) | instid1(VALU_DEP_1)
	v_fmac_f64_e32 v[148:149], v[116:117], v[138:139]
	scratch_load_b128 v[114:117], off, off offset:128
	s_wait_dscnt 0x0
	v_fmac_f64_e32 v[148:149], v[118:119], v[140:141]
	s_wait_loadcnt 0x5
	v_fmac_f64_e32 v[148:149], v[120:121], v[142:143]
	ds_load_2addr_b64 v[118:121], v2 offset0:61 offset1:62
	ds_load_2addr_b64 v[136:139], v2 offset0:63 offset1:64
	scratch_load_b128 v[140:143], off, off offset:144
	s_wait_dscnt 0x1
	v_fmac_f64_e32 v[148:149], v[122:123], v[118:119]
	s_wait_loadcnt 0x5
	s_delay_alu instid0(VALU_DEP_1) | instskip(SKIP_4) | instid1(VALU_DEP_1)
	v_fmac_f64_e32 v[148:149], v[124:125], v[120:121]
	scratch_load_b128 v[118:121], off, off offset:160
	s_wait_dscnt 0x0
	v_fmac_f64_e32 v[148:149], v[126:127], v[136:137]
	s_wait_loadcnt 0x5
	v_fmac_f64_e32 v[148:149], v[128:129], v[138:139]
	ds_load_2addr_b64 v[122:125], v2 offset0:65 offset1:66
	ds_load_2addr_b64 v[126:129], v2 offset0:67 offset1:68
	scratch_load_b128 v[136:139], off, off offset:176
	s_wait_dscnt 0x1
	v_fmac_f64_e32 v[148:149], v[130:131], v[122:123]
	s_wait_loadcnt 0x5
	s_delay_alu instid0(VALU_DEP_1) | instskip(SKIP_4) | instid1(VALU_DEP_1)
	v_fmac_f64_e32 v[148:149], v[132:133], v[124:125]
	scratch_load_b128 v[122:125], off, off offset:192
	s_wait_dscnt 0x0
	v_fmac_f64_e32 v[148:149], v[134:135], v[126:127]
	s_wait_loadcnt 0x5
	v_fmac_f64_e32 v[148:149], v[144:145], v[128:129]
	ds_load_2addr_b64 v[126:129], v2 offset0:69 offset1:70
	ds_load_2addr_b64 v[130:133], v2 offset0:71 offset1:72
	s_wait_dscnt 0x1
	v_fmac_f64_e32 v[148:149], v[146:147], v[126:127]
	scratch_load_b128 v[144:147], off, off offset:208
	s_wait_loadcnt 0x5
	v_fmac_f64_e32 v[148:149], v[114:115], v[128:129]
	s_wait_dscnt 0x0
	s_delay_alu instid0(VALU_DEP_1)
	v_fmac_f64_e32 v[148:149], v[116:117], v[130:131]
	scratch_load_b128 v[114:117], off, off offset:224
	s_wait_loadcnt 0x5
	v_fmac_f64_e32 v[148:149], v[140:141], v[132:133]
	ds_load_2addr_b64 v[126:129], v2 offset0:73 offset1:74
	ds_load_2addr_b64 v[130:133], v2 offset0:75 offset1:76
	s_wait_dscnt 0x1
	v_fmac_f64_e32 v[148:149], v[142:143], v[126:127]
	scratch_load_b128 v[140:143], off, off offset:240
	s_wait_loadcnt 0x5
	v_fmac_f64_e32 v[148:149], v[118:119], v[128:129]
	s_wait_dscnt 0x0
	s_delay_alu instid0(VALU_DEP_1)
	v_fmac_f64_e32 v[148:149], v[120:121], v[130:131]
	scratch_load_b128 v[118:121], off, off offset:256
	s_wait_loadcnt 0x5
	v_fmac_f64_e32 v[148:149], v[136:137], v[132:133]
	ds_load_2addr_b64 v[126:129], v2 offset0:77 offset1:78
	ds_load_2addr_b64 v[130:133], v2 offset0:79 offset1:80
	scratch_load_b128 v[134:137], off, off offset:272
	s_wait_dscnt 0x1
	v_fmac_f64_e32 v[148:149], v[138:139], v[126:127]
	s_wait_loadcnt 0x5
	s_delay_alu instid0(VALU_DEP_1) | instskip(SKIP_1) | instid1(VALU_DEP_1)
	v_fmac_f64_e32 v[148:149], v[122:123], v[128:129]
	s_wait_dscnt 0x0
	v_fmac_f64_e32 v[148:149], v[124:125], v[130:131]
	scratch_load_b128 v[122:125], off, off offset:288
	s_wait_loadcnt 0x5
	v_fmac_f64_e32 v[148:149], v[144:145], v[132:133]
	ds_load_2addr_b64 v[126:129], v2 offset0:81 offset1:82
	ds_load_2addr_b64 v[130:133], v2 offset0:83 offset1:84
	s_wait_dscnt 0x1
	v_fmac_f64_e32 v[148:149], v[146:147], v[126:127]
	scratch_load_b128 v[144:147], off, off offset:304
	s_wait_loadcnt 0x5
	v_fmac_f64_e32 v[148:149], v[114:115], v[128:129]
	s_wait_dscnt 0x0
	s_delay_alu instid0(VALU_DEP_1)
	v_fmac_f64_e32 v[148:149], v[116:117], v[130:131]
	scratch_load_b128 v[114:117], off, off offset:320
	s_wait_loadcnt 0x5
	v_fmac_f64_e32 v[148:149], v[140:141], v[132:133]
	ds_load_2addr_b64 v[126:129], v2 offset0:85 offset1:86
	ds_load_2addr_b64 v[130:133], v2 offset0:87 offset1:88
	scratch_load_b128 v[138:141], off, off offset:336
	s_wait_dscnt 0x1
	v_fmac_f64_e32 v[148:149], v[142:143], v[126:127]
	s_wait_loadcnt 0x5
	s_delay_alu instid0(VALU_DEP_1) | instskip(SKIP_1) | instid1(VALU_DEP_1)
	v_fmac_f64_e32 v[148:149], v[118:119], v[128:129]
	s_wait_dscnt 0x0
	v_fmac_f64_e32 v[148:149], v[120:121], v[130:131]
	scratch_load_b128 v[118:121], off, off offset:352
	s_wait_loadcnt 0x5
	v_fmac_f64_e32 v[148:149], v[134:135], v[132:133]
	ds_load_2addr_b64 v[126:129], v2 offset0:89 offset1:90
	ds_load_2addr_b64 v[130:133], v2 offset0:91 offset1:92
	s_wait_dscnt 0x1
	v_fmac_f64_e32 v[148:149], v[136:137], v[126:127]
	s_wait_loadcnt 0x4
	s_delay_alu instid0(VALU_DEP_1)
	v_fmac_f64_e32 v[148:149], v[122:123], v[128:129]
	scratch_load_b128 v[126:129], off, off offset:368
	s_wait_dscnt 0x0
	v_fmac_f64_e32 v[148:149], v[124:125], v[130:131]
	scratch_load_b128 v[122:125], off, off offset:384
	s_wait_loadcnt 0x5
	v_fmac_f64_e32 v[148:149], v[144:145], v[132:133]
	ds_load_2addr_b64 v[130:133], v2 offset0:93 offset1:94
	ds_load_2addr_b64 v[134:137], v2 offset0:95 offset1:96
	s_wait_dscnt 0x1
	v_fmac_f64_e32 v[148:149], v[146:147], v[130:131]
	s_wait_loadcnt 0x4
	s_delay_alu instid0(VALU_DEP_1)
	v_fmac_f64_e32 v[148:149], v[114:115], v[132:133]
	scratch_load_b128 v[130:133], off, off offset:400
	s_wait_dscnt 0x0
	v_fmac_f64_e32 v[148:149], v[116:117], v[134:135]
	scratch_load_b128 v[114:117], off, off offset:416
	s_wait_loadcnt 0x5
	v_fmac_f64_e32 v[148:149], v[138:139], v[136:137]
	ds_load_2addr_b64 v[134:137], v2 offset0:97 offset1:98
	ds_load_2addr_b64 v[142:145], v2 offset0:99 offset1:100
	s_wait_dscnt 0x1
	v_fmac_f64_e32 v[148:149], v[140:141], v[134:135]
	s_wait_loadcnt 0x4
	s_delay_alu instid0(VALU_DEP_1) | instskip(SKIP_1) | instid1(VALU_DEP_1)
	v_fmac_f64_e32 v[148:149], v[118:119], v[136:137]
	s_wait_dscnt 0x0
	v_fmac_f64_e32 v[148:149], v[120:121], v[142:143]
	ds_load_2addr_b64 v[118:121], v2 offset0:101 offset1:102
	ds_load_2addr_b64 v[134:137], v2 offset0:103 offset1:104
	s_wait_loadcnt 0x3
	v_fmac_f64_e32 v[148:149], v[126:127], v[144:145]
	s_wait_dscnt 0x1
	s_delay_alu instid0(VALU_DEP_1) | instskip(SKIP_1) | instid1(VALU_DEP_1)
	v_fmac_f64_e32 v[148:149], v[128:129], v[118:119]
	s_wait_loadcnt 0x2
	v_fmac_f64_e32 v[148:149], v[122:123], v[120:121]
	ds_load_2addr_b64 v[118:121], v2 offset0:105 offset1:106
	ds_load_b64 v[122:123], v2 offset:856
	s_wait_dscnt 0x2
	v_fmac_f64_e32 v[148:149], v[124:125], v[134:135]
	s_wait_loadcnt 0x1
	s_delay_alu instid0(VALU_DEP_1) | instskip(SKIP_1) | instid1(VALU_DEP_1)
	v_fmac_f64_e32 v[148:149], v[130:131], v[136:137]
	s_wait_dscnt 0x1
	v_fmac_f64_e32 v[148:149], v[132:133], v[118:119]
	s_wait_loadcnt 0x0
	s_delay_alu instid0(VALU_DEP_1) | instskip(SKIP_1) | instid1(VALU_DEP_1)
	v_fmac_f64_e32 v[148:149], v[114:115], v[120:121]
	s_wait_dscnt 0x0
	v_fmac_f64_e32 v[148:149], v[116:117], v[122:123]
	s_delay_alu instid0(VALU_DEP_1)
	v_add_f64_e64 v[112:113], v[112:113], -v[148:149]
	scratch_store_b64 off, v[112:113], off offset:16
	s_wait_xcnt 0x0
	v_cmpx_lt_u32_e32 1, v0
	s_cbranch_execz .LBB53_331
; %bb.330:
	scratch_load_b64 v[112:113], off, off offset:8
	v_mov_b64_e32 v[114:115], 0
	scratch_store_b64 off, v[114:115], off offset:8
	s_wait_loadcnt 0x0
	ds_store_b64 v1, v[112:113]
.LBB53_331:
	s_wait_xcnt 0x0
	s_or_b32 exec_lo, exec_lo, s0
	s_wait_storecnt_dscnt 0x0
	s_barrier_signal -1
	s_barrier_wait -1
	s_clause 0x4
	scratch_load_b128 v[112:115], off, off offset:8
	scratch_load_b128 v[116:119], off, off offset:24
	;; [unrolled: 1-line block ×5, first 2 shown]
	ds_load_b128 v[132:135], v2 offset:448
	ds_load_b128 v[136:139], v2 offset:464
	scratch_load_b128 v[140:143], off, off offset:88
	v_dual_ashrrev_i32 v9, 31, v8 :: v_dual_ashrrev_i32 v11, 31, v10
	v_dual_ashrrev_i32 v13, 31, v12 :: v_dual_ashrrev_i32 v15, 31, v14
	;; [unrolled: 1-line block ×25, first 2 shown]
	v_ashrrev_i32_e32 v109, 31, v108
	s_mov_b32 s0, exec_lo
	v_ashrrev_i32_e32 v59, 31, v58
	s_wait_loadcnt_dscnt 0x501
	v_fma_f64 v[144:145], v[114:115], v[132:133], 0
	s_wait_loadcnt 0x4
	s_delay_alu instid0(VALU_DEP_1) | instskip(SKIP_4) | instid1(VALU_DEP_1)
	v_fmac_f64_e32 v[144:145], v[116:117], v[134:135]
	scratch_load_b128 v[114:117], off, off offset:104
	s_wait_dscnt 0x0
	v_fmac_f64_e32 v[144:145], v[118:119], v[136:137]
	s_wait_loadcnt 0x4
	v_fmac_f64_e32 v[144:145], v[120:121], v[138:139]
	ds_load_b128 v[118:121], v2 offset:480
	ds_load_b128 v[132:135], v2 offset:496
	scratch_load_b128 v[136:139], off, off offset:120
	s_wait_dscnt 0x1
	v_fmac_f64_e32 v[144:145], v[122:123], v[118:119]
	s_wait_loadcnt 0x4
	s_delay_alu instid0(VALU_DEP_1) | instskip(SKIP_4) | instid1(VALU_DEP_1)
	v_fmac_f64_e32 v[144:145], v[124:125], v[120:121]
	scratch_load_b128 v[118:121], off, off offset:136
	s_wait_dscnt 0x0
	v_fmac_f64_e32 v[144:145], v[126:127], v[132:133]
	s_wait_loadcnt 0x4
	v_fmac_f64_e32 v[144:145], v[128:129], v[134:135]
	ds_load_b128 v[122:125], v2 offset:512
	ds_load_b128 v[126:129], v2 offset:528
	s_wait_dscnt 0x1
	v_fmac_f64_e32 v[144:145], v[130:131], v[122:123]
	scratch_load_b128 v[130:133], off, off offset:152
	s_wait_loadcnt 0x4
	v_fmac_f64_e32 v[144:145], v[140:141], v[124:125]
	scratch_load_b128 v[122:125], off, off offset:168
	s_wait_dscnt 0x0
	v_fmac_f64_e32 v[144:145], v[142:143], v[126:127]
	s_wait_loadcnt 0x4
	s_delay_alu instid0(VALU_DEP_1)
	v_fmac_f64_e32 v[144:145], v[114:115], v[128:129]
	ds_load_b128 v[126:129], v2 offset:544
	ds_load_b128 v[140:143], v2 offset:560
	s_wait_dscnt 0x1
	v_fmac_f64_e32 v[144:145], v[116:117], v[126:127]
	scratch_load_b128 v[114:117], off, off offset:184
	s_wait_loadcnt 0x4
	v_fmac_f64_e32 v[144:145], v[136:137], v[128:129]
	scratch_load_b128 v[126:129], off, off offset:200
	s_wait_dscnt 0x0
	v_fmac_f64_e32 v[144:145], v[138:139], v[140:141]
	ds_load_b128 v[134:137], v2 offset:576
	ds_load_b128 v[138:141], v2 offset:592
	s_wait_loadcnt 0x4
	v_fmac_f64_e32 v[144:145], v[118:119], v[142:143]
	s_wait_dscnt 0x1
	s_delay_alu instid0(VALU_DEP_1)
	v_fmac_f64_e32 v[144:145], v[120:121], v[134:135]
	scratch_load_b128 v[118:121], off, off offset:216
	s_wait_loadcnt 0x4
	v_fmac_f64_e32 v[144:145], v[130:131], v[136:137]
	scratch_load_b128 v[134:137], off, off offset:232
	s_wait_dscnt 0x0
	v_fmac_f64_e32 v[144:145], v[132:133], v[138:139]
	s_wait_loadcnt 0x4
	s_delay_alu instid0(VALU_DEP_1)
	v_fmac_f64_e32 v[144:145], v[122:123], v[140:141]
	ds_load_b128 v[130:133], v2 offset:608
	ds_load_b128 v[138:141], v2 offset:624
	s_wait_dscnt 0x1
	v_fmac_f64_e32 v[144:145], v[124:125], v[130:131]
	scratch_load_b128 v[122:125], off, off offset:248
	s_wait_loadcnt 0x4
	v_fmac_f64_e32 v[144:145], v[114:115], v[132:133]
	scratch_load_b128 v[130:133], off, off offset:264
	s_wait_dscnt 0x0
	v_fmac_f64_e32 v[144:145], v[116:117], v[138:139]
	s_wait_loadcnt 0x4
	s_delay_alu instid0(VALU_DEP_1)
	v_fmac_f64_e32 v[144:145], v[126:127], v[140:141]
	ds_load_b128 v[114:117], v2 offset:640
	ds_load_b128 v[138:141], v2 offset:656
	s_wait_dscnt 0x1
	;; [unrolled: 13-line block ×5, first 2 shown]
	v_fmac_f64_e32 v[144:145], v[116:117], v[126:127]
	scratch_load_b128 v[114:117], off, off offset:376
	s_wait_loadcnt 0x4
	v_fmac_f64_e32 v[144:145], v[134:135], v[128:129]
	scratch_load_b128 v[126:129], off, off offset:392
	s_wait_dscnt 0x0
	v_fmac_f64_e32 v[144:145], v[136:137], v[138:139]
	s_wait_loadcnt 0x4
	s_delay_alu instid0(VALU_DEP_1)
	v_fmac_f64_e32 v[144:145], v[118:119], v[140:141]
	ds_load_b128 v[134:137], v2 offset:768
	ds_load_b128 v[138:141], v2 offset:784
	scratch_load_b64 v[142:143], off, off offset:424
	s_wait_dscnt 0x1
	v_fmac_f64_e32 v[144:145], v[120:121], v[134:135]
	scratch_load_b128 v[118:121], off, off offset:408
	s_wait_loadcnt 0x5
	v_fmac_f64_e32 v[144:145], v[130:131], v[136:137]
	s_wait_dscnt 0x0
	s_delay_alu instid0(VALU_DEP_1)
	v_fmac_f64_e32 v[144:145], v[132:133], v[138:139]
	ds_load_b128 v[130:133], v2 offset:800
	ds_load_b128 v[134:137], v2 offset:816
	s_wait_loadcnt 0x4
	v_fmac_f64_e32 v[144:145], v[122:123], v[140:141]
	s_wait_dscnt 0x1
	s_delay_alu instid0(VALU_DEP_1) | instskip(SKIP_1) | instid1(VALU_DEP_1)
	v_fmac_f64_e32 v[144:145], v[124:125], v[130:131]
	s_wait_loadcnt 0x3
	v_fmac_f64_e32 v[144:145], v[114:115], v[132:133]
	s_wait_dscnt 0x0
	s_delay_alu instid0(VALU_DEP_1)
	v_fmac_f64_e32 v[144:145], v[116:117], v[134:135]
	ds_load_b128 v[114:117], v2 offset:832
	ds_load_b128 v[122:125], v2 offset:848
	s_wait_loadcnt 0x2
	v_fmac_f64_e32 v[144:145], v[126:127], v[136:137]
	s_wait_dscnt 0x1
	s_delay_alu instid0(VALU_DEP_1) | instskip(SKIP_1) | instid1(VALU_DEP_1)
	v_fmac_f64_e32 v[144:145], v[128:129], v[114:115]
	s_wait_loadcnt 0x0
	v_fmac_f64_e32 v[144:145], v[118:119], v[116:117]
	s_wait_dscnt 0x0
	s_delay_alu instid0(VALU_DEP_1) | instskip(NEXT) | instid1(VALU_DEP_1)
	v_fmac_f64_e32 v[144:145], v[120:121], v[122:123]
	v_fmac_f64_e32 v[144:145], v[142:143], v[124:125]
	s_delay_alu instid0(VALU_DEP_1)
	v_add_f64_e64 v[2:3], v[112:113], -v[144:145]
	scratch_store_b64 off, v[2:3], off offset:8
	s_wait_xcnt 0x0
	v_cmpx_ne_u32_e32 0, v0
	s_cbranch_execz .LBB53_333
; %bb.332:
	scratch_load_b64 v[2:3], off, off
	v_mov_b64_e32 v[112:113], 0
	scratch_store_b64 off, v[112:113], off
	s_wait_loadcnt 0x0
	ds_store_b64 v1, v[2:3]
.LBB53_333:
	s_wait_xcnt 0x0
	s_or_b32 exec_lo, exec_lo, s0
	s_wait_storecnt_dscnt 0x0
	s_barrier_signal -1
	s_barrier_wait -1
	s_clause 0x5
	scratch_load_b128 v[114:117], off, off
	scratch_load_b128 v[0:3], off, off offset:16
	scratch_load_b128 v[118:121], off, off offset:32
	;; [unrolled: 1-line block ×5, first 2 shown]
	v_mov_b32_e32 v112, 0
	scratch_load_b128 v[138:141], off, off offset:96
	s_and_b32 vcc_lo, exec_lo, s20
	ds_load_2addr_b64 v[134:137], v112 offset0:55 offset1:56
	s_wait_loadcnt_dscnt 0x600
	v_fma_f64 v[144:145], v[116:117], v[134:135], 0
	s_wait_loadcnt 0x5
	s_delay_alu instid0(VALU_DEP_1)
	v_fmac_f64_e32 v[144:145], v[0:1], v[136:137]
	ds_load_2addr_b64 v[134:137], v112 offset0:57 offset1:58
	s_wait_dscnt 0x0
	v_fmac_f64_e32 v[144:145], v[2:3], v[134:135]
	scratch_load_b128 v[0:3], off, off offset:112
	s_wait_loadcnt 0x5
	v_fmac_f64_e32 v[144:145], v[118:119], v[136:137]
	ds_load_2addr_b64 v[116:119], v112 offset0:59 offset1:60
	scratch_load_b128 v[134:137], off, off offset:128
	s_wait_dscnt 0x0
	v_fmac_f64_e32 v[144:145], v[120:121], v[116:117]
	s_wait_loadcnt 0x5
	s_delay_alu instid0(VALU_DEP_1)
	v_fmac_f64_e32 v[144:145], v[122:123], v[118:119]
	ds_load_2addr_b64 v[116:119], v112 offset0:61 offset1:62
	scratch_load_b128 v[120:123], off, off offset:144
	s_wait_dscnt 0x0
	v_fmac_f64_e32 v[144:145], v[124:125], v[116:117]
	s_wait_loadcnt 0x5
	s_delay_alu instid0(VALU_DEP_1)
	;; [unrolled: 7-line block ×4, first 2 shown]
	v_fmac_f64_e32 v[144:145], v[138:139], v[118:119]
	ds_load_2addr_b64 v[116:119], v112 offset0:67 offset1:68
	s_wait_dscnt 0x0
	v_fmac_f64_e32 v[144:145], v[140:141], v[116:117]
	scratch_load_b128 v[138:141], off, off offset:192
	s_wait_loadcnt 0x5
	v_fmac_f64_e32 v[144:145], v[0:1], v[118:119]
	ds_load_2addr_b64 v[116:119], v112 offset0:69 offset1:70
	s_wait_dscnt 0x0
	v_fmac_f64_e32 v[144:145], v[2:3], v[116:117]
	scratch_load_b128 v[0:3], off, off offset:208
	s_wait_loadcnt 0x5
	v_fmac_f64_e32 v[144:145], v[134:135], v[118:119]
	ds_load_2addr_b64 v[116:119], v112 offset0:71 offset1:72
	scratch_load_b128 v[132:135], off, off offset:224
	s_wait_dscnt 0x0
	v_fmac_f64_e32 v[144:145], v[136:137], v[116:117]
	s_wait_loadcnt 0x5
	s_delay_alu instid0(VALU_DEP_1)
	v_fmac_f64_e32 v[144:145], v[120:121], v[118:119]
	ds_load_2addr_b64 v[116:119], v112 offset0:73 offset1:74
	s_wait_dscnt 0x0
	v_fmac_f64_e32 v[144:145], v[122:123], v[116:117]
	scratch_load_b128 v[120:123], off, off offset:240
	s_wait_loadcnt 0x5
	v_fmac_f64_e32 v[144:145], v[124:125], v[118:119]
	ds_load_2addr_b64 v[116:119], v112 offset0:75 offset1:76
	s_wait_dscnt 0x0
	v_fmac_f64_e32 v[144:145], v[126:127], v[116:117]
	scratch_load_b128 v[124:127], off, off offset:256
	s_wait_loadcnt 0x5
	;; [unrolled: 6-line block ×3, first 2 shown]
	v_fmac_f64_e32 v[144:145], v[138:139], v[118:119]
	ds_load_2addr_b64 v[116:119], v112 offset0:79 offset1:80
	scratch_load_b128 v[136:139], off, off offset:288
	s_wait_dscnt 0x0
	v_fmac_f64_e32 v[144:145], v[140:141], v[116:117]
	scratch_load_b128 v[140:143], off, off offset:400
	s_wait_loadcnt 0x6
	v_fmac_f64_e32 v[144:145], v[0:1], v[118:119]
	ds_load_2addr_b64 v[116:119], v112 offset0:81 offset1:82
	s_wait_dscnt 0x0
	v_fmac_f64_e32 v[144:145], v[2:3], v[116:117]
	scratch_load_b128 v[0:3], off, off offset:304
	s_wait_loadcnt 0x6
	v_fmac_f64_e32 v[144:145], v[132:133], v[118:119]
	ds_load_2addr_b64 v[116:119], v112 offset0:83 offset1:84
	;; [unrolled: 6-line block ×8, first 2 shown]
	s_wait_dscnt 0x0
	v_fmac_f64_e32 v[144:145], v[134:135], v[116:117]
	s_wait_loadcnt 0x4
	s_delay_alu instid0(VALU_DEP_1) | instskip(SKIP_4) | instid1(VALU_DEP_1)
	v_fmac_f64_e32 v[144:145], v[120:121], v[118:119]
	ds_load_2addr_b64 v[116:119], v112 offset0:97 offset1:98
	s_wait_dscnt 0x0
	v_fmac_f64_e32 v[144:145], v[122:123], v[116:117]
	s_wait_loadcnt 0x3
	v_fmac_f64_e32 v[144:145], v[124:125], v[118:119]
	ds_load_2addr_b64 v[116:119], v112 offset0:99 offset1:100
	s_wait_dscnt 0x0
	v_fmac_f64_e32 v[144:145], v[126:127], v[116:117]
	s_wait_loadcnt 0x2
	s_delay_alu instid0(VALU_DEP_1) | instskip(SKIP_4) | instid1(VALU_DEP_1)
	v_fmac_f64_e32 v[144:145], v[128:129], v[118:119]
	ds_load_2addr_b64 v[116:119], v112 offset0:101 offset1:102
	s_wait_dscnt 0x0
	v_fmac_f64_e32 v[144:145], v[130:131], v[116:117]
	s_wait_loadcnt 0x1
	v_fmac_f64_e32 v[144:145], v[136:137], v[118:119]
	ds_load_2addr_b64 v[116:119], v112 offset0:103 offset1:104
	s_wait_dscnt 0x0
	v_fmac_f64_e32 v[144:145], v[138:139], v[116:117]
	s_delay_alu instid0(VALU_DEP_1)
	v_fmac_f64_e32 v[144:145], v[140:141], v[118:119]
	ds_load_2addr_b64 v[116:119], v112 offset0:105 offset1:106
	s_wait_dscnt 0x0
	v_fmac_f64_e32 v[144:145], v[142:143], v[116:117]
	ds_load_b64 v[116:117], v112 offset:856
	s_wait_loadcnt 0x0
	v_fmac_f64_e32 v[144:145], v[0:1], v[118:119]
	s_wait_dscnt 0x0
	s_delay_alu instid0(VALU_DEP_1) | instskip(NEXT) | instid1(VALU_DEP_1)
	v_fmac_f64_e32 v[144:145], v[2:3], v[116:117]
	v_add_f64_e64 v[142:143], v[114:115], -v[144:145]
	scratch_store_b64 off, v[142:143], off
	s_cbranch_vccz .LBB53_440
; %bb.334:
	global_load_b32 v2, v112, s[16:17] offset:208
	s_wait_loadcnt 0x0
	v_cmp_ne_u32_e32 vcc_lo, 53, v2
	s_cbranch_vccz .LBB53_336
; %bb.335:
	v_lshlrev_b32_e32 v2, 3, v2
	s_wait_xcnt 0x0
	s_delay_alu instid0(VALU_DEP_1)
	v_mov_b32_e32 v112, v2
	scratch_load_b64 v[2:3], v112, off offset:-8
	s_wait_loadcnt 0x0
	scratch_store_b64 off, v[2:3], off offset:416
	scratch_store_b64 v112, v[0:1], off offset:-8
.LBB53_336:
	s_wait_xcnt 0x0
	v_mov_b32_e32 v0, 0
	global_load_b32 v1, v0, s[16:17] offset:204
	s_wait_loadcnt 0x0
	v_cmp_eq_u32_e32 vcc_lo, 52, v1
	s_cbranch_vccnz .LBB53_338
; %bb.337:
	v_lshlrev_b32_e32 v1, 3, v1
	scratch_load_b64 v[2:3], v1, off offset:-8
	scratch_load_b64 v[112:113], off, off offset:408
	s_wait_loadcnt 0x1
	scratch_store_b64 off, v[2:3], off offset:408
	s_wait_loadcnt 0x0
	scratch_store_b64 v1, v[112:113], off offset:-8
.LBB53_338:
	global_load_b32 v0, v0, s[16:17] offset:200
	s_wait_loadcnt 0x0
	v_cmp_eq_u32_e32 vcc_lo, 51, v0
	s_cbranch_vccnz .LBB53_340
; %bb.339:
	s_wait_xcnt 0x0
	v_lshlrev_b32_e32 v0, 3, v0
	s_delay_alu instid0(VALU_DEP_1)
	v_mov_b32_e32 v112, v0
	scratch_load_b64 v[0:1], v112, off offset:-8
	scratch_load_b64 v[2:3], off, off offset:400
	s_wait_loadcnt 0x1
	scratch_store_b64 off, v[0:1], off offset:400
	s_wait_loadcnt 0x0
	scratch_store_b64 v112, v[2:3], off offset:-8
.LBB53_340:
	s_wait_xcnt 0x0
	v_mov_b32_e32 v0, 0
	global_load_b32 v1, v0, s[16:17] offset:196
	s_wait_loadcnt 0x0
	v_cmp_eq_u32_e32 vcc_lo, 50, v1
	s_cbranch_vccnz .LBB53_342
; %bb.341:
	v_lshlrev_b32_e32 v1, 3, v1
	scratch_load_b64 v[2:3], v1, off offset:-8
	scratch_load_b64 v[112:113], off, off offset:392
	s_wait_loadcnt 0x1
	scratch_store_b64 off, v[2:3], off offset:392
	s_wait_loadcnt 0x0
	scratch_store_b64 v1, v[112:113], off offset:-8
.LBB53_342:
	global_load_b32 v0, v0, s[16:17] offset:192
	s_wait_loadcnt 0x0
	v_cmp_eq_u32_e32 vcc_lo, 49, v0
	s_cbranch_vccnz .LBB53_344
; %bb.343:
	s_wait_xcnt 0x0
	v_lshlrev_b32_e32 v0, 3, v0
	s_delay_alu instid0(VALU_DEP_1)
	v_mov_b32_e32 v112, v0
	scratch_load_b64 v[0:1], v112, off offset:-8
	scratch_load_b64 v[2:3], off, off offset:384
	s_wait_loadcnt 0x1
	scratch_store_b64 off, v[0:1], off offset:384
	s_wait_loadcnt 0x0
	scratch_store_b64 v112, v[2:3], off offset:-8
.LBB53_344:
	;; [unrolled: 31-line block ×25, first 2 shown]
	s_wait_xcnt 0x0
	v_mov_b32_e32 v0, 0
	global_load_b32 v1, v0, s[16:17] offset:4
	s_wait_loadcnt 0x0
	v_cmp_eq_u32_e32 vcc_lo, 2, v1
	s_cbranch_vccnz .LBB53_438
; %bb.437:
	v_lshlrev_b32_e32 v1, 3, v1
	scratch_load_b64 v[2:3], v1, off offset:-8
	scratch_load_b64 v[112:113], off, off offset:8
	s_wait_loadcnt 0x1
	scratch_store_b64 off, v[2:3], off offset:8
	s_wait_loadcnt 0x0
	scratch_store_b64 v1, v[112:113], off offset:-8
.LBB53_438:
	global_load_b32 v0, v0, s[16:17]
	scratch_load_b64 v[142:143], off, off
	s_wait_loadcnt 0x1
	v_cmp_eq_u32_e32 vcc_lo, 1, v0
	s_cbranch_vccnz .LBB53_440
; %bb.439:
	s_wait_xcnt 0x1
	v_lshlrev_b32_e32 v0, 3, v0
	s_delay_alu instid0(VALU_DEP_1)
	v_mov_b32_e32 v2, v0
	scratch_load_b64 v[0:1], v2, off offset:-8
	s_wait_loadcnt 0x0
	scratch_store_b64 off, v[0:1], off
	scratch_store_b64 v2, v[142:143], off offset:-8
	scratch_load_b64 v[142:143], off, off
.LBB53_440:
	v_lshl_add_u64 v[146:147], v[8:9], 3, s[2:3]
	v_lshl_add_u64 v[144:145], v[10:11], 3, s[2:3]
	;; [unrolled: 1-line block ×12, first 2 shown]
	s_wait_xcnt 0x1
	v_lshl_add_u64 v[0:1], v[42:43], 3, s[2:3]
	v_lshl_add_u64 v[2:3], v[44:45], 3, s[2:3]
	;; [unrolled: 1-line block ×25, first 2 shown]
	s_clause 0x6
	scratch_load_b128 v[74:77], off, off offset:8
	scratch_load_b128 v[78:81], off, off offset:24
	;; [unrolled: 1-line block ×7, first 2 shown]
	v_lshl_add_u64 v[126:127], v[26:27], 3, s[2:3]
	v_lshl_add_u64 v[124:125], v[28:29], 3, s[2:3]
	;; [unrolled: 1-line block ×6, first 2 shown]
	s_wait_loadcnt 0x7
	global_store_b64 v[4:5], v[142:143], off
	scratch_load_b128 v[102:105], off, off offset:120
	v_lshl_add_u64 v[122:123], v[30:31], 3, s[2:3]
	v_lshl_add_u64 v[120:121], v[32:33], 3, s[2:3]
	;; [unrolled: 1-line block ×9, first 2 shown]
	scratch_load_b128 v[106:109], off, off offset:168
	s_wait_loadcnt 0x8
	global_store_b64 v[6:7], v[74:75], off
	scratch_load_b128 v[4:7], off, off offset:136
	global_store_b64 v[146:147], v[76:77], off
	s_wait_loadcnt 0x8
	s_clause 0x1
	global_store_b64 v[144:145], v[78:79], off
	global_store_b64 v[140:141], v[80:81], off
	s_wait_loadcnt 0x7
	s_clause 0x1
	global_store_b64 v[138:139], v[82:83], off
	;; [unrolled: 4-line block ×7, first 2 shown]
	global_store_b64 v[116:117], v[104:105], off
	s_clause 0xd
	scratch_load_b128 v[74:77], off, off offset:152
	scratch_load_b128 v[78:81], off, off offset:184
	;; [unrolled: 1-line block ×14, first 2 shown]
	s_wait_loadcnt 0xe
	s_clause 0x1
	global_store_b64 v[114:115], v[4:5], off
	global_store_b64 v[112:113], v[6:7], off
	s_clause 0x2
	scratch_load_b128 v[114:117], off, off offset:392
	scratch_load_b128 v[4:7], off, off offset:408
	scratch_load_b64 v[110:111], off, off offset:424
	s_wait_loadcnt 0x10
	s_clause 0x3
	global_store_b64 v[0:1], v[74:75], off
	global_store_b64 v[2:3], v[76:77], off
	;; [unrolled: 1-line block ×4, first 2 shown]
	s_wait_loadcnt 0xf
	s_clause 0x1
	global_store_b64 v[12:13], v[78:79], off
	global_store_b64 v[14:15], v[80:81], off
	s_wait_loadcnt 0xe
	s_clause 0x1
	global_store_b64 v[16:17], v[138:139], off
	global_store_b64 v[18:19], v[140:141], off
	;; [unrolled: 4-line block ×15, first 2 shown]
	s_wait_loadcnt 0x0
	global_store_b64 v[72:73], v[110:111], off
	s_sendmsg sendmsg(MSG_DEALLOC_VGPRS)
	s_endpgm
	.section	.rodata,"a",@progbits
	.p2align	6, 0x0
	.amdhsa_kernel _ZN9rocsolver6v33100L18getri_kernel_smallILi54EdPdEEvT1_iilPiilS4_bb
		.amdhsa_group_segment_fixed_size 872
		.amdhsa_private_segment_fixed_size 448
		.amdhsa_kernarg_size 60
		.amdhsa_user_sgpr_count 2
		.amdhsa_user_sgpr_dispatch_ptr 0
		.amdhsa_user_sgpr_queue_ptr 0
		.amdhsa_user_sgpr_kernarg_segment_ptr 1
		.amdhsa_user_sgpr_dispatch_id 0
		.amdhsa_user_sgpr_kernarg_preload_length 0
		.amdhsa_user_sgpr_kernarg_preload_offset 0
		.amdhsa_user_sgpr_private_segment_size 0
		.amdhsa_wavefront_size32 1
		.amdhsa_uses_dynamic_stack 0
		.amdhsa_enable_private_segment 1
		.amdhsa_system_sgpr_workgroup_id_x 1
		.amdhsa_system_sgpr_workgroup_id_y 0
		.amdhsa_system_sgpr_workgroup_id_z 0
		.amdhsa_system_sgpr_workgroup_info 0
		.amdhsa_system_vgpr_workitem_id 0
		.amdhsa_next_free_vgpr 160
		.amdhsa_next_free_sgpr 21
		.amdhsa_named_barrier_count 0
		.amdhsa_reserve_vcc 1
		.amdhsa_float_round_mode_32 0
		.amdhsa_float_round_mode_16_64 0
		.amdhsa_float_denorm_mode_32 3
		.amdhsa_float_denorm_mode_16_64 3
		.amdhsa_fp16_overflow 0
		.amdhsa_memory_ordered 1
		.amdhsa_forward_progress 1
		.amdhsa_inst_pref_size 255
		.amdhsa_round_robin_scheduling 0
		.amdhsa_exception_fp_ieee_invalid_op 0
		.amdhsa_exception_fp_denorm_src 0
		.amdhsa_exception_fp_ieee_div_zero 0
		.amdhsa_exception_fp_ieee_overflow 0
		.amdhsa_exception_fp_ieee_underflow 0
		.amdhsa_exception_fp_ieee_inexact 0
		.amdhsa_exception_int_div_zero 0
	.end_amdhsa_kernel
	.section	.text._ZN9rocsolver6v33100L18getri_kernel_smallILi54EdPdEEvT1_iilPiilS4_bb,"axG",@progbits,_ZN9rocsolver6v33100L18getri_kernel_smallILi54EdPdEEvT1_iilPiilS4_bb,comdat
.Lfunc_end53:
	.size	_ZN9rocsolver6v33100L18getri_kernel_smallILi54EdPdEEvT1_iilPiilS4_bb, .Lfunc_end53-_ZN9rocsolver6v33100L18getri_kernel_smallILi54EdPdEEvT1_iilPiilS4_bb
                                        ; -- End function
	.set _ZN9rocsolver6v33100L18getri_kernel_smallILi54EdPdEEvT1_iilPiilS4_bb.num_vgpr, 160
	.set _ZN9rocsolver6v33100L18getri_kernel_smallILi54EdPdEEvT1_iilPiilS4_bb.num_agpr, 0
	.set _ZN9rocsolver6v33100L18getri_kernel_smallILi54EdPdEEvT1_iilPiilS4_bb.numbered_sgpr, 21
	.set _ZN9rocsolver6v33100L18getri_kernel_smallILi54EdPdEEvT1_iilPiilS4_bb.num_named_barrier, 0
	.set _ZN9rocsolver6v33100L18getri_kernel_smallILi54EdPdEEvT1_iilPiilS4_bb.private_seg_size, 448
	.set _ZN9rocsolver6v33100L18getri_kernel_smallILi54EdPdEEvT1_iilPiilS4_bb.uses_vcc, 1
	.set _ZN9rocsolver6v33100L18getri_kernel_smallILi54EdPdEEvT1_iilPiilS4_bb.uses_flat_scratch, 1
	.set _ZN9rocsolver6v33100L18getri_kernel_smallILi54EdPdEEvT1_iilPiilS4_bb.has_dyn_sized_stack, 0
	.set _ZN9rocsolver6v33100L18getri_kernel_smallILi54EdPdEEvT1_iilPiilS4_bb.has_recursion, 0
	.set _ZN9rocsolver6v33100L18getri_kernel_smallILi54EdPdEEvT1_iilPiilS4_bb.has_indirect_call, 0
	.section	.AMDGPU.csdata,"",@progbits
; Kernel info:
; codeLenInByte = 53452
; TotalNumSgprs: 23
; NumVgprs: 160
; ScratchSize: 448
; MemoryBound: 0
; FloatMode: 240
; IeeeMode: 1
; LDSByteSize: 872 bytes/workgroup (compile time only)
; SGPRBlocks: 0
; VGPRBlocks: 9
; NumSGPRsForWavesPerEU: 23
; NumVGPRsForWavesPerEU: 160
; NamedBarCnt: 0
; Occupancy: 6
; WaveLimiterHint : 1
; COMPUTE_PGM_RSRC2:SCRATCH_EN: 1
; COMPUTE_PGM_RSRC2:USER_SGPR: 2
; COMPUTE_PGM_RSRC2:TRAP_HANDLER: 0
; COMPUTE_PGM_RSRC2:TGID_X_EN: 1
; COMPUTE_PGM_RSRC2:TGID_Y_EN: 0
; COMPUTE_PGM_RSRC2:TGID_Z_EN: 0
; COMPUTE_PGM_RSRC2:TIDIG_COMP_CNT: 0
	.section	.text._ZN9rocsolver6v33100L18getri_kernel_smallILi55EdPdEEvT1_iilPiilS4_bb,"axG",@progbits,_ZN9rocsolver6v33100L18getri_kernel_smallILi55EdPdEEvT1_iilPiilS4_bb,comdat
	.globl	_ZN9rocsolver6v33100L18getri_kernel_smallILi55EdPdEEvT1_iilPiilS4_bb ; -- Begin function _ZN9rocsolver6v33100L18getri_kernel_smallILi55EdPdEEvT1_iilPiilS4_bb
	.p2align	8
	.type	_ZN9rocsolver6v33100L18getri_kernel_smallILi55EdPdEEvT1_iilPiilS4_bb,@function
_ZN9rocsolver6v33100L18getri_kernel_smallILi55EdPdEEvT1_iilPiilS4_bb: ; @_ZN9rocsolver6v33100L18getri_kernel_smallILi55EdPdEEvT1_iilPiilS4_bb
; %bb.0:
	s_mov_b32 s2, exec_lo
	v_cmpx_gt_u32_e32 55, v0
	s_cbranch_execz .LBB54_230
; %bb.1:
	s_clause 0x2
	s_load_b32 s2, s[0:1], 0x38
	s_load_b128 s[12:15], s[0:1], 0x10
	s_load_b128 s[4:7], s[0:1], 0x28
	s_getreg_b32 s9, hwreg(HW_REG_IB_STS2, 6, 4)
	s_wait_kmcnt 0x0
	s_bitcmp1_b32 s2, 8
	s_cselect_b32 s18, -1, 0
	s_bfe_u32 s3, ttmp6, 0x4000c
	s_and_b32 s8, ttmp6, 15
	s_add_co_i32 s3, s3, 1
	s_delay_alu instid0(SALU_CYCLE_1) | instskip(NEXT) | instid1(SALU_CYCLE_1)
	s_mul_i32 s3, ttmp9, s3
	s_add_co_i32 s8, s8, s3
	s_cmp_eq_u32 s9, 0
	s_cselect_b32 s16, ttmp9, s8
	s_bfe_u32 s2, s2, 0x10008
	s_ashr_i32 s17, s16, 31
	s_cmp_eq_u32 s2, 0
                                        ; implicit-def: $sgpr2_sgpr3
	s_cbranch_scc1 .LBB54_3
; %bb.2:
	s_load_b32 s2, s[0:1], 0x20
	s_mul_u64 s[4:5], s[4:5], s[16:17]
	s_delay_alu instid0(SALU_CYCLE_1) | instskip(NEXT) | instid1(SALU_CYCLE_1)
	s_lshl_b64 s[4:5], s[4:5], 2
	s_add_nc_u64 s[4:5], s[14:15], s[4:5]
	s_wait_kmcnt 0x0
	s_ashr_i32 s3, s2, 31
	s_delay_alu instid0(SALU_CYCLE_1) | instskip(NEXT) | instid1(SALU_CYCLE_1)
	s_lshl_b64 s[2:3], s[2:3], 2
	s_add_nc_u64 s[2:3], s[4:5], s[2:3]
.LBB54_3:
	s_clause 0x1
	s_load_b128 s[8:11], s[0:1], 0x0
	s_load_b32 s14, s[0:1], 0x38
	s_wait_xcnt 0x0
	s_mul_u64 s[0:1], s[12:13], s[16:17]
	v_lshlrev_b32_e32 v2, 3, v0
	s_lshl_b64 s[0:1], s[0:1], 3
	v_mov_b32_e32 v3, 0
	s_wait_kmcnt 0x0
	v_add3_u32 v8, s11, s11, v0
	s_ashr_i32 s5, s10, 31
	s_mov_b32 s4, s10
	s_add_nc_u64 s[0:1], s[8:9], s[0:1]
	s_lshl_b64 s[4:5], s[4:5], 3
	v_add_nc_u32_e32 v10, s11, v8
	s_add_nc_u64 s[4:5], s[0:1], s[4:5]
	s_ashr_i32 s1, s11, 31
	s_mov_b32 s0, s11
	s_bitcmp0_b32 s14, 0
	v_add_nc_u32_e32 v12, s11, v10
	v_add_nc_u64_e32 v[4:5], s[4:5], v[2:3]
	s_delay_alu instid0(VALU_DEP_2) | instskip(NEXT) | instid1(VALU_DEP_2)
	v_add_nc_u32_e32 v14, s11, v12
	v_lshl_add_u64 v[6:7], s[0:1], 3, v[4:5]
	s_mov_b32 s1, -1
	s_delay_alu instid0(VALU_DEP_2)
	v_add_nc_u32_e32 v16, s11, v14
	s_clause 0x5
	global_load_b64 v[82:83], v0, s[4:5] scale_offset
	global_load_b64 v[84:85], v[6:7], off
	global_load_b64 v[86:87], v8, s[4:5] scale_offset
	global_load_b64 v[88:89], v10, s[4:5] scale_offset
	;; [unrolled: 1-line block ×4, first 2 shown]
	v_add_nc_u32_e32 v18, s11, v16
	s_delay_alu instid0(VALU_DEP_1) | instskip(NEXT) | instid1(VALU_DEP_1)
	v_add_nc_u32_e32 v20, s11, v18
	v_add_nc_u32_e32 v22, s11, v20
	s_delay_alu instid0(VALU_DEP_1) | instskip(NEXT) | instid1(VALU_DEP_1)
	v_add_nc_u32_e32 v24, s11, v22
	v_add_nc_u32_e32 v26, s11, v24
	s_delay_alu instid0(VALU_DEP_1)
	v_add_nc_u32_e32 v28, s11, v26
	s_clause 0x5
	global_load_b64 v[94:95], v16, s[4:5] scale_offset
	global_load_b64 v[96:97], v18, s[4:5] scale_offset
	global_load_b64 v[98:99], v20, s[4:5] scale_offset
	global_load_b64 v[100:101], v22, s[4:5] scale_offset
	global_load_b64 v[102:103], v24, s[4:5] scale_offset
	global_load_b64 v[104:105], v26, s[4:5] scale_offset
	v_add_nc_u32_e32 v30, s11, v28
	s_delay_alu instid0(VALU_DEP_1) | instskip(NEXT) | instid1(VALU_DEP_1)
	v_add_nc_u32_e32 v32, s11, v30
	v_add_nc_u32_e32 v34, s11, v32
	s_delay_alu instid0(VALU_DEP_1) | instskip(NEXT) | instid1(VALU_DEP_1)
	v_add_nc_u32_e32 v36, s11, v34
	v_add_nc_u32_e32 v38, s11, v36
	s_delay_alu instid0(VALU_DEP_1)
	v_add_nc_u32_e32 v40, s11, v38
	s_clause 0x5
	global_load_b64 v[106:107], v28, s[4:5] scale_offset
	global_load_b64 v[108:109], v30, s[4:5] scale_offset
	;; [unrolled: 1-line block ×6, first 2 shown]
	v_add_nc_u32_e32 v42, s11, v40
	s_delay_alu instid0(VALU_DEP_1) | instskip(NEXT) | instid1(VALU_DEP_1)
	v_add_nc_u32_e32 v44, s11, v42
	v_add_nc_u32_e32 v46, s11, v44
	s_delay_alu instid0(VALU_DEP_1) | instskip(SKIP_4) | instid1(VALU_DEP_1)
	v_add_nc_u32_e32 v48, s11, v46
	s_clause 0x1
	global_load_b64 v[118:119], v40, s[4:5] scale_offset
	global_load_b64 v[120:121], v42, s[4:5] scale_offset
	v_add_nc_u32_e32 v50, s11, v48
	v_add_nc_u32_e32 v52, s11, v50
	s_clause 0x3
	global_load_b64 v[122:123], v44, s[4:5] scale_offset
	global_load_b64 v[124:125], v46, s[4:5] scale_offset
	global_load_b64 v[126:127], v48, s[4:5] scale_offset
	global_load_b64 v[128:129], v50, s[4:5] scale_offset
	v_add_nc_u32_e32 v54, s11, v52
	s_delay_alu instid0(VALU_DEP_1) | instskip(NEXT) | instid1(VALU_DEP_1)
	v_add_nc_u32_e32 v56, s11, v54
	v_add_nc_u32_e32 v58, s11, v56
	s_delay_alu instid0(VALU_DEP_1) | instskip(SKIP_4) | instid1(VALU_DEP_1)
	v_add_nc_u32_e32 v60, s11, v58
	s_clause 0x1
	global_load_b64 v[130:131], v52, s[4:5] scale_offset
	global_load_b64 v[132:133], v54, s[4:5] scale_offset
	v_add_nc_u32_e32 v62, s11, v60
	v_add_nc_u32_e32 v64, s11, v62
	s_delay_alu instid0(VALU_DEP_1) | instskip(NEXT) | instid1(VALU_DEP_1)
	v_add_nc_u32_e32 v66, s11, v64
	v_add_nc_u32_e32 v68, s11, v66
	s_delay_alu instid0(VALU_DEP_1) | instskip(NEXT) | instid1(VALU_DEP_1)
	v_add_nc_u32_e32 v70, s11, v68
	v_add_nc_u32_e32 v72, s11, v70
	s_delay_alu instid0(VALU_DEP_1) | instskip(NEXT) | instid1(VALU_DEP_1)
	v_add_nc_u32_e32 v74, s11, v72
	v_add_nc_u32_e32 v76, s11, v74
	s_delay_alu instid0(VALU_DEP_1) | instskip(NEXT) | instid1(VALU_DEP_1)
	v_add_nc_u32_e32 v78, s11, v76
	v_add_nc_u32_e32 v80, s11, v78
	s_wait_loadcnt 0x18
	scratch_store_b128 off, v[82:85], off
	s_wait_xcnt 0x0
	v_add_nc_u32_e32 v82, s11, v80
	s_clause 0x3
	global_load_b64 v[134:135], v56, s[4:5] scale_offset
	global_load_b64 v[136:137], v58, s[4:5] scale_offset
	;; [unrolled: 1-line block ×4, first 2 shown]
	s_wait_loadcnt 0x1a
	scratch_store_b128 off, v[86:89], off offset:16
	s_wait_loadcnt 0x18
	scratch_store_b128 off, v[90:93], off offset:32
	s_clause 0x3
	global_load_b64 v[142:143], v64, s[4:5] scale_offset
	global_load_b64 v[144:145], v66, s[4:5] scale_offset
	;; [unrolled: 1-line block ×4, first 2 shown]
	v_add_nc_u32_e32 v84, s11, v82
	s_wait_xcnt 0x5
	s_delay_alu instid0(VALU_DEP_1) | instskip(NEXT) | instid1(VALU_DEP_1)
	v_add_nc_u32_e32 v86, s11, v84
	v_add_nc_u32_e32 v88, s11, v86
	s_wait_xcnt 0x4
	s_delay_alu instid0(VALU_DEP_1) | instskip(NEXT) | instid1(VALU_DEP_1)
	v_add_nc_u32_e32 v90, s11, v88
	v_add_nc_u32_e32 v92, s11, v90
	s_wait_loadcnt 0x1a
	scratch_store_b128 off, v[94:97], off offset:48
	s_wait_loadcnt 0x18
	scratch_store_b128 off, v[98:101], off offset:64
	s_clause 0x1
	global_load_b64 v[150:151], v72, s[4:5] scale_offset
	global_load_b64 v[152:153], v74, s[4:5] scale_offset
	s_wait_loadcnt 0x18
	scratch_store_b128 off, v[102:105], off offset:80
	s_clause 0x1
	global_load_b64 v[154:155], v76, s[4:5] scale_offset
	global_load_b64 v[156:157], v78, s[4:5] scale_offset
	s_wait_xcnt 0x6
	v_add_nc_u32_e32 v94, s11, v92
	s_delay_alu instid0(VALU_DEP_1) | instskip(SKIP_1) | instid1(VALU_DEP_1)
	v_add_nc_u32_e32 v96, s11, v94
	s_wait_xcnt 0x5
	v_add_nc_u32_e32 v98, s11, v96
	s_delay_alu instid0(VALU_DEP_1) | instskip(SKIP_1) | instid1(VALU_DEP_1)
	v_add_nc_u32_e32 v100, s11, v98
	s_wait_xcnt 0x2
	v_add_nc_u32_e32 v102, s11, v100
	s_wait_loadcnt 0x18
	scratch_store_b128 off, v[106:109], off offset:96
	s_clause 0x1
	global_load_b64 v[158:159], v80, s[4:5] scale_offset
	global_load_b64 v[160:161], v82, s[4:5] scale_offset
	s_wait_loadcnt 0x18
	scratch_store_b128 off, v[110:113], off offset:112
	s_clause 0x1
	global_load_b64 v[162:163], v84, s[4:5] scale_offset
	global_load_b64 v[164:165], v86, s[4:5] scale_offset
	s_wait_loadcnt 0x18
	scratch_store_b128 off, v[114:117], off offset:128
	v_add_nc_u32_e32 v104, s11, v102
	s_wait_xcnt 0x6
	s_delay_alu instid0(VALU_DEP_1) | instskip(NEXT) | instid1(VALU_DEP_1)
	v_add_nc_u32_e32 v106, s11, v104
	v_add_nc_u32_e32 v108, s11, v106
	s_wait_xcnt 0x3
	s_delay_alu instid0(VALU_DEP_1)
	v_add_nc_u32_e32 v110, s11, v108
	s_wait_loadcnt 0x16
	scratch_store_b128 off, v[118:121], off offset:144
	v_add_nc_u32_e32 v112, s11, v110
	s_wait_loadcnt 0x14
	scratch_store_b128 off, v[122:125], off offset:160
	s_wait_loadcnt 0x12
	scratch_store_b128 off, v[126:129], off offset:176
	;; [unrolled: 2-line block ×6, first 2 shown]
	s_clause 0x3
	global_load_b64 v[114:115], v88, s[4:5] scale_offset
	global_load_b64 v[116:117], v90, s[4:5] scale_offset
	;; [unrolled: 1-line block ×4, first 2 shown]
	s_wait_loadcnt 0xc
	scratch_store_b128 off, v[146:149], off offset:256
	s_wait_loadcnt 0xa
	scratch_store_b128 off, v[150:153], off offset:272
	s_clause 0x3
	global_load_b64 v[122:123], v96, s[4:5] scale_offset
	global_load_b64 v[124:125], v98, s[4:5] scale_offset
	;; [unrolled: 1-line block ×4, first 2 shown]
	s_wait_loadcnt 0xc
	scratch_store_b128 off, v[154:157], off offset:288
	s_wait_loadcnt 0xa
	scratch_store_b128 off, v[158:161], off offset:304
	s_clause 0x1
	global_load_b64 v[130:131], v104, s[4:5] scale_offset
	global_load_b64 v[132:133], v106, s[4:5] scale_offset
	s_wait_loadcnt 0xa
	scratch_store_b128 off, v[162:165], off offset:320
	s_clause 0x2
	global_load_b64 v[134:135], v108, s[4:5] scale_offset
	global_load_b64 v[136:137], v110, s[4:5] scale_offset
	global_load_b64 v[138:139], v112, s[4:5] scale_offset
	s_wait_loadcnt 0xb
	scratch_store_b128 off, v[114:117], off offset:336
	s_wait_loadcnt 0x9
	scratch_store_b128 off, v[118:121], off offset:352
	;; [unrolled: 2-line block ×6, first 2 shown]
	s_wait_loadcnt 0x0
	scratch_store_b64 off, v[138:139], off offset:432
	s_cbranch_scc1 .LBB54_228
; %bb.4:
	v_cmp_eq_u32_e64 s0, 0, v0
	s_wait_xcnt 0x0
	s_and_saveexec_b32 s1, s0
; %bb.5:
	v_mov_b32_e32 v1, 0
	ds_store_b32 v1, v1 offset:440
; %bb.6:
	s_or_b32 exec_lo, exec_lo, s1
	s_wait_storecnt_dscnt 0x0
	s_barrier_signal -1
	s_barrier_wait -1
	scratch_load_b64 v[114:115], v0, off scale_offset
	s_mov_b32 s8, exec_lo
	s_wait_loadcnt 0x0
	v_cmpx_eq_f64_e32 0, v[114:115]
	s_cbranch_execz .LBB54_10
; %bb.7:
	v_mov_b32_e32 v1, 0
	s_mov_b32 s9, 0
	ds_load_b32 v3, v1 offset:440
	s_wait_dscnt 0x0
	v_readfirstlane_b32 s1, v3
	v_add_nc_u32_e32 v3, 1, v0
	s_cmp_eq_u32 s1, 0
	s_delay_alu instid0(VALU_DEP_1) | instskip(SKIP_1) | instid1(SALU_CYCLE_1)
	v_cmp_gt_i32_e32 vcc_lo, s1, v3
	s_cselect_b32 s10, -1, 0
	s_or_b32 s10, s10, vcc_lo
	s_delay_alu instid0(SALU_CYCLE_1)
	s_and_b32 exec_lo, exec_lo, s10
	s_cbranch_execz .LBB54_10
; %bb.8:
	v_mov_b32_e32 v9, s1
.LBB54_9:                               ; =>This Inner Loop Header: Depth=1
	ds_cmpstore_rtn_b32 v9, v1, v3, v9 offset:440
	s_wait_dscnt 0x0
	v_cmp_ne_u32_e32 vcc_lo, 0, v9
	v_cmp_le_i32_e64 s1, v9, v3
	s_and_b32 s1, vcc_lo, s1
	s_delay_alu instid0(SALU_CYCLE_1) | instskip(NEXT) | instid1(SALU_CYCLE_1)
	s_and_b32 s1, exec_lo, s1
	s_or_b32 s9, s1, s9
	s_delay_alu instid0(SALU_CYCLE_1)
	s_and_not1_b32 exec_lo, exec_lo, s9
	s_cbranch_execnz .LBB54_9
.LBB54_10:
	s_or_b32 exec_lo, exec_lo, s8
	v_mov_b32_e32 v1, 0
	s_barrier_signal -1
	s_barrier_wait -1
	ds_load_b32 v3, v1 offset:440
	s_and_saveexec_b32 s1, s0
	s_cbranch_execz .LBB54_12
; %bb.11:
	s_lshl_b64 s[8:9], s[16:17], 2
	s_delay_alu instid0(SALU_CYCLE_1)
	s_add_nc_u64 s[8:9], s[6:7], s[8:9]
	s_wait_dscnt 0x0
	global_store_b32 v1, v3, s[8:9]
.LBB54_12:
	s_wait_xcnt 0x0
	s_or_b32 exec_lo, exec_lo, s1
	s_wait_dscnt 0x0
	v_cmp_ne_u32_e32 vcc_lo, 0, v3
	s_mov_b32 s1, 0
	s_cbranch_vccnz .LBB54_228
; %bb.13:
	v_lshl_add_u32 v3, v0, 3, 0
	v_add_nc_u32_e32 v1, 0x1c0, v2
	scratch_load_b64 v[114:115], v3, off
	s_wait_loadcnt 0x0
	v_div_scale_f64 v[116:117], null, v[114:115], v[114:115], 1.0
	v_div_scale_f64 v[122:123], vcc_lo, 1.0, v[114:115], 1.0
	s_delay_alu instid0(VALU_DEP_2) | instskip(SKIP_1) | instid1(TRANS32_DEP_1)
	v_rcp_f64_e32 v[118:119], v[116:117]
	v_nop
	v_fma_f64 v[120:121], -v[116:117], v[118:119], 1.0
	s_delay_alu instid0(VALU_DEP_1) | instskip(NEXT) | instid1(VALU_DEP_1)
	v_fmac_f64_e32 v[118:119], v[118:119], v[120:121]
	v_fma_f64 v[120:121], -v[116:117], v[118:119], 1.0
	s_delay_alu instid0(VALU_DEP_1) | instskip(NEXT) | instid1(VALU_DEP_1)
	v_fmac_f64_e32 v[118:119], v[118:119], v[120:121]
	v_mul_f64_e32 v[120:121], v[122:123], v[118:119]
	s_delay_alu instid0(VALU_DEP_1) | instskip(NEXT) | instid1(VALU_DEP_1)
	v_fma_f64 v[116:117], -v[116:117], v[120:121], v[122:123]
	v_div_fmas_f64 v[116:117], v[116:117], v[118:119], v[120:121]
	s_delay_alu instid0(VALU_DEP_1)
	v_div_fixup_f64 v[114:115], v[116:117], v[114:115], 1.0
	scratch_store_b64 v3, v[114:115], off
	scratch_load_b64 v[116:117], off, off offset:8
	s_wait_xcnt 0x1
	v_xor_b32_e32 v115, 0x80000000, v115
	s_wait_loadcnt 0x0
	ds_store_2addr_b64 v2, v[114:115], v[116:117] offset1:56
	s_wait_storecnt_dscnt 0x0
	s_barrier_signal -1
	s_barrier_wait -1
	s_wait_xcnt 0x0
	s_and_saveexec_b32 s1, s0
	s_cbranch_execz .LBB54_15
; %bb.14:
	scratch_load_b64 v[114:115], v3, off
	ds_load_b64 v[116:117], v1
	s_wait_loadcnt_dscnt 0x0
	v_fma_f64 v[114:115], v[114:115], v[116:117], 0
	v_mov_b32_e32 v9, 0
	ds_load_b64 v[118:119], v9 offset:8
	s_wait_dscnt 0x0
	v_mul_f64_e32 v[114:115], v[114:115], v[118:119]
	scratch_store_b64 off, v[114:115], off offset:8
.LBB54_15:
	s_wait_xcnt 0x0
	s_or_b32 exec_lo, exec_lo, s1
	s_wait_storecnt 0x0
	s_barrier_signal -1
	s_barrier_wait -1
	scratch_load_b64 v[114:115], off, off offset:16
	s_mov_b32 s1, exec_lo
	s_wait_loadcnt 0x0
	ds_store_b64 v1, v[114:115]
	s_wait_dscnt 0x0
	s_barrier_signal -1
	s_barrier_wait -1
	v_cmpx_gt_u32_e32 2, v0
	s_cbranch_execz .LBB54_19
; %bb.16:
	scratch_load_b64 v[114:115], v3, off
	ds_load_b64 v[116:117], v1
	s_wait_loadcnt_dscnt 0x0
	v_fma_f64 v[114:115], v[114:115], v[116:117], 0
	s_and_saveexec_b32 s8, s0
	s_cbranch_execz .LBB54_18
; %bb.17:
	scratch_load_b64 v[116:117], off, off offset:8
	v_mov_b32_e32 v3, 0
	ds_load_b64 v[118:119], v3 offset:456
	s_wait_loadcnt_dscnt 0x0
	v_fmac_f64_e32 v[114:115], v[116:117], v[118:119]
.LBB54_18:
	s_or_b32 exec_lo, exec_lo, s8
	v_mov_b32_e32 v3, 0
	ds_load_b64 v[116:117], v3 offset:16
	s_wait_dscnt 0x0
	v_mul_f64_e32 v[114:115], v[114:115], v[116:117]
	scratch_store_b64 off, v[114:115], off offset:16
.LBB54_19:
	s_wait_xcnt 0x0
	s_or_b32 exec_lo, exec_lo, s1
	s_wait_storecnt 0x0
	s_barrier_signal -1
	s_barrier_wait -1
	scratch_load_b64 v[114:115], off, off offset:24
	v_add_nc_u32_e32 v3, -1, v0
	s_mov_b32 s0, exec_lo
	s_wait_loadcnt 0x0
	ds_store_b64 v1, v[114:115]
	s_wait_dscnt 0x0
	s_barrier_signal -1
	s_barrier_wait -1
	v_cmpx_gt_u32_e32 3, v0
	s_cbranch_execz .LBB54_23
; %bb.20:
	v_mov_b64_e32 v[114:115], 0
	v_dual_add_nc_u32 v9, -1, v0 :: v_dual_mov_b32 v13, v2
	v_add_nc_u32_e32 v11, 0x1c0, v2
	s_mov_b32 s1, 0
.LBB54_21:                              ; =>This Inner Loop Header: Depth=1
	scratch_load_b64 v[116:117], v13, off
	ds_load_b64 v[118:119], v11
	v_dual_add_nc_u32 v9, 1, v9 :: v_dual_add_nc_u32 v11, 8, v11
	s_wait_xcnt 0x0
	v_add_nc_u32_e32 v13, 8, v13
	s_delay_alu instid0(VALU_DEP_2)
	v_cmp_lt_u32_e32 vcc_lo, 1, v9
	s_or_b32 s1, vcc_lo, s1
	s_wait_loadcnt_dscnt 0x0
	v_fmac_f64_e32 v[114:115], v[116:117], v[118:119]
	s_and_not1_b32 exec_lo, exec_lo, s1
	s_cbranch_execnz .LBB54_21
; %bb.22:
	s_or_b32 exec_lo, exec_lo, s1
	v_mov_b32_e32 v9, 0
	ds_load_b64 v[116:117], v9 offset:24
	s_wait_dscnt 0x0
	v_mul_f64_e32 v[114:115], v[114:115], v[116:117]
	scratch_store_b64 off, v[114:115], off offset:24
.LBB54_23:
	s_wait_xcnt 0x0
	s_or_b32 exec_lo, exec_lo, s0
	s_wait_storecnt 0x0
	s_barrier_signal -1
	s_barrier_wait -1
	scratch_load_b64 v[114:115], off, off offset:32
	s_mov_b32 s0, exec_lo
	s_wait_loadcnt 0x0
	ds_store_b64 v1, v[114:115]
	s_wait_dscnt 0x0
	s_barrier_signal -1
	s_barrier_wait -1
	v_cmpx_gt_u32_e32 4, v0
	s_cbranch_execz .LBB54_27
; %bb.24:
	v_mov_b64_e32 v[114:115], 0
	v_dual_add_nc_u32 v9, -1, v0 :: v_dual_mov_b32 v13, v2
	v_add_nc_u32_e32 v11, 0x1c0, v2
	s_mov_b32 s1, 0
.LBB54_25:                              ; =>This Inner Loop Header: Depth=1
	scratch_load_b64 v[116:117], v13, off
	ds_load_b64 v[118:119], v11
	v_dual_add_nc_u32 v9, 1, v9 :: v_dual_add_nc_u32 v11, 8, v11
	s_wait_xcnt 0x0
	v_add_nc_u32_e32 v13, 8, v13
	s_delay_alu instid0(VALU_DEP_2)
	v_cmp_lt_u32_e32 vcc_lo, 2, v9
	s_or_b32 s1, vcc_lo, s1
	s_wait_loadcnt_dscnt 0x0
	v_fmac_f64_e32 v[114:115], v[116:117], v[118:119]
	s_and_not1_b32 exec_lo, exec_lo, s1
	s_cbranch_execnz .LBB54_25
; %bb.26:
	s_or_b32 exec_lo, exec_lo, s1
	v_mov_b32_e32 v9, 0
	ds_load_b64 v[116:117], v9 offset:32
	s_wait_dscnt 0x0
	v_mul_f64_e32 v[114:115], v[114:115], v[116:117]
	scratch_store_b64 off, v[114:115], off offset:32
.LBB54_27:
	s_wait_xcnt 0x0
	s_or_b32 exec_lo, exec_lo, s0
	s_wait_storecnt 0x0
	s_barrier_signal -1
	s_barrier_wait -1
	scratch_load_b64 v[114:115], off, off offset:40
	;; [unrolled: 40-line block ×20, first 2 shown]
	s_mov_b32 s0, exec_lo
	s_wait_loadcnt 0x0
	ds_store_b64 v1, v[114:115]
	s_wait_dscnt 0x0
	s_barrier_signal -1
	s_barrier_wait -1
	v_cmpx_gt_u32_e32 23, v0
	s_cbranch_execz .LBB54_103
; %bb.100:
	v_mov_b64_e32 v[114:115], 0
	v_dual_add_nc_u32 v9, -1, v0 :: v_dual_mov_b32 v13, v2
	v_add_nc_u32_e32 v11, 0x1c0, v2
	s_mov_b32 s1, 0
.LBB54_101:                             ; =>This Inner Loop Header: Depth=1
	scratch_load_b64 v[116:117], v13, off
	ds_load_b64 v[118:119], v11
	v_dual_add_nc_u32 v9, 1, v9 :: v_dual_add_nc_u32 v11, 8, v11
	s_wait_xcnt 0x0
	v_add_nc_u32_e32 v13, 8, v13
	s_delay_alu instid0(VALU_DEP_2)
	v_cmp_lt_u32_e32 vcc_lo, 21, v9
	s_or_b32 s1, vcc_lo, s1
	s_wait_loadcnt_dscnt 0x0
	v_fmac_f64_e32 v[114:115], v[116:117], v[118:119]
	s_and_not1_b32 exec_lo, exec_lo, s1
	s_cbranch_execnz .LBB54_101
; %bb.102:
	s_or_b32 exec_lo, exec_lo, s1
	v_mov_b32_e32 v9, 0
	ds_load_b64 v[116:117], v9 offset:184
	s_wait_dscnt 0x0
	v_mul_f64_e32 v[114:115], v[114:115], v[116:117]
	scratch_store_b64 off, v[114:115], off offset:184
.LBB54_103:
	s_wait_xcnt 0x0
	s_or_b32 exec_lo, exec_lo, s0
	s_wait_storecnt 0x0
	s_barrier_signal -1
	s_barrier_wait -1
	scratch_load_b64 v[114:115], off, off offset:192
	s_mov_b32 s0, exec_lo
	s_wait_loadcnt 0x0
	ds_store_b64 v1, v[114:115]
	s_wait_dscnt 0x0
	s_barrier_signal -1
	s_barrier_wait -1
	v_cmpx_gt_u32_e32 24, v0
	s_cbranch_execz .LBB54_107
; %bb.104:
	v_mov_b64_e32 v[114:115], 0
	v_dual_add_nc_u32 v9, -1, v0 :: v_dual_mov_b32 v13, v2
	v_add_nc_u32_e32 v11, 0x1c0, v2
	s_mov_b32 s1, 0
.LBB54_105:                             ; =>This Inner Loop Header: Depth=1
	scratch_load_b64 v[116:117], v13, off
	ds_load_b64 v[118:119], v11
	v_dual_add_nc_u32 v9, 1, v9 :: v_dual_add_nc_u32 v11, 8, v11
	s_wait_xcnt 0x0
	v_add_nc_u32_e32 v13, 8, v13
	s_delay_alu instid0(VALU_DEP_2)
	v_cmp_lt_u32_e32 vcc_lo, 22, v9
	s_or_b32 s1, vcc_lo, s1
	s_wait_loadcnt_dscnt 0x0
	v_fmac_f64_e32 v[114:115], v[116:117], v[118:119]
	s_and_not1_b32 exec_lo, exec_lo, s1
	s_cbranch_execnz .LBB54_105
; %bb.106:
	s_or_b32 exec_lo, exec_lo, s1
	v_mov_b32_e32 v9, 0
	ds_load_b64 v[116:117], v9 offset:192
	s_wait_dscnt 0x0
	v_mul_f64_e32 v[114:115], v[114:115], v[116:117]
	scratch_store_b64 off, v[114:115], off offset:192
.LBB54_107:
	s_wait_xcnt 0x0
	s_or_b32 exec_lo, exec_lo, s0
	s_wait_storecnt 0x0
	s_barrier_signal -1
	s_barrier_wait -1
	scratch_load_b64 v[114:115], off, off offset:200
	;; [unrolled: 40-line block ×31, first 2 shown]
	s_mov_b32 s0, exec_lo
	s_wait_loadcnt 0x0
	ds_store_b64 v1, v[114:115]
	s_wait_dscnt 0x0
	s_barrier_signal -1
	s_barrier_wait -1
	v_cmpx_ne_u32_e32 54, v0
	s_cbranch_execz .LBB54_227
; %bb.224:
	v_mov_b64_e32 v[114:115], 0
	s_mov_b32 s1, 0
.LBB54_225:                             ; =>This Inner Loop Header: Depth=1
	scratch_load_b64 v[116:117], v2, off
	ds_load_b64 v[118:119], v1
	v_dual_add_nc_u32 v3, 1, v3 :: v_dual_add_nc_u32 v1, 8, v1
	s_wait_xcnt 0x0
	v_add_nc_u32_e32 v2, 8, v2
	s_delay_alu instid0(VALU_DEP_2)
	v_cmp_lt_u32_e32 vcc_lo, 52, v3
	s_or_b32 s1, vcc_lo, s1
	s_wait_loadcnt_dscnt 0x0
	v_fmac_f64_e32 v[114:115], v[116:117], v[118:119]
	s_and_not1_b32 exec_lo, exec_lo, s1
	s_cbranch_execnz .LBB54_225
; %bb.226:
	s_or_b32 exec_lo, exec_lo, s1
	v_mov_b32_e32 v1, 0
	ds_load_b64 v[2:3], v1 offset:432
	s_wait_dscnt 0x0
	v_mul_f64_e32 v[2:3], v[114:115], v[2:3]
	scratch_store_b64 off, v[2:3], off offset:432
.LBB54_227:
	s_wait_xcnt 0x0
	s_or_b32 exec_lo, exec_lo, s0
	s_mov_b32 s1, -1
	s_wait_storecnt 0x0
	s_barrier_signal -1
	s_barrier_wait -1
.LBB54_228:
	s_and_b32 vcc_lo, exec_lo, s1
	s_cbranch_vccz .LBB54_230
; %bb.229:
	v_mov_b32_e32 v1, 0
	s_lshl_b64 s[0:1], s[16:17], 2
	s_delay_alu instid0(SALU_CYCLE_1)
	s_add_nc_u64 s[0:1], s[6:7], s[0:1]
	global_load_b32 v1, v1, s[0:1]
	s_wait_loadcnt 0x0
	v_cmp_ne_u32_e32 vcc_lo, 0, v1
	s_cbranch_vccz .LBB54_231
.LBB54_230:
	s_sendmsg sendmsg(MSG_DEALLOC_VGPRS)
	s_endpgm
.LBB54_231:
	s_wait_xcnt 0x0
	v_lshl_add_u32 v1, v0, 3, 0x1c0
	s_mov_b32 s0, exec_lo
	v_cmpx_eq_u32_e32 54, v0
	s_cbranch_execz .LBB54_233
; %bb.232:
	scratch_load_b64 v[2:3], off, off offset:424
	v_mov_b64_e32 v[114:115], 0
	scratch_store_b64 off, v[114:115], off offset:424
	s_wait_loadcnt 0x0
	ds_store_b64 v1, v[2:3]
.LBB54_233:
	s_wait_xcnt 0x0
	s_or_b32 exec_lo, exec_lo, s0
	s_wait_storecnt_dscnt 0x0
	s_barrier_signal -1
	s_barrier_wait -1
	scratch_load_b128 v[114:117], off, off offset:424
	v_mov_b32_e32 v2, 0
	s_mov_b32 s0, exec_lo
	ds_load_b64 v[118:119], v2 offset:880
	s_wait_loadcnt_dscnt 0x0
	v_fma_f64 v[116:117], v[116:117], v[118:119], 0
	s_delay_alu instid0(VALU_DEP_1)
	v_add_f64_e64 v[114:115], v[114:115], -v[116:117]
	scratch_store_b64 off, v[114:115], off offset:424
	s_wait_xcnt 0x0
	v_cmpx_lt_u32_e32 52, v0
	s_cbranch_execz .LBB54_235
; %bb.234:
	scratch_load_b64 v[114:115], off, off offset:416
	v_mov_b64_e32 v[116:117], 0
	scratch_store_b64 off, v[116:117], off offset:416
	s_wait_loadcnt 0x0
	ds_store_b64 v1, v[114:115]
.LBB54_235:
	s_wait_xcnt 0x0
	s_or_b32 exec_lo, exec_lo, s0
	s_wait_storecnt_dscnt 0x0
	s_barrier_signal -1
	s_barrier_wait -1
	s_clause 0x1
	scratch_load_b128 v[114:117], off, off offset:416
	scratch_load_b64 v[122:123], off, off offset:432
	ds_load_2addr_b64 v[118:121], v2 offset0:109 offset1:110
	s_mov_b32 s0, exec_lo
	s_wait_loadcnt_dscnt 0x100
	v_fma_f64 v[2:3], v[116:117], v[118:119], 0
	s_wait_loadcnt 0x0
	s_delay_alu instid0(VALU_DEP_1) | instskip(NEXT) | instid1(VALU_DEP_1)
	v_fmac_f64_e32 v[2:3], v[122:123], v[120:121]
	v_add_f64_e64 v[2:3], v[114:115], -v[2:3]
	scratch_store_b64 off, v[2:3], off offset:416
	s_wait_xcnt 0x0
	v_cmpx_lt_u32_e32 51, v0
	s_cbranch_execz .LBB54_237
; %bb.236:
	scratch_load_b64 v[2:3], off, off offset:408
	v_mov_b64_e32 v[114:115], 0
	scratch_store_b64 off, v[114:115], off offset:408
	s_wait_loadcnt 0x0
	ds_store_b64 v1, v[2:3]
.LBB54_237:
	s_wait_xcnt 0x0
	s_or_b32 exec_lo, exec_lo, s0
	s_wait_storecnt_dscnt 0x0
	s_barrier_signal -1
	s_barrier_wait -1
	s_clause 0x1
	scratch_load_b128 v[114:117], off, off offset:408
	scratch_load_b128 v[118:121], off, off offset:424
	v_mov_b32_e32 v2, 0
	ds_load_b128 v[122:125], v2 offset:864
	ds_load_b64 v[126:127], v2 offset:880
	s_mov_b32 s0, exec_lo
	s_wait_loadcnt_dscnt 0x101
	v_fma_f64 v[116:117], v[116:117], v[122:123], 0
	s_wait_loadcnt 0x0
	s_delay_alu instid0(VALU_DEP_1) | instskip(SKIP_1) | instid1(VALU_DEP_1)
	v_fmac_f64_e32 v[116:117], v[118:119], v[124:125]
	s_wait_dscnt 0x0
	v_fmac_f64_e32 v[116:117], v[120:121], v[126:127]
	s_delay_alu instid0(VALU_DEP_1)
	v_add_f64_e64 v[114:115], v[114:115], -v[116:117]
	scratch_store_b64 off, v[114:115], off offset:408
	s_wait_xcnt 0x0
	v_cmpx_lt_u32_e32 50, v0
	s_cbranch_execz .LBB54_239
; %bb.238:
	scratch_load_b64 v[114:115], off, off offset:400
	v_mov_b64_e32 v[116:117], 0
	scratch_store_b64 off, v[116:117], off offset:400
	s_wait_loadcnt 0x0
	ds_store_b64 v1, v[114:115]
.LBB54_239:
	s_wait_xcnt 0x0
	s_or_b32 exec_lo, exec_lo, s0
	s_wait_storecnt_dscnt 0x0
	s_barrier_signal -1
	s_barrier_wait -1
	s_clause 0x2
	scratch_load_b128 v[114:117], off, off offset:400
	scratch_load_b128 v[118:121], off, off offset:416
	scratch_load_b64 v[130:131], off, off offset:432
	ds_load_2addr_b64 v[122:125], v2 offset0:107 offset1:108
	ds_load_2addr_b64 v[126:129], v2 offset0:109 offset1:110
	s_mov_b32 s0, exec_lo
	s_wait_loadcnt_dscnt 0x201
	v_fma_f64 v[2:3], v[116:117], v[122:123], 0
	s_wait_loadcnt 0x1
	s_delay_alu instid0(VALU_DEP_1) | instskip(SKIP_1) | instid1(VALU_DEP_1)
	v_fmac_f64_e32 v[2:3], v[118:119], v[124:125]
	s_wait_dscnt 0x0
	v_fmac_f64_e32 v[2:3], v[120:121], v[126:127]
	s_wait_loadcnt 0x0
	s_delay_alu instid0(VALU_DEP_1) | instskip(NEXT) | instid1(VALU_DEP_1)
	v_fmac_f64_e32 v[2:3], v[130:131], v[128:129]
	v_add_f64_e64 v[2:3], v[114:115], -v[2:3]
	scratch_store_b64 off, v[2:3], off offset:400
	s_wait_xcnt 0x0
	v_cmpx_lt_u32_e32 49, v0
	s_cbranch_execz .LBB54_241
; %bb.240:
	scratch_load_b64 v[2:3], off, off offset:392
	v_mov_b64_e32 v[114:115], 0
	scratch_store_b64 off, v[114:115], off offset:392
	s_wait_loadcnt 0x0
	ds_store_b64 v1, v[2:3]
.LBB54_241:
	s_wait_xcnt 0x0
	s_or_b32 exec_lo, exec_lo, s0
	s_wait_storecnt_dscnt 0x0
	s_barrier_signal -1
	s_barrier_wait -1
	s_clause 0x2
	scratch_load_b128 v[114:117], off, off offset:392
	scratch_load_b128 v[118:121], off, off offset:408
	;; [unrolled: 1-line block ×3, first 2 shown]
	v_mov_b32_e32 v2, 0
	ds_load_b128 v[126:129], v2 offset:848
	ds_load_b128 v[130:133], v2 offset:864
	s_mov_b32 s0, exec_lo
	s_wait_loadcnt_dscnt 0x201
	v_fma_f64 v[116:117], v[116:117], v[126:127], 0
	s_wait_loadcnt 0x1
	s_delay_alu instid0(VALU_DEP_1) | instskip(SKIP_4) | instid1(VALU_DEP_1)
	v_fmac_f64_e32 v[116:117], v[118:119], v[128:129]
	ds_load_b64 v[118:119], v2 offset:880
	s_wait_dscnt 0x1
	v_fmac_f64_e32 v[116:117], v[120:121], v[130:131]
	s_wait_loadcnt 0x0
	v_fmac_f64_e32 v[116:117], v[122:123], v[132:133]
	s_wait_dscnt 0x0
	s_delay_alu instid0(VALU_DEP_1) | instskip(NEXT) | instid1(VALU_DEP_1)
	v_fmac_f64_e32 v[116:117], v[124:125], v[118:119]
	v_add_f64_e64 v[114:115], v[114:115], -v[116:117]
	scratch_store_b64 off, v[114:115], off offset:392
	s_wait_xcnt 0x0
	v_cmpx_lt_u32_e32 48, v0
	s_cbranch_execz .LBB54_243
; %bb.242:
	scratch_load_b64 v[114:115], off, off offset:384
	v_mov_b64_e32 v[116:117], 0
	scratch_store_b64 off, v[116:117], off offset:384
	s_wait_loadcnt 0x0
	ds_store_b64 v1, v[114:115]
.LBB54_243:
	s_wait_xcnt 0x0
	s_or_b32 exec_lo, exec_lo, s0
	s_wait_storecnt_dscnt 0x0
	s_barrier_signal -1
	s_barrier_wait -1
	s_clause 0x3
	scratch_load_b128 v[114:117], off, off offset:384
	scratch_load_b128 v[118:121], off, off offset:400
	;; [unrolled: 1-line block ×3, first 2 shown]
	scratch_load_b64 v[134:135], off, off offset:432
	ds_load_2addr_b64 v[126:129], v2 offset0:105 offset1:106
	ds_load_2addr_b64 v[130:133], v2 offset0:107 offset1:108
	s_mov_b32 s0, exec_lo
	s_wait_loadcnt_dscnt 0x301
	v_fma_f64 v[126:127], v[116:117], v[126:127], 0
	s_wait_loadcnt 0x2
	s_delay_alu instid0(VALU_DEP_1) | instskip(SKIP_4) | instid1(VALU_DEP_1)
	v_fmac_f64_e32 v[126:127], v[118:119], v[128:129]
	ds_load_2addr_b64 v[116:119], v2 offset0:109 offset1:110
	s_wait_dscnt 0x1
	v_fmac_f64_e32 v[126:127], v[120:121], v[130:131]
	s_wait_loadcnt 0x1
	v_fmac_f64_e32 v[126:127], v[122:123], v[132:133]
	s_wait_dscnt 0x0
	s_delay_alu instid0(VALU_DEP_1) | instskip(SKIP_1) | instid1(VALU_DEP_1)
	v_fmac_f64_e32 v[126:127], v[124:125], v[116:117]
	s_wait_loadcnt 0x0
	v_fmac_f64_e32 v[126:127], v[134:135], v[118:119]
	s_delay_alu instid0(VALU_DEP_1)
	v_add_f64_e64 v[2:3], v[114:115], -v[126:127]
	scratch_store_b64 off, v[2:3], off offset:384
	s_wait_xcnt 0x0
	v_cmpx_lt_u32_e32 47, v0
	s_cbranch_execz .LBB54_245
; %bb.244:
	scratch_load_b64 v[2:3], off, off offset:376
	v_mov_b64_e32 v[114:115], 0
	scratch_store_b64 off, v[114:115], off offset:376
	s_wait_loadcnt 0x0
	ds_store_b64 v1, v[2:3]
.LBB54_245:
	s_wait_xcnt 0x0
	s_or_b32 exec_lo, exec_lo, s0
	s_wait_storecnt_dscnt 0x0
	s_barrier_signal -1
	s_barrier_wait -1
	s_clause 0x3
	scratch_load_b128 v[114:117], off, off offset:376
	scratch_load_b128 v[118:121], off, off offset:392
	;; [unrolled: 1-line block ×4, first 2 shown]
	v_mov_b32_e32 v2, 0
	ds_load_b128 v[130:133], v2 offset:832
	ds_load_b128 v[134:137], v2 offset:848
	s_mov_b32 s0, exec_lo
	s_wait_loadcnt_dscnt 0x301
	v_fma_f64 v[130:131], v[116:117], v[130:131], 0
	s_wait_loadcnt 0x2
	s_delay_alu instid0(VALU_DEP_1) | instskip(SKIP_1) | instid1(VALU_DEP_1)
	v_fmac_f64_e32 v[130:131], v[118:119], v[132:133]
	s_wait_dscnt 0x0
	v_fmac_f64_e32 v[130:131], v[120:121], v[134:135]
	ds_load_b128 v[116:119], v2 offset:864
	ds_load_b64 v[120:121], v2 offset:880
	s_wait_loadcnt 0x1
	v_fmac_f64_e32 v[130:131], v[122:123], v[136:137]
	s_wait_dscnt 0x1
	s_delay_alu instid0(VALU_DEP_1) | instskip(SKIP_1) | instid1(VALU_DEP_1)
	v_fmac_f64_e32 v[130:131], v[124:125], v[116:117]
	s_wait_loadcnt 0x0
	v_fmac_f64_e32 v[130:131], v[126:127], v[118:119]
	s_wait_dscnt 0x0
	s_delay_alu instid0(VALU_DEP_1) | instskip(NEXT) | instid1(VALU_DEP_1)
	v_fmac_f64_e32 v[130:131], v[128:129], v[120:121]
	v_add_f64_e64 v[114:115], v[114:115], -v[130:131]
	scratch_store_b64 off, v[114:115], off offset:376
	s_wait_xcnt 0x0
	v_cmpx_lt_u32_e32 46, v0
	s_cbranch_execz .LBB54_247
; %bb.246:
	scratch_load_b64 v[114:115], off, off offset:368
	v_mov_b64_e32 v[116:117], 0
	scratch_store_b64 off, v[116:117], off offset:368
	s_wait_loadcnt 0x0
	ds_store_b64 v1, v[114:115]
.LBB54_247:
	s_wait_xcnt 0x0
	s_or_b32 exec_lo, exec_lo, s0
	s_wait_storecnt_dscnt 0x0
	s_barrier_signal -1
	s_barrier_wait -1
	s_clause 0x4
	scratch_load_b128 v[114:117], off, off offset:368
	scratch_load_b128 v[118:121], off, off offset:384
	;; [unrolled: 1-line block ×4, first 2 shown]
	scratch_load_b64 v[138:139], off, off offset:432
	ds_load_2addr_b64 v[130:133], v2 offset0:103 offset1:104
	ds_load_2addr_b64 v[134:137], v2 offset0:105 offset1:106
	s_mov_b32 s0, exec_lo
	s_wait_loadcnt_dscnt 0x401
	v_fma_f64 v[130:131], v[116:117], v[130:131], 0
	s_wait_loadcnt 0x3
	s_delay_alu instid0(VALU_DEP_1) | instskip(SKIP_1) | instid1(VALU_DEP_1)
	v_fmac_f64_e32 v[130:131], v[118:119], v[132:133]
	s_wait_dscnt 0x0
	v_fmac_f64_e32 v[130:131], v[120:121], v[134:135]
	s_wait_loadcnt 0x2
	s_delay_alu instid0(VALU_DEP_1)
	v_fmac_f64_e32 v[130:131], v[122:123], v[136:137]
	ds_load_2addr_b64 v[116:119], v2 offset0:107 offset1:108
	ds_load_2addr_b64 v[120:123], v2 offset0:109 offset1:110
	s_wait_dscnt 0x1
	v_fmac_f64_e32 v[130:131], v[124:125], v[116:117]
	s_wait_loadcnt 0x1
	s_delay_alu instid0(VALU_DEP_1) | instskip(SKIP_1) | instid1(VALU_DEP_1)
	v_fmac_f64_e32 v[130:131], v[126:127], v[118:119]
	s_wait_dscnt 0x0
	v_fmac_f64_e32 v[130:131], v[128:129], v[120:121]
	s_wait_loadcnt 0x0
	s_delay_alu instid0(VALU_DEP_1) | instskip(NEXT) | instid1(VALU_DEP_1)
	v_fmac_f64_e32 v[130:131], v[138:139], v[122:123]
	v_add_f64_e64 v[2:3], v[114:115], -v[130:131]
	scratch_store_b64 off, v[2:3], off offset:368
	s_wait_xcnt 0x0
	v_cmpx_lt_u32_e32 45, v0
	s_cbranch_execz .LBB54_249
; %bb.248:
	scratch_load_b64 v[2:3], off, off offset:360
	v_mov_b64_e32 v[114:115], 0
	scratch_store_b64 off, v[114:115], off offset:360
	s_wait_loadcnt 0x0
	ds_store_b64 v1, v[2:3]
.LBB54_249:
	s_wait_xcnt 0x0
	s_or_b32 exec_lo, exec_lo, s0
	s_wait_storecnt_dscnt 0x0
	s_barrier_signal -1
	s_barrier_wait -1
	s_clause 0x4
	scratch_load_b128 v[114:117], off, off offset:360
	scratch_load_b128 v[118:121], off, off offset:376
	;; [unrolled: 1-line block ×5, first 2 shown]
	v_mov_b32_e32 v2, 0
	ds_load_b128 v[134:137], v2 offset:816
	ds_load_b128 v[138:141], v2 offset:832
	s_mov_b32 s0, exec_lo
	s_wait_loadcnt_dscnt 0x401
	v_fma_f64 v[134:135], v[116:117], v[134:135], 0
	s_wait_loadcnt 0x3
	s_delay_alu instid0(VALU_DEP_1) | instskip(SKIP_1) | instid1(VALU_DEP_1)
	v_fmac_f64_e32 v[134:135], v[118:119], v[136:137]
	s_wait_dscnt 0x0
	v_fmac_f64_e32 v[134:135], v[120:121], v[138:139]
	s_wait_loadcnt 0x2
	s_delay_alu instid0(VALU_DEP_1)
	v_fmac_f64_e32 v[134:135], v[122:123], v[140:141]
	ds_load_b128 v[116:119], v2 offset:848
	ds_load_b128 v[120:123], v2 offset:864
	s_wait_dscnt 0x1
	v_fmac_f64_e32 v[134:135], v[124:125], v[116:117]
	ds_load_b64 v[116:117], v2 offset:880
	s_wait_loadcnt 0x1
	v_fmac_f64_e32 v[134:135], v[126:127], v[118:119]
	s_wait_dscnt 0x1
	s_delay_alu instid0(VALU_DEP_1) | instskip(SKIP_1) | instid1(VALU_DEP_1)
	v_fmac_f64_e32 v[134:135], v[128:129], v[120:121]
	s_wait_loadcnt 0x0
	v_fmac_f64_e32 v[134:135], v[130:131], v[122:123]
	s_wait_dscnt 0x0
	s_delay_alu instid0(VALU_DEP_1) | instskip(NEXT) | instid1(VALU_DEP_1)
	v_fmac_f64_e32 v[134:135], v[132:133], v[116:117]
	v_add_f64_e64 v[114:115], v[114:115], -v[134:135]
	scratch_store_b64 off, v[114:115], off offset:360
	s_wait_xcnt 0x0
	v_cmpx_lt_u32_e32 44, v0
	s_cbranch_execz .LBB54_251
; %bb.250:
	scratch_load_b64 v[114:115], off, off offset:352
	v_mov_b64_e32 v[116:117], 0
	scratch_store_b64 off, v[116:117], off offset:352
	s_wait_loadcnt 0x0
	ds_store_b64 v1, v[114:115]
.LBB54_251:
	s_wait_xcnt 0x0
	s_or_b32 exec_lo, exec_lo, s0
	s_wait_storecnt_dscnt 0x0
	s_barrier_signal -1
	s_barrier_wait -1
	s_clause 0x5
	scratch_load_b128 v[114:117], off, off offset:352
	scratch_load_b128 v[118:121], off, off offset:368
	;; [unrolled: 1-line block ×5, first 2 shown]
	scratch_load_b64 v[142:143], off, off offset:432
	ds_load_2addr_b64 v[134:137], v2 offset0:101 offset1:102
	ds_load_2addr_b64 v[138:141], v2 offset0:103 offset1:104
	s_mov_b32 s0, exec_lo
	s_wait_loadcnt_dscnt 0x501
	v_fma_f64 v[134:135], v[116:117], v[134:135], 0
	s_wait_loadcnt 0x4
	s_delay_alu instid0(VALU_DEP_1) | instskip(SKIP_1) | instid1(VALU_DEP_1)
	v_fmac_f64_e32 v[134:135], v[118:119], v[136:137]
	s_wait_dscnt 0x0
	v_fmac_f64_e32 v[134:135], v[120:121], v[138:139]
	s_wait_loadcnt 0x3
	s_delay_alu instid0(VALU_DEP_1)
	v_fmac_f64_e32 v[134:135], v[122:123], v[140:141]
	ds_load_2addr_b64 v[116:119], v2 offset0:105 offset1:106
	ds_load_2addr_b64 v[120:123], v2 offset0:107 offset1:108
	s_wait_dscnt 0x1
	v_fmac_f64_e32 v[134:135], v[124:125], v[116:117]
	s_wait_loadcnt 0x2
	s_delay_alu instid0(VALU_DEP_1) | instskip(SKIP_4) | instid1(VALU_DEP_1)
	v_fmac_f64_e32 v[134:135], v[126:127], v[118:119]
	ds_load_2addr_b64 v[116:119], v2 offset0:109 offset1:110
	s_wait_dscnt 0x1
	v_fmac_f64_e32 v[134:135], v[128:129], v[120:121]
	s_wait_loadcnt 0x1
	v_fmac_f64_e32 v[134:135], v[130:131], v[122:123]
	s_wait_dscnt 0x0
	s_delay_alu instid0(VALU_DEP_1) | instskip(SKIP_1) | instid1(VALU_DEP_1)
	v_fmac_f64_e32 v[134:135], v[132:133], v[116:117]
	s_wait_loadcnt 0x0
	v_fmac_f64_e32 v[134:135], v[142:143], v[118:119]
	s_delay_alu instid0(VALU_DEP_1)
	v_add_f64_e64 v[2:3], v[114:115], -v[134:135]
	scratch_store_b64 off, v[2:3], off offset:352
	s_wait_xcnt 0x0
	v_cmpx_lt_u32_e32 43, v0
	s_cbranch_execz .LBB54_253
; %bb.252:
	scratch_load_b64 v[2:3], off, off offset:344
	v_mov_b64_e32 v[114:115], 0
	scratch_store_b64 off, v[114:115], off offset:344
	s_wait_loadcnt 0x0
	ds_store_b64 v1, v[2:3]
.LBB54_253:
	s_wait_xcnt 0x0
	s_or_b32 exec_lo, exec_lo, s0
	s_wait_storecnt_dscnt 0x0
	s_barrier_signal -1
	s_barrier_wait -1
	s_clause 0x5
	scratch_load_b128 v[114:117], off, off offset:344
	scratch_load_b128 v[118:121], off, off offset:360
	;; [unrolled: 1-line block ×6, first 2 shown]
	v_mov_b32_e32 v2, 0
	ds_load_b128 v[138:141], v2 offset:800
	ds_load_b128 v[142:145], v2 offset:816
	s_mov_b32 s0, exec_lo
	s_wait_loadcnt_dscnt 0x501
	v_fma_f64 v[138:139], v[116:117], v[138:139], 0
	s_wait_loadcnt 0x4
	s_delay_alu instid0(VALU_DEP_1) | instskip(SKIP_1) | instid1(VALU_DEP_1)
	v_fmac_f64_e32 v[138:139], v[118:119], v[140:141]
	s_wait_dscnt 0x0
	v_fmac_f64_e32 v[138:139], v[120:121], v[142:143]
	s_wait_loadcnt 0x3
	s_delay_alu instid0(VALU_DEP_1)
	v_fmac_f64_e32 v[138:139], v[122:123], v[144:145]
	ds_load_b128 v[116:119], v2 offset:832
	ds_load_b128 v[120:123], v2 offset:848
	s_wait_dscnt 0x1
	v_fmac_f64_e32 v[138:139], v[124:125], v[116:117]
	s_wait_loadcnt 0x2
	s_delay_alu instid0(VALU_DEP_1) | instskip(SKIP_1) | instid1(VALU_DEP_1)
	v_fmac_f64_e32 v[138:139], v[126:127], v[118:119]
	s_wait_dscnt 0x0
	v_fmac_f64_e32 v[138:139], v[128:129], v[120:121]
	ds_load_b128 v[116:119], v2 offset:864
	ds_load_b64 v[120:121], v2 offset:880
	s_wait_loadcnt 0x1
	v_fmac_f64_e32 v[138:139], v[130:131], v[122:123]
	s_wait_dscnt 0x1
	s_delay_alu instid0(VALU_DEP_1) | instskip(SKIP_1) | instid1(VALU_DEP_1)
	v_fmac_f64_e32 v[138:139], v[132:133], v[116:117]
	s_wait_loadcnt 0x0
	v_fmac_f64_e32 v[138:139], v[134:135], v[118:119]
	s_wait_dscnt 0x0
	s_delay_alu instid0(VALU_DEP_1) | instskip(NEXT) | instid1(VALU_DEP_1)
	v_fmac_f64_e32 v[138:139], v[136:137], v[120:121]
	v_add_f64_e64 v[114:115], v[114:115], -v[138:139]
	scratch_store_b64 off, v[114:115], off offset:344
	s_wait_xcnt 0x0
	v_cmpx_lt_u32_e32 42, v0
	s_cbranch_execz .LBB54_255
; %bb.254:
	scratch_load_b64 v[114:115], off, off offset:336
	v_mov_b64_e32 v[116:117], 0
	scratch_store_b64 off, v[116:117], off offset:336
	s_wait_loadcnt 0x0
	ds_store_b64 v1, v[114:115]
.LBB54_255:
	s_wait_xcnt 0x0
	s_or_b32 exec_lo, exec_lo, s0
	s_wait_storecnt_dscnt 0x0
	s_barrier_signal -1
	s_barrier_wait -1
	s_clause 0x5
	scratch_load_b128 v[114:117], off, off offset:336
	scratch_load_b128 v[118:121], off, off offset:352
	;; [unrolled: 1-line block ×6, first 2 shown]
	ds_load_2addr_b64 v[138:141], v2 offset0:99 offset1:100
	ds_load_2addr_b64 v[142:145], v2 offset0:101 offset1:102
	s_mov_b32 s0, exec_lo
	s_wait_loadcnt_dscnt 0x501
	v_fma_f64 v[138:139], v[116:117], v[138:139], 0
	s_wait_loadcnt 0x4
	s_delay_alu instid0(VALU_DEP_1) | instskip(SKIP_4) | instid1(VALU_DEP_1)
	v_fmac_f64_e32 v[138:139], v[118:119], v[140:141]
	scratch_load_b64 v[140:141], off, off offset:432
	s_wait_dscnt 0x0
	v_fmac_f64_e32 v[138:139], v[120:121], v[142:143]
	s_wait_loadcnt 0x4
	v_fmac_f64_e32 v[138:139], v[122:123], v[144:145]
	ds_load_2addr_b64 v[116:119], v2 offset0:103 offset1:104
	ds_load_2addr_b64 v[120:123], v2 offset0:105 offset1:106
	s_wait_dscnt 0x1
	v_fmac_f64_e32 v[138:139], v[124:125], v[116:117]
	s_wait_loadcnt 0x3
	s_delay_alu instid0(VALU_DEP_1) | instskip(SKIP_1) | instid1(VALU_DEP_1)
	v_fmac_f64_e32 v[138:139], v[126:127], v[118:119]
	s_wait_dscnt 0x0
	v_fmac_f64_e32 v[138:139], v[128:129], v[120:121]
	s_wait_loadcnt 0x2
	s_delay_alu instid0(VALU_DEP_1)
	v_fmac_f64_e32 v[138:139], v[130:131], v[122:123]
	ds_load_2addr_b64 v[116:119], v2 offset0:107 offset1:108
	ds_load_2addr_b64 v[120:123], v2 offset0:109 offset1:110
	s_wait_dscnt 0x1
	v_fmac_f64_e32 v[138:139], v[132:133], v[116:117]
	s_wait_loadcnt 0x1
	s_delay_alu instid0(VALU_DEP_1) | instskip(SKIP_1) | instid1(VALU_DEP_1)
	v_fmac_f64_e32 v[138:139], v[134:135], v[118:119]
	s_wait_dscnt 0x0
	v_fmac_f64_e32 v[138:139], v[136:137], v[120:121]
	s_wait_loadcnt 0x0
	s_delay_alu instid0(VALU_DEP_1) | instskip(NEXT) | instid1(VALU_DEP_1)
	v_fmac_f64_e32 v[138:139], v[140:141], v[122:123]
	v_add_f64_e64 v[2:3], v[114:115], -v[138:139]
	scratch_store_b64 off, v[2:3], off offset:336
	s_wait_xcnt 0x0
	v_cmpx_lt_u32_e32 41, v0
	s_cbranch_execz .LBB54_257
; %bb.256:
	scratch_load_b64 v[2:3], off, off offset:328
	v_mov_b64_e32 v[114:115], 0
	scratch_store_b64 off, v[114:115], off offset:328
	s_wait_loadcnt 0x0
	ds_store_b64 v1, v[2:3]
.LBB54_257:
	s_wait_xcnt 0x0
	s_or_b32 exec_lo, exec_lo, s0
	s_wait_storecnt_dscnt 0x0
	s_barrier_signal -1
	s_barrier_wait -1
	s_clause 0x5
	scratch_load_b128 v[114:117], off, off offset:328
	scratch_load_b128 v[118:121], off, off offset:344
	;; [unrolled: 1-line block ×6, first 2 shown]
	v_mov_b32_e32 v2, 0
	ds_load_b128 v[138:141], v2 offset:784
	ds_load_b128 v[142:145], v2 offset:800
	s_mov_b32 s0, exec_lo
	s_wait_loadcnt_dscnt 0x501
	v_fma_f64 v[146:147], v[116:117], v[138:139], 0
	s_wait_loadcnt 0x4
	s_delay_alu instid0(VALU_DEP_1) | instskip(SKIP_4) | instid1(VALU_DEP_1)
	v_fmac_f64_e32 v[146:147], v[118:119], v[140:141]
	scratch_load_b128 v[116:119], off, off offset:424
	s_wait_dscnt 0x0
	v_fmac_f64_e32 v[146:147], v[120:121], v[142:143]
	s_wait_loadcnt 0x4
	v_fmac_f64_e32 v[146:147], v[122:123], v[144:145]
	ds_load_b128 v[120:123], v2 offset:816
	ds_load_b128 v[138:141], v2 offset:832
	s_wait_dscnt 0x1
	v_fmac_f64_e32 v[146:147], v[124:125], v[120:121]
	s_wait_loadcnt 0x3
	s_delay_alu instid0(VALU_DEP_1)
	v_fmac_f64_e32 v[146:147], v[126:127], v[122:123]
	ds_load_b128 v[120:123], v2 offset:848
	ds_load_b128 v[124:127], v2 offset:864
	s_wait_dscnt 0x2
	v_fmac_f64_e32 v[146:147], v[128:129], v[138:139]
	s_wait_loadcnt 0x2
	s_delay_alu instid0(VALU_DEP_1) | instskip(SKIP_1) | instid1(VALU_DEP_1)
	v_fmac_f64_e32 v[146:147], v[130:131], v[140:141]
	s_wait_dscnt 0x1
	v_fmac_f64_e32 v[146:147], v[132:133], v[120:121]
	s_wait_loadcnt 0x1
	s_delay_alu instid0(VALU_DEP_1) | instskip(SKIP_1) | instid1(VALU_DEP_1)
	v_fmac_f64_e32 v[146:147], v[134:135], v[122:123]
	s_wait_dscnt 0x0
	v_fmac_f64_e32 v[146:147], v[136:137], v[124:125]
	s_wait_loadcnt 0x0
	s_delay_alu instid0(VALU_DEP_1) | instskip(SKIP_3) | instid1(VALU_DEP_1)
	v_fmac_f64_e32 v[146:147], v[116:117], v[126:127]
	ds_load_b64 v[116:117], v2 offset:880
	s_wait_dscnt 0x0
	v_fmac_f64_e32 v[146:147], v[118:119], v[116:117]
	v_add_f64_e64 v[114:115], v[114:115], -v[146:147]
	scratch_store_b64 off, v[114:115], off offset:328
	s_wait_xcnt 0x0
	v_cmpx_lt_u32_e32 40, v0
	s_cbranch_execz .LBB54_259
; %bb.258:
	scratch_load_b64 v[114:115], off, off offset:320
	v_mov_b64_e32 v[116:117], 0
	scratch_store_b64 off, v[116:117], off offset:320
	s_wait_loadcnt 0x0
	ds_store_b64 v1, v[114:115]
.LBB54_259:
	s_wait_xcnt 0x0
	s_or_b32 exec_lo, exec_lo, s0
	s_wait_storecnt_dscnt 0x0
	s_barrier_signal -1
	s_barrier_wait -1
	s_clause 0x5
	scratch_load_b128 v[114:117], off, off offset:320
	scratch_load_b128 v[118:121], off, off offset:336
	;; [unrolled: 1-line block ×6, first 2 shown]
	ds_load_2addr_b64 v[138:141], v2 offset0:97 offset1:98
	ds_load_2addr_b64 v[142:145], v2 offset0:99 offset1:100
	s_mov_b32 s0, exec_lo
	s_wait_loadcnt_dscnt 0x501
	v_fma_f64 v[146:147], v[116:117], v[138:139], 0
	s_wait_loadcnt 0x4
	s_delay_alu instid0(VALU_DEP_1)
	v_fmac_f64_e32 v[146:147], v[118:119], v[140:141]
	scratch_load_b128 v[116:119], off, off offset:416
	s_wait_dscnt 0x0
	v_fmac_f64_e32 v[146:147], v[120:121], v[142:143]
	scratch_load_b64 v[142:143], off, off offset:432
	s_wait_loadcnt 0x5
	v_fmac_f64_e32 v[146:147], v[122:123], v[144:145]
	ds_load_2addr_b64 v[120:123], v2 offset0:101 offset1:102
	ds_load_2addr_b64 v[138:141], v2 offset0:103 offset1:104
	s_wait_dscnt 0x1
	v_fmac_f64_e32 v[146:147], v[124:125], v[120:121]
	s_wait_loadcnt 0x4
	s_delay_alu instid0(VALU_DEP_1)
	v_fmac_f64_e32 v[146:147], v[126:127], v[122:123]
	ds_load_2addr_b64 v[120:123], v2 offset0:105 offset1:106
	ds_load_2addr_b64 v[124:127], v2 offset0:107 offset1:108
	s_wait_dscnt 0x2
	v_fmac_f64_e32 v[146:147], v[128:129], v[138:139]
	s_wait_loadcnt 0x3
	s_delay_alu instid0(VALU_DEP_1) | instskip(SKIP_1) | instid1(VALU_DEP_1)
	v_fmac_f64_e32 v[146:147], v[130:131], v[140:141]
	s_wait_dscnt 0x1
	v_fmac_f64_e32 v[146:147], v[132:133], v[120:121]
	s_wait_loadcnt 0x2
	s_delay_alu instid0(VALU_DEP_1) | instskip(SKIP_4) | instid1(VALU_DEP_1)
	v_fmac_f64_e32 v[146:147], v[134:135], v[122:123]
	ds_load_2addr_b64 v[120:123], v2 offset0:109 offset1:110
	s_wait_dscnt 0x1
	v_fmac_f64_e32 v[146:147], v[136:137], v[124:125]
	s_wait_loadcnt 0x1
	v_fmac_f64_e32 v[146:147], v[116:117], v[126:127]
	s_wait_dscnt 0x0
	s_delay_alu instid0(VALU_DEP_1) | instskip(SKIP_1) | instid1(VALU_DEP_1)
	v_fmac_f64_e32 v[146:147], v[118:119], v[120:121]
	s_wait_loadcnt 0x0
	v_fmac_f64_e32 v[146:147], v[142:143], v[122:123]
	s_delay_alu instid0(VALU_DEP_1)
	v_add_f64_e64 v[2:3], v[114:115], -v[146:147]
	scratch_store_b64 off, v[2:3], off offset:320
	s_wait_xcnt 0x0
	v_cmpx_lt_u32_e32 39, v0
	s_cbranch_execz .LBB54_261
; %bb.260:
	scratch_load_b64 v[2:3], off, off offset:312
	v_mov_b64_e32 v[114:115], 0
	scratch_store_b64 off, v[114:115], off offset:312
	s_wait_loadcnt 0x0
	ds_store_b64 v1, v[2:3]
.LBB54_261:
	s_wait_xcnt 0x0
	s_or_b32 exec_lo, exec_lo, s0
	s_wait_storecnt_dscnt 0x0
	s_barrier_signal -1
	s_barrier_wait -1
	s_clause 0x5
	scratch_load_b128 v[114:117], off, off offset:312
	scratch_load_b128 v[118:121], off, off offset:328
	;; [unrolled: 1-line block ×6, first 2 shown]
	v_mov_b32_e32 v2, 0
	ds_load_b128 v[138:141], v2 offset:768
	ds_load_b128 v[142:145], v2 offset:784
	s_mov_b32 s0, exec_lo
	s_wait_loadcnt_dscnt 0x501
	v_fma_f64 v[146:147], v[116:117], v[138:139], 0
	s_wait_loadcnt 0x4
	s_delay_alu instid0(VALU_DEP_1) | instskip(SKIP_4) | instid1(VALU_DEP_1)
	v_fmac_f64_e32 v[146:147], v[118:119], v[140:141]
	scratch_load_b128 v[116:119], off, off offset:408
	s_wait_dscnt 0x0
	v_fmac_f64_e32 v[146:147], v[120:121], v[142:143]
	s_wait_loadcnt 0x4
	v_fmac_f64_e32 v[146:147], v[122:123], v[144:145]
	scratch_load_b128 v[120:123], off, off offset:424
	ds_load_b128 v[138:141], v2 offset:800
	ds_load_b128 v[142:145], v2 offset:816
	s_wait_dscnt 0x1
	v_fmac_f64_e32 v[146:147], v[124:125], v[138:139]
	s_wait_loadcnt 0x4
	s_delay_alu instid0(VALU_DEP_1) | instskip(SKIP_1) | instid1(VALU_DEP_1)
	v_fmac_f64_e32 v[146:147], v[126:127], v[140:141]
	s_wait_dscnt 0x0
	v_fmac_f64_e32 v[146:147], v[128:129], v[142:143]
	s_wait_loadcnt 0x3
	s_delay_alu instid0(VALU_DEP_1)
	v_fmac_f64_e32 v[146:147], v[130:131], v[144:145]
	ds_load_b128 v[124:127], v2 offset:832
	ds_load_b128 v[128:131], v2 offset:848
	s_wait_dscnt 0x1
	v_fmac_f64_e32 v[146:147], v[132:133], v[124:125]
	s_wait_loadcnt 0x2
	s_delay_alu instid0(VALU_DEP_1) | instskip(SKIP_1) | instid1(VALU_DEP_1)
	v_fmac_f64_e32 v[146:147], v[134:135], v[126:127]
	s_wait_dscnt 0x0
	v_fmac_f64_e32 v[146:147], v[136:137], v[128:129]
	s_wait_loadcnt 0x1
	s_delay_alu instid0(VALU_DEP_1)
	v_fmac_f64_e32 v[146:147], v[116:117], v[130:131]
	ds_load_b128 v[124:127], v2 offset:864
	ds_load_b64 v[116:117], v2 offset:880
	s_wait_dscnt 0x1
	v_fmac_f64_e32 v[146:147], v[118:119], v[124:125]
	s_wait_loadcnt 0x0
	s_delay_alu instid0(VALU_DEP_1) | instskip(SKIP_1) | instid1(VALU_DEP_1)
	v_fmac_f64_e32 v[146:147], v[120:121], v[126:127]
	s_wait_dscnt 0x0
	v_fmac_f64_e32 v[146:147], v[122:123], v[116:117]
	s_delay_alu instid0(VALU_DEP_1)
	v_add_f64_e64 v[114:115], v[114:115], -v[146:147]
	scratch_store_b64 off, v[114:115], off offset:312
	s_wait_xcnt 0x0
	v_cmpx_lt_u32_e32 38, v0
	s_cbranch_execz .LBB54_263
; %bb.262:
	scratch_load_b64 v[114:115], off, off offset:304
	v_mov_b64_e32 v[116:117], 0
	scratch_store_b64 off, v[116:117], off offset:304
	s_wait_loadcnt 0x0
	ds_store_b64 v1, v[114:115]
.LBB54_263:
	s_wait_xcnt 0x0
	s_or_b32 exec_lo, exec_lo, s0
	s_wait_storecnt_dscnt 0x0
	s_barrier_signal -1
	s_barrier_wait -1
	s_clause 0x5
	scratch_load_b128 v[114:117], off, off offset:304
	scratch_load_b128 v[118:121], off, off offset:320
	;; [unrolled: 1-line block ×6, first 2 shown]
	ds_load_2addr_b64 v[138:141], v2 offset0:95 offset1:96
	ds_load_2addr_b64 v[142:145], v2 offset0:97 offset1:98
	s_mov_b32 s0, exec_lo
	s_wait_loadcnt_dscnt 0x501
	v_fma_f64 v[146:147], v[116:117], v[138:139], 0
	s_wait_loadcnt 0x4
	s_delay_alu instid0(VALU_DEP_1) | instskip(SKIP_4) | instid1(VALU_DEP_1)
	v_fmac_f64_e32 v[146:147], v[118:119], v[140:141]
	scratch_load_b128 v[116:119], off, off offset:400
	s_wait_dscnt 0x0
	v_fmac_f64_e32 v[146:147], v[120:121], v[142:143]
	s_wait_loadcnt 0x4
	v_fmac_f64_e32 v[146:147], v[122:123], v[144:145]
	scratch_load_b128 v[120:123], off, off offset:416
	ds_load_2addr_b64 v[138:141], v2 offset0:99 offset1:100
	ds_load_2addr_b64 v[142:145], v2 offset0:101 offset1:102
	s_wait_dscnt 0x1
	v_fmac_f64_e32 v[146:147], v[124:125], v[138:139]
	scratch_load_b64 v[138:139], off, off offset:432
	s_wait_loadcnt 0x5
	v_fmac_f64_e32 v[146:147], v[126:127], v[140:141]
	s_wait_dscnt 0x0
	s_delay_alu instid0(VALU_DEP_1) | instskip(SKIP_1) | instid1(VALU_DEP_1)
	v_fmac_f64_e32 v[146:147], v[128:129], v[142:143]
	s_wait_loadcnt 0x4
	v_fmac_f64_e32 v[146:147], v[130:131], v[144:145]
	ds_load_2addr_b64 v[124:127], v2 offset0:103 offset1:104
	ds_load_2addr_b64 v[128:131], v2 offset0:105 offset1:106
	s_wait_dscnt 0x1
	v_fmac_f64_e32 v[146:147], v[132:133], v[124:125]
	s_wait_loadcnt 0x3
	s_delay_alu instid0(VALU_DEP_1) | instskip(SKIP_1) | instid1(VALU_DEP_1)
	v_fmac_f64_e32 v[146:147], v[134:135], v[126:127]
	s_wait_dscnt 0x0
	v_fmac_f64_e32 v[146:147], v[136:137], v[128:129]
	s_wait_loadcnt 0x2
	s_delay_alu instid0(VALU_DEP_1)
	v_fmac_f64_e32 v[146:147], v[116:117], v[130:131]
	ds_load_2addr_b64 v[124:127], v2 offset0:107 offset1:108
	ds_load_2addr_b64 v[128:131], v2 offset0:109 offset1:110
	s_wait_dscnt 0x1
	v_fmac_f64_e32 v[146:147], v[118:119], v[124:125]
	s_wait_loadcnt 0x1
	s_delay_alu instid0(VALU_DEP_1) | instskip(SKIP_1) | instid1(VALU_DEP_1)
	v_fmac_f64_e32 v[146:147], v[120:121], v[126:127]
	s_wait_dscnt 0x0
	v_fmac_f64_e32 v[146:147], v[122:123], v[128:129]
	s_wait_loadcnt 0x0
	s_delay_alu instid0(VALU_DEP_1) | instskip(NEXT) | instid1(VALU_DEP_1)
	v_fmac_f64_e32 v[146:147], v[138:139], v[130:131]
	v_add_f64_e64 v[2:3], v[114:115], -v[146:147]
	scratch_store_b64 off, v[2:3], off offset:304
	s_wait_xcnt 0x0
	v_cmpx_lt_u32_e32 37, v0
	s_cbranch_execz .LBB54_265
; %bb.264:
	scratch_load_b64 v[2:3], off, off offset:296
	v_mov_b64_e32 v[114:115], 0
	scratch_store_b64 off, v[114:115], off offset:296
	s_wait_loadcnt 0x0
	ds_store_b64 v1, v[2:3]
.LBB54_265:
	s_wait_xcnt 0x0
	s_or_b32 exec_lo, exec_lo, s0
	s_wait_storecnt_dscnt 0x0
	s_barrier_signal -1
	s_barrier_wait -1
	s_clause 0x5
	scratch_load_b128 v[114:117], off, off offset:296
	scratch_load_b128 v[118:121], off, off offset:312
	;; [unrolled: 1-line block ×6, first 2 shown]
	v_mov_b32_e32 v2, 0
	ds_load_b128 v[138:141], v2 offset:752
	ds_load_b128 v[142:145], v2 offset:768
	s_mov_b32 s0, exec_lo
	s_wait_loadcnt_dscnt 0x501
	v_fma_f64 v[146:147], v[116:117], v[138:139], 0
	s_wait_loadcnt 0x4
	s_delay_alu instid0(VALU_DEP_1) | instskip(SKIP_4) | instid1(VALU_DEP_1)
	v_fmac_f64_e32 v[146:147], v[118:119], v[140:141]
	scratch_load_b128 v[116:119], off, off offset:392
	s_wait_dscnt 0x0
	v_fmac_f64_e32 v[146:147], v[120:121], v[142:143]
	s_wait_loadcnt 0x4
	v_fmac_f64_e32 v[146:147], v[122:123], v[144:145]
	scratch_load_b128 v[120:123], off, off offset:408
	ds_load_b128 v[138:141], v2 offset:784
	ds_load_b128 v[142:145], v2 offset:800
	s_wait_dscnt 0x1
	v_fmac_f64_e32 v[146:147], v[124:125], v[138:139]
	s_wait_loadcnt 0x4
	s_delay_alu instid0(VALU_DEP_1) | instskip(SKIP_4) | instid1(VALU_DEP_1)
	v_fmac_f64_e32 v[146:147], v[126:127], v[140:141]
	scratch_load_b128 v[124:127], off, off offset:424
	s_wait_dscnt 0x0
	v_fmac_f64_e32 v[146:147], v[128:129], v[142:143]
	s_wait_loadcnt 0x4
	v_fmac_f64_e32 v[146:147], v[130:131], v[144:145]
	ds_load_b128 v[128:131], v2 offset:816
	ds_load_b128 v[138:141], v2 offset:832
	s_wait_dscnt 0x1
	v_fmac_f64_e32 v[146:147], v[132:133], v[128:129]
	s_wait_loadcnt 0x3
	s_delay_alu instid0(VALU_DEP_1)
	v_fmac_f64_e32 v[146:147], v[134:135], v[130:131]
	ds_load_b128 v[128:131], v2 offset:848
	ds_load_b128 v[132:135], v2 offset:864
	s_wait_dscnt 0x2
	v_fmac_f64_e32 v[146:147], v[136:137], v[138:139]
	s_wait_loadcnt 0x2
	s_delay_alu instid0(VALU_DEP_1) | instskip(SKIP_4) | instid1(VALU_DEP_1)
	v_fmac_f64_e32 v[146:147], v[116:117], v[140:141]
	ds_load_b64 v[116:117], v2 offset:880
	s_wait_dscnt 0x2
	v_fmac_f64_e32 v[146:147], v[118:119], v[128:129]
	s_wait_loadcnt 0x1
	v_fmac_f64_e32 v[146:147], v[120:121], v[130:131]
	s_wait_dscnt 0x1
	s_delay_alu instid0(VALU_DEP_1) | instskip(SKIP_1) | instid1(VALU_DEP_1)
	v_fmac_f64_e32 v[146:147], v[122:123], v[132:133]
	s_wait_loadcnt 0x0
	v_fmac_f64_e32 v[146:147], v[124:125], v[134:135]
	s_wait_dscnt 0x0
	s_delay_alu instid0(VALU_DEP_1) | instskip(NEXT) | instid1(VALU_DEP_1)
	v_fmac_f64_e32 v[146:147], v[126:127], v[116:117]
	v_add_f64_e64 v[114:115], v[114:115], -v[146:147]
	scratch_store_b64 off, v[114:115], off offset:296
	s_wait_xcnt 0x0
	v_cmpx_lt_u32_e32 36, v0
	s_cbranch_execz .LBB54_267
; %bb.266:
	scratch_load_b64 v[114:115], off, off offset:288
	v_mov_b64_e32 v[116:117], 0
	scratch_store_b64 off, v[116:117], off offset:288
	s_wait_loadcnt 0x0
	ds_store_b64 v1, v[114:115]
.LBB54_267:
	s_wait_xcnt 0x0
	s_or_b32 exec_lo, exec_lo, s0
	s_wait_storecnt_dscnt 0x0
	s_barrier_signal -1
	s_barrier_wait -1
	s_clause 0x5
	scratch_load_b128 v[114:117], off, off offset:288
	scratch_load_b128 v[118:121], off, off offset:304
	;; [unrolled: 1-line block ×6, first 2 shown]
	ds_load_2addr_b64 v[138:141], v2 offset0:93 offset1:94
	ds_load_2addr_b64 v[142:145], v2 offset0:95 offset1:96
	s_mov_b32 s0, exec_lo
	s_wait_loadcnt_dscnt 0x501
	v_fma_f64 v[146:147], v[116:117], v[138:139], 0
	s_wait_loadcnt 0x4
	s_delay_alu instid0(VALU_DEP_1) | instskip(SKIP_4) | instid1(VALU_DEP_1)
	v_fmac_f64_e32 v[146:147], v[118:119], v[140:141]
	scratch_load_b128 v[116:119], off, off offset:384
	s_wait_dscnt 0x0
	v_fmac_f64_e32 v[146:147], v[120:121], v[142:143]
	s_wait_loadcnt 0x4
	v_fmac_f64_e32 v[146:147], v[122:123], v[144:145]
	scratch_load_b128 v[120:123], off, off offset:400
	ds_load_2addr_b64 v[138:141], v2 offset0:97 offset1:98
	ds_load_2addr_b64 v[142:145], v2 offset0:99 offset1:100
	s_wait_dscnt 0x1
	v_fmac_f64_e32 v[146:147], v[124:125], v[138:139]
	s_wait_loadcnt 0x4
	s_delay_alu instid0(VALU_DEP_1)
	v_fmac_f64_e32 v[146:147], v[126:127], v[140:141]
	scratch_load_b128 v[124:127], off, off offset:416
	s_wait_dscnt 0x0
	v_fmac_f64_e32 v[146:147], v[128:129], v[142:143]
	scratch_load_b64 v[142:143], off, off offset:432
	s_wait_loadcnt 0x5
	v_fmac_f64_e32 v[146:147], v[130:131], v[144:145]
	ds_load_2addr_b64 v[128:131], v2 offset0:101 offset1:102
	ds_load_2addr_b64 v[138:141], v2 offset0:103 offset1:104
	s_wait_dscnt 0x1
	v_fmac_f64_e32 v[146:147], v[132:133], v[128:129]
	s_wait_loadcnt 0x4
	s_delay_alu instid0(VALU_DEP_1)
	v_fmac_f64_e32 v[146:147], v[134:135], v[130:131]
	ds_load_2addr_b64 v[128:131], v2 offset0:105 offset1:106
	ds_load_2addr_b64 v[132:135], v2 offset0:107 offset1:108
	s_wait_dscnt 0x2
	v_fmac_f64_e32 v[146:147], v[136:137], v[138:139]
	s_wait_loadcnt 0x3
	s_delay_alu instid0(VALU_DEP_1) | instskip(SKIP_1) | instid1(VALU_DEP_1)
	v_fmac_f64_e32 v[146:147], v[116:117], v[140:141]
	s_wait_dscnt 0x1
	v_fmac_f64_e32 v[146:147], v[118:119], v[128:129]
	ds_load_2addr_b64 v[116:119], v2 offset0:109 offset1:110
	s_wait_loadcnt 0x2
	v_fmac_f64_e32 v[146:147], v[120:121], v[130:131]
	s_wait_dscnt 0x1
	s_delay_alu instid0(VALU_DEP_1) | instskip(SKIP_1) | instid1(VALU_DEP_1)
	v_fmac_f64_e32 v[146:147], v[122:123], v[132:133]
	s_wait_loadcnt 0x1
	v_fmac_f64_e32 v[146:147], v[124:125], v[134:135]
	s_wait_dscnt 0x0
	s_delay_alu instid0(VALU_DEP_1) | instskip(SKIP_1) | instid1(VALU_DEP_1)
	v_fmac_f64_e32 v[146:147], v[126:127], v[116:117]
	s_wait_loadcnt 0x0
	v_fmac_f64_e32 v[146:147], v[142:143], v[118:119]
	s_delay_alu instid0(VALU_DEP_1)
	v_add_f64_e64 v[2:3], v[114:115], -v[146:147]
	scratch_store_b64 off, v[2:3], off offset:288
	s_wait_xcnt 0x0
	v_cmpx_lt_u32_e32 35, v0
	s_cbranch_execz .LBB54_269
; %bb.268:
	scratch_load_b64 v[2:3], off, off offset:280
	v_mov_b64_e32 v[114:115], 0
	scratch_store_b64 off, v[114:115], off offset:280
	s_wait_loadcnt 0x0
	ds_store_b64 v1, v[2:3]
.LBB54_269:
	s_wait_xcnt 0x0
	s_or_b32 exec_lo, exec_lo, s0
	s_wait_storecnt_dscnt 0x0
	s_barrier_signal -1
	s_barrier_wait -1
	s_clause 0x5
	scratch_load_b128 v[114:117], off, off offset:280
	scratch_load_b128 v[118:121], off, off offset:296
	;; [unrolled: 1-line block ×6, first 2 shown]
	v_mov_b32_e32 v2, 0
	ds_load_b128 v[138:141], v2 offset:736
	ds_load_b128 v[142:145], v2 offset:752
	s_mov_b32 s0, exec_lo
	s_wait_loadcnt_dscnt 0x501
	v_fma_f64 v[146:147], v[116:117], v[138:139], 0
	s_wait_loadcnt 0x4
	s_delay_alu instid0(VALU_DEP_1) | instskip(SKIP_4) | instid1(VALU_DEP_1)
	v_fmac_f64_e32 v[146:147], v[118:119], v[140:141]
	scratch_load_b128 v[116:119], off, off offset:376
	s_wait_dscnt 0x0
	v_fmac_f64_e32 v[146:147], v[120:121], v[142:143]
	s_wait_loadcnt 0x4
	v_fmac_f64_e32 v[146:147], v[122:123], v[144:145]
	scratch_load_b128 v[120:123], off, off offset:392
	ds_load_b128 v[138:141], v2 offset:768
	ds_load_b128 v[142:145], v2 offset:784
	s_wait_dscnt 0x1
	v_fmac_f64_e32 v[146:147], v[124:125], v[138:139]
	s_wait_loadcnt 0x4
	s_delay_alu instid0(VALU_DEP_1) | instskip(SKIP_4) | instid1(VALU_DEP_1)
	v_fmac_f64_e32 v[146:147], v[126:127], v[140:141]
	scratch_load_b128 v[124:127], off, off offset:408
	s_wait_dscnt 0x0
	v_fmac_f64_e32 v[146:147], v[128:129], v[142:143]
	s_wait_loadcnt 0x4
	v_fmac_f64_e32 v[146:147], v[130:131], v[144:145]
	scratch_load_b128 v[128:131], off, off offset:424
	ds_load_b128 v[138:141], v2 offset:800
	ds_load_b128 v[142:145], v2 offset:816
	s_wait_dscnt 0x1
	v_fmac_f64_e32 v[146:147], v[132:133], v[138:139]
	s_wait_loadcnt 0x4
	s_delay_alu instid0(VALU_DEP_1) | instskip(SKIP_1) | instid1(VALU_DEP_1)
	v_fmac_f64_e32 v[146:147], v[134:135], v[140:141]
	s_wait_dscnt 0x0
	v_fmac_f64_e32 v[146:147], v[136:137], v[142:143]
	ds_load_b128 v[132:135], v2 offset:832
	ds_load_b128 v[136:139], v2 offset:848
	s_wait_loadcnt 0x3
	v_fmac_f64_e32 v[146:147], v[116:117], v[144:145]
	s_wait_dscnt 0x1
	s_delay_alu instid0(VALU_DEP_1) | instskip(SKIP_1) | instid1(VALU_DEP_1)
	v_fmac_f64_e32 v[146:147], v[118:119], v[132:133]
	s_wait_loadcnt 0x2
	v_fmac_f64_e32 v[146:147], v[120:121], v[134:135]
	ds_load_b128 v[116:119], v2 offset:864
	ds_load_b64 v[120:121], v2 offset:880
	s_wait_dscnt 0x2
	v_fmac_f64_e32 v[146:147], v[122:123], v[136:137]
	s_wait_loadcnt 0x1
	s_delay_alu instid0(VALU_DEP_1) | instskip(SKIP_1) | instid1(VALU_DEP_1)
	v_fmac_f64_e32 v[146:147], v[124:125], v[138:139]
	s_wait_dscnt 0x1
	v_fmac_f64_e32 v[146:147], v[126:127], v[116:117]
	s_wait_loadcnt 0x0
	s_delay_alu instid0(VALU_DEP_1) | instskip(SKIP_1) | instid1(VALU_DEP_1)
	v_fmac_f64_e32 v[146:147], v[128:129], v[118:119]
	s_wait_dscnt 0x0
	v_fmac_f64_e32 v[146:147], v[130:131], v[120:121]
	s_delay_alu instid0(VALU_DEP_1)
	v_add_f64_e64 v[114:115], v[114:115], -v[146:147]
	scratch_store_b64 off, v[114:115], off offset:280
	s_wait_xcnt 0x0
	v_cmpx_lt_u32_e32 34, v0
	s_cbranch_execz .LBB54_271
; %bb.270:
	scratch_load_b64 v[114:115], off, off offset:272
	v_mov_b64_e32 v[116:117], 0
	scratch_store_b64 off, v[116:117], off offset:272
	s_wait_loadcnt 0x0
	ds_store_b64 v1, v[114:115]
.LBB54_271:
	s_wait_xcnt 0x0
	s_or_b32 exec_lo, exec_lo, s0
	s_wait_storecnt_dscnt 0x0
	s_barrier_signal -1
	s_barrier_wait -1
	s_clause 0x5
	scratch_load_b128 v[114:117], off, off offset:272
	scratch_load_b128 v[118:121], off, off offset:288
	;; [unrolled: 1-line block ×6, first 2 shown]
	ds_load_2addr_b64 v[138:141], v2 offset0:91 offset1:92
	ds_load_2addr_b64 v[142:145], v2 offset0:93 offset1:94
	s_mov_b32 s0, exec_lo
	s_wait_loadcnt_dscnt 0x501
	v_fma_f64 v[146:147], v[116:117], v[138:139], 0
	s_wait_loadcnt 0x4
	s_delay_alu instid0(VALU_DEP_1) | instskip(SKIP_4) | instid1(VALU_DEP_1)
	v_fmac_f64_e32 v[146:147], v[118:119], v[140:141]
	scratch_load_b128 v[116:119], off, off offset:368
	s_wait_dscnt 0x0
	v_fmac_f64_e32 v[146:147], v[120:121], v[142:143]
	s_wait_loadcnt 0x4
	v_fmac_f64_e32 v[146:147], v[122:123], v[144:145]
	scratch_load_b128 v[120:123], off, off offset:384
	ds_load_2addr_b64 v[138:141], v2 offset0:95 offset1:96
	ds_load_2addr_b64 v[142:145], v2 offset0:97 offset1:98
	s_wait_dscnt 0x1
	v_fmac_f64_e32 v[146:147], v[124:125], v[138:139]
	s_wait_loadcnt 0x4
	s_delay_alu instid0(VALU_DEP_1) | instskip(SKIP_4) | instid1(VALU_DEP_1)
	v_fmac_f64_e32 v[146:147], v[126:127], v[140:141]
	scratch_load_b128 v[124:127], off, off offset:400
	s_wait_dscnt 0x0
	v_fmac_f64_e32 v[146:147], v[128:129], v[142:143]
	s_wait_loadcnt 0x4
	v_fmac_f64_e32 v[146:147], v[130:131], v[144:145]
	scratch_load_b128 v[128:131], off, off offset:416
	ds_load_2addr_b64 v[138:141], v2 offset0:99 offset1:100
	ds_load_2addr_b64 v[142:145], v2 offset0:101 offset1:102
	s_wait_dscnt 0x1
	v_fmac_f64_e32 v[146:147], v[132:133], v[138:139]
	s_wait_loadcnt 0x4
	s_delay_alu instid0(VALU_DEP_1)
	v_fmac_f64_e32 v[146:147], v[134:135], v[140:141]
	scratch_load_b64 v[140:141], off, off offset:432
	s_wait_dscnt 0x0
	v_fmac_f64_e32 v[146:147], v[136:137], v[142:143]
	ds_load_2addr_b64 v[132:135], v2 offset0:103 offset1:104
	ds_load_2addr_b64 v[136:139], v2 offset0:105 offset1:106
	s_wait_loadcnt 0x4
	v_fmac_f64_e32 v[146:147], v[116:117], v[144:145]
	s_wait_dscnt 0x1
	s_delay_alu instid0(VALU_DEP_1) | instskip(SKIP_1) | instid1(VALU_DEP_1)
	v_fmac_f64_e32 v[146:147], v[118:119], v[132:133]
	s_wait_loadcnt 0x3
	v_fmac_f64_e32 v[146:147], v[120:121], v[134:135]
	s_wait_dscnt 0x0
	s_delay_alu instid0(VALU_DEP_1)
	v_fmac_f64_e32 v[146:147], v[122:123], v[136:137]
	ds_load_2addr_b64 v[116:119], v2 offset0:107 offset1:108
	ds_load_2addr_b64 v[120:123], v2 offset0:109 offset1:110
	s_wait_loadcnt 0x2
	v_fmac_f64_e32 v[146:147], v[124:125], v[138:139]
	s_wait_dscnt 0x1
	s_delay_alu instid0(VALU_DEP_1) | instskip(SKIP_1) | instid1(VALU_DEP_1)
	v_fmac_f64_e32 v[146:147], v[126:127], v[116:117]
	s_wait_loadcnt 0x1
	v_fmac_f64_e32 v[146:147], v[128:129], v[118:119]
	s_wait_dscnt 0x0
	s_delay_alu instid0(VALU_DEP_1) | instskip(SKIP_1) | instid1(VALU_DEP_1)
	v_fmac_f64_e32 v[146:147], v[130:131], v[120:121]
	s_wait_loadcnt 0x0
	v_fmac_f64_e32 v[146:147], v[140:141], v[122:123]
	s_delay_alu instid0(VALU_DEP_1)
	v_add_f64_e64 v[2:3], v[114:115], -v[146:147]
	scratch_store_b64 off, v[2:3], off offset:272
	s_wait_xcnt 0x0
	v_cmpx_lt_u32_e32 33, v0
	s_cbranch_execz .LBB54_273
; %bb.272:
	scratch_load_b64 v[2:3], off, off offset:264
	v_mov_b64_e32 v[114:115], 0
	scratch_store_b64 off, v[114:115], off offset:264
	s_wait_loadcnt 0x0
	ds_store_b64 v1, v[2:3]
.LBB54_273:
	s_wait_xcnt 0x0
	s_or_b32 exec_lo, exec_lo, s0
	s_wait_storecnt_dscnt 0x0
	s_barrier_signal -1
	s_barrier_wait -1
	s_clause 0x5
	scratch_load_b128 v[114:117], off, off offset:264
	scratch_load_b128 v[118:121], off, off offset:280
	scratch_load_b128 v[122:125], off, off offset:296
	scratch_load_b128 v[126:129], off, off offset:312
	scratch_load_b128 v[130:133], off, off offset:328
	scratch_load_b128 v[134:137], off, off offset:344
	v_mov_b32_e32 v2, 0
	ds_load_b128 v[138:141], v2 offset:720
	ds_load_b128 v[142:145], v2 offset:736
	s_mov_b32 s0, exec_lo
	s_wait_loadcnt_dscnt 0x501
	v_fma_f64 v[146:147], v[116:117], v[138:139], 0
	s_wait_loadcnt 0x4
	s_delay_alu instid0(VALU_DEP_1) | instskip(SKIP_4) | instid1(VALU_DEP_1)
	v_fmac_f64_e32 v[146:147], v[118:119], v[140:141]
	scratch_load_b128 v[116:119], off, off offset:360
	s_wait_dscnt 0x0
	v_fmac_f64_e32 v[146:147], v[120:121], v[142:143]
	s_wait_loadcnt 0x4
	v_fmac_f64_e32 v[146:147], v[122:123], v[144:145]
	scratch_load_b128 v[120:123], off, off offset:376
	ds_load_b128 v[138:141], v2 offset:752
	ds_load_b128 v[142:145], v2 offset:768
	s_wait_dscnt 0x1
	v_fmac_f64_e32 v[146:147], v[124:125], v[138:139]
	s_wait_loadcnt 0x4
	s_delay_alu instid0(VALU_DEP_1) | instskip(SKIP_4) | instid1(VALU_DEP_1)
	v_fmac_f64_e32 v[146:147], v[126:127], v[140:141]
	scratch_load_b128 v[124:127], off, off offset:392
	s_wait_dscnt 0x0
	v_fmac_f64_e32 v[146:147], v[128:129], v[142:143]
	s_wait_loadcnt 0x4
	v_fmac_f64_e32 v[146:147], v[130:131], v[144:145]
	scratch_load_b128 v[128:131], off, off offset:408
	ds_load_b128 v[138:141], v2 offset:784
	ds_load_b128 v[142:145], v2 offset:800
	s_wait_dscnt 0x1
	v_fmac_f64_e32 v[146:147], v[132:133], v[138:139]
	s_wait_loadcnt 0x4
	s_delay_alu instid0(VALU_DEP_1)
	v_fmac_f64_e32 v[146:147], v[134:135], v[140:141]
	scratch_load_b128 v[132:135], off, off offset:424
	s_wait_dscnt 0x0
	v_fmac_f64_e32 v[146:147], v[136:137], v[142:143]
	ds_load_b128 v[136:139], v2 offset:816
	ds_load_b128 v[140:143], v2 offset:832
	s_wait_loadcnt 0x4
	v_fmac_f64_e32 v[146:147], v[116:117], v[144:145]
	s_wait_dscnt 0x1
	s_delay_alu instid0(VALU_DEP_1) | instskip(SKIP_1) | instid1(VALU_DEP_1)
	v_fmac_f64_e32 v[146:147], v[118:119], v[136:137]
	s_wait_loadcnt 0x3
	v_fmac_f64_e32 v[146:147], v[120:121], v[138:139]
	s_wait_dscnt 0x0
	s_delay_alu instid0(VALU_DEP_1)
	v_fmac_f64_e32 v[146:147], v[122:123], v[140:141]
	ds_load_b128 v[116:119], v2 offset:848
	ds_load_b128 v[120:123], v2 offset:864
	s_wait_loadcnt 0x2
	v_fmac_f64_e32 v[146:147], v[124:125], v[142:143]
	s_wait_dscnt 0x1
	s_delay_alu instid0(VALU_DEP_1) | instskip(SKIP_4) | instid1(VALU_DEP_1)
	v_fmac_f64_e32 v[146:147], v[126:127], v[116:117]
	ds_load_b64 v[116:117], v2 offset:880
	s_wait_loadcnt 0x1
	v_fmac_f64_e32 v[146:147], v[128:129], v[118:119]
	s_wait_dscnt 0x1
	v_fmac_f64_e32 v[146:147], v[130:131], v[120:121]
	s_wait_loadcnt 0x0
	s_delay_alu instid0(VALU_DEP_1) | instskip(SKIP_1) | instid1(VALU_DEP_1)
	v_fmac_f64_e32 v[146:147], v[132:133], v[122:123]
	s_wait_dscnt 0x0
	v_fmac_f64_e32 v[146:147], v[134:135], v[116:117]
	s_delay_alu instid0(VALU_DEP_1)
	v_add_f64_e64 v[114:115], v[114:115], -v[146:147]
	scratch_store_b64 off, v[114:115], off offset:264
	s_wait_xcnt 0x0
	v_cmpx_lt_u32_e32 32, v0
	s_cbranch_execz .LBB54_275
; %bb.274:
	scratch_load_b64 v[114:115], off, off offset:256
	v_mov_b64_e32 v[116:117], 0
	scratch_store_b64 off, v[116:117], off offset:256
	s_wait_loadcnt 0x0
	ds_store_b64 v1, v[114:115]
.LBB54_275:
	s_wait_xcnt 0x0
	s_or_b32 exec_lo, exec_lo, s0
	s_wait_storecnt_dscnt 0x0
	s_barrier_signal -1
	s_barrier_wait -1
	s_clause 0x5
	scratch_load_b128 v[114:117], off, off offset:256
	scratch_load_b128 v[118:121], off, off offset:272
	;; [unrolled: 1-line block ×6, first 2 shown]
	ds_load_2addr_b64 v[138:141], v2 offset0:89 offset1:90
	ds_load_2addr_b64 v[142:145], v2 offset0:91 offset1:92
	scratch_load_b128 v[146:149], off, off offset:352
	s_mov_b32 s0, exec_lo
	s_wait_loadcnt_dscnt 0x601
	v_fma_f64 v[150:151], v[116:117], v[138:139], 0
	s_wait_loadcnt 0x5
	s_delay_alu instid0(VALU_DEP_1) | instskip(SKIP_4) | instid1(VALU_DEP_1)
	v_fmac_f64_e32 v[150:151], v[118:119], v[140:141]
	scratch_load_b128 v[116:119], off, off offset:368
	s_wait_dscnt 0x0
	v_fmac_f64_e32 v[150:151], v[120:121], v[142:143]
	s_wait_loadcnt 0x5
	v_fmac_f64_e32 v[150:151], v[122:123], v[144:145]
	ds_load_2addr_b64 v[120:123], v2 offset0:93 offset1:94
	ds_load_2addr_b64 v[138:141], v2 offset0:95 offset1:96
	s_wait_dscnt 0x1
	v_fmac_f64_e32 v[150:151], v[124:125], v[120:121]
	s_wait_loadcnt 0x4
	s_delay_alu instid0(VALU_DEP_1)
	v_fmac_f64_e32 v[150:151], v[126:127], v[122:123]
	s_clause 0x1
	scratch_load_b128 v[120:123], off, off offset:384
	scratch_load_b128 v[124:127], off, off offset:400
	s_wait_dscnt 0x0
	v_fmac_f64_e32 v[150:151], v[128:129], v[138:139]
	s_wait_loadcnt 0x5
	s_delay_alu instid0(VALU_DEP_1)
	v_fmac_f64_e32 v[150:151], v[130:131], v[140:141]
	ds_load_2addr_b64 v[128:131], v2 offset0:97 offset1:98
	ds_load_2addr_b64 v[138:141], v2 offset0:99 offset1:100
	s_wait_dscnt 0x1
	v_fmac_f64_e32 v[150:151], v[132:133], v[128:129]
	s_wait_loadcnt 0x4
	s_delay_alu instid0(VALU_DEP_1) | instskip(SKIP_4) | instid1(VALU_DEP_1)
	v_fmac_f64_e32 v[150:151], v[134:135], v[130:131]
	scratch_load_b128 v[128:131], off, off offset:416
	s_wait_dscnt 0x0
	v_fmac_f64_e32 v[150:151], v[136:137], v[138:139]
	s_wait_loadcnt 0x4
	v_fmac_f64_e32 v[150:151], v[146:147], v[140:141]
	scratch_load_b64 v[140:141], off, off offset:432
	ds_load_2addr_b64 v[132:135], v2 offset0:101 offset1:102
	ds_load_2addr_b64 v[136:139], v2 offset0:103 offset1:104
	s_wait_dscnt 0x1
	v_fmac_f64_e32 v[150:151], v[148:149], v[132:133]
	s_wait_loadcnt 0x4
	s_delay_alu instid0(VALU_DEP_1) | instskip(SKIP_1) | instid1(VALU_DEP_1)
	v_fmac_f64_e32 v[150:151], v[116:117], v[134:135]
	s_wait_dscnt 0x0
	v_fmac_f64_e32 v[150:151], v[118:119], v[136:137]
	ds_load_2addr_b64 v[116:119], v2 offset0:105 offset1:106
	ds_load_2addr_b64 v[132:135], v2 offset0:107 offset1:108
	s_wait_loadcnt 0x3
	v_fmac_f64_e32 v[150:151], v[120:121], v[138:139]
	s_wait_dscnt 0x1
	s_delay_alu instid0(VALU_DEP_1) | instskip(SKIP_1) | instid1(VALU_DEP_1)
	v_fmac_f64_e32 v[150:151], v[122:123], v[116:117]
	s_wait_loadcnt 0x2
	v_fmac_f64_e32 v[150:151], v[124:125], v[118:119]
	ds_load_2addr_b64 v[116:119], v2 offset0:109 offset1:110
	s_wait_dscnt 0x1
	v_fmac_f64_e32 v[150:151], v[126:127], v[132:133]
	s_wait_loadcnt 0x1
	s_delay_alu instid0(VALU_DEP_1) | instskip(SKIP_1) | instid1(VALU_DEP_1)
	v_fmac_f64_e32 v[150:151], v[128:129], v[134:135]
	s_wait_dscnt 0x0
	v_fmac_f64_e32 v[150:151], v[130:131], v[116:117]
	s_wait_loadcnt 0x0
	s_delay_alu instid0(VALU_DEP_1) | instskip(NEXT) | instid1(VALU_DEP_1)
	v_fmac_f64_e32 v[150:151], v[140:141], v[118:119]
	v_add_f64_e64 v[2:3], v[114:115], -v[150:151]
	scratch_store_b64 off, v[2:3], off offset:256
	s_wait_xcnt 0x0
	v_cmpx_lt_u32_e32 31, v0
	s_cbranch_execz .LBB54_277
; %bb.276:
	scratch_load_b64 v[2:3], off, off offset:248
	v_mov_b64_e32 v[114:115], 0
	scratch_store_b64 off, v[114:115], off offset:248
	s_wait_loadcnt 0x0
	ds_store_b64 v1, v[2:3]
.LBB54_277:
	s_wait_xcnt 0x0
	s_or_b32 exec_lo, exec_lo, s0
	s_wait_storecnt_dscnt 0x0
	s_barrier_signal -1
	s_barrier_wait -1
	s_clause 0x5
	scratch_load_b128 v[114:117], off, off offset:248
	scratch_load_b128 v[118:121], off, off offset:264
	;; [unrolled: 1-line block ×6, first 2 shown]
	v_mov_b32_e32 v2, 0
	ds_load_b128 v[138:141], v2 offset:704
	ds_load_b128 v[142:145], v2 offset:720
	scratch_load_b128 v[146:149], off, off offset:344
	s_mov_b32 s0, exec_lo
	s_wait_loadcnt_dscnt 0x601
	v_fma_f64 v[150:151], v[116:117], v[138:139], 0
	s_wait_loadcnt 0x5
	s_delay_alu instid0(VALU_DEP_1) | instskip(SKIP_4) | instid1(VALU_DEP_1)
	v_fmac_f64_e32 v[150:151], v[118:119], v[140:141]
	scratch_load_b128 v[116:119], off, off offset:360
	s_wait_dscnt 0x0
	v_fmac_f64_e32 v[150:151], v[120:121], v[142:143]
	s_wait_loadcnt 0x5
	v_fmac_f64_e32 v[150:151], v[122:123], v[144:145]
	ds_load_b128 v[120:123], v2 offset:736
	ds_load_b128 v[138:141], v2 offset:752
	s_wait_dscnt 0x1
	v_fmac_f64_e32 v[150:151], v[124:125], v[120:121]
	s_wait_loadcnt 0x4
	s_delay_alu instid0(VALU_DEP_1)
	v_fmac_f64_e32 v[150:151], v[126:127], v[122:123]
	s_clause 0x1
	scratch_load_b128 v[120:123], off, off offset:376
	scratch_load_b128 v[124:127], off, off offset:392
	s_wait_dscnt 0x0
	v_fmac_f64_e32 v[150:151], v[128:129], v[138:139]
	s_wait_loadcnt 0x5
	s_delay_alu instid0(VALU_DEP_1)
	v_fmac_f64_e32 v[150:151], v[130:131], v[140:141]
	ds_load_b128 v[128:131], v2 offset:768
	ds_load_b128 v[138:141], v2 offset:784
	s_wait_dscnt 0x1
	v_fmac_f64_e32 v[150:151], v[132:133], v[128:129]
	s_wait_loadcnt 0x4
	s_delay_alu instid0(VALU_DEP_1)
	v_fmac_f64_e32 v[150:151], v[134:135], v[130:131]
	s_clause 0x1
	scratch_load_b128 v[128:131], off, off offset:408
	scratch_load_b128 v[132:135], off, off offset:424
	s_wait_dscnt 0x0
	v_fmac_f64_e32 v[150:151], v[136:137], v[138:139]
	s_wait_loadcnt 0x5
	s_delay_alu instid0(VALU_DEP_1)
	v_fmac_f64_e32 v[150:151], v[146:147], v[140:141]
	ds_load_b128 v[136:139], v2 offset:800
	ds_load_b128 v[140:143], v2 offset:816
	s_wait_dscnt 0x1
	v_fmac_f64_e32 v[150:151], v[148:149], v[136:137]
	s_wait_loadcnt 0x4
	s_delay_alu instid0(VALU_DEP_1) | instskip(SKIP_1) | instid1(VALU_DEP_1)
	v_fmac_f64_e32 v[150:151], v[116:117], v[138:139]
	s_wait_dscnt 0x0
	v_fmac_f64_e32 v[150:151], v[118:119], v[140:141]
	ds_load_b128 v[116:119], v2 offset:832
	ds_load_b128 v[136:139], v2 offset:848
	s_wait_loadcnt 0x3
	v_fmac_f64_e32 v[150:151], v[120:121], v[142:143]
	s_wait_dscnt 0x1
	s_delay_alu instid0(VALU_DEP_1) | instskip(SKIP_1) | instid1(VALU_DEP_1)
	v_fmac_f64_e32 v[150:151], v[122:123], v[116:117]
	s_wait_loadcnt 0x2
	v_fmac_f64_e32 v[150:151], v[124:125], v[118:119]
	ds_load_b128 v[116:119], v2 offset:864
	ds_load_b64 v[120:121], v2 offset:880
	s_wait_dscnt 0x2
	v_fmac_f64_e32 v[150:151], v[126:127], v[136:137]
	s_wait_loadcnt 0x1
	s_delay_alu instid0(VALU_DEP_1) | instskip(SKIP_1) | instid1(VALU_DEP_1)
	v_fmac_f64_e32 v[150:151], v[128:129], v[138:139]
	s_wait_dscnt 0x1
	v_fmac_f64_e32 v[150:151], v[130:131], v[116:117]
	s_wait_loadcnt 0x0
	s_delay_alu instid0(VALU_DEP_1) | instskip(SKIP_1) | instid1(VALU_DEP_1)
	v_fmac_f64_e32 v[150:151], v[132:133], v[118:119]
	s_wait_dscnt 0x0
	v_fmac_f64_e32 v[150:151], v[134:135], v[120:121]
	s_delay_alu instid0(VALU_DEP_1)
	v_add_f64_e64 v[114:115], v[114:115], -v[150:151]
	scratch_store_b64 off, v[114:115], off offset:248
	s_wait_xcnt 0x0
	v_cmpx_lt_u32_e32 30, v0
	s_cbranch_execz .LBB54_279
; %bb.278:
	scratch_load_b64 v[114:115], off, off offset:240
	v_mov_b64_e32 v[116:117], 0
	scratch_store_b64 off, v[116:117], off offset:240
	s_wait_loadcnt 0x0
	ds_store_b64 v1, v[114:115]
.LBB54_279:
	s_wait_xcnt 0x0
	s_or_b32 exec_lo, exec_lo, s0
	s_wait_storecnt_dscnt 0x0
	s_barrier_signal -1
	s_barrier_wait -1
	s_clause 0x5
	scratch_load_b128 v[114:117], off, off offset:240
	scratch_load_b128 v[118:121], off, off offset:256
	;; [unrolled: 1-line block ×6, first 2 shown]
	ds_load_2addr_b64 v[138:141], v2 offset0:87 offset1:88
	ds_load_2addr_b64 v[142:145], v2 offset0:89 offset1:90
	scratch_load_b128 v[146:149], off, off offset:336
	s_mov_b32 s0, exec_lo
	s_wait_loadcnt_dscnt 0x601
	v_fma_f64 v[150:151], v[116:117], v[138:139], 0
	s_wait_loadcnt 0x5
	s_delay_alu instid0(VALU_DEP_1) | instskip(SKIP_4) | instid1(VALU_DEP_1)
	v_fmac_f64_e32 v[150:151], v[118:119], v[140:141]
	scratch_load_b128 v[116:119], off, off offset:352
	s_wait_dscnt 0x0
	v_fmac_f64_e32 v[150:151], v[120:121], v[142:143]
	s_wait_loadcnt 0x5
	v_fmac_f64_e32 v[150:151], v[122:123], v[144:145]
	ds_load_2addr_b64 v[120:123], v2 offset0:91 offset1:92
	ds_load_2addr_b64 v[138:141], v2 offset0:93 offset1:94
	s_wait_dscnt 0x1
	v_fmac_f64_e32 v[150:151], v[124:125], v[120:121]
	s_wait_loadcnt 0x4
	s_delay_alu instid0(VALU_DEP_1)
	v_fmac_f64_e32 v[150:151], v[126:127], v[122:123]
	s_clause 0x1
	scratch_load_b128 v[120:123], off, off offset:368
	scratch_load_b128 v[124:127], off, off offset:384
	s_wait_dscnt 0x0
	v_fmac_f64_e32 v[150:151], v[128:129], v[138:139]
	s_wait_loadcnt 0x5
	s_delay_alu instid0(VALU_DEP_1)
	v_fmac_f64_e32 v[150:151], v[130:131], v[140:141]
	ds_load_2addr_b64 v[128:131], v2 offset0:95 offset1:96
	ds_load_2addr_b64 v[138:141], v2 offset0:97 offset1:98
	s_wait_dscnt 0x1
	v_fmac_f64_e32 v[150:151], v[132:133], v[128:129]
	s_wait_loadcnt 0x4
	s_delay_alu instid0(VALU_DEP_1)
	v_fmac_f64_e32 v[150:151], v[134:135], v[130:131]
	s_clause 0x1
	scratch_load_b128 v[128:131], off, off offset:400
	scratch_load_b128 v[132:135], off, off offset:416
	s_wait_dscnt 0x0
	v_fmac_f64_e32 v[150:151], v[136:137], v[138:139]
	s_wait_loadcnt 0x5
	s_delay_alu instid0(VALU_DEP_1)
	v_fmac_f64_e32 v[150:151], v[146:147], v[140:141]
	ds_load_2addr_b64 v[136:139], v2 offset0:99 offset1:100
	ds_load_2addr_b64 v[140:143], v2 offset0:101 offset1:102
	scratch_load_b64 v[144:145], off, off offset:432
	s_wait_dscnt 0x1
	v_fmac_f64_e32 v[150:151], v[148:149], v[136:137]
	s_wait_loadcnt 0x5
	s_delay_alu instid0(VALU_DEP_1) | instskip(SKIP_1) | instid1(VALU_DEP_1)
	v_fmac_f64_e32 v[150:151], v[116:117], v[138:139]
	s_wait_dscnt 0x0
	v_fmac_f64_e32 v[150:151], v[118:119], v[140:141]
	ds_load_2addr_b64 v[116:119], v2 offset0:103 offset1:104
	ds_load_2addr_b64 v[136:139], v2 offset0:105 offset1:106
	s_wait_loadcnt 0x4
	v_fmac_f64_e32 v[150:151], v[120:121], v[142:143]
	s_wait_dscnt 0x1
	s_delay_alu instid0(VALU_DEP_1) | instskip(SKIP_1) | instid1(VALU_DEP_1)
	v_fmac_f64_e32 v[150:151], v[122:123], v[116:117]
	s_wait_loadcnt 0x3
	v_fmac_f64_e32 v[150:151], v[124:125], v[118:119]
	ds_load_2addr_b64 v[116:119], v2 offset0:107 offset1:108
	ds_load_2addr_b64 v[120:123], v2 offset0:109 offset1:110
	s_wait_dscnt 0x2
	v_fmac_f64_e32 v[150:151], v[126:127], v[136:137]
	s_wait_loadcnt 0x2
	s_delay_alu instid0(VALU_DEP_1) | instskip(SKIP_1) | instid1(VALU_DEP_1)
	v_fmac_f64_e32 v[150:151], v[128:129], v[138:139]
	s_wait_dscnt 0x1
	v_fmac_f64_e32 v[150:151], v[130:131], v[116:117]
	s_wait_loadcnt 0x1
	s_delay_alu instid0(VALU_DEP_1) | instskip(SKIP_1) | instid1(VALU_DEP_1)
	v_fmac_f64_e32 v[150:151], v[132:133], v[118:119]
	s_wait_dscnt 0x0
	v_fmac_f64_e32 v[150:151], v[134:135], v[120:121]
	s_wait_loadcnt 0x0
	s_delay_alu instid0(VALU_DEP_1) | instskip(NEXT) | instid1(VALU_DEP_1)
	v_fmac_f64_e32 v[150:151], v[144:145], v[122:123]
	v_add_f64_e64 v[2:3], v[114:115], -v[150:151]
	scratch_store_b64 off, v[2:3], off offset:240
	s_wait_xcnt 0x0
	v_cmpx_lt_u32_e32 29, v0
	s_cbranch_execz .LBB54_281
; %bb.280:
	scratch_load_b64 v[2:3], off, off offset:232
	v_mov_b64_e32 v[114:115], 0
	scratch_store_b64 off, v[114:115], off offset:232
	s_wait_loadcnt 0x0
	ds_store_b64 v1, v[2:3]
.LBB54_281:
	s_wait_xcnt 0x0
	s_or_b32 exec_lo, exec_lo, s0
	s_wait_storecnt_dscnt 0x0
	s_barrier_signal -1
	s_barrier_wait -1
	s_clause 0x5
	scratch_load_b128 v[114:117], off, off offset:232
	scratch_load_b128 v[118:121], off, off offset:248
	;; [unrolled: 1-line block ×6, first 2 shown]
	v_mov_b32_e32 v2, 0
	ds_load_b128 v[138:141], v2 offset:688
	ds_load_b128 v[142:145], v2 offset:704
	scratch_load_b128 v[146:149], off, off offset:328
	s_mov_b32 s0, exec_lo
	s_wait_loadcnt_dscnt 0x601
	v_fma_f64 v[150:151], v[116:117], v[138:139], 0
	s_wait_loadcnt 0x5
	s_delay_alu instid0(VALU_DEP_1) | instskip(SKIP_4) | instid1(VALU_DEP_1)
	v_fmac_f64_e32 v[150:151], v[118:119], v[140:141]
	scratch_load_b128 v[116:119], off, off offset:344
	s_wait_dscnt 0x0
	v_fmac_f64_e32 v[150:151], v[120:121], v[142:143]
	s_wait_loadcnt 0x5
	v_fmac_f64_e32 v[150:151], v[122:123], v[144:145]
	ds_load_b128 v[120:123], v2 offset:720
	ds_load_b128 v[138:141], v2 offset:736
	s_wait_dscnt 0x1
	v_fmac_f64_e32 v[150:151], v[124:125], v[120:121]
	s_wait_loadcnt 0x4
	s_delay_alu instid0(VALU_DEP_1)
	v_fmac_f64_e32 v[150:151], v[126:127], v[122:123]
	s_clause 0x1
	scratch_load_b128 v[120:123], off, off offset:360
	scratch_load_b128 v[124:127], off, off offset:376
	s_wait_dscnt 0x0
	v_fmac_f64_e32 v[150:151], v[128:129], v[138:139]
	s_wait_loadcnt 0x5
	s_delay_alu instid0(VALU_DEP_1)
	v_fmac_f64_e32 v[150:151], v[130:131], v[140:141]
	ds_load_b128 v[128:131], v2 offset:752
	ds_load_b128 v[138:141], v2 offset:768
	s_wait_dscnt 0x1
	v_fmac_f64_e32 v[150:151], v[132:133], v[128:129]
	s_wait_loadcnt 0x4
	s_delay_alu instid0(VALU_DEP_1)
	v_fmac_f64_e32 v[150:151], v[134:135], v[130:131]
	s_clause 0x1
	scratch_load_b128 v[128:131], off, off offset:392
	scratch_load_b128 v[132:135], off, off offset:408
	s_wait_dscnt 0x0
	v_fmac_f64_e32 v[150:151], v[136:137], v[138:139]
	s_wait_loadcnt 0x5
	s_delay_alu instid0(VALU_DEP_1)
	v_fmac_f64_e32 v[150:151], v[146:147], v[140:141]
	ds_load_b128 v[136:139], v2 offset:784
	ds_load_b128 v[140:143], v2 offset:800
	s_wait_dscnt 0x1
	v_fmac_f64_e32 v[150:151], v[148:149], v[136:137]
	s_wait_loadcnt 0x4
	s_delay_alu instid0(VALU_DEP_1) | instskip(SKIP_4) | instid1(VALU_DEP_1)
	v_fmac_f64_e32 v[150:151], v[116:117], v[138:139]
	scratch_load_b128 v[136:139], off, off offset:424
	s_wait_dscnt 0x0
	v_fmac_f64_e32 v[150:151], v[118:119], v[140:141]
	s_wait_loadcnt 0x4
	v_fmac_f64_e32 v[150:151], v[120:121], v[142:143]
	ds_load_b128 v[116:119], v2 offset:816
	ds_load_b128 v[140:143], v2 offset:832
	s_wait_dscnt 0x1
	v_fmac_f64_e32 v[150:151], v[122:123], v[116:117]
	s_wait_loadcnt 0x3
	s_delay_alu instid0(VALU_DEP_1)
	v_fmac_f64_e32 v[150:151], v[124:125], v[118:119]
	ds_load_b128 v[116:119], v2 offset:848
	ds_load_b128 v[120:123], v2 offset:864
	s_wait_dscnt 0x2
	v_fmac_f64_e32 v[150:151], v[126:127], v[140:141]
	s_wait_loadcnt 0x2
	s_delay_alu instid0(VALU_DEP_1) | instskip(SKIP_1) | instid1(VALU_DEP_1)
	v_fmac_f64_e32 v[150:151], v[128:129], v[142:143]
	s_wait_dscnt 0x1
	v_fmac_f64_e32 v[150:151], v[130:131], v[116:117]
	ds_load_b64 v[116:117], v2 offset:880
	s_wait_loadcnt 0x1
	v_fmac_f64_e32 v[150:151], v[132:133], v[118:119]
	s_wait_dscnt 0x1
	s_delay_alu instid0(VALU_DEP_1) | instskip(SKIP_1) | instid1(VALU_DEP_1)
	v_fmac_f64_e32 v[150:151], v[134:135], v[120:121]
	s_wait_loadcnt 0x0
	v_fmac_f64_e32 v[150:151], v[136:137], v[122:123]
	s_wait_dscnt 0x0
	s_delay_alu instid0(VALU_DEP_1) | instskip(NEXT) | instid1(VALU_DEP_1)
	v_fmac_f64_e32 v[150:151], v[138:139], v[116:117]
	v_add_f64_e64 v[114:115], v[114:115], -v[150:151]
	scratch_store_b64 off, v[114:115], off offset:232
	s_wait_xcnt 0x0
	v_cmpx_lt_u32_e32 28, v0
	s_cbranch_execz .LBB54_283
; %bb.282:
	scratch_load_b64 v[114:115], off, off offset:224
	v_mov_b64_e32 v[116:117], 0
	scratch_store_b64 off, v[116:117], off offset:224
	s_wait_loadcnt 0x0
	ds_store_b64 v1, v[114:115]
.LBB54_283:
	s_wait_xcnt 0x0
	s_or_b32 exec_lo, exec_lo, s0
	s_wait_storecnt_dscnt 0x0
	s_barrier_signal -1
	s_barrier_wait -1
	s_clause 0x5
	scratch_load_b128 v[114:117], off, off offset:224
	scratch_load_b128 v[118:121], off, off offset:240
	;; [unrolled: 1-line block ×6, first 2 shown]
	ds_load_2addr_b64 v[138:141], v2 offset0:85 offset1:86
	ds_load_2addr_b64 v[142:145], v2 offset0:87 offset1:88
	scratch_load_b128 v[146:149], off, off offset:320
	s_mov_b32 s0, exec_lo
	s_wait_loadcnt_dscnt 0x601
	v_fma_f64 v[150:151], v[116:117], v[138:139], 0
	s_wait_loadcnt 0x5
	s_delay_alu instid0(VALU_DEP_1) | instskip(SKIP_4) | instid1(VALU_DEP_1)
	v_fmac_f64_e32 v[150:151], v[118:119], v[140:141]
	scratch_load_b128 v[116:119], off, off offset:336
	s_wait_dscnt 0x0
	v_fmac_f64_e32 v[150:151], v[120:121], v[142:143]
	s_wait_loadcnt 0x5
	v_fmac_f64_e32 v[150:151], v[122:123], v[144:145]
	ds_load_2addr_b64 v[120:123], v2 offset0:89 offset1:90
	ds_load_2addr_b64 v[138:141], v2 offset0:91 offset1:92
	scratch_load_b128 v[142:145], off, off offset:352
	s_wait_dscnt 0x1
	v_fmac_f64_e32 v[150:151], v[124:125], v[120:121]
	s_wait_loadcnt 0x5
	s_delay_alu instid0(VALU_DEP_1) | instskip(SKIP_4) | instid1(VALU_DEP_1)
	v_fmac_f64_e32 v[150:151], v[126:127], v[122:123]
	scratch_load_b128 v[120:123], off, off offset:368
	s_wait_dscnt 0x0
	v_fmac_f64_e32 v[150:151], v[128:129], v[138:139]
	s_wait_loadcnt 0x5
	v_fmac_f64_e32 v[150:151], v[130:131], v[140:141]
	ds_load_2addr_b64 v[124:127], v2 offset0:93 offset1:94
	ds_load_2addr_b64 v[128:131], v2 offset0:95 offset1:96
	s_wait_dscnt 0x1
	v_fmac_f64_e32 v[150:151], v[132:133], v[124:125]
	s_wait_loadcnt 0x4
	s_delay_alu instid0(VALU_DEP_1) | instskip(SKIP_4) | instid1(VALU_DEP_1)
	v_fmac_f64_e32 v[150:151], v[134:135], v[126:127]
	scratch_load_b128 v[124:127], off, off offset:384
	s_wait_dscnt 0x0
	v_fmac_f64_e32 v[150:151], v[136:137], v[128:129]
	s_wait_loadcnt 0x4
	v_fmac_f64_e32 v[150:151], v[146:147], v[130:131]
	scratch_load_b128 v[128:131], off, off offset:400
	ds_load_2addr_b64 v[132:135], v2 offset0:97 offset1:98
	ds_load_2addr_b64 v[136:139], v2 offset0:99 offset1:100
	scratch_load_b64 v[140:141], off, off offset:432
	s_wait_dscnt 0x1
	v_fmac_f64_e32 v[150:151], v[148:149], v[132:133]
	s_wait_loadcnt 0x5
	s_delay_alu instid0(VALU_DEP_1) | instskip(SKIP_4) | instid1(VALU_DEP_1)
	v_fmac_f64_e32 v[150:151], v[116:117], v[134:135]
	scratch_load_b128 v[132:135], off, off offset:416
	s_wait_dscnt 0x0
	v_fmac_f64_e32 v[150:151], v[118:119], v[136:137]
	s_wait_loadcnt 0x5
	v_fmac_f64_e32 v[150:151], v[142:143], v[138:139]
	ds_load_2addr_b64 v[116:119], v2 offset0:101 offset1:102
	ds_load_2addr_b64 v[136:139], v2 offset0:103 offset1:104
	s_wait_dscnt 0x1
	v_fmac_f64_e32 v[150:151], v[144:145], v[116:117]
	s_wait_loadcnt 0x4
	s_delay_alu instid0(VALU_DEP_1) | instskip(SKIP_1) | instid1(VALU_DEP_1)
	v_fmac_f64_e32 v[150:151], v[120:121], v[118:119]
	s_wait_dscnt 0x0
	v_fmac_f64_e32 v[150:151], v[122:123], v[136:137]
	ds_load_2addr_b64 v[116:119], v2 offset0:105 offset1:106
	ds_load_2addr_b64 v[120:123], v2 offset0:107 offset1:108
	s_wait_loadcnt 0x3
	v_fmac_f64_e32 v[150:151], v[124:125], v[138:139]
	s_wait_dscnt 0x1
	s_delay_alu instid0(VALU_DEP_1) | instskip(SKIP_1) | instid1(VALU_DEP_1)
	v_fmac_f64_e32 v[150:151], v[126:127], v[116:117]
	s_wait_loadcnt 0x2
	v_fmac_f64_e32 v[150:151], v[128:129], v[118:119]
	ds_load_2addr_b64 v[116:119], v2 offset0:109 offset1:110
	s_wait_dscnt 0x1
	v_fmac_f64_e32 v[150:151], v[130:131], v[120:121]
	s_wait_loadcnt 0x0
	s_delay_alu instid0(VALU_DEP_1) | instskip(SKIP_1) | instid1(VALU_DEP_1)
	v_fmac_f64_e32 v[150:151], v[132:133], v[122:123]
	s_wait_dscnt 0x0
	v_fmac_f64_e32 v[150:151], v[134:135], v[116:117]
	s_delay_alu instid0(VALU_DEP_1) | instskip(NEXT) | instid1(VALU_DEP_1)
	v_fmac_f64_e32 v[150:151], v[140:141], v[118:119]
	v_add_f64_e64 v[2:3], v[114:115], -v[150:151]
	scratch_store_b64 off, v[2:3], off offset:224
	s_wait_xcnt 0x0
	v_cmpx_lt_u32_e32 27, v0
	s_cbranch_execz .LBB54_285
; %bb.284:
	scratch_load_b64 v[2:3], off, off offset:216
	v_mov_b64_e32 v[114:115], 0
	scratch_store_b64 off, v[114:115], off offset:216
	s_wait_loadcnt 0x0
	ds_store_b64 v1, v[2:3]
.LBB54_285:
	s_wait_xcnt 0x0
	s_or_b32 exec_lo, exec_lo, s0
	s_wait_storecnt_dscnt 0x0
	s_barrier_signal -1
	s_barrier_wait -1
	s_clause 0x5
	scratch_load_b128 v[114:117], off, off offset:216
	scratch_load_b128 v[118:121], off, off offset:232
	;; [unrolled: 1-line block ×6, first 2 shown]
	v_mov_b32_e32 v2, 0
	ds_load_b128 v[138:141], v2 offset:672
	ds_load_b128 v[142:145], v2 offset:688
	scratch_load_b128 v[146:149], off, off offset:312
	s_mov_b32 s0, exec_lo
	s_wait_loadcnt_dscnt 0x601
	v_fma_f64 v[150:151], v[116:117], v[138:139], 0
	s_wait_loadcnt 0x5
	s_delay_alu instid0(VALU_DEP_1) | instskip(SKIP_4) | instid1(VALU_DEP_1)
	v_fmac_f64_e32 v[150:151], v[118:119], v[140:141]
	scratch_load_b128 v[116:119], off, off offset:328
	s_wait_dscnt 0x0
	v_fmac_f64_e32 v[150:151], v[120:121], v[142:143]
	s_wait_loadcnt 0x5
	v_fmac_f64_e32 v[150:151], v[122:123], v[144:145]
	ds_load_b128 v[120:123], v2 offset:704
	ds_load_b128 v[138:141], v2 offset:720
	scratch_load_b128 v[142:145], off, off offset:344
	s_wait_dscnt 0x1
	v_fmac_f64_e32 v[150:151], v[124:125], v[120:121]
	s_wait_loadcnt 0x5
	s_delay_alu instid0(VALU_DEP_1) | instskip(SKIP_4) | instid1(VALU_DEP_1)
	v_fmac_f64_e32 v[150:151], v[126:127], v[122:123]
	scratch_load_b128 v[120:123], off, off offset:360
	s_wait_dscnt 0x0
	v_fmac_f64_e32 v[150:151], v[128:129], v[138:139]
	s_wait_loadcnt 0x5
	v_fmac_f64_e32 v[150:151], v[130:131], v[140:141]
	ds_load_b128 v[124:127], v2 offset:736
	ds_load_b128 v[128:131], v2 offset:752
	s_wait_dscnt 0x1
	v_fmac_f64_e32 v[150:151], v[132:133], v[124:125]
	s_wait_loadcnt 0x4
	s_delay_alu instid0(VALU_DEP_1) | instskip(SKIP_4) | instid1(VALU_DEP_1)
	v_fmac_f64_e32 v[150:151], v[134:135], v[126:127]
	scratch_load_b128 v[124:127], off, off offset:376
	s_wait_dscnt 0x0
	v_fmac_f64_e32 v[150:151], v[136:137], v[128:129]
	s_wait_loadcnt 0x4
	v_fmac_f64_e32 v[150:151], v[146:147], v[130:131]
	scratch_load_b128 v[128:131], off, off offset:392
	ds_load_b128 v[132:135], v2 offset:768
	ds_load_b128 v[136:139], v2 offset:784
	s_wait_dscnt 0x1
	v_fmac_f64_e32 v[150:151], v[148:149], v[132:133]
	s_wait_loadcnt 0x4
	s_delay_alu instid0(VALU_DEP_1)
	v_fmac_f64_e32 v[150:151], v[116:117], v[134:135]
	scratch_load_b128 v[132:135], off, off offset:408
	s_wait_dscnt 0x0
	v_fmac_f64_e32 v[150:151], v[118:119], v[136:137]
	scratch_load_b128 v[116:119], off, off offset:424
	s_wait_loadcnt 0x5
	v_fmac_f64_e32 v[150:151], v[142:143], v[138:139]
	ds_load_b128 v[136:139], v2 offset:800
	ds_load_b128 v[140:143], v2 offset:816
	s_wait_dscnt 0x1
	v_fmac_f64_e32 v[150:151], v[144:145], v[136:137]
	s_wait_loadcnt 0x4
	s_delay_alu instid0(VALU_DEP_1) | instskip(SKIP_1) | instid1(VALU_DEP_1)
	v_fmac_f64_e32 v[150:151], v[120:121], v[138:139]
	s_wait_dscnt 0x0
	v_fmac_f64_e32 v[150:151], v[122:123], v[140:141]
	ds_load_b128 v[120:123], v2 offset:832
	ds_load_b128 v[136:139], v2 offset:848
	s_wait_loadcnt 0x3
	v_fmac_f64_e32 v[150:151], v[124:125], v[142:143]
	s_wait_dscnt 0x1
	s_delay_alu instid0(VALU_DEP_1) | instskip(SKIP_1) | instid1(VALU_DEP_1)
	v_fmac_f64_e32 v[150:151], v[126:127], v[120:121]
	s_wait_loadcnt 0x2
	v_fmac_f64_e32 v[150:151], v[128:129], v[122:123]
	ds_load_b128 v[120:123], v2 offset:864
	ds_load_b64 v[124:125], v2 offset:880
	s_wait_dscnt 0x2
	v_fmac_f64_e32 v[150:151], v[130:131], v[136:137]
	s_wait_loadcnt 0x1
	s_delay_alu instid0(VALU_DEP_1) | instskip(SKIP_1) | instid1(VALU_DEP_1)
	v_fmac_f64_e32 v[150:151], v[132:133], v[138:139]
	s_wait_dscnt 0x1
	v_fmac_f64_e32 v[150:151], v[134:135], v[120:121]
	s_wait_loadcnt 0x0
	s_delay_alu instid0(VALU_DEP_1) | instskip(SKIP_1) | instid1(VALU_DEP_1)
	v_fmac_f64_e32 v[150:151], v[116:117], v[122:123]
	s_wait_dscnt 0x0
	v_fmac_f64_e32 v[150:151], v[118:119], v[124:125]
	s_delay_alu instid0(VALU_DEP_1)
	v_add_f64_e64 v[114:115], v[114:115], -v[150:151]
	scratch_store_b64 off, v[114:115], off offset:216
	s_wait_xcnt 0x0
	v_cmpx_lt_u32_e32 26, v0
	s_cbranch_execz .LBB54_287
; %bb.286:
	scratch_load_b64 v[114:115], off, off offset:208
	v_mov_b64_e32 v[116:117], 0
	scratch_store_b64 off, v[116:117], off offset:208
	s_wait_loadcnt 0x0
	ds_store_b64 v1, v[114:115]
.LBB54_287:
	s_wait_xcnt 0x0
	s_or_b32 exec_lo, exec_lo, s0
	s_wait_storecnt_dscnt 0x0
	s_barrier_signal -1
	s_barrier_wait -1
	s_clause 0x5
	scratch_load_b128 v[114:117], off, off offset:208
	scratch_load_b128 v[118:121], off, off offset:224
	scratch_load_b128 v[122:125], off, off offset:240
	scratch_load_b128 v[126:129], off, off offset:256
	scratch_load_b128 v[130:133], off, off offset:272
	scratch_load_b128 v[134:137], off, off offset:288
	ds_load_2addr_b64 v[138:141], v2 offset0:83 offset1:84
	ds_load_2addr_b64 v[142:145], v2 offset0:85 offset1:86
	scratch_load_b128 v[146:149], off, off offset:304
	s_mov_b32 s0, exec_lo
	s_wait_loadcnt_dscnt 0x601
	v_fma_f64 v[150:151], v[116:117], v[138:139], 0
	s_wait_loadcnt 0x5
	s_delay_alu instid0(VALU_DEP_1) | instskip(SKIP_4) | instid1(VALU_DEP_1)
	v_fmac_f64_e32 v[150:151], v[118:119], v[140:141]
	scratch_load_b128 v[116:119], off, off offset:320
	s_wait_dscnt 0x0
	v_fmac_f64_e32 v[150:151], v[120:121], v[142:143]
	s_wait_loadcnt 0x5
	v_fmac_f64_e32 v[150:151], v[122:123], v[144:145]
	ds_load_2addr_b64 v[120:123], v2 offset0:87 offset1:88
	ds_load_2addr_b64 v[138:141], v2 offset0:89 offset1:90
	scratch_load_b128 v[142:145], off, off offset:336
	s_wait_dscnt 0x1
	v_fmac_f64_e32 v[150:151], v[124:125], v[120:121]
	s_wait_loadcnt 0x5
	s_delay_alu instid0(VALU_DEP_1) | instskip(SKIP_4) | instid1(VALU_DEP_1)
	v_fmac_f64_e32 v[150:151], v[126:127], v[122:123]
	scratch_load_b128 v[120:123], off, off offset:352
	s_wait_dscnt 0x0
	v_fmac_f64_e32 v[150:151], v[128:129], v[138:139]
	s_wait_loadcnt 0x5
	v_fmac_f64_e32 v[150:151], v[130:131], v[140:141]
	ds_load_2addr_b64 v[124:127], v2 offset0:91 offset1:92
	ds_load_2addr_b64 v[128:131], v2 offset0:93 offset1:94
	s_wait_dscnt 0x1
	v_fmac_f64_e32 v[150:151], v[132:133], v[124:125]
	s_wait_loadcnt 0x4
	s_delay_alu instid0(VALU_DEP_1) | instskip(SKIP_4) | instid1(VALU_DEP_1)
	v_fmac_f64_e32 v[150:151], v[134:135], v[126:127]
	scratch_load_b128 v[124:127], off, off offset:368
	s_wait_dscnt 0x0
	v_fmac_f64_e32 v[150:151], v[136:137], v[128:129]
	s_wait_loadcnt 0x4
	v_fmac_f64_e32 v[150:151], v[146:147], v[130:131]
	scratch_load_b128 v[128:131], off, off offset:384
	ds_load_2addr_b64 v[132:135], v2 offset0:95 offset1:96
	ds_load_2addr_b64 v[136:139], v2 offset0:97 offset1:98
	s_wait_dscnt 0x1
	v_fmac_f64_e32 v[150:151], v[148:149], v[132:133]
	s_wait_loadcnt 0x4
	s_delay_alu instid0(VALU_DEP_1)
	v_fmac_f64_e32 v[150:151], v[116:117], v[134:135]
	scratch_load_b128 v[132:135], off, off offset:400
	s_wait_dscnt 0x0
	v_fmac_f64_e32 v[150:151], v[118:119], v[136:137]
	scratch_load_b128 v[116:119], off, off offset:416
	s_wait_loadcnt 0x5
	v_fmac_f64_e32 v[150:151], v[142:143], v[138:139]
	ds_load_2addr_b64 v[136:139], v2 offset0:99 offset1:100
	ds_load_2addr_b64 v[140:143], v2 offset0:101 offset1:102
	s_wait_dscnt 0x1
	v_fmac_f64_e32 v[150:151], v[144:145], v[136:137]
	scratch_load_b64 v[144:145], off, off offset:432
	s_wait_loadcnt 0x5
	v_fmac_f64_e32 v[150:151], v[120:121], v[138:139]
	s_wait_dscnt 0x0
	s_delay_alu instid0(VALU_DEP_1)
	v_fmac_f64_e32 v[150:151], v[122:123], v[140:141]
	ds_load_2addr_b64 v[120:123], v2 offset0:103 offset1:104
	ds_load_2addr_b64 v[136:139], v2 offset0:105 offset1:106
	s_wait_loadcnt 0x4
	v_fmac_f64_e32 v[150:151], v[124:125], v[142:143]
	s_wait_dscnt 0x1
	s_delay_alu instid0(VALU_DEP_1) | instskip(SKIP_1) | instid1(VALU_DEP_1)
	v_fmac_f64_e32 v[150:151], v[126:127], v[120:121]
	s_wait_loadcnt 0x3
	v_fmac_f64_e32 v[150:151], v[128:129], v[122:123]
	ds_load_2addr_b64 v[120:123], v2 offset0:107 offset1:108
	ds_load_2addr_b64 v[124:127], v2 offset0:109 offset1:110
	s_wait_dscnt 0x2
	v_fmac_f64_e32 v[150:151], v[130:131], v[136:137]
	s_wait_loadcnt 0x2
	s_delay_alu instid0(VALU_DEP_1) | instskip(SKIP_1) | instid1(VALU_DEP_1)
	v_fmac_f64_e32 v[150:151], v[132:133], v[138:139]
	s_wait_dscnt 0x1
	v_fmac_f64_e32 v[150:151], v[134:135], v[120:121]
	s_wait_loadcnt 0x1
	s_delay_alu instid0(VALU_DEP_1) | instskip(SKIP_1) | instid1(VALU_DEP_1)
	v_fmac_f64_e32 v[150:151], v[116:117], v[122:123]
	s_wait_dscnt 0x0
	v_fmac_f64_e32 v[150:151], v[118:119], v[124:125]
	s_wait_loadcnt 0x0
	s_delay_alu instid0(VALU_DEP_1) | instskip(NEXT) | instid1(VALU_DEP_1)
	v_fmac_f64_e32 v[150:151], v[144:145], v[126:127]
	v_add_f64_e64 v[2:3], v[114:115], -v[150:151]
	scratch_store_b64 off, v[2:3], off offset:208
	s_wait_xcnt 0x0
	v_cmpx_lt_u32_e32 25, v0
	s_cbranch_execz .LBB54_289
; %bb.288:
	scratch_load_b64 v[2:3], off, off offset:200
	v_mov_b64_e32 v[114:115], 0
	scratch_store_b64 off, v[114:115], off offset:200
	s_wait_loadcnt 0x0
	ds_store_b64 v1, v[2:3]
.LBB54_289:
	s_wait_xcnt 0x0
	s_or_b32 exec_lo, exec_lo, s0
	s_wait_storecnt_dscnt 0x0
	s_barrier_signal -1
	s_barrier_wait -1
	s_clause 0x5
	scratch_load_b128 v[114:117], off, off offset:200
	scratch_load_b128 v[118:121], off, off offset:216
	;; [unrolled: 1-line block ×6, first 2 shown]
	v_mov_b32_e32 v2, 0
	ds_load_b128 v[138:141], v2 offset:656
	ds_load_b128 v[142:145], v2 offset:672
	scratch_load_b128 v[146:149], off, off offset:296
	s_mov_b32 s0, exec_lo
	s_wait_loadcnt_dscnt 0x601
	v_fma_f64 v[150:151], v[116:117], v[138:139], 0
	s_wait_loadcnt 0x5
	s_delay_alu instid0(VALU_DEP_1) | instskip(SKIP_4) | instid1(VALU_DEP_1)
	v_fmac_f64_e32 v[150:151], v[118:119], v[140:141]
	scratch_load_b128 v[116:119], off, off offset:312
	s_wait_dscnt 0x0
	v_fmac_f64_e32 v[150:151], v[120:121], v[142:143]
	s_wait_loadcnt 0x5
	v_fmac_f64_e32 v[150:151], v[122:123], v[144:145]
	ds_load_b128 v[120:123], v2 offset:688
	ds_load_b128 v[138:141], v2 offset:704
	scratch_load_b128 v[142:145], off, off offset:328
	s_wait_dscnt 0x1
	v_fmac_f64_e32 v[150:151], v[124:125], v[120:121]
	s_wait_loadcnt 0x5
	s_delay_alu instid0(VALU_DEP_1) | instskip(SKIP_4) | instid1(VALU_DEP_1)
	v_fmac_f64_e32 v[150:151], v[126:127], v[122:123]
	scratch_load_b128 v[120:123], off, off offset:344
	s_wait_dscnt 0x0
	v_fmac_f64_e32 v[150:151], v[128:129], v[138:139]
	s_wait_loadcnt 0x5
	v_fmac_f64_e32 v[150:151], v[130:131], v[140:141]
	ds_load_b128 v[124:127], v2 offset:720
	ds_load_b128 v[128:131], v2 offset:736
	s_wait_dscnt 0x1
	v_fmac_f64_e32 v[150:151], v[132:133], v[124:125]
	s_wait_loadcnt 0x4
	s_delay_alu instid0(VALU_DEP_1) | instskip(SKIP_4) | instid1(VALU_DEP_1)
	v_fmac_f64_e32 v[150:151], v[134:135], v[126:127]
	scratch_load_b128 v[124:127], off, off offset:360
	s_wait_dscnt 0x0
	v_fmac_f64_e32 v[150:151], v[136:137], v[128:129]
	s_wait_loadcnt 0x4
	v_fmac_f64_e32 v[150:151], v[146:147], v[130:131]
	scratch_load_b128 v[128:131], off, off offset:376
	ds_load_b128 v[132:135], v2 offset:752
	ds_load_b128 v[136:139], v2 offset:768
	s_wait_dscnt 0x1
	v_fmac_f64_e32 v[150:151], v[148:149], v[132:133]
	s_wait_loadcnt 0x4
	s_delay_alu instid0(VALU_DEP_1)
	v_fmac_f64_e32 v[150:151], v[116:117], v[134:135]
	scratch_load_b128 v[132:135], off, off offset:392
	s_wait_dscnt 0x0
	v_fmac_f64_e32 v[150:151], v[118:119], v[136:137]
	scratch_load_b128 v[116:119], off, off offset:408
	s_wait_loadcnt 0x5
	v_fmac_f64_e32 v[150:151], v[142:143], v[138:139]
	ds_load_b128 v[136:139], v2 offset:784
	ds_load_b128 v[140:143], v2 offset:800
	s_wait_dscnt 0x1
	v_fmac_f64_e32 v[150:151], v[144:145], v[136:137]
	s_wait_loadcnt 0x4
	s_delay_alu instid0(VALU_DEP_1) | instskip(SKIP_4) | instid1(VALU_DEP_1)
	v_fmac_f64_e32 v[150:151], v[120:121], v[138:139]
	scratch_load_b128 v[136:139], off, off offset:424
	s_wait_dscnt 0x0
	v_fmac_f64_e32 v[150:151], v[122:123], v[140:141]
	s_wait_loadcnt 0x4
	v_fmac_f64_e32 v[150:151], v[124:125], v[142:143]
	ds_load_b128 v[120:123], v2 offset:816
	ds_load_b128 v[140:143], v2 offset:832
	s_wait_dscnt 0x1
	v_fmac_f64_e32 v[150:151], v[126:127], v[120:121]
	s_wait_loadcnt 0x3
	s_delay_alu instid0(VALU_DEP_1)
	v_fmac_f64_e32 v[150:151], v[128:129], v[122:123]
	ds_load_b128 v[120:123], v2 offset:848
	ds_load_b128 v[124:127], v2 offset:864
	s_wait_dscnt 0x2
	v_fmac_f64_e32 v[150:151], v[130:131], v[140:141]
	s_wait_loadcnt 0x2
	s_delay_alu instid0(VALU_DEP_1) | instskip(SKIP_1) | instid1(VALU_DEP_1)
	v_fmac_f64_e32 v[150:151], v[132:133], v[142:143]
	s_wait_dscnt 0x1
	v_fmac_f64_e32 v[150:151], v[134:135], v[120:121]
	s_wait_loadcnt 0x1
	s_delay_alu instid0(VALU_DEP_1) | instskip(SKIP_4) | instid1(VALU_DEP_1)
	v_fmac_f64_e32 v[150:151], v[116:117], v[122:123]
	ds_load_b64 v[116:117], v2 offset:880
	s_wait_dscnt 0x1
	v_fmac_f64_e32 v[150:151], v[118:119], v[124:125]
	s_wait_loadcnt 0x0
	v_fmac_f64_e32 v[150:151], v[136:137], v[126:127]
	s_wait_dscnt 0x0
	s_delay_alu instid0(VALU_DEP_1) | instskip(NEXT) | instid1(VALU_DEP_1)
	v_fmac_f64_e32 v[150:151], v[138:139], v[116:117]
	v_add_f64_e64 v[114:115], v[114:115], -v[150:151]
	scratch_store_b64 off, v[114:115], off offset:200
	s_wait_xcnt 0x0
	v_cmpx_lt_u32_e32 24, v0
	s_cbranch_execz .LBB54_291
; %bb.290:
	scratch_load_b64 v[114:115], off, off offset:192
	v_mov_b64_e32 v[116:117], 0
	scratch_store_b64 off, v[116:117], off offset:192
	s_wait_loadcnt 0x0
	ds_store_b64 v1, v[114:115]
.LBB54_291:
	s_wait_xcnt 0x0
	s_or_b32 exec_lo, exec_lo, s0
	s_wait_storecnt_dscnt 0x0
	s_barrier_signal -1
	s_barrier_wait -1
	s_clause 0x5
	scratch_load_b128 v[114:117], off, off offset:192
	scratch_load_b128 v[118:121], off, off offset:208
	;; [unrolled: 1-line block ×6, first 2 shown]
	ds_load_2addr_b64 v[138:141], v2 offset0:81 offset1:82
	ds_load_2addr_b64 v[142:145], v2 offset0:83 offset1:84
	scratch_load_b128 v[146:149], off, off offset:288
	s_mov_b32 s0, exec_lo
	s_wait_loadcnt_dscnt 0x601
	v_fma_f64 v[150:151], v[116:117], v[138:139], 0
	s_wait_loadcnt 0x5
	s_delay_alu instid0(VALU_DEP_1) | instskip(SKIP_4) | instid1(VALU_DEP_1)
	v_fmac_f64_e32 v[150:151], v[118:119], v[140:141]
	scratch_load_b128 v[116:119], off, off offset:304
	s_wait_dscnt 0x0
	v_fmac_f64_e32 v[150:151], v[120:121], v[142:143]
	s_wait_loadcnt 0x5
	v_fmac_f64_e32 v[150:151], v[122:123], v[144:145]
	ds_load_2addr_b64 v[120:123], v2 offset0:85 offset1:86
	ds_load_2addr_b64 v[138:141], v2 offset0:87 offset1:88
	scratch_load_b128 v[142:145], off, off offset:320
	s_wait_dscnt 0x1
	v_fmac_f64_e32 v[150:151], v[124:125], v[120:121]
	s_wait_loadcnt 0x5
	s_delay_alu instid0(VALU_DEP_1) | instskip(SKIP_4) | instid1(VALU_DEP_1)
	v_fmac_f64_e32 v[150:151], v[126:127], v[122:123]
	scratch_load_b128 v[120:123], off, off offset:336
	s_wait_dscnt 0x0
	v_fmac_f64_e32 v[150:151], v[128:129], v[138:139]
	s_wait_loadcnt 0x5
	v_fmac_f64_e32 v[150:151], v[130:131], v[140:141]
	ds_load_2addr_b64 v[124:127], v2 offset0:89 offset1:90
	ds_load_2addr_b64 v[128:131], v2 offset0:91 offset1:92
	scratch_load_b128 v[138:141], off, off offset:352
	s_wait_dscnt 0x1
	v_fmac_f64_e32 v[150:151], v[132:133], v[124:125]
	s_wait_loadcnt 0x5
	s_delay_alu instid0(VALU_DEP_1) | instskip(SKIP_4) | instid1(VALU_DEP_1)
	v_fmac_f64_e32 v[150:151], v[134:135], v[126:127]
	scratch_load_b128 v[124:127], off, off offset:368
	s_wait_dscnt 0x0
	v_fmac_f64_e32 v[150:151], v[136:137], v[128:129]
	s_wait_loadcnt 0x5
	v_fmac_f64_e32 v[150:151], v[146:147], v[130:131]
	ds_load_2addr_b64 v[128:131], v2 offset0:93 offset1:94
	ds_load_2addr_b64 v[132:135], v2 offset0:95 offset1:96
	s_wait_dscnt 0x1
	v_fmac_f64_e32 v[150:151], v[148:149], v[128:129]
	s_wait_loadcnt 0x4
	s_delay_alu instid0(VALU_DEP_1)
	v_fmac_f64_e32 v[150:151], v[116:117], v[130:131]
	scratch_load_b128 v[128:131], off, off offset:384
	s_wait_dscnt 0x0
	v_fmac_f64_e32 v[150:151], v[118:119], v[132:133]
	scratch_load_b128 v[116:119], off, off offset:400
	s_wait_loadcnt 0x5
	v_fmac_f64_e32 v[150:151], v[142:143], v[134:135]
	ds_load_2addr_b64 v[132:135], v2 offset0:97 offset1:98
	ds_load_2addr_b64 v[146:149], v2 offset0:99 offset1:100
	scratch_load_b64 v[142:143], off, off offset:432
	s_wait_dscnt 0x1
	v_fmac_f64_e32 v[150:151], v[144:145], v[132:133]
	s_wait_loadcnt 0x5
	s_delay_alu instid0(VALU_DEP_1) | instskip(SKIP_4) | instid1(VALU_DEP_1)
	v_fmac_f64_e32 v[150:151], v[120:121], v[134:135]
	scratch_load_b128 v[132:135], off, off offset:416
	s_wait_dscnt 0x0
	v_fmac_f64_e32 v[150:151], v[122:123], v[146:147]
	s_wait_loadcnt 0x5
	v_fmac_f64_e32 v[150:151], v[138:139], v[148:149]
	ds_load_2addr_b64 v[120:123], v2 offset0:101 offset1:102
	ds_load_2addr_b64 v[136:139], v2 offset0:103 offset1:104
	s_wait_dscnt 0x1
	v_fmac_f64_e32 v[150:151], v[140:141], v[120:121]
	s_wait_loadcnt 0x4
	s_delay_alu instid0(VALU_DEP_1) | instskip(SKIP_1) | instid1(VALU_DEP_1)
	v_fmac_f64_e32 v[150:151], v[124:125], v[122:123]
	s_wait_dscnt 0x0
	v_fmac_f64_e32 v[150:151], v[126:127], v[136:137]
	ds_load_2addr_b64 v[120:123], v2 offset0:105 offset1:106
	ds_load_2addr_b64 v[124:127], v2 offset0:107 offset1:108
	s_wait_loadcnt 0x3
	v_fmac_f64_e32 v[150:151], v[128:129], v[138:139]
	s_wait_dscnt 0x1
	s_delay_alu instid0(VALU_DEP_1) | instskip(SKIP_1) | instid1(VALU_DEP_1)
	v_fmac_f64_e32 v[150:151], v[130:131], v[120:121]
	s_wait_loadcnt 0x2
	v_fmac_f64_e32 v[150:151], v[116:117], v[122:123]
	s_wait_dscnt 0x0
	s_delay_alu instid0(VALU_DEP_1) | instskip(SKIP_4) | instid1(VALU_DEP_1)
	v_fmac_f64_e32 v[150:151], v[118:119], v[124:125]
	ds_load_2addr_b64 v[116:119], v2 offset0:109 offset1:110
	s_wait_loadcnt 0x0
	v_fmac_f64_e32 v[150:151], v[132:133], v[126:127]
	s_wait_dscnt 0x0
	v_fmac_f64_e32 v[150:151], v[134:135], v[116:117]
	s_delay_alu instid0(VALU_DEP_1) | instskip(NEXT) | instid1(VALU_DEP_1)
	v_fmac_f64_e32 v[150:151], v[142:143], v[118:119]
	v_add_f64_e64 v[2:3], v[114:115], -v[150:151]
	scratch_store_b64 off, v[2:3], off offset:192
	s_wait_xcnt 0x0
	v_cmpx_lt_u32_e32 23, v0
	s_cbranch_execz .LBB54_293
; %bb.292:
	scratch_load_b64 v[2:3], off, off offset:184
	v_mov_b64_e32 v[114:115], 0
	scratch_store_b64 off, v[114:115], off offset:184
	s_wait_loadcnt 0x0
	ds_store_b64 v1, v[2:3]
.LBB54_293:
	s_wait_xcnt 0x0
	s_or_b32 exec_lo, exec_lo, s0
	s_wait_storecnt_dscnt 0x0
	s_barrier_signal -1
	s_barrier_wait -1
	s_clause 0x5
	scratch_load_b128 v[114:117], off, off offset:184
	scratch_load_b128 v[118:121], off, off offset:200
	;; [unrolled: 1-line block ×6, first 2 shown]
	v_mov_b32_e32 v2, 0
	ds_load_b128 v[138:141], v2 offset:640
	ds_load_b128 v[142:145], v2 offset:656
	scratch_load_b128 v[146:149], off, off offset:280
	s_mov_b32 s0, exec_lo
	s_wait_loadcnt_dscnt 0x601
	v_fma_f64 v[150:151], v[116:117], v[138:139], 0
	s_wait_loadcnt 0x5
	s_delay_alu instid0(VALU_DEP_1) | instskip(SKIP_4) | instid1(VALU_DEP_1)
	v_fmac_f64_e32 v[150:151], v[118:119], v[140:141]
	scratch_load_b128 v[116:119], off, off offset:296
	s_wait_dscnt 0x0
	v_fmac_f64_e32 v[150:151], v[120:121], v[142:143]
	s_wait_loadcnt 0x5
	v_fmac_f64_e32 v[150:151], v[122:123], v[144:145]
	ds_load_b128 v[120:123], v2 offset:672
	ds_load_b128 v[138:141], v2 offset:688
	scratch_load_b128 v[142:145], off, off offset:312
	s_wait_dscnt 0x1
	v_fmac_f64_e32 v[150:151], v[124:125], v[120:121]
	s_wait_loadcnt 0x5
	s_delay_alu instid0(VALU_DEP_1) | instskip(SKIP_4) | instid1(VALU_DEP_1)
	v_fmac_f64_e32 v[150:151], v[126:127], v[122:123]
	scratch_load_b128 v[120:123], off, off offset:328
	s_wait_dscnt 0x0
	v_fmac_f64_e32 v[150:151], v[128:129], v[138:139]
	s_wait_loadcnt 0x5
	v_fmac_f64_e32 v[150:151], v[130:131], v[140:141]
	ds_load_b128 v[124:127], v2 offset:704
	ds_load_b128 v[128:131], v2 offset:720
	scratch_load_b128 v[138:141], off, off offset:344
	s_wait_dscnt 0x1
	v_fmac_f64_e32 v[150:151], v[132:133], v[124:125]
	s_wait_loadcnt 0x5
	s_delay_alu instid0(VALU_DEP_1) | instskip(SKIP_4) | instid1(VALU_DEP_1)
	v_fmac_f64_e32 v[150:151], v[134:135], v[126:127]
	scratch_load_b128 v[124:127], off, off offset:360
	s_wait_dscnt 0x0
	v_fmac_f64_e32 v[150:151], v[136:137], v[128:129]
	s_wait_loadcnt 0x5
	v_fmac_f64_e32 v[150:151], v[146:147], v[130:131]
	ds_load_b128 v[128:131], v2 offset:736
	ds_load_b128 v[132:135], v2 offset:752
	s_wait_dscnt 0x1
	v_fmac_f64_e32 v[150:151], v[148:149], v[128:129]
	s_wait_loadcnt 0x4
	s_delay_alu instid0(VALU_DEP_1)
	v_fmac_f64_e32 v[150:151], v[116:117], v[130:131]
	scratch_load_b128 v[128:131], off, off offset:376
	s_wait_dscnt 0x0
	v_fmac_f64_e32 v[150:151], v[118:119], v[132:133]
	scratch_load_b128 v[116:119], off, off offset:392
	s_wait_loadcnt 0x5
	v_fmac_f64_e32 v[150:151], v[142:143], v[134:135]
	ds_load_b128 v[132:135], v2 offset:768
	ds_load_b128 v[146:149], v2 offset:784
	s_wait_dscnt 0x1
	v_fmac_f64_e32 v[150:151], v[144:145], v[132:133]
	s_wait_loadcnt 0x4
	s_delay_alu instid0(VALU_DEP_1)
	v_fmac_f64_e32 v[150:151], v[120:121], v[134:135]
	scratch_load_b128 v[132:135], off, off offset:408
	s_wait_dscnt 0x0
	v_fmac_f64_e32 v[150:151], v[122:123], v[146:147]
	scratch_load_b128 v[120:123], off, off offset:424
	s_wait_loadcnt 0x5
	v_fmac_f64_e32 v[150:151], v[138:139], v[148:149]
	ds_load_b128 v[136:139], v2 offset:800
	ds_load_b128 v[142:145], v2 offset:816
	s_wait_dscnt 0x1
	v_fmac_f64_e32 v[150:151], v[140:141], v[136:137]
	s_wait_loadcnt 0x4
	s_delay_alu instid0(VALU_DEP_1) | instskip(SKIP_1) | instid1(VALU_DEP_1)
	v_fmac_f64_e32 v[150:151], v[124:125], v[138:139]
	s_wait_dscnt 0x0
	v_fmac_f64_e32 v[150:151], v[126:127], v[142:143]
	ds_load_b128 v[124:127], v2 offset:832
	ds_load_b128 v[136:139], v2 offset:848
	s_wait_loadcnt 0x3
	v_fmac_f64_e32 v[150:151], v[128:129], v[144:145]
	s_wait_dscnt 0x1
	s_delay_alu instid0(VALU_DEP_1) | instskip(SKIP_1) | instid1(VALU_DEP_1)
	v_fmac_f64_e32 v[150:151], v[130:131], v[124:125]
	s_wait_loadcnt 0x2
	v_fmac_f64_e32 v[150:151], v[116:117], v[126:127]
	s_wait_dscnt 0x0
	s_delay_alu instid0(VALU_DEP_1)
	v_fmac_f64_e32 v[150:151], v[118:119], v[136:137]
	ds_load_b128 v[116:119], v2 offset:864
	ds_load_b64 v[124:125], v2 offset:880
	s_wait_loadcnt 0x1
	v_fmac_f64_e32 v[150:151], v[132:133], v[138:139]
	s_wait_dscnt 0x1
	s_delay_alu instid0(VALU_DEP_1) | instskip(SKIP_1) | instid1(VALU_DEP_1)
	v_fmac_f64_e32 v[150:151], v[134:135], v[116:117]
	s_wait_loadcnt 0x0
	v_fmac_f64_e32 v[150:151], v[120:121], v[118:119]
	s_wait_dscnt 0x0
	s_delay_alu instid0(VALU_DEP_1) | instskip(NEXT) | instid1(VALU_DEP_1)
	v_fmac_f64_e32 v[150:151], v[122:123], v[124:125]
	v_add_f64_e64 v[114:115], v[114:115], -v[150:151]
	scratch_store_b64 off, v[114:115], off offset:184
	s_wait_xcnt 0x0
	v_cmpx_lt_u32_e32 22, v0
	s_cbranch_execz .LBB54_295
; %bb.294:
	scratch_load_b64 v[114:115], off, off offset:176
	v_mov_b64_e32 v[116:117], 0
	scratch_store_b64 off, v[116:117], off offset:176
	s_wait_loadcnt 0x0
	ds_store_b64 v1, v[114:115]
.LBB54_295:
	s_wait_xcnt 0x0
	s_or_b32 exec_lo, exec_lo, s0
	s_wait_storecnt_dscnt 0x0
	s_barrier_signal -1
	s_barrier_wait -1
	s_clause 0x5
	scratch_load_b128 v[114:117], off, off offset:176
	scratch_load_b128 v[118:121], off, off offset:192
	;; [unrolled: 1-line block ×6, first 2 shown]
	ds_load_2addr_b64 v[138:141], v2 offset0:79 offset1:80
	ds_load_2addr_b64 v[142:145], v2 offset0:81 offset1:82
	scratch_load_b128 v[146:149], off, off offset:272
	s_mov_b32 s0, exec_lo
	s_wait_loadcnt_dscnt 0x601
	v_fma_f64 v[150:151], v[116:117], v[138:139], 0
	s_wait_loadcnt 0x5
	s_delay_alu instid0(VALU_DEP_1) | instskip(SKIP_4) | instid1(VALU_DEP_1)
	v_fmac_f64_e32 v[150:151], v[118:119], v[140:141]
	scratch_load_b128 v[116:119], off, off offset:288
	s_wait_dscnt 0x0
	v_fmac_f64_e32 v[150:151], v[120:121], v[142:143]
	s_wait_loadcnt 0x5
	v_fmac_f64_e32 v[150:151], v[122:123], v[144:145]
	ds_load_2addr_b64 v[120:123], v2 offset0:83 offset1:84
	ds_load_2addr_b64 v[138:141], v2 offset0:85 offset1:86
	scratch_load_b128 v[142:145], off, off offset:304
	s_wait_dscnt 0x1
	v_fmac_f64_e32 v[150:151], v[124:125], v[120:121]
	s_wait_loadcnt 0x5
	s_delay_alu instid0(VALU_DEP_1) | instskip(SKIP_4) | instid1(VALU_DEP_1)
	v_fmac_f64_e32 v[150:151], v[126:127], v[122:123]
	scratch_load_b128 v[120:123], off, off offset:320
	s_wait_dscnt 0x0
	v_fmac_f64_e32 v[150:151], v[128:129], v[138:139]
	s_wait_loadcnt 0x5
	v_fmac_f64_e32 v[150:151], v[130:131], v[140:141]
	ds_load_2addr_b64 v[124:127], v2 offset0:87 offset1:88
	ds_load_2addr_b64 v[128:131], v2 offset0:89 offset1:90
	scratch_load_b128 v[138:141], off, off offset:336
	s_wait_dscnt 0x1
	v_fmac_f64_e32 v[150:151], v[132:133], v[124:125]
	s_wait_loadcnt 0x5
	s_delay_alu instid0(VALU_DEP_1) | instskip(SKIP_4) | instid1(VALU_DEP_1)
	v_fmac_f64_e32 v[150:151], v[134:135], v[126:127]
	scratch_load_b128 v[124:127], off, off offset:352
	s_wait_dscnt 0x0
	v_fmac_f64_e32 v[150:151], v[136:137], v[128:129]
	s_wait_loadcnt 0x5
	v_fmac_f64_e32 v[150:151], v[146:147], v[130:131]
	ds_load_2addr_b64 v[128:131], v2 offset0:91 offset1:92
	ds_load_2addr_b64 v[132:135], v2 offset0:93 offset1:94
	s_wait_dscnt 0x1
	v_fmac_f64_e32 v[150:151], v[148:149], v[128:129]
	s_wait_loadcnt 0x4
	s_delay_alu instid0(VALU_DEP_1)
	v_fmac_f64_e32 v[150:151], v[116:117], v[130:131]
	scratch_load_b128 v[128:131], off, off offset:368
	s_wait_dscnt 0x0
	v_fmac_f64_e32 v[150:151], v[118:119], v[132:133]
	scratch_load_b128 v[116:119], off, off offset:384
	s_wait_loadcnt 0x5
	v_fmac_f64_e32 v[150:151], v[142:143], v[134:135]
	ds_load_2addr_b64 v[132:135], v2 offset0:95 offset1:96
	ds_load_2addr_b64 v[146:149], v2 offset0:97 offset1:98
	s_wait_dscnt 0x1
	v_fmac_f64_e32 v[150:151], v[144:145], v[132:133]
	s_wait_loadcnt 0x4
	s_delay_alu instid0(VALU_DEP_1)
	v_fmac_f64_e32 v[150:151], v[120:121], v[134:135]
	scratch_load_b128 v[132:135], off, off offset:400
	s_wait_dscnt 0x0
	v_fmac_f64_e32 v[150:151], v[122:123], v[146:147]
	scratch_load_b128 v[120:123], off, off offset:416
	s_wait_loadcnt 0x5
	v_fmac_f64_e32 v[150:151], v[138:139], v[148:149]
	ds_load_2addr_b64 v[136:139], v2 offset0:99 offset1:100
	ds_load_2addr_b64 v[142:145], v2 offset0:101 offset1:102
	s_wait_dscnt 0x1
	v_fmac_f64_e32 v[150:151], v[140:141], v[136:137]
	scratch_load_b64 v[140:141], off, off offset:432
	s_wait_loadcnt 0x5
	v_fmac_f64_e32 v[150:151], v[124:125], v[138:139]
	s_wait_dscnt 0x0
	s_delay_alu instid0(VALU_DEP_1)
	v_fmac_f64_e32 v[150:151], v[126:127], v[142:143]
	ds_load_2addr_b64 v[124:127], v2 offset0:103 offset1:104
	ds_load_2addr_b64 v[136:139], v2 offset0:105 offset1:106
	s_wait_loadcnt 0x4
	v_fmac_f64_e32 v[150:151], v[128:129], v[144:145]
	s_wait_dscnt 0x1
	s_delay_alu instid0(VALU_DEP_1) | instskip(SKIP_1) | instid1(VALU_DEP_1)
	v_fmac_f64_e32 v[150:151], v[130:131], v[124:125]
	s_wait_loadcnt 0x3
	v_fmac_f64_e32 v[150:151], v[116:117], v[126:127]
	s_wait_dscnt 0x0
	s_delay_alu instid0(VALU_DEP_1)
	v_fmac_f64_e32 v[150:151], v[118:119], v[136:137]
	ds_load_2addr_b64 v[116:119], v2 offset0:107 offset1:108
	ds_load_2addr_b64 v[124:127], v2 offset0:109 offset1:110
	s_wait_loadcnt 0x2
	v_fmac_f64_e32 v[150:151], v[132:133], v[138:139]
	s_wait_dscnt 0x1
	s_delay_alu instid0(VALU_DEP_1) | instskip(SKIP_1) | instid1(VALU_DEP_1)
	v_fmac_f64_e32 v[150:151], v[134:135], v[116:117]
	s_wait_loadcnt 0x1
	v_fmac_f64_e32 v[150:151], v[120:121], v[118:119]
	s_wait_dscnt 0x0
	s_delay_alu instid0(VALU_DEP_1) | instskip(SKIP_1) | instid1(VALU_DEP_1)
	v_fmac_f64_e32 v[150:151], v[122:123], v[124:125]
	s_wait_loadcnt 0x0
	v_fmac_f64_e32 v[150:151], v[140:141], v[126:127]
	s_delay_alu instid0(VALU_DEP_1)
	v_add_f64_e64 v[2:3], v[114:115], -v[150:151]
	scratch_store_b64 off, v[2:3], off offset:176
	s_wait_xcnt 0x0
	v_cmpx_lt_u32_e32 21, v0
	s_cbranch_execz .LBB54_297
; %bb.296:
	scratch_load_b64 v[2:3], off, off offset:168
	v_mov_b64_e32 v[114:115], 0
	scratch_store_b64 off, v[114:115], off offset:168
	s_wait_loadcnt 0x0
	ds_store_b64 v1, v[2:3]
.LBB54_297:
	s_wait_xcnt 0x0
	s_or_b32 exec_lo, exec_lo, s0
	s_wait_storecnt_dscnt 0x0
	s_barrier_signal -1
	s_barrier_wait -1
	s_clause 0x5
	scratch_load_b128 v[114:117], off, off offset:168
	scratch_load_b128 v[118:121], off, off offset:184
	;; [unrolled: 1-line block ×6, first 2 shown]
	v_mov_b32_e32 v2, 0
	ds_load_b128 v[138:141], v2 offset:624
	ds_load_b128 v[142:145], v2 offset:640
	scratch_load_b128 v[146:149], off, off offset:264
	s_mov_b32 s0, exec_lo
	s_wait_loadcnt_dscnt 0x601
	v_fma_f64 v[150:151], v[116:117], v[138:139], 0
	s_wait_loadcnt 0x5
	s_delay_alu instid0(VALU_DEP_1) | instskip(SKIP_4) | instid1(VALU_DEP_1)
	v_fmac_f64_e32 v[150:151], v[118:119], v[140:141]
	scratch_load_b128 v[116:119], off, off offset:280
	s_wait_dscnt 0x0
	v_fmac_f64_e32 v[150:151], v[120:121], v[142:143]
	s_wait_loadcnt 0x5
	v_fmac_f64_e32 v[150:151], v[122:123], v[144:145]
	ds_load_b128 v[120:123], v2 offset:656
	ds_load_b128 v[138:141], v2 offset:672
	scratch_load_b128 v[142:145], off, off offset:296
	s_wait_dscnt 0x1
	v_fmac_f64_e32 v[150:151], v[124:125], v[120:121]
	s_wait_loadcnt 0x5
	s_delay_alu instid0(VALU_DEP_1) | instskip(SKIP_4) | instid1(VALU_DEP_1)
	v_fmac_f64_e32 v[150:151], v[126:127], v[122:123]
	scratch_load_b128 v[120:123], off, off offset:312
	s_wait_dscnt 0x0
	v_fmac_f64_e32 v[150:151], v[128:129], v[138:139]
	s_wait_loadcnt 0x5
	v_fmac_f64_e32 v[150:151], v[130:131], v[140:141]
	ds_load_b128 v[124:127], v2 offset:688
	ds_load_b128 v[128:131], v2 offset:704
	scratch_load_b128 v[138:141], off, off offset:328
	s_wait_dscnt 0x1
	v_fmac_f64_e32 v[150:151], v[132:133], v[124:125]
	s_wait_loadcnt 0x5
	s_delay_alu instid0(VALU_DEP_1) | instskip(SKIP_4) | instid1(VALU_DEP_1)
	v_fmac_f64_e32 v[150:151], v[134:135], v[126:127]
	scratch_load_b128 v[124:127], off, off offset:344
	s_wait_dscnt 0x0
	v_fmac_f64_e32 v[150:151], v[136:137], v[128:129]
	s_wait_loadcnt 0x5
	v_fmac_f64_e32 v[150:151], v[146:147], v[130:131]
	ds_load_b128 v[128:131], v2 offset:720
	ds_load_b128 v[132:135], v2 offset:736
	s_wait_dscnt 0x1
	v_fmac_f64_e32 v[150:151], v[148:149], v[128:129]
	s_wait_loadcnt 0x4
	s_delay_alu instid0(VALU_DEP_1)
	v_fmac_f64_e32 v[150:151], v[116:117], v[130:131]
	scratch_load_b128 v[128:131], off, off offset:360
	s_wait_dscnt 0x0
	v_fmac_f64_e32 v[150:151], v[118:119], v[132:133]
	scratch_load_b128 v[116:119], off, off offset:376
	s_wait_loadcnt 0x5
	v_fmac_f64_e32 v[150:151], v[142:143], v[134:135]
	ds_load_b128 v[132:135], v2 offset:752
	ds_load_b128 v[146:149], v2 offset:768
	s_wait_dscnt 0x1
	v_fmac_f64_e32 v[150:151], v[144:145], v[132:133]
	s_wait_loadcnt 0x4
	s_delay_alu instid0(VALU_DEP_1)
	v_fmac_f64_e32 v[150:151], v[120:121], v[134:135]
	scratch_load_b128 v[132:135], off, off offset:392
	s_wait_dscnt 0x0
	v_fmac_f64_e32 v[150:151], v[122:123], v[146:147]
	scratch_load_b128 v[120:123], off, off offset:408
	s_wait_loadcnt 0x5
	v_fmac_f64_e32 v[150:151], v[138:139], v[148:149]
	ds_load_b128 v[136:139], v2 offset:784
	ds_load_b128 v[142:145], v2 offset:800
	s_wait_dscnt 0x1
	v_fmac_f64_e32 v[150:151], v[140:141], v[136:137]
	s_wait_loadcnt 0x4
	s_delay_alu instid0(VALU_DEP_1)
	v_fmac_f64_e32 v[150:151], v[124:125], v[138:139]
	scratch_load_b128 v[136:139], off, off offset:424
	s_wait_dscnt 0x0
	v_fmac_f64_e32 v[150:151], v[126:127], v[142:143]
	ds_load_b128 v[124:127], v2 offset:816
	ds_load_b128 v[140:143], v2 offset:832
	s_wait_loadcnt 0x4
	v_fmac_f64_e32 v[150:151], v[128:129], v[144:145]
	s_wait_dscnt 0x1
	s_delay_alu instid0(VALU_DEP_1) | instskip(SKIP_1) | instid1(VALU_DEP_1)
	v_fmac_f64_e32 v[150:151], v[130:131], v[124:125]
	s_wait_loadcnt 0x3
	v_fmac_f64_e32 v[150:151], v[116:117], v[126:127]
	s_wait_dscnt 0x0
	s_delay_alu instid0(VALU_DEP_1)
	v_fmac_f64_e32 v[150:151], v[118:119], v[140:141]
	ds_load_b128 v[116:119], v2 offset:848
	ds_load_b128 v[124:127], v2 offset:864
	s_wait_loadcnt 0x2
	v_fmac_f64_e32 v[150:151], v[132:133], v[142:143]
	s_wait_dscnt 0x1
	s_delay_alu instid0(VALU_DEP_1) | instskip(SKIP_4) | instid1(VALU_DEP_1)
	v_fmac_f64_e32 v[150:151], v[134:135], v[116:117]
	ds_load_b64 v[116:117], v2 offset:880
	s_wait_loadcnt 0x1
	v_fmac_f64_e32 v[150:151], v[120:121], v[118:119]
	s_wait_dscnt 0x1
	v_fmac_f64_e32 v[150:151], v[122:123], v[124:125]
	s_wait_loadcnt 0x0
	s_delay_alu instid0(VALU_DEP_1) | instskip(SKIP_1) | instid1(VALU_DEP_1)
	v_fmac_f64_e32 v[150:151], v[136:137], v[126:127]
	s_wait_dscnt 0x0
	v_fmac_f64_e32 v[150:151], v[138:139], v[116:117]
	s_delay_alu instid0(VALU_DEP_1)
	v_add_f64_e64 v[114:115], v[114:115], -v[150:151]
	scratch_store_b64 off, v[114:115], off offset:168
	s_wait_xcnt 0x0
	v_cmpx_lt_u32_e32 20, v0
	s_cbranch_execz .LBB54_299
; %bb.298:
	scratch_load_b64 v[114:115], off, off offset:160
	v_mov_b64_e32 v[116:117], 0
	scratch_store_b64 off, v[116:117], off offset:160
	s_wait_loadcnt 0x0
	ds_store_b64 v1, v[114:115]
.LBB54_299:
	s_wait_xcnt 0x0
	s_or_b32 exec_lo, exec_lo, s0
	s_wait_storecnt_dscnt 0x0
	s_barrier_signal -1
	s_barrier_wait -1
	s_clause 0x5
	scratch_load_b128 v[114:117], off, off offset:160
	scratch_load_b128 v[118:121], off, off offset:176
	;; [unrolled: 1-line block ×6, first 2 shown]
	ds_load_2addr_b64 v[138:141], v2 offset0:77 offset1:78
	ds_load_2addr_b64 v[142:145], v2 offset0:79 offset1:80
	scratch_load_b128 v[146:149], off, off offset:256
	s_mov_b32 s0, exec_lo
	s_wait_loadcnt_dscnt 0x601
	v_fma_f64 v[150:151], v[116:117], v[138:139], 0
	s_wait_loadcnt 0x5
	s_delay_alu instid0(VALU_DEP_1) | instskip(SKIP_4) | instid1(VALU_DEP_1)
	v_fmac_f64_e32 v[150:151], v[118:119], v[140:141]
	scratch_load_b128 v[116:119], off, off offset:272
	s_wait_dscnt 0x0
	v_fmac_f64_e32 v[150:151], v[120:121], v[142:143]
	s_wait_loadcnt 0x5
	v_fmac_f64_e32 v[150:151], v[122:123], v[144:145]
	ds_load_2addr_b64 v[120:123], v2 offset0:81 offset1:82
	ds_load_2addr_b64 v[138:141], v2 offset0:83 offset1:84
	scratch_load_b128 v[142:145], off, off offset:288
	s_wait_dscnt 0x1
	v_fmac_f64_e32 v[150:151], v[124:125], v[120:121]
	s_wait_loadcnt 0x5
	s_delay_alu instid0(VALU_DEP_1) | instskip(SKIP_4) | instid1(VALU_DEP_1)
	v_fmac_f64_e32 v[150:151], v[126:127], v[122:123]
	scratch_load_b128 v[120:123], off, off offset:304
	s_wait_dscnt 0x0
	v_fmac_f64_e32 v[150:151], v[128:129], v[138:139]
	s_wait_loadcnt 0x5
	v_fmac_f64_e32 v[150:151], v[130:131], v[140:141]
	ds_load_2addr_b64 v[124:127], v2 offset0:85 offset1:86
	ds_load_2addr_b64 v[128:131], v2 offset0:87 offset1:88
	scratch_load_b128 v[138:141], off, off offset:320
	s_wait_dscnt 0x1
	v_fmac_f64_e32 v[150:151], v[132:133], v[124:125]
	s_wait_loadcnt 0x5
	s_delay_alu instid0(VALU_DEP_1) | instskip(SKIP_4) | instid1(VALU_DEP_1)
	v_fmac_f64_e32 v[150:151], v[134:135], v[126:127]
	scratch_load_b128 v[124:127], off, off offset:336
	s_wait_dscnt 0x0
	v_fmac_f64_e32 v[150:151], v[136:137], v[128:129]
	s_wait_loadcnt 0x5
	v_fmac_f64_e32 v[150:151], v[146:147], v[130:131]
	ds_load_2addr_b64 v[128:131], v2 offset0:89 offset1:90
	ds_load_2addr_b64 v[132:135], v2 offset0:91 offset1:92
	s_wait_dscnt 0x1
	v_fmac_f64_e32 v[150:151], v[148:149], v[128:129]
	scratch_load_b128 v[146:149], off, off offset:352
	s_wait_loadcnt 0x5
	v_fmac_f64_e32 v[150:151], v[116:117], v[130:131]
	s_wait_dscnt 0x0
	s_delay_alu instid0(VALU_DEP_1)
	v_fmac_f64_e32 v[150:151], v[118:119], v[132:133]
	scratch_load_b128 v[116:119], off, off offset:368
	s_wait_loadcnt 0x5
	v_fmac_f64_e32 v[150:151], v[142:143], v[134:135]
	ds_load_2addr_b64 v[128:131], v2 offset0:93 offset1:94
	ds_load_2addr_b64 v[132:135], v2 offset0:95 offset1:96
	s_wait_dscnt 0x1
	v_fmac_f64_e32 v[150:151], v[144:145], v[128:129]
	s_wait_loadcnt 0x4
	s_delay_alu instid0(VALU_DEP_1)
	v_fmac_f64_e32 v[150:151], v[120:121], v[130:131]
	scratch_load_b128 v[128:131], off, off offset:384
	s_wait_dscnt 0x0
	v_fmac_f64_e32 v[150:151], v[122:123], v[132:133]
	scratch_load_b128 v[120:123], off, off offset:400
	s_wait_loadcnt 0x5
	v_fmac_f64_e32 v[150:151], v[138:139], v[134:135]
	ds_load_2addr_b64 v[132:135], v2 offset0:97 offset1:98
	ds_load_2addr_b64 v[136:139], v2 offset0:99 offset1:100
	s_wait_dscnt 0x1
	v_fmac_f64_e32 v[150:151], v[140:141], v[132:133]
	scratch_load_b64 v[140:141], off, off offset:432
	s_wait_loadcnt 0x5
	v_fmac_f64_e32 v[150:151], v[124:125], v[134:135]
	scratch_load_b128 v[132:135], off, off offset:416
	s_wait_dscnt 0x0
	v_fmac_f64_e32 v[150:151], v[126:127], v[136:137]
	s_wait_loadcnt 0x5
	s_delay_alu instid0(VALU_DEP_1)
	v_fmac_f64_e32 v[150:151], v[146:147], v[138:139]
	ds_load_2addr_b64 v[124:127], v2 offset0:101 offset1:102
	ds_load_2addr_b64 v[136:139], v2 offset0:103 offset1:104
	s_wait_dscnt 0x1
	v_fmac_f64_e32 v[150:151], v[148:149], v[124:125]
	s_wait_loadcnt 0x4
	s_delay_alu instid0(VALU_DEP_1) | instskip(SKIP_1) | instid1(VALU_DEP_1)
	v_fmac_f64_e32 v[150:151], v[116:117], v[126:127]
	s_wait_dscnt 0x0
	v_fmac_f64_e32 v[150:151], v[118:119], v[136:137]
	ds_load_2addr_b64 v[116:119], v2 offset0:105 offset1:106
	ds_load_2addr_b64 v[124:127], v2 offset0:107 offset1:108
	s_wait_loadcnt 0x3
	v_fmac_f64_e32 v[150:151], v[128:129], v[138:139]
	s_wait_dscnt 0x1
	s_delay_alu instid0(VALU_DEP_1) | instskip(SKIP_1) | instid1(VALU_DEP_1)
	v_fmac_f64_e32 v[150:151], v[130:131], v[116:117]
	s_wait_loadcnt 0x2
	v_fmac_f64_e32 v[150:151], v[120:121], v[118:119]
	ds_load_2addr_b64 v[116:119], v2 offset0:109 offset1:110
	s_wait_dscnt 0x1
	v_fmac_f64_e32 v[150:151], v[122:123], v[124:125]
	s_wait_loadcnt 0x0
	s_delay_alu instid0(VALU_DEP_1) | instskip(SKIP_1) | instid1(VALU_DEP_1)
	v_fmac_f64_e32 v[150:151], v[132:133], v[126:127]
	s_wait_dscnt 0x0
	v_fmac_f64_e32 v[150:151], v[134:135], v[116:117]
	s_delay_alu instid0(VALU_DEP_1) | instskip(NEXT) | instid1(VALU_DEP_1)
	v_fmac_f64_e32 v[150:151], v[140:141], v[118:119]
	v_add_f64_e64 v[2:3], v[114:115], -v[150:151]
	scratch_store_b64 off, v[2:3], off offset:160
	s_wait_xcnt 0x0
	v_cmpx_lt_u32_e32 19, v0
	s_cbranch_execz .LBB54_301
; %bb.300:
	scratch_load_b64 v[2:3], off, off offset:152
	v_mov_b64_e32 v[114:115], 0
	scratch_store_b64 off, v[114:115], off offset:152
	s_wait_loadcnt 0x0
	ds_store_b64 v1, v[2:3]
.LBB54_301:
	s_wait_xcnt 0x0
	s_or_b32 exec_lo, exec_lo, s0
	s_wait_storecnt_dscnt 0x0
	s_barrier_signal -1
	s_barrier_wait -1
	s_clause 0x5
	scratch_load_b128 v[114:117], off, off offset:152
	scratch_load_b128 v[118:121], off, off offset:168
	;; [unrolled: 1-line block ×6, first 2 shown]
	v_mov_b32_e32 v2, 0
	ds_load_b128 v[138:141], v2 offset:608
	ds_load_b128 v[142:145], v2 offset:624
	scratch_load_b128 v[146:149], off, off offset:248
	s_mov_b32 s0, exec_lo
	s_wait_loadcnt_dscnt 0x601
	v_fma_f64 v[150:151], v[116:117], v[138:139], 0
	s_wait_loadcnt 0x5
	s_delay_alu instid0(VALU_DEP_1) | instskip(SKIP_4) | instid1(VALU_DEP_1)
	v_fmac_f64_e32 v[150:151], v[118:119], v[140:141]
	scratch_load_b128 v[116:119], off, off offset:264
	s_wait_dscnt 0x0
	v_fmac_f64_e32 v[150:151], v[120:121], v[142:143]
	s_wait_loadcnt 0x5
	v_fmac_f64_e32 v[150:151], v[122:123], v[144:145]
	ds_load_b128 v[120:123], v2 offset:640
	ds_load_b128 v[138:141], v2 offset:656
	scratch_load_b128 v[142:145], off, off offset:280
	s_wait_dscnt 0x1
	v_fmac_f64_e32 v[150:151], v[124:125], v[120:121]
	s_wait_loadcnt 0x5
	s_delay_alu instid0(VALU_DEP_1) | instskip(SKIP_4) | instid1(VALU_DEP_1)
	v_fmac_f64_e32 v[150:151], v[126:127], v[122:123]
	scratch_load_b128 v[120:123], off, off offset:296
	s_wait_dscnt 0x0
	v_fmac_f64_e32 v[150:151], v[128:129], v[138:139]
	s_wait_loadcnt 0x5
	v_fmac_f64_e32 v[150:151], v[130:131], v[140:141]
	ds_load_b128 v[124:127], v2 offset:672
	ds_load_b128 v[128:131], v2 offset:688
	scratch_load_b128 v[138:141], off, off offset:312
	s_wait_dscnt 0x1
	v_fmac_f64_e32 v[150:151], v[132:133], v[124:125]
	s_wait_loadcnt 0x5
	s_delay_alu instid0(VALU_DEP_1) | instskip(SKIP_4) | instid1(VALU_DEP_1)
	v_fmac_f64_e32 v[150:151], v[134:135], v[126:127]
	scratch_load_b128 v[124:127], off, off offset:328
	s_wait_dscnt 0x0
	v_fmac_f64_e32 v[150:151], v[136:137], v[128:129]
	s_wait_loadcnt 0x5
	v_fmac_f64_e32 v[150:151], v[146:147], v[130:131]
	ds_load_b128 v[128:131], v2 offset:704
	ds_load_b128 v[132:135], v2 offset:720
	s_wait_dscnt 0x1
	v_fmac_f64_e32 v[150:151], v[148:149], v[128:129]
	scratch_load_b128 v[146:149], off, off offset:344
	s_wait_loadcnt 0x5
	v_fmac_f64_e32 v[150:151], v[116:117], v[130:131]
	s_wait_dscnt 0x0
	s_delay_alu instid0(VALU_DEP_1)
	v_fmac_f64_e32 v[150:151], v[118:119], v[132:133]
	scratch_load_b128 v[116:119], off, off offset:360
	s_wait_loadcnt 0x5
	v_fmac_f64_e32 v[150:151], v[142:143], v[134:135]
	ds_load_b128 v[128:131], v2 offset:736
	ds_load_b128 v[132:135], v2 offset:752
	s_wait_dscnt 0x1
	v_fmac_f64_e32 v[150:151], v[144:145], v[128:129]
	s_wait_loadcnt 0x4
	s_delay_alu instid0(VALU_DEP_1)
	v_fmac_f64_e32 v[150:151], v[120:121], v[130:131]
	scratch_load_b128 v[128:131], off, off offset:376
	s_wait_dscnt 0x0
	v_fmac_f64_e32 v[150:151], v[122:123], v[132:133]
	scratch_load_b128 v[120:123], off, off offset:392
	s_wait_loadcnt 0x5
	v_fmac_f64_e32 v[150:151], v[138:139], v[134:135]
	ds_load_b128 v[132:135], v2 offset:768
	ds_load_b128 v[136:139], v2 offset:784
	s_wait_dscnt 0x1
	v_fmac_f64_e32 v[150:151], v[140:141], v[132:133]
	s_wait_loadcnt 0x4
	s_delay_alu instid0(VALU_DEP_1)
	v_fmac_f64_e32 v[150:151], v[124:125], v[134:135]
	scratch_load_b128 v[132:135], off, off offset:408
	s_wait_dscnt 0x0
	v_fmac_f64_e32 v[150:151], v[126:127], v[136:137]
	scratch_load_b128 v[124:127], off, off offset:424
	s_wait_loadcnt 0x5
	v_fmac_f64_e32 v[150:151], v[146:147], v[138:139]
	ds_load_b128 v[136:139], v2 offset:800
	ds_load_b128 v[140:143], v2 offset:816
	s_wait_dscnt 0x1
	v_fmac_f64_e32 v[150:151], v[148:149], v[136:137]
	s_wait_loadcnt 0x4
	s_delay_alu instid0(VALU_DEP_1) | instskip(SKIP_1) | instid1(VALU_DEP_1)
	v_fmac_f64_e32 v[150:151], v[116:117], v[138:139]
	s_wait_dscnt 0x0
	v_fmac_f64_e32 v[150:151], v[118:119], v[140:141]
	ds_load_b128 v[116:119], v2 offset:832
	ds_load_b128 v[136:139], v2 offset:848
	s_wait_loadcnt 0x3
	v_fmac_f64_e32 v[150:151], v[128:129], v[142:143]
	s_wait_dscnt 0x1
	s_delay_alu instid0(VALU_DEP_1) | instskip(SKIP_1) | instid1(VALU_DEP_1)
	v_fmac_f64_e32 v[150:151], v[130:131], v[116:117]
	s_wait_loadcnt 0x2
	v_fmac_f64_e32 v[150:151], v[120:121], v[118:119]
	ds_load_b128 v[116:119], v2 offset:864
	ds_load_b64 v[120:121], v2 offset:880
	s_wait_dscnt 0x2
	v_fmac_f64_e32 v[150:151], v[122:123], v[136:137]
	s_wait_loadcnt 0x1
	s_delay_alu instid0(VALU_DEP_1) | instskip(SKIP_1) | instid1(VALU_DEP_1)
	v_fmac_f64_e32 v[150:151], v[132:133], v[138:139]
	s_wait_dscnt 0x1
	v_fmac_f64_e32 v[150:151], v[134:135], v[116:117]
	s_wait_loadcnt 0x0
	s_delay_alu instid0(VALU_DEP_1) | instskip(SKIP_1) | instid1(VALU_DEP_1)
	v_fmac_f64_e32 v[150:151], v[124:125], v[118:119]
	s_wait_dscnt 0x0
	v_fmac_f64_e32 v[150:151], v[126:127], v[120:121]
	s_delay_alu instid0(VALU_DEP_1)
	v_add_f64_e64 v[114:115], v[114:115], -v[150:151]
	scratch_store_b64 off, v[114:115], off offset:152
	s_wait_xcnt 0x0
	v_cmpx_lt_u32_e32 18, v0
	s_cbranch_execz .LBB54_303
; %bb.302:
	scratch_load_b64 v[114:115], off, off offset:144
	v_mov_b64_e32 v[116:117], 0
	scratch_store_b64 off, v[116:117], off offset:144
	s_wait_loadcnt 0x0
	ds_store_b64 v1, v[114:115]
.LBB54_303:
	s_wait_xcnt 0x0
	s_or_b32 exec_lo, exec_lo, s0
	s_wait_storecnt_dscnt 0x0
	s_barrier_signal -1
	s_barrier_wait -1
	s_clause 0x5
	scratch_load_b128 v[114:117], off, off offset:144
	scratch_load_b128 v[118:121], off, off offset:160
	;; [unrolled: 1-line block ×6, first 2 shown]
	ds_load_2addr_b64 v[138:141], v2 offset0:75 offset1:76
	ds_load_2addr_b64 v[142:145], v2 offset0:77 offset1:78
	scratch_load_b128 v[146:149], off, off offset:240
	s_mov_b32 s0, exec_lo
	s_wait_loadcnt_dscnt 0x601
	v_fma_f64 v[150:151], v[116:117], v[138:139], 0
	s_wait_loadcnt 0x5
	s_delay_alu instid0(VALU_DEP_1) | instskip(SKIP_4) | instid1(VALU_DEP_1)
	v_fmac_f64_e32 v[150:151], v[118:119], v[140:141]
	scratch_load_b128 v[116:119], off, off offset:256
	s_wait_dscnt 0x0
	v_fmac_f64_e32 v[150:151], v[120:121], v[142:143]
	s_wait_loadcnt 0x5
	v_fmac_f64_e32 v[150:151], v[122:123], v[144:145]
	ds_load_2addr_b64 v[120:123], v2 offset0:79 offset1:80
	ds_load_2addr_b64 v[138:141], v2 offset0:81 offset1:82
	scratch_load_b128 v[142:145], off, off offset:272
	s_wait_dscnt 0x1
	v_fmac_f64_e32 v[150:151], v[124:125], v[120:121]
	s_wait_loadcnt 0x5
	s_delay_alu instid0(VALU_DEP_1) | instskip(SKIP_4) | instid1(VALU_DEP_1)
	v_fmac_f64_e32 v[150:151], v[126:127], v[122:123]
	scratch_load_b128 v[120:123], off, off offset:288
	s_wait_dscnt 0x0
	v_fmac_f64_e32 v[150:151], v[128:129], v[138:139]
	s_wait_loadcnt 0x5
	v_fmac_f64_e32 v[150:151], v[130:131], v[140:141]
	ds_load_2addr_b64 v[124:127], v2 offset0:83 offset1:84
	ds_load_2addr_b64 v[128:131], v2 offset0:85 offset1:86
	scratch_load_b128 v[138:141], off, off offset:304
	s_wait_dscnt 0x1
	v_fmac_f64_e32 v[150:151], v[132:133], v[124:125]
	s_wait_loadcnt 0x5
	s_delay_alu instid0(VALU_DEP_1) | instskip(SKIP_4) | instid1(VALU_DEP_1)
	v_fmac_f64_e32 v[150:151], v[134:135], v[126:127]
	scratch_load_b128 v[124:127], off, off offset:320
	s_wait_dscnt 0x0
	v_fmac_f64_e32 v[150:151], v[136:137], v[128:129]
	s_wait_loadcnt 0x5
	v_fmac_f64_e32 v[150:151], v[146:147], v[130:131]
	ds_load_2addr_b64 v[128:131], v2 offset0:87 offset1:88
	ds_load_2addr_b64 v[132:135], v2 offset0:89 offset1:90
	s_wait_dscnt 0x1
	v_fmac_f64_e32 v[150:151], v[148:149], v[128:129]
	scratch_load_b128 v[146:149], off, off offset:336
	s_wait_loadcnt 0x5
	v_fmac_f64_e32 v[150:151], v[116:117], v[130:131]
	s_wait_dscnt 0x0
	s_delay_alu instid0(VALU_DEP_1)
	v_fmac_f64_e32 v[150:151], v[118:119], v[132:133]
	scratch_load_b128 v[116:119], off, off offset:352
	s_wait_loadcnt 0x5
	v_fmac_f64_e32 v[150:151], v[142:143], v[134:135]
	ds_load_2addr_b64 v[128:131], v2 offset0:91 offset1:92
	ds_load_2addr_b64 v[132:135], v2 offset0:93 offset1:94
	s_wait_dscnt 0x1
	v_fmac_f64_e32 v[150:151], v[144:145], v[128:129]
	s_wait_loadcnt 0x4
	s_delay_alu instid0(VALU_DEP_1)
	v_fmac_f64_e32 v[150:151], v[120:121], v[130:131]
	scratch_load_b128 v[128:131], off, off offset:368
	s_wait_dscnt 0x0
	v_fmac_f64_e32 v[150:151], v[122:123], v[132:133]
	scratch_load_b128 v[120:123], off, off offset:384
	s_wait_loadcnt 0x5
	v_fmac_f64_e32 v[150:151], v[138:139], v[134:135]
	ds_load_2addr_b64 v[132:135], v2 offset0:95 offset1:96
	ds_load_2addr_b64 v[136:139], v2 offset0:97 offset1:98
	s_wait_dscnt 0x1
	v_fmac_f64_e32 v[150:151], v[140:141], v[132:133]
	s_wait_loadcnt 0x4
	s_delay_alu instid0(VALU_DEP_1)
	v_fmac_f64_e32 v[150:151], v[124:125], v[134:135]
	scratch_load_b128 v[132:135], off, off offset:400
	s_wait_dscnt 0x0
	v_fmac_f64_e32 v[150:151], v[126:127], v[136:137]
	scratch_load_b128 v[124:127], off, off offset:416
	s_wait_loadcnt 0x5
	v_fmac_f64_e32 v[150:151], v[146:147], v[138:139]
	ds_load_2addr_b64 v[136:139], v2 offset0:99 offset1:100
	ds_load_2addr_b64 v[140:143], v2 offset0:101 offset1:102
	scratch_load_b64 v[144:145], off, off offset:432
	s_wait_dscnt 0x1
	v_fmac_f64_e32 v[150:151], v[148:149], v[136:137]
	s_wait_loadcnt 0x5
	s_delay_alu instid0(VALU_DEP_1) | instskip(SKIP_1) | instid1(VALU_DEP_1)
	v_fmac_f64_e32 v[150:151], v[116:117], v[138:139]
	s_wait_dscnt 0x0
	v_fmac_f64_e32 v[150:151], v[118:119], v[140:141]
	ds_load_2addr_b64 v[116:119], v2 offset0:103 offset1:104
	ds_load_2addr_b64 v[136:139], v2 offset0:105 offset1:106
	s_wait_loadcnt 0x4
	v_fmac_f64_e32 v[150:151], v[128:129], v[142:143]
	s_wait_dscnt 0x1
	s_delay_alu instid0(VALU_DEP_1) | instskip(SKIP_1) | instid1(VALU_DEP_1)
	v_fmac_f64_e32 v[150:151], v[130:131], v[116:117]
	s_wait_loadcnt 0x3
	v_fmac_f64_e32 v[150:151], v[120:121], v[118:119]
	s_wait_dscnt 0x0
	s_delay_alu instid0(VALU_DEP_1)
	v_fmac_f64_e32 v[150:151], v[122:123], v[136:137]
	ds_load_2addr_b64 v[116:119], v2 offset0:107 offset1:108
	ds_load_2addr_b64 v[120:123], v2 offset0:109 offset1:110
	s_wait_loadcnt 0x2
	v_fmac_f64_e32 v[150:151], v[132:133], v[138:139]
	s_wait_dscnt 0x1
	s_delay_alu instid0(VALU_DEP_1) | instskip(SKIP_1) | instid1(VALU_DEP_1)
	v_fmac_f64_e32 v[150:151], v[134:135], v[116:117]
	s_wait_loadcnt 0x1
	v_fmac_f64_e32 v[150:151], v[124:125], v[118:119]
	s_wait_dscnt 0x0
	s_delay_alu instid0(VALU_DEP_1) | instskip(SKIP_1) | instid1(VALU_DEP_1)
	v_fmac_f64_e32 v[150:151], v[126:127], v[120:121]
	s_wait_loadcnt 0x0
	v_fmac_f64_e32 v[150:151], v[144:145], v[122:123]
	s_delay_alu instid0(VALU_DEP_1)
	v_add_f64_e64 v[2:3], v[114:115], -v[150:151]
	scratch_store_b64 off, v[2:3], off offset:144
	s_wait_xcnt 0x0
	v_cmpx_lt_u32_e32 17, v0
	s_cbranch_execz .LBB54_305
; %bb.304:
	scratch_load_b64 v[2:3], off, off offset:136
	v_mov_b64_e32 v[114:115], 0
	scratch_store_b64 off, v[114:115], off offset:136
	s_wait_loadcnt 0x0
	ds_store_b64 v1, v[2:3]
.LBB54_305:
	s_wait_xcnt 0x0
	s_or_b32 exec_lo, exec_lo, s0
	s_wait_storecnt_dscnt 0x0
	s_barrier_signal -1
	s_barrier_wait -1
	s_clause 0x5
	scratch_load_b128 v[114:117], off, off offset:136
	scratch_load_b128 v[118:121], off, off offset:152
	;; [unrolled: 1-line block ×6, first 2 shown]
	v_mov_b32_e32 v2, 0
	ds_load_b128 v[138:141], v2 offset:592
	ds_load_b128 v[142:145], v2 offset:608
	scratch_load_b128 v[146:149], off, off offset:232
	s_mov_b32 s0, exec_lo
	s_wait_loadcnt_dscnt 0x601
	v_fma_f64 v[150:151], v[116:117], v[138:139], 0
	s_wait_loadcnt 0x5
	s_delay_alu instid0(VALU_DEP_1) | instskip(SKIP_4) | instid1(VALU_DEP_1)
	v_fmac_f64_e32 v[150:151], v[118:119], v[140:141]
	scratch_load_b128 v[116:119], off, off offset:248
	s_wait_dscnt 0x0
	v_fmac_f64_e32 v[150:151], v[120:121], v[142:143]
	s_wait_loadcnt 0x5
	v_fmac_f64_e32 v[150:151], v[122:123], v[144:145]
	ds_load_b128 v[120:123], v2 offset:624
	ds_load_b128 v[138:141], v2 offset:640
	scratch_load_b128 v[142:145], off, off offset:264
	s_wait_dscnt 0x1
	v_fmac_f64_e32 v[150:151], v[124:125], v[120:121]
	s_wait_loadcnt 0x5
	s_delay_alu instid0(VALU_DEP_1) | instskip(SKIP_4) | instid1(VALU_DEP_1)
	v_fmac_f64_e32 v[150:151], v[126:127], v[122:123]
	scratch_load_b128 v[120:123], off, off offset:280
	s_wait_dscnt 0x0
	v_fmac_f64_e32 v[150:151], v[128:129], v[138:139]
	s_wait_loadcnt 0x5
	v_fmac_f64_e32 v[150:151], v[130:131], v[140:141]
	ds_load_b128 v[124:127], v2 offset:656
	ds_load_b128 v[128:131], v2 offset:672
	scratch_load_b128 v[138:141], off, off offset:296
	s_wait_dscnt 0x1
	v_fmac_f64_e32 v[150:151], v[132:133], v[124:125]
	s_wait_loadcnt 0x5
	s_delay_alu instid0(VALU_DEP_1) | instskip(SKIP_4) | instid1(VALU_DEP_1)
	v_fmac_f64_e32 v[150:151], v[134:135], v[126:127]
	scratch_load_b128 v[124:127], off, off offset:312
	s_wait_dscnt 0x0
	v_fmac_f64_e32 v[150:151], v[136:137], v[128:129]
	s_wait_loadcnt 0x5
	v_fmac_f64_e32 v[150:151], v[146:147], v[130:131]
	ds_load_b128 v[128:131], v2 offset:688
	ds_load_b128 v[132:135], v2 offset:704
	s_wait_dscnt 0x1
	v_fmac_f64_e32 v[150:151], v[148:149], v[128:129]
	scratch_load_b128 v[146:149], off, off offset:328
	s_wait_loadcnt 0x5
	v_fmac_f64_e32 v[150:151], v[116:117], v[130:131]
	s_wait_dscnt 0x0
	s_delay_alu instid0(VALU_DEP_1)
	v_fmac_f64_e32 v[150:151], v[118:119], v[132:133]
	scratch_load_b128 v[116:119], off, off offset:344
	s_wait_loadcnt 0x5
	v_fmac_f64_e32 v[150:151], v[142:143], v[134:135]
	ds_load_b128 v[128:131], v2 offset:720
	ds_load_b128 v[132:135], v2 offset:736
	s_wait_dscnt 0x1
	v_fmac_f64_e32 v[150:151], v[144:145], v[128:129]
	s_wait_loadcnt 0x4
	s_delay_alu instid0(VALU_DEP_1)
	v_fmac_f64_e32 v[150:151], v[120:121], v[130:131]
	scratch_load_b128 v[128:131], off, off offset:360
	s_wait_dscnt 0x0
	v_fmac_f64_e32 v[150:151], v[122:123], v[132:133]
	scratch_load_b128 v[120:123], off, off offset:376
	s_wait_loadcnt 0x5
	v_fmac_f64_e32 v[150:151], v[138:139], v[134:135]
	ds_load_b128 v[132:135], v2 offset:752
	ds_load_b128 v[136:139], v2 offset:768
	s_wait_dscnt 0x1
	v_fmac_f64_e32 v[150:151], v[140:141], v[132:133]
	s_wait_loadcnt 0x4
	s_delay_alu instid0(VALU_DEP_1)
	v_fmac_f64_e32 v[150:151], v[124:125], v[134:135]
	scratch_load_b128 v[132:135], off, off offset:392
	s_wait_dscnt 0x0
	v_fmac_f64_e32 v[150:151], v[126:127], v[136:137]
	scratch_load_b128 v[124:127], off, off offset:408
	s_wait_loadcnt 0x5
	v_fmac_f64_e32 v[150:151], v[146:147], v[138:139]
	ds_load_b128 v[136:139], v2 offset:784
	ds_load_b128 v[140:143], v2 offset:800
	s_wait_dscnt 0x1
	v_fmac_f64_e32 v[150:151], v[148:149], v[136:137]
	s_wait_loadcnt 0x4
	s_delay_alu instid0(VALU_DEP_1) | instskip(SKIP_4) | instid1(VALU_DEP_1)
	v_fmac_f64_e32 v[150:151], v[116:117], v[138:139]
	scratch_load_b128 v[136:139], off, off offset:424
	s_wait_dscnt 0x0
	v_fmac_f64_e32 v[150:151], v[118:119], v[140:141]
	s_wait_loadcnt 0x4
	v_fmac_f64_e32 v[150:151], v[128:129], v[142:143]
	ds_load_b128 v[116:119], v2 offset:816
	ds_load_b128 v[140:143], v2 offset:832
	s_wait_dscnt 0x1
	v_fmac_f64_e32 v[150:151], v[130:131], v[116:117]
	s_wait_loadcnt 0x3
	s_delay_alu instid0(VALU_DEP_1) | instskip(SKIP_1) | instid1(VALU_DEP_1)
	v_fmac_f64_e32 v[150:151], v[120:121], v[118:119]
	s_wait_dscnt 0x0
	v_fmac_f64_e32 v[150:151], v[122:123], v[140:141]
	ds_load_b128 v[116:119], v2 offset:848
	ds_load_b128 v[120:123], v2 offset:864
	s_wait_loadcnt 0x2
	v_fmac_f64_e32 v[150:151], v[132:133], v[142:143]
	s_wait_dscnt 0x1
	s_delay_alu instid0(VALU_DEP_1) | instskip(SKIP_4) | instid1(VALU_DEP_1)
	v_fmac_f64_e32 v[150:151], v[134:135], v[116:117]
	ds_load_b64 v[116:117], v2 offset:880
	s_wait_loadcnt 0x1
	v_fmac_f64_e32 v[150:151], v[124:125], v[118:119]
	s_wait_dscnt 0x1
	v_fmac_f64_e32 v[150:151], v[126:127], v[120:121]
	s_wait_loadcnt 0x0
	s_delay_alu instid0(VALU_DEP_1) | instskip(SKIP_1) | instid1(VALU_DEP_1)
	v_fmac_f64_e32 v[150:151], v[136:137], v[122:123]
	s_wait_dscnt 0x0
	v_fmac_f64_e32 v[150:151], v[138:139], v[116:117]
	s_delay_alu instid0(VALU_DEP_1)
	v_add_f64_e64 v[114:115], v[114:115], -v[150:151]
	scratch_store_b64 off, v[114:115], off offset:136
	s_wait_xcnt 0x0
	v_cmpx_lt_u32_e32 16, v0
	s_cbranch_execz .LBB54_307
; %bb.306:
	scratch_load_b64 v[114:115], off, off offset:128
	v_mov_b64_e32 v[116:117], 0
	scratch_store_b64 off, v[116:117], off offset:128
	s_wait_loadcnt 0x0
	ds_store_b64 v1, v[114:115]
.LBB54_307:
	s_wait_xcnt 0x0
	s_or_b32 exec_lo, exec_lo, s0
	s_wait_storecnt_dscnt 0x0
	s_barrier_signal -1
	s_barrier_wait -1
	s_clause 0x5
	scratch_load_b128 v[114:117], off, off offset:128
	scratch_load_b128 v[118:121], off, off offset:144
	;; [unrolled: 1-line block ×6, first 2 shown]
	ds_load_2addr_b64 v[138:141], v2 offset0:73 offset1:74
	ds_load_2addr_b64 v[142:145], v2 offset0:75 offset1:76
	scratch_load_b128 v[146:149], off, off offset:224
	s_mov_b32 s0, exec_lo
	s_wait_loadcnt_dscnt 0x601
	v_fma_f64 v[150:151], v[116:117], v[138:139], 0
	s_wait_loadcnt 0x5
	s_delay_alu instid0(VALU_DEP_1) | instskip(SKIP_4) | instid1(VALU_DEP_1)
	v_fmac_f64_e32 v[150:151], v[118:119], v[140:141]
	scratch_load_b128 v[116:119], off, off offset:240
	s_wait_dscnt 0x0
	v_fmac_f64_e32 v[150:151], v[120:121], v[142:143]
	s_wait_loadcnt 0x5
	v_fmac_f64_e32 v[150:151], v[122:123], v[144:145]
	ds_load_2addr_b64 v[120:123], v2 offset0:77 offset1:78
	ds_load_2addr_b64 v[138:141], v2 offset0:79 offset1:80
	scratch_load_b128 v[142:145], off, off offset:256
	s_wait_dscnt 0x1
	v_fmac_f64_e32 v[150:151], v[124:125], v[120:121]
	s_wait_loadcnt 0x5
	s_delay_alu instid0(VALU_DEP_1) | instskip(SKIP_4) | instid1(VALU_DEP_1)
	v_fmac_f64_e32 v[150:151], v[126:127], v[122:123]
	scratch_load_b128 v[120:123], off, off offset:272
	s_wait_dscnt 0x0
	v_fmac_f64_e32 v[150:151], v[128:129], v[138:139]
	s_wait_loadcnt 0x5
	v_fmac_f64_e32 v[150:151], v[130:131], v[140:141]
	ds_load_2addr_b64 v[124:127], v2 offset0:81 offset1:82
	ds_load_2addr_b64 v[128:131], v2 offset0:83 offset1:84
	scratch_load_b128 v[138:141], off, off offset:288
	s_wait_dscnt 0x1
	v_fmac_f64_e32 v[150:151], v[132:133], v[124:125]
	s_wait_loadcnt 0x5
	s_delay_alu instid0(VALU_DEP_1) | instskip(SKIP_4) | instid1(VALU_DEP_1)
	v_fmac_f64_e32 v[150:151], v[134:135], v[126:127]
	scratch_load_b128 v[124:127], off, off offset:304
	s_wait_dscnt 0x0
	v_fmac_f64_e32 v[150:151], v[136:137], v[128:129]
	s_wait_loadcnt 0x5
	v_fmac_f64_e32 v[150:151], v[146:147], v[130:131]
	ds_load_2addr_b64 v[128:131], v2 offset0:85 offset1:86
	ds_load_2addr_b64 v[132:135], v2 offset0:87 offset1:88
	s_wait_dscnt 0x1
	v_fmac_f64_e32 v[150:151], v[148:149], v[128:129]
	scratch_load_b128 v[146:149], off, off offset:320
	s_wait_loadcnt 0x5
	v_fmac_f64_e32 v[150:151], v[116:117], v[130:131]
	s_wait_dscnt 0x0
	s_delay_alu instid0(VALU_DEP_1)
	v_fmac_f64_e32 v[150:151], v[118:119], v[132:133]
	scratch_load_b128 v[116:119], off, off offset:336
	s_wait_loadcnt 0x5
	v_fmac_f64_e32 v[150:151], v[142:143], v[134:135]
	ds_load_2addr_b64 v[128:131], v2 offset0:89 offset1:90
	ds_load_2addr_b64 v[132:135], v2 offset0:91 offset1:92
	s_wait_dscnt 0x1
	v_fmac_f64_e32 v[150:151], v[144:145], v[128:129]
	scratch_load_b128 v[142:145], off, off offset:352
	s_wait_loadcnt 0x5
	v_fmac_f64_e32 v[150:151], v[120:121], v[130:131]
	s_wait_dscnt 0x0
	s_delay_alu instid0(VALU_DEP_1)
	v_fmac_f64_e32 v[150:151], v[122:123], v[132:133]
	scratch_load_b128 v[120:123], off, off offset:368
	s_wait_loadcnt 0x5
	v_fmac_f64_e32 v[150:151], v[138:139], v[134:135]
	ds_load_2addr_b64 v[128:131], v2 offset0:93 offset1:94
	ds_load_2addr_b64 v[132:135], v2 offset0:95 offset1:96
	s_wait_dscnt 0x1
	v_fmac_f64_e32 v[150:151], v[140:141], v[128:129]
	s_wait_loadcnt 0x4
	s_delay_alu instid0(VALU_DEP_1)
	v_fmac_f64_e32 v[150:151], v[124:125], v[130:131]
	scratch_load_b128 v[128:131], off, off offset:384
	s_wait_dscnt 0x0
	v_fmac_f64_e32 v[150:151], v[126:127], v[132:133]
	scratch_load_b128 v[124:127], off, off offset:400
	s_wait_loadcnt 0x5
	v_fmac_f64_e32 v[150:151], v[146:147], v[134:135]
	ds_load_2addr_b64 v[132:135], v2 offset0:97 offset1:98
	ds_load_2addr_b64 v[136:139], v2 offset0:99 offset1:100
	scratch_load_b64 v[140:141], off, off offset:432
	s_wait_dscnt 0x1
	v_fmac_f64_e32 v[150:151], v[148:149], v[132:133]
	s_wait_loadcnt 0x5
	s_delay_alu instid0(VALU_DEP_1) | instskip(SKIP_4) | instid1(VALU_DEP_1)
	v_fmac_f64_e32 v[150:151], v[116:117], v[134:135]
	scratch_load_b128 v[132:135], off, off offset:416
	s_wait_dscnt 0x0
	v_fmac_f64_e32 v[150:151], v[118:119], v[136:137]
	s_wait_loadcnt 0x5
	v_fmac_f64_e32 v[150:151], v[142:143], v[138:139]
	ds_load_2addr_b64 v[116:119], v2 offset0:101 offset1:102
	ds_load_2addr_b64 v[136:139], v2 offset0:103 offset1:104
	s_wait_dscnt 0x1
	v_fmac_f64_e32 v[150:151], v[144:145], v[116:117]
	s_wait_loadcnt 0x4
	s_delay_alu instid0(VALU_DEP_1) | instskip(SKIP_1) | instid1(VALU_DEP_1)
	v_fmac_f64_e32 v[150:151], v[120:121], v[118:119]
	s_wait_dscnt 0x0
	v_fmac_f64_e32 v[150:151], v[122:123], v[136:137]
	ds_load_2addr_b64 v[116:119], v2 offset0:105 offset1:106
	ds_load_2addr_b64 v[120:123], v2 offset0:107 offset1:108
	s_wait_loadcnt 0x3
	v_fmac_f64_e32 v[150:151], v[128:129], v[138:139]
	s_wait_dscnt 0x1
	s_delay_alu instid0(VALU_DEP_1) | instskip(SKIP_1) | instid1(VALU_DEP_1)
	v_fmac_f64_e32 v[150:151], v[130:131], v[116:117]
	s_wait_loadcnt 0x2
	v_fmac_f64_e32 v[150:151], v[124:125], v[118:119]
	ds_load_2addr_b64 v[116:119], v2 offset0:109 offset1:110
	s_wait_dscnt 0x1
	v_fmac_f64_e32 v[150:151], v[126:127], v[120:121]
	s_wait_loadcnt 0x0
	s_delay_alu instid0(VALU_DEP_1) | instskip(SKIP_1) | instid1(VALU_DEP_1)
	v_fmac_f64_e32 v[150:151], v[132:133], v[122:123]
	s_wait_dscnt 0x0
	v_fmac_f64_e32 v[150:151], v[134:135], v[116:117]
	s_delay_alu instid0(VALU_DEP_1) | instskip(NEXT) | instid1(VALU_DEP_1)
	v_fmac_f64_e32 v[150:151], v[140:141], v[118:119]
	v_add_f64_e64 v[2:3], v[114:115], -v[150:151]
	scratch_store_b64 off, v[2:3], off offset:128
	s_wait_xcnt 0x0
	v_cmpx_lt_u32_e32 15, v0
	s_cbranch_execz .LBB54_309
; %bb.308:
	scratch_load_b64 v[2:3], off, off offset:120
	v_mov_b64_e32 v[114:115], 0
	scratch_store_b64 off, v[114:115], off offset:120
	s_wait_loadcnt 0x0
	ds_store_b64 v1, v[2:3]
.LBB54_309:
	s_wait_xcnt 0x0
	s_or_b32 exec_lo, exec_lo, s0
	s_wait_storecnt_dscnt 0x0
	s_barrier_signal -1
	s_barrier_wait -1
	s_clause 0x5
	scratch_load_b128 v[114:117], off, off offset:120
	scratch_load_b128 v[118:121], off, off offset:136
	;; [unrolled: 1-line block ×6, first 2 shown]
	v_mov_b32_e32 v2, 0
	ds_load_b128 v[138:141], v2 offset:576
	ds_load_b128 v[142:145], v2 offset:592
	scratch_load_b128 v[146:149], off, off offset:216
	s_mov_b32 s0, exec_lo
	s_wait_loadcnt_dscnt 0x601
	v_fma_f64 v[150:151], v[116:117], v[138:139], 0
	s_wait_loadcnt 0x5
	s_delay_alu instid0(VALU_DEP_1) | instskip(SKIP_4) | instid1(VALU_DEP_1)
	v_fmac_f64_e32 v[150:151], v[118:119], v[140:141]
	scratch_load_b128 v[116:119], off, off offset:232
	s_wait_dscnt 0x0
	v_fmac_f64_e32 v[150:151], v[120:121], v[142:143]
	s_wait_loadcnt 0x5
	v_fmac_f64_e32 v[150:151], v[122:123], v[144:145]
	ds_load_b128 v[120:123], v2 offset:608
	ds_load_b128 v[138:141], v2 offset:624
	scratch_load_b128 v[142:145], off, off offset:248
	s_wait_dscnt 0x1
	v_fmac_f64_e32 v[150:151], v[124:125], v[120:121]
	s_wait_loadcnt 0x5
	s_delay_alu instid0(VALU_DEP_1) | instskip(SKIP_4) | instid1(VALU_DEP_1)
	v_fmac_f64_e32 v[150:151], v[126:127], v[122:123]
	scratch_load_b128 v[120:123], off, off offset:264
	s_wait_dscnt 0x0
	v_fmac_f64_e32 v[150:151], v[128:129], v[138:139]
	s_wait_loadcnt 0x5
	v_fmac_f64_e32 v[150:151], v[130:131], v[140:141]
	ds_load_b128 v[124:127], v2 offset:640
	ds_load_b128 v[128:131], v2 offset:656
	scratch_load_b128 v[138:141], off, off offset:280
	s_wait_dscnt 0x1
	v_fmac_f64_e32 v[150:151], v[132:133], v[124:125]
	s_wait_loadcnt 0x5
	s_delay_alu instid0(VALU_DEP_1) | instskip(SKIP_4) | instid1(VALU_DEP_1)
	v_fmac_f64_e32 v[150:151], v[134:135], v[126:127]
	scratch_load_b128 v[124:127], off, off offset:296
	s_wait_dscnt 0x0
	v_fmac_f64_e32 v[150:151], v[136:137], v[128:129]
	s_wait_loadcnt 0x5
	v_fmac_f64_e32 v[150:151], v[146:147], v[130:131]
	ds_load_b128 v[128:131], v2 offset:672
	ds_load_b128 v[132:135], v2 offset:688
	s_wait_dscnt 0x1
	v_fmac_f64_e32 v[150:151], v[148:149], v[128:129]
	scratch_load_b128 v[146:149], off, off offset:312
	s_wait_loadcnt 0x5
	v_fmac_f64_e32 v[150:151], v[116:117], v[130:131]
	s_wait_dscnt 0x0
	s_delay_alu instid0(VALU_DEP_1)
	v_fmac_f64_e32 v[150:151], v[118:119], v[132:133]
	scratch_load_b128 v[116:119], off, off offset:328
	s_wait_loadcnt 0x5
	v_fmac_f64_e32 v[150:151], v[142:143], v[134:135]
	ds_load_b128 v[128:131], v2 offset:704
	ds_load_b128 v[132:135], v2 offset:720
	s_wait_dscnt 0x1
	v_fmac_f64_e32 v[150:151], v[144:145], v[128:129]
	scratch_load_b128 v[142:145], off, off offset:344
	s_wait_loadcnt 0x5
	v_fmac_f64_e32 v[150:151], v[120:121], v[130:131]
	s_wait_dscnt 0x0
	s_delay_alu instid0(VALU_DEP_1)
	v_fmac_f64_e32 v[150:151], v[122:123], v[132:133]
	scratch_load_b128 v[120:123], off, off offset:360
	s_wait_loadcnt 0x5
	v_fmac_f64_e32 v[150:151], v[138:139], v[134:135]
	ds_load_b128 v[128:131], v2 offset:736
	ds_load_b128 v[132:135], v2 offset:752
	s_wait_dscnt 0x1
	v_fmac_f64_e32 v[150:151], v[140:141], v[128:129]
	s_wait_loadcnt 0x4
	s_delay_alu instid0(VALU_DEP_1)
	v_fmac_f64_e32 v[150:151], v[124:125], v[130:131]
	scratch_load_b128 v[128:131], off, off offset:376
	s_wait_dscnt 0x0
	v_fmac_f64_e32 v[150:151], v[126:127], v[132:133]
	scratch_load_b128 v[124:127], off, off offset:392
	s_wait_loadcnt 0x5
	v_fmac_f64_e32 v[150:151], v[146:147], v[134:135]
	ds_load_b128 v[132:135], v2 offset:768
	ds_load_b128 v[136:139], v2 offset:784
	s_wait_dscnt 0x1
	v_fmac_f64_e32 v[150:151], v[148:149], v[132:133]
	s_wait_loadcnt 0x4
	s_delay_alu instid0(VALU_DEP_1)
	v_fmac_f64_e32 v[150:151], v[116:117], v[134:135]
	scratch_load_b128 v[132:135], off, off offset:408
	s_wait_dscnt 0x0
	v_fmac_f64_e32 v[150:151], v[118:119], v[136:137]
	scratch_load_b128 v[116:119], off, off offset:424
	s_wait_loadcnt 0x5
	v_fmac_f64_e32 v[150:151], v[142:143], v[138:139]
	ds_load_b128 v[136:139], v2 offset:800
	ds_load_b128 v[140:143], v2 offset:816
	s_wait_dscnt 0x1
	v_fmac_f64_e32 v[150:151], v[144:145], v[136:137]
	s_wait_loadcnt 0x4
	s_delay_alu instid0(VALU_DEP_1) | instskip(SKIP_1) | instid1(VALU_DEP_1)
	v_fmac_f64_e32 v[150:151], v[120:121], v[138:139]
	s_wait_dscnt 0x0
	v_fmac_f64_e32 v[150:151], v[122:123], v[140:141]
	ds_load_b128 v[120:123], v2 offset:832
	ds_load_b128 v[136:139], v2 offset:848
	s_wait_loadcnt 0x3
	v_fmac_f64_e32 v[150:151], v[128:129], v[142:143]
	s_wait_dscnt 0x1
	s_delay_alu instid0(VALU_DEP_1) | instskip(SKIP_1) | instid1(VALU_DEP_1)
	v_fmac_f64_e32 v[150:151], v[130:131], v[120:121]
	s_wait_loadcnt 0x2
	v_fmac_f64_e32 v[150:151], v[124:125], v[122:123]
	ds_load_b128 v[120:123], v2 offset:864
	ds_load_b64 v[124:125], v2 offset:880
	s_wait_dscnt 0x2
	v_fmac_f64_e32 v[150:151], v[126:127], v[136:137]
	s_wait_loadcnt 0x1
	s_delay_alu instid0(VALU_DEP_1) | instskip(SKIP_1) | instid1(VALU_DEP_1)
	v_fmac_f64_e32 v[150:151], v[132:133], v[138:139]
	s_wait_dscnt 0x1
	v_fmac_f64_e32 v[150:151], v[134:135], v[120:121]
	s_wait_loadcnt 0x0
	s_delay_alu instid0(VALU_DEP_1) | instskip(SKIP_1) | instid1(VALU_DEP_1)
	v_fmac_f64_e32 v[150:151], v[116:117], v[122:123]
	s_wait_dscnt 0x0
	v_fmac_f64_e32 v[150:151], v[118:119], v[124:125]
	s_delay_alu instid0(VALU_DEP_1)
	v_add_f64_e64 v[114:115], v[114:115], -v[150:151]
	scratch_store_b64 off, v[114:115], off offset:120
	s_wait_xcnt 0x0
	v_cmpx_lt_u32_e32 14, v0
	s_cbranch_execz .LBB54_311
; %bb.310:
	scratch_load_b64 v[114:115], off, off offset:112
	v_mov_b64_e32 v[116:117], 0
	scratch_store_b64 off, v[116:117], off offset:112
	s_wait_loadcnt 0x0
	ds_store_b64 v1, v[114:115]
.LBB54_311:
	s_wait_xcnt 0x0
	s_or_b32 exec_lo, exec_lo, s0
	s_wait_storecnt_dscnt 0x0
	s_barrier_signal -1
	s_barrier_wait -1
	s_clause 0x5
	scratch_load_b128 v[114:117], off, off offset:112
	scratch_load_b128 v[118:121], off, off offset:128
	;; [unrolled: 1-line block ×6, first 2 shown]
	ds_load_2addr_b64 v[138:141], v2 offset0:71 offset1:72
	ds_load_2addr_b64 v[142:145], v2 offset0:73 offset1:74
	scratch_load_b128 v[146:149], off, off offset:208
	s_mov_b32 s0, exec_lo
	s_wait_loadcnt_dscnt 0x601
	v_fma_f64 v[150:151], v[116:117], v[138:139], 0
	s_wait_loadcnt 0x5
	s_delay_alu instid0(VALU_DEP_1) | instskip(SKIP_4) | instid1(VALU_DEP_1)
	v_fmac_f64_e32 v[150:151], v[118:119], v[140:141]
	scratch_load_b128 v[116:119], off, off offset:224
	s_wait_dscnt 0x0
	v_fmac_f64_e32 v[150:151], v[120:121], v[142:143]
	s_wait_loadcnt 0x5
	v_fmac_f64_e32 v[150:151], v[122:123], v[144:145]
	ds_load_2addr_b64 v[120:123], v2 offset0:75 offset1:76
	ds_load_2addr_b64 v[138:141], v2 offset0:77 offset1:78
	scratch_load_b128 v[142:145], off, off offset:240
	s_wait_dscnt 0x1
	v_fmac_f64_e32 v[150:151], v[124:125], v[120:121]
	s_wait_loadcnt 0x5
	s_delay_alu instid0(VALU_DEP_1) | instskip(SKIP_4) | instid1(VALU_DEP_1)
	v_fmac_f64_e32 v[150:151], v[126:127], v[122:123]
	scratch_load_b128 v[120:123], off, off offset:256
	s_wait_dscnt 0x0
	v_fmac_f64_e32 v[150:151], v[128:129], v[138:139]
	s_wait_loadcnt 0x5
	v_fmac_f64_e32 v[150:151], v[130:131], v[140:141]
	ds_load_2addr_b64 v[124:127], v2 offset0:79 offset1:80
	ds_load_2addr_b64 v[128:131], v2 offset0:81 offset1:82
	scratch_load_b128 v[138:141], off, off offset:272
	s_wait_dscnt 0x1
	v_fmac_f64_e32 v[150:151], v[132:133], v[124:125]
	s_wait_loadcnt 0x5
	s_delay_alu instid0(VALU_DEP_1) | instskip(SKIP_4) | instid1(VALU_DEP_1)
	v_fmac_f64_e32 v[150:151], v[134:135], v[126:127]
	scratch_load_b128 v[124:127], off, off offset:288
	s_wait_dscnt 0x0
	v_fmac_f64_e32 v[150:151], v[136:137], v[128:129]
	s_wait_loadcnt 0x5
	v_fmac_f64_e32 v[150:151], v[146:147], v[130:131]
	ds_load_2addr_b64 v[128:131], v2 offset0:83 offset1:84
	ds_load_2addr_b64 v[132:135], v2 offset0:85 offset1:86
	s_wait_dscnt 0x1
	v_fmac_f64_e32 v[150:151], v[148:149], v[128:129]
	scratch_load_b128 v[146:149], off, off offset:304
	s_wait_loadcnt 0x5
	v_fmac_f64_e32 v[150:151], v[116:117], v[130:131]
	s_wait_dscnt 0x0
	s_delay_alu instid0(VALU_DEP_1)
	v_fmac_f64_e32 v[150:151], v[118:119], v[132:133]
	scratch_load_b128 v[116:119], off, off offset:320
	s_wait_loadcnt 0x5
	v_fmac_f64_e32 v[150:151], v[142:143], v[134:135]
	ds_load_2addr_b64 v[128:131], v2 offset0:87 offset1:88
	ds_load_2addr_b64 v[132:135], v2 offset0:89 offset1:90
	s_wait_dscnt 0x1
	v_fmac_f64_e32 v[150:151], v[144:145], v[128:129]
	scratch_load_b128 v[142:145], off, off offset:336
	s_wait_loadcnt 0x5
	v_fmac_f64_e32 v[150:151], v[120:121], v[130:131]
	s_wait_dscnt 0x0
	s_delay_alu instid0(VALU_DEP_1)
	v_fmac_f64_e32 v[150:151], v[122:123], v[132:133]
	scratch_load_b128 v[120:123], off, off offset:352
	s_wait_loadcnt 0x5
	v_fmac_f64_e32 v[150:151], v[138:139], v[134:135]
	ds_load_2addr_b64 v[128:131], v2 offset0:91 offset1:92
	ds_load_2addr_b64 v[132:135], v2 offset0:93 offset1:94
	s_wait_dscnt 0x1
	v_fmac_f64_e32 v[150:151], v[140:141], v[128:129]
	s_wait_loadcnt 0x4
	s_delay_alu instid0(VALU_DEP_1)
	v_fmac_f64_e32 v[150:151], v[124:125], v[130:131]
	scratch_load_b128 v[128:131], off, off offset:368
	s_wait_dscnt 0x0
	v_fmac_f64_e32 v[150:151], v[126:127], v[132:133]
	scratch_load_b128 v[124:127], off, off offset:384
	s_wait_loadcnt 0x5
	v_fmac_f64_e32 v[150:151], v[146:147], v[134:135]
	ds_load_2addr_b64 v[132:135], v2 offset0:95 offset1:96
	ds_load_2addr_b64 v[136:139], v2 offset0:97 offset1:98
	s_wait_dscnt 0x1
	v_fmac_f64_e32 v[150:151], v[148:149], v[132:133]
	s_wait_loadcnt 0x4
	s_delay_alu instid0(VALU_DEP_1)
	v_fmac_f64_e32 v[150:151], v[116:117], v[134:135]
	scratch_load_b128 v[132:135], off, off offset:400
	s_wait_dscnt 0x0
	v_fmac_f64_e32 v[150:151], v[118:119], v[136:137]
	scratch_load_b128 v[116:119], off, off offset:416
	s_wait_loadcnt 0x5
	v_fmac_f64_e32 v[150:151], v[142:143], v[138:139]
	ds_load_2addr_b64 v[136:139], v2 offset0:99 offset1:100
	ds_load_2addr_b64 v[140:143], v2 offset0:101 offset1:102
	s_wait_dscnt 0x1
	v_fmac_f64_e32 v[150:151], v[144:145], v[136:137]
	scratch_load_b64 v[144:145], off, off offset:432
	s_wait_loadcnt 0x5
	v_fmac_f64_e32 v[150:151], v[120:121], v[138:139]
	s_wait_dscnt 0x0
	s_delay_alu instid0(VALU_DEP_1)
	v_fmac_f64_e32 v[150:151], v[122:123], v[140:141]
	ds_load_2addr_b64 v[120:123], v2 offset0:103 offset1:104
	ds_load_2addr_b64 v[136:139], v2 offset0:105 offset1:106
	s_wait_loadcnt 0x4
	v_fmac_f64_e32 v[150:151], v[128:129], v[142:143]
	s_wait_dscnt 0x1
	s_delay_alu instid0(VALU_DEP_1) | instskip(SKIP_1) | instid1(VALU_DEP_1)
	v_fmac_f64_e32 v[150:151], v[130:131], v[120:121]
	s_wait_loadcnt 0x3
	v_fmac_f64_e32 v[150:151], v[124:125], v[122:123]
	s_wait_dscnt 0x0
	s_delay_alu instid0(VALU_DEP_1)
	v_fmac_f64_e32 v[150:151], v[126:127], v[136:137]
	ds_load_2addr_b64 v[120:123], v2 offset0:107 offset1:108
	ds_load_2addr_b64 v[124:127], v2 offset0:109 offset1:110
	s_wait_loadcnt 0x2
	v_fmac_f64_e32 v[150:151], v[132:133], v[138:139]
	s_wait_dscnt 0x1
	s_delay_alu instid0(VALU_DEP_1) | instskip(SKIP_1) | instid1(VALU_DEP_1)
	v_fmac_f64_e32 v[150:151], v[134:135], v[120:121]
	s_wait_loadcnt 0x1
	v_fmac_f64_e32 v[150:151], v[116:117], v[122:123]
	s_wait_dscnt 0x0
	s_delay_alu instid0(VALU_DEP_1) | instskip(SKIP_1) | instid1(VALU_DEP_1)
	v_fmac_f64_e32 v[150:151], v[118:119], v[124:125]
	s_wait_loadcnt 0x0
	v_fmac_f64_e32 v[150:151], v[144:145], v[126:127]
	s_delay_alu instid0(VALU_DEP_1)
	v_add_f64_e64 v[2:3], v[114:115], -v[150:151]
	scratch_store_b64 off, v[2:3], off offset:112
	s_wait_xcnt 0x0
	v_cmpx_lt_u32_e32 13, v0
	s_cbranch_execz .LBB54_313
; %bb.312:
	scratch_load_b64 v[2:3], off, off offset:104
	v_mov_b64_e32 v[114:115], 0
	scratch_store_b64 off, v[114:115], off offset:104
	s_wait_loadcnt 0x0
	ds_store_b64 v1, v[2:3]
.LBB54_313:
	s_wait_xcnt 0x0
	s_or_b32 exec_lo, exec_lo, s0
	s_wait_storecnt_dscnt 0x0
	s_barrier_signal -1
	s_barrier_wait -1
	s_clause 0x5
	scratch_load_b128 v[114:117], off, off offset:104
	scratch_load_b128 v[118:121], off, off offset:120
	scratch_load_b128 v[122:125], off, off offset:136
	scratch_load_b128 v[126:129], off, off offset:152
	scratch_load_b128 v[130:133], off, off offset:168
	scratch_load_b128 v[134:137], off, off offset:184
	v_mov_b32_e32 v2, 0
	ds_load_b128 v[138:141], v2 offset:560
	ds_load_b128 v[142:145], v2 offset:576
	scratch_load_b128 v[146:149], off, off offset:200
	s_mov_b32 s0, exec_lo
	s_wait_loadcnt_dscnt 0x601
	v_fma_f64 v[150:151], v[116:117], v[138:139], 0
	s_wait_loadcnt 0x5
	s_delay_alu instid0(VALU_DEP_1) | instskip(SKIP_4) | instid1(VALU_DEP_1)
	v_fmac_f64_e32 v[150:151], v[118:119], v[140:141]
	scratch_load_b128 v[116:119], off, off offset:216
	s_wait_dscnt 0x0
	v_fmac_f64_e32 v[150:151], v[120:121], v[142:143]
	s_wait_loadcnt 0x5
	v_fmac_f64_e32 v[150:151], v[122:123], v[144:145]
	ds_load_b128 v[120:123], v2 offset:592
	ds_load_b128 v[138:141], v2 offset:608
	scratch_load_b128 v[142:145], off, off offset:232
	s_wait_dscnt 0x1
	v_fmac_f64_e32 v[150:151], v[124:125], v[120:121]
	s_wait_loadcnt 0x5
	s_delay_alu instid0(VALU_DEP_1) | instskip(SKIP_4) | instid1(VALU_DEP_1)
	v_fmac_f64_e32 v[150:151], v[126:127], v[122:123]
	scratch_load_b128 v[120:123], off, off offset:248
	s_wait_dscnt 0x0
	v_fmac_f64_e32 v[150:151], v[128:129], v[138:139]
	s_wait_loadcnt 0x5
	v_fmac_f64_e32 v[150:151], v[130:131], v[140:141]
	ds_load_b128 v[124:127], v2 offset:624
	ds_load_b128 v[128:131], v2 offset:640
	scratch_load_b128 v[138:141], off, off offset:264
	s_wait_dscnt 0x1
	v_fmac_f64_e32 v[150:151], v[132:133], v[124:125]
	s_wait_loadcnt 0x5
	s_delay_alu instid0(VALU_DEP_1) | instskip(SKIP_4) | instid1(VALU_DEP_1)
	v_fmac_f64_e32 v[150:151], v[134:135], v[126:127]
	scratch_load_b128 v[124:127], off, off offset:280
	s_wait_dscnt 0x0
	v_fmac_f64_e32 v[150:151], v[136:137], v[128:129]
	s_wait_loadcnt 0x5
	v_fmac_f64_e32 v[150:151], v[146:147], v[130:131]
	ds_load_b128 v[128:131], v2 offset:656
	ds_load_b128 v[132:135], v2 offset:672
	s_wait_dscnt 0x1
	v_fmac_f64_e32 v[150:151], v[148:149], v[128:129]
	scratch_load_b128 v[146:149], off, off offset:296
	s_wait_loadcnt 0x5
	v_fmac_f64_e32 v[150:151], v[116:117], v[130:131]
	s_wait_dscnt 0x0
	s_delay_alu instid0(VALU_DEP_1)
	v_fmac_f64_e32 v[150:151], v[118:119], v[132:133]
	scratch_load_b128 v[116:119], off, off offset:312
	s_wait_loadcnt 0x5
	v_fmac_f64_e32 v[150:151], v[142:143], v[134:135]
	ds_load_b128 v[128:131], v2 offset:688
	ds_load_b128 v[132:135], v2 offset:704
	s_wait_dscnt 0x1
	v_fmac_f64_e32 v[150:151], v[144:145], v[128:129]
	scratch_load_b128 v[142:145], off, off offset:328
	s_wait_loadcnt 0x5
	v_fmac_f64_e32 v[150:151], v[120:121], v[130:131]
	s_wait_dscnt 0x0
	s_delay_alu instid0(VALU_DEP_1)
	v_fmac_f64_e32 v[150:151], v[122:123], v[132:133]
	scratch_load_b128 v[120:123], off, off offset:344
	s_wait_loadcnt 0x5
	v_fmac_f64_e32 v[150:151], v[138:139], v[134:135]
	ds_load_b128 v[128:131], v2 offset:720
	ds_load_b128 v[132:135], v2 offset:736
	s_wait_dscnt 0x1
	v_fmac_f64_e32 v[150:151], v[140:141], v[128:129]
	s_wait_loadcnt 0x4
	s_delay_alu instid0(VALU_DEP_1)
	v_fmac_f64_e32 v[150:151], v[124:125], v[130:131]
	scratch_load_b128 v[128:131], off, off offset:360
	s_wait_dscnt 0x0
	v_fmac_f64_e32 v[150:151], v[126:127], v[132:133]
	scratch_load_b128 v[124:127], off, off offset:376
	s_wait_loadcnt 0x5
	v_fmac_f64_e32 v[150:151], v[146:147], v[134:135]
	ds_load_b128 v[132:135], v2 offset:752
	ds_load_b128 v[136:139], v2 offset:768
	s_wait_dscnt 0x1
	v_fmac_f64_e32 v[150:151], v[148:149], v[132:133]
	s_wait_loadcnt 0x4
	s_delay_alu instid0(VALU_DEP_1)
	v_fmac_f64_e32 v[150:151], v[116:117], v[134:135]
	scratch_load_b128 v[132:135], off, off offset:392
	s_wait_dscnt 0x0
	v_fmac_f64_e32 v[150:151], v[118:119], v[136:137]
	scratch_load_b128 v[116:119], off, off offset:408
	s_wait_loadcnt 0x5
	v_fmac_f64_e32 v[150:151], v[142:143], v[138:139]
	ds_load_b128 v[136:139], v2 offset:784
	ds_load_b128 v[140:143], v2 offset:800
	s_wait_dscnt 0x1
	v_fmac_f64_e32 v[150:151], v[144:145], v[136:137]
	s_wait_loadcnt 0x4
	s_delay_alu instid0(VALU_DEP_1) | instskip(SKIP_4) | instid1(VALU_DEP_1)
	v_fmac_f64_e32 v[150:151], v[120:121], v[138:139]
	scratch_load_b128 v[136:139], off, off offset:424
	s_wait_dscnt 0x0
	v_fmac_f64_e32 v[150:151], v[122:123], v[140:141]
	s_wait_loadcnt 0x4
	v_fmac_f64_e32 v[150:151], v[128:129], v[142:143]
	ds_load_b128 v[120:123], v2 offset:816
	ds_load_b128 v[140:143], v2 offset:832
	s_wait_dscnt 0x1
	v_fmac_f64_e32 v[150:151], v[130:131], v[120:121]
	s_wait_loadcnt 0x3
	s_delay_alu instid0(VALU_DEP_1) | instskip(SKIP_1) | instid1(VALU_DEP_1)
	v_fmac_f64_e32 v[150:151], v[124:125], v[122:123]
	s_wait_dscnt 0x0
	v_fmac_f64_e32 v[150:151], v[126:127], v[140:141]
	ds_load_b128 v[120:123], v2 offset:848
	ds_load_b128 v[124:127], v2 offset:864
	s_wait_loadcnt 0x2
	v_fmac_f64_e32 v[150:151], v[132:133], v[142:143]
	s_wait_dscnt 0x1
	s_delay_alu instid0(VALU_DEP_1) | instskip(SKIP_1) | instid1(VALU_DEP_1)
	v_fmac_f64_e32 v[150:151], v[134:135], v[120:121]
	s_wait_loadcnt 0x1
	v_fmac_f64_e32 v[150:151], v[116:117], v[122:123]
	ds_load_b64 v[116:117], v2 offset:880
	s_wait_dscnt 0x1
	v_fmac_f64_e32 v[150:151], v[118:119], v[124:125]
	s_wait_loadcnt 0x0
	s_delay_alu instid0(VALU_DEP_1) | instskip(SKIP_1) | instid1(VALU_DEP_1)
	v_fmac_f64_e32 v[150:151], v[136:137], v[126:127]
	s_wait_dscnt 0x0
	v_fmac_f64_e32 v[150:151], v[138:139], v[116:117]
	s_delay_alu instid0(VALU_DEP_1)
	v_add_f64_e64 v[114:115], v[114:115], -v[150:151]
	scratch_store_b64 off, v[114:115], off offset:104
	s_wait_xcnt 0x0
	v_cmpx_lt_u32_e32 12, v0
	s_cbranch_execz .LBB54_315
; %bb.314:
	scratch_load_b64 v[114:115], off, off offset:96
	v_mov_b64_e32 v[116:117], 0
	scratch_store_b64 off, v[116:117], off offset:96
	s_wait_loadcnt 0x0
	ds_store_b64 v1, v[114:115]
.LBB54_315:
	s_wait_xcnt 0x0
	s_or_b32 exec_lo, exec_lo, s0
	s_wait_storecnt_dscnt 0x0
	s_barrier_signal -1
	s_barrier_wait -1
	s_clause 0x5
	scratch_load_b128 v[114:117], off, off offset:96
	scratch_load_b128 v[118:121], off, off offset:112
	;; [unrolled: 1-line block ×6, first 2 shown]
	ds_load_2addr_b64 v[138:141], v2 offset0:69 offset1:70
	ds_load_2addr_b64 v[142:145], v2 offset0:71 offset1:72
	scratch_load_b128 v[146:149], off, off offset:192
	s_mov_b32 s0, exec_lo
	s_wait_loadcnt_dscnt 0x601
	v_fma_f64 v[150:151], v[116:117], v[138:139], 0
	s_wait_loadcnt 0x5
	s_delay_alu instid0(VALU_DEP_1) | instskip(SKIP_4) | instid1(VALU_DEP_1)
	v_fmac_f64_e32 v[150:151], v[118:119], v[140:141]
	scratch_load_b128 v[116:119], off, off offset:208
	s_wait_dscnt 0x0
	v_fmac_f64_e32 v[150:151], v[120:121], v[142:143]
	s_wait_loadcnt 0x5
	v_fmac_f64_e32 v[150:151], v[122:123], v[144:145]
	ds_load_2addr_b64 v[120:123], v2 offset0:73 offset1:74
	ds_load_2addr_b64 v[138:141], v2 offset0:75 offset1:76
	scratch_load_b128 v[142:145], off, off offset:224
	s_wait_dscnt 0x1
	v_fmac_f64_e32 v[150:151], v[124:125], v[120:121]
	s_wait_loadcnt 0x5
	s_delay_alu instid0(VALU_DEP_1) | instskip(SKIP_4) | instid1(VALU_DEP_1)
	v_fmac_f64_e32 v[150:151], v[126:127], v[122:123]
	scratch_load_b128 v[120:123], off, off offset:240
	s_wait_dscnt 0x0
	v_fmac_f64_e32 v[150:151], v[128:129], v[138:139]
	s_wait_loadcnt 0x5
	v_fmac_f64_e32 v[150:151], v[130:131], v[140:141]
	ds_load_2addr_b64 v[124:127], v2 offset0:77 offset1:78
	ds_load_2addr_b64 v[128:131], v2 offset0:79 offset1:80
	scratch_load_b128 v[138:141], off, off offset:256
	s_wait_dscnt 0x1
	v_fmac_f64_e32 v[150:151], v[132:133], v[124:125]
	s_wait_loadcnt 0x5
	s_delay_alu instid0(VALU_DEP_1) | instskip(SKIP_4) | instid1(VALU_DEP_1)
	v_fmac_f64_e32 v[150:151], v[134:135], v[126:127]
	scratch_load_b128 v[124:127], off, off offset:272
	s_wait_dscnt 0x0
	v_fmac_f64_e32 v[150:151], v[136:137], v[128:129]
	s_wait_loadcnt 0x5
	v_fmac_f64_e32 v[150:151], v[146:147], v[130:131]
	ds_load_2addr_b64 v[128:131], v2 offset0:81 offset1:82
	ds_load_2addr_b64 v[132:135], v2 offset0:83 offset1:84
	s_wait_dscnt 0x1
	v_fmac_f64_e32 v[150:151], v[148:149], v[128:129]
	scratch_load_b128 v[146:149], off, off offset:288
	s_wait_loadcnt 0x5
	v_fmac_f64_e32 v[150:151], v[116:117], v[130:131]
	s_wait_dscnt 0x0
	s_delay_alu instid0(VALU_DEP_1)
	v_fmac_f64_e32 v[150:151], v[118:119], v[132:133]
	scratch_load_b128 v[116:119], off, off offset:304
	s_wait_loadcnt 0x5
	v_fmac_f64_e32 v[150:151], v[142:143], v[134:135]
	ds_load_2addr_b64 v[128:131], v2 offset0:85 offset1:86
	ds_load_2addr_b64 v[132:135], v2 offset0:87 offset1:88
	s_wait_dscnt 0x1
	v_fmac_f64_e32 v[150:151], v[144:145], v[128:129]
	scratch_load_b128 v[142:145], off, off offset:320
	s_wait_loadcnt 0x5
	v_fmac_f64_e32 v[150:151], v[120:121], v[130:131]
	s_wait_dscnt 0x0
	s_delay_alu instid0(VALU_DEP_1)
	v_fmac_f64_e32 v[150:151], v[122:123], v[132:133]
	scratch_load_b128 v[120:123], off, off offset:336
	s_wait_loadcnt 0x5
	v_fmac_f64_e32 v[150:151], v[138:139], v[134:135]
	ds_load_2addr_b64 v[128:131], v2 offset0:89 offset1:90
	ds_load_2addr_b64 v[132:135], v2 offset0:91 offset1:92
	scratch_load_b128 v[136:139], off, off offset:352
	s_wait_dscnt 0x1
	v_fmac_f64_e32 v[150:151], v[140:141], v[128:129]
	s_wait_loadcnt 0x5
	s_delay_alu instid0(VALU_DEP_1) | instskip(SKIP_1) | instid1(VALU_DEP_1)
	v_fmac_f64_e32 v[150:151], v[124:125], v[130:131]
	s_wait_dscnt 0x0
	v_fmac_f64_e32 v[150:151], v[126:127], v[132:133]
	scratch_load_b128 v[124:127], off, off offset:368
	s_wait_loadcnt 0x5
	v_fmac_f64_e32 v[150:151], v[146:147], v[134:135]
	ds_load_2addr_b64 v[128:131], v2 offset0:93 offset1:94
	ds_load_2addr_b64 v[132:135], v2 offset0:95 offset1:96
	s_wait_dscnt 0x1
	v_fmac_f64_e32 v[150:151], v[148:149], v[128:129]
	s_wait_loadcnt 0x4
	s_delay_alu instid0(VALU_DEP_1)
	v_fmac_f64_e32 v[150:151], v[116:117], v[130:131]
	scratch_load_b128 v[128:131], off, off offset:384
	s_wait_dscnt 0x0
	v_fmac_f64_e32 v[150:151], v[118:119], v[132:133]
	scratch_load_b128 v[116:119], off, off offset:400
	s_wait_loadcnt 0x5
	v_fmac_f64_e32 v[150:151], v[142:143], v[134:135]
	ds_load_2addr_b64 v[132:135], v2 offset0:97 offset1:98
	ds_load_2addr_b64 v[140:143], v2 offset0:99 offset1:100
	s_wait_dscnt 0x1
	v_fmac_f64_e32 v[150:151], v[144:145], v[132:133]
	s_wait_loadcnt 0x4
	s_delay_alu instid0(VALU_DEP_1) | instskip(SKIP_4) | instid1(VALU_DEP_1)
	v_fmac_f64_e32 v[150:151], v[120:121], v[134:135]
	scratch_load_b128 v[132:135], off, off offset:416
	s_wait_dscnt 0x0
	v_fmac_f64_e32 v[150:151], v[122:123], v[140:141]
	s_wait_loadcnt 0x4
	v_fmac_f64_e32 v[150:151], v[136:137], v[142:143]
	scratch_load_b64 v[136:137], off, off offset:432
	ds_load_2addr_b64 v[120:123], v2 offset0:101 offset1:102
	ds_load_2addr_b64 v[140:143], v2 offset0:103 offset1:104
	s_wait_dscnt 0x1
	v_fmac_f64_e32 v[150:151], v[138:139], v[120:121]
	s_wait_loadcnt 0x4
	s_delay_alu instid0(VALU_DEP_1) | instskip(SKIP_1) | instid1(VALU_DEP_1)
	v_fmac_f64_e32 v[150:151], v[124:125], v[122:123]
	s_wait_dscnt 0x0
	v_fmac_f64_e32 v[150:151], v[126:127], v[140:141]
	ds_load_2addr_b64 v[120:123], v2 offset0:105 offset1:106
	ds_load_2addr_b64 v[124:127], v2 offset0:107 offset1:108
	s_wait_loadcnt 0x3
	v_fmac_f64_e32 v[150:151], v[128:129], v[142:143]
	s_wait_dscnt 0x1
	s_delay_alu instid0(VALU_DEP_1) | instskip(SKIP_1) | instid1(VALU_DEP_1)
	v_fmac_f64_e32 v[150:151], v[130:131], v[120:121]
	s_wait_loadcnt 0x2
	v_fmac_f64_e32 v[150:151], v[116:117], v[122:123]
	s_wait_dscnt 0x0
	s_delay_alu instid0(VALU_DEP_1) | instskip(SKIP_4) | instid1(VALU_DEP_1)
	v_fmac_f64_e32 v[150:151], v[118:119], v[124:125]
	ds_load_2addr_b64 v[116:119], v2 offset0:109 offset1:110
	s_wait_loadcnt 0x1
	v_fmac_f64_e32 v[150:151], v[132:133], v[126:127]
	s_wait_dscnt 0x0
	v_fmac_f64_e32 v[150:151], v[134:135], v[116:117]
	s_wait_loadcnt 0x0
	s_delay_alu instid0(VALU_DEP_1) | instskip(NEXT) | instid1(VALU_DEP_1)
	v_fmac_f64_e32 v[150:151], v[136:137], v[118:119]
	v_add_f64_e64 v[2:3], v[114:115], -v[150:151]
	scratch_store_b64 off, v[2:3], off offset:96
	s_wait_xcnt 0x0
	v_cmpx_lt_u32_e32 11, v0
	s_cbranch_execz .LBB54_317
; %bb.316:
	scratch_load_b64 v[2:3], off, off offset:88
	v_mov_b64_e32 v[114:115], 0
	scratch_store_b64 off, v[114:115], off offset:88
	s_wait_loadcnt 0x0
	ds_store_b64 v1, v[2:3]
.LBB54_317:
	s_wait_xcnt 0x0
	s_or_b32 exec_lo, exec_lo, s0
	s_wait_storecnt_dscnt 0x0
	s_barrier_signal -1
	s_barrier_wait -1
	s_clause 0x5
	scratch_load_b128 v[114:117], off, off offset:88
	scratch_load_b128 v[118:121], off, off offset:104
	scratch_load_b128 v[122:125], off, off offset:120
	scratch_load_b128 v[126:129], off, off offset:136
	scratch_load_b128 v[130:133], off, off offset:152
	scratch_load_b128 v[134:137], off, off offset:168
	v_mov_b32_e32 v2, 0
	ds_load_b128 v[138:141], v2 offset:544
	ds_load_b128 v[142:145], v2 offset:560
	scratch_load_b128 v[146:149], off, off offset:184
	s_mov_b32 s0, exec_lo
	s_wait_loadcnt_dscnt 0x601
	v_fma_f64 v[150:151], v[116:117], v[138:139], 0
	s_wait_loadcnt 0x5
	s_delay_alu instid0(VALU_DEP_1) | instskip(SKIP_4) | instid1(VALU_DEP_1)
	v_fmac_f64_e32 v[150:151], v[118:119], v[140:141]
	scratch_load_b128 v[116:119], off, off offset:200
	s_wait_dscnt 0x0
	v_fmac_f64_e32 v[150:151], v[120:121], v[142:143]
	s_wait_loadcnt 0x5
	v_fmac_f64_e32 v[150:151], v[122:123], v[144:145]
	ds_load_b128 v[120:123], v2 offset:576
	ds_load_b128 v[138:141], v2 offset:592
	scratch_load_b128 v[142:145], off, off offset:216
	s_wait_dscnt 0x1
	v_fmac_f64_e32 v[150:151], v[124:125], v[120:121]
	s_wait_loadcnt 0x5
	s_delay_alu instid0(VALU_DEP_1) | instskip(SKIP_4) | instid1(VALU_DEP_1)
	v_fmac_f64_e32 v[150:151], v[126:127], v[122:123]
	scratch_load_b128 v[120:123], off, off offset:232
	s_wait_dscnt 0x0
	v_fmac_f64_e32 v[150:151], v[128:129], v[138:139]
	s_wait_loadcnt 0x5
	v_fmac_f64_e32 v[150:151], v[130:131], v[140:141]
	ds_load_b128 v[124:127], v2 offset:608
	ds_load_b128 v[128:131], v2 offset:624
	scratch_load_b128 v[138:141], off, off offset:248
	s_wait_dscnt 0x1
	v_fmac_f64_e32 v[150:151], v[132:133], v[124:125]
	s_wait_loadcnt 0x5
	s_delay_alu instid0(VALU_DEP_1) | instskip(SKIP_4) | instid1(VALU_DEP_1)
	v_fmac_f64_e32 v[150:151], v[134:135], v[126:127]
	scratch_load_b128 v[124:127], off, off offset:264
	s_wait_dscnt 0x0
	v_fmac_f64_e32 v[150:151], v[136:137], v[128:129]
	s_wait_loadcnt 0x5
	v_fmac_f64_e32 v[150:151], v[146:147], v[130:131]
	ds_load_b128 v[128:131], v2 offset:640
	ds_load_b128 v[132:135], v2 offset:656
	s_wait_dscnt 0x1
	v_fmac_f64_e32 v[150:151], v[148:149], v[128:129]
	scratch_load_b128 v[146:149], off, off offset:280
	s_wait_loadcnt 0x5
	v_fmac_f64_e32 v[150:151], v[116:117], v[130:131]
	s_wait_dscnt 0x0
	s_delay_alu instid0(VALU_DEP_1)
	v_fmac_f64_e32 v[150:151], v[118:119], v[132:133]
	scratch_load_b128 v[116:119], off, off offset:296
	s_wait_loadcnt 0x5
	v_fmac_f64_e32 v[150:151], v[142:143], v[134:135]
	ds_load_b128 v[128:131], v2 offset:672
	ds_load_b128 v[132:135], v2 offset:688
	s_wait_dscnt 0x1
	v_fmac_f64_e32 v[150:151], v[144:145], v[128:129]
	scratch_load_b128 v[142:145], off, off offset:312
	s_wait_loadcnt 0x5
	v_fmac_f64_e32 v[150:151], v[120:121], v[130:131]
	s_wait_dscnt 0x0
	s_delay_alu instid0(VALU_DEP_1)
	v_fmac_f64_e32 v[150:151], v[122:123], v[132:133]
	scratch_load_b128 v[120:123], off, off offset:328
	s_wait_loadcnt 0x5
	v_fmac_f64_e32 v[150:151], v[138:139], v[134:135]
	ds_load_b128 v[128:131], v2 offset:704
	ds_load_b128 v[132:135], v2 offset:720
	scratch_load_b128 v[136:139], off, off offset:344
	s_wait_dscnt 0x1
	v_fmac_f64_e32 v[150:151], v[140:141], v[128:129]
	s_wait_loadcnt 0x5
	s_delay_alu instid0(VALU_DEP_1) | instskip(SKIP_1) | instid1(VALU_DEP_1)
	v_fmac_f64_e32 v[150:151], v[124:125], v[130:131]
	s_wait_dscnt 0x0
	v_fmac_f64_e32 v[150:151], v[126:127], v[132:133]
	scratch_load_b128 v[124:127], off, off offset:360
	s_wait_loadcnt 0x5
	v_fmac_f64_e32 v[150:151], v[146:147], v[134:135]
	ds_load_b128 v[128:131], v2 offset:736
	ds_load_b128 v[132:135], v2 offset:752
	s_wait_dscnt 0x1
	v_fmac_f64_e32 v[150:151], v[148:149], v[128:129]
	s_wait_loadcnt 0x4
	s_delay_alu instid0(VALU_DEP_1)
	v_fmac_f64_e32 v[150:151], v[116:117], v[130:131]
	scratch_load_b128 v[128:131], off, off offset:376
	s_wait_dscnt 0x0
	v_fmac_f64_e32 v[150:151], v[118:119], v[132:133]
	scratch_load_b128 v[116:119], off, off offset:392
	s_wait_loadcnt 0x5
	v_fmac_f64_e32 v[150:151], v[142:143], v[134:135]
	ds_load_b128 v[132:135], v2 offset:768
	ds_load_b128 v[140:143], v2 offset:784
	s_wait_dscnt 0x1
	v_fmac_f64_e32 v[150:151], v[144:145], v[132:133]
	s_wait_loadcnt 0x4
	s_delay_alu instid0(VALU_DEP_1)
	v_fmac_f64_e32 v[150:151], v[120:121], v[134:135]
	scratch_load_b128 v[132:135], off, off offset:408
	s_wait_dscnt 0x0
	v_fmac_f64_e32 v[150:151], v[122:123], v[140:141]
	scratch_load_b128 v[120:123], off, off offset:424
	s_wait_loadcnt 0x5
	v_fmac_f64_e32 v[150:151], v[136:137], v[142:143]
	ds_load_b128 v[140:143], v2 offset:800
	ds_load_b128 v[144:147], v2 offset:816
	s_wait_dscnt 0x1
	v_fmac_f64_e32 v[150:151], v[138:139], v[140:141]
	s_wait_loadcnt 0x4
	s_delay_alu instid0(VALU_DEP_1) | instskip(SKIP_1) | instid1(VALU_DEP_1)
	v_fmac_f64_e32 v[150:151], v[124:125], v[142:143]
	s_wait_dscnt 0x0
	v_fmac_f64_e32 v[150:151], v[126:127], v[144:145]
	ds_load_b128 v[124:127], v2 offset:832
	ds_load_b128 v[136:139], v2 offset:848
	s_wait_loadcnt 0x3
	v_fmac_f64_e32 v[150:151], v[128:129], v[146:147]
	s_wait_dscnt 0x1
	s_delay_alu instid0(VALU_DEP_1) | instskip(SKIP_1) | instid1(VALU_DEP_1)
	v_fmac_f64_e32 v[150:151], v[130:131], v[124:125]
	s_wait_loadcnt 0x2
	v_fmac_f64_e32 v[150:151], v[116:117], v[126:127]
	s_wait_dscnt 0x0
	s_delay_alu instid0(VALU_DEP_1)
	v_fmac_f64_e32 v[150:151], v[118:119], v[136:137]
	ds_load_b128 v[116:119], v2 offset:864
	ds_load_b64 v[124:125], v2 offset:880
	s_wait_loadcnt 0x1
	v_fmac_f64_e32 v[150:151], v[132:133], v[138:139]
	s_wait_dscnt 0x1
	s_delay_alu instid0(VALU_DEP_1) | instskip(SKIP_1) | instid1(VALU_DEP_1)
	v_fmac_f64_e32 v[150:151], v[134:135], v[116:117]
	s_wait_loadcnt 0x0
	v_fmac_f64_e32 v[150:151], v[120:121], v[118:119]
	s_wait_dscnt 0x0
	s_delay_alu instid0(VALU_DEP_1) | instskip(NEXT) | instid1(VALU_DEP_1)
	v_fmac_f64_e32 v[150:151], v[122:123], v[124:125]
	v_add_f64_e64 v[114:115], v[114:115], -v[150:151]
	scratch_store_b64 off, v[114:115], off offset:88
	s_wait_xcnt 0x0
	v_cmpx_lt_u32_e32 10, v0
	s_cbranch_execz .LBB54_319
; %bb.318:
	scratch_load_b64 v[114:115], off, off offset:80
	v_mov_b64_e32 v[116:117], 0
	scratch_store_b64 off, v[116:117], off offset:80
	s_wait_loadcnt 0x0
	ds_store_b64 v1, v[114:115]
.LBB54_319:
	s_wait_xcnt 0x0
	s_or_b32 exec_lo, exec_lo, s0
	s_wait_storecnt_dscnt 0x0
	s_barrier_signal -1
	s_barrier_wait -1
	s_clause 0x5
	scratch_load_b128 v[114:117], off, off offset:80
	scratch_load_b128 v[118:121], off, off offset:96
	;; [unrolled: 1-line block ×6, first 2 shown]
	ds_load_2addr_b64 v[138:141], v2 offset0:67 offset1:68
	ds_load_2addr_b64 v[142:145], v2 offset0:69 offset1:70
	scratch_load_b128 v[146:149], off, off offset:176
	s_mov_b32 s0, exec_lo
	s_wait_loadcnt_dscnt 0x601
	v_fma_f64 v[150:151], v[116:117], v[138:139], 0
	s_wait_loadcnt 0x5
	s_delay_alu instid0(VALU_DEP_1) | instskip(SKIP_4) | instid1(VALU_DEP_1)
	v_fmac_f64_e32 v[150:151], v[118:119], v[140:141]
	scratch_load_b128 v[116:119], off, off offset:192
	s_wait_dscnt 0x0
	v_fmac_f64_e32 v[150:151], v[120:121], v[142:143]
	s_wait_loadcnt 0x5
	v_fmac_f64_e32 v[150:151], v[122:123], v[144:145]
	ds_load_2addr_b64 v[120:123], v2 offset0:71 offset1:72
	ds_load_2addr_b64 v[138:141], v2 offset0:73 offset1:74
	scratch_load_b128 v[142:145], off, off offset:208
	s_wait_dscnt 0x1
	v_fmac_f64_e32 v[150:151], v[124:125], v[120:121]
	s_wait_loadcnt 0x5
	s_delay_alu instid0(VALU_DEP_1) | instskip(SKIP_4) | instid1(VALU_DEP_1)
	v_fmac_f64_e32 v[150:151], v[126:127], v[122:123]
	scratch_load_b128 v[120:123], off, off offset:224
	s_wait_dscnt 0x0
	v_fmac_f64_e32 v[150:151], v[128:129], v[138:139]
	s_wait_loadcnt 0x5
	v_fmac_f64_e32 v[150:151], v[130:131], v[140:141]
	ds_load_2addr_b64 v[124:127], v2 offset0:75 offset1:76
	ds_load_2addr_b64 v[128:131], v2 offset0:77 offset1:78
	scratch_load_b128 v[138:141], off, off offset:240
	s_wait_dscnt 0x1
	v_fmac_f64_e32 v[150:151], v[132:133], v[124:125]
	s_wait_loadcnt 0x5
	s_delay_alu instid0(VALU_DEP_1) | instskip(SKIP_4) | instid1(VALU_DEP_1)
	v_fmac_f64_e32 v[150:151], v[134:135], v[126:127]
	scratch_load_b128 v[124:127], off, off offset:256
	s_wait_dscnt 0x0
	v_fmac_f64_e32 v[150:151], v[136:137], v[128:129]
	s_wait_loadcnt 0x5
	v_fmac_f64_e32 v[150:151], v[146:147], v[130:131]
	ds_load_2addr_b64 v[128:131], v2 offset0:79 offset1:80
	ds_load_2addr_b64 v[132:135], v2 offset0:81 offset1:82
	s_wait_dscnt 0x1
	v_fmac_f64_e32 v[150:151], v[148:149], v[128:129]
	scratch_load_b128 v[146:149], off, off offset:272
	s_wait_loadcnt 0x5
	v_fmac_f64_e32 v[150:151], v[116:117], v[130:131]
	s_wait_dscnt 0x0
	s_delay_alu instid0(VALU_DEP_1)
	v_fmac_f64_e32 v[150:151], v[118:119], v[132:133]
	scratch_load_b128 v[116:119], off, off offset:288
	s_wait_loadcnt 0x5
	v_fmac_f64_e32 v[150:151], v[142:143], v[134:135]
	ds_load_2addr_b64 v[128:131], v2 offset0:83 offset1:84
	ds_load_2addr_b64 v[132:135], v2 offset0:85 offset1:86
	s_wait_dscnt 0x1
	v_fmac_f64_e32 v[150:151], v[144:145], v[128:129]
	scratch_load_b128 v[142:145], off, off offset:304
	s_wait_loadcnt 0x5
	v_fmac_f64_e32 v[150:151], v[120:121], v[130:131]
	s_wait_dscnt 0x0
	s_delay_alu instid0(VALU_DEP_1)
	v_fmac_f64_e32 v[150:151], v[122:123], v[132:133]
	scratch_load_b128 v[120:123], off, off offset:320
	s_wait_loadcnt 0x5
	v_fmac_f64_e32 v[150:151], v[138:139], v[134:135]
	ds_load_2addr_b64 v[128:131], v2 offset0:87 offset1:88
	ds_load_2addr_b64 v[132:135], v2 offset0:89 offset1:90
	scratch_load_b128 v[136:139], off, off offset:336
	s_wait_dscnt 0x1
	v_fmac_f64_e32 v[150:151], v[140:141], v[128:129]
	s_wait_loadcnt 0x5
	s_delay_alu instid0(VALU_DEP_1) | instskip(SKIP_1) | instid1(VALU_DEP_1)
	v_fmac_f64_e32 v[150:151], v[124:125], v[130:131]
	s_wait_dscnt 0x0
	v_fmac_f64_e32 v[150:151], v[126:127], v[132:133]
	scratch_load_b128 v[124:127], off, off offset:352
	s_wait_loadcnt 0x5
	v_fmac_f64_e32 v[150:151], v[146:147], v[134:135]
	ds_load_2addr_b64 v[128:131], v2 offset0:91 offset1:92
	ds_load_2addr_b64 v[132:135], v2 offset0:93 offset1:94
	s_wait_dscnt 0x1
	v_fmac_f64_e32 v[150:151], v[148:149], v[128:129]
	s_wait_loadcnt 0x4
	s_delay_alu instid0(VALU_DEP_1)
	v_fmac_f64_e32 v[150:151], v[116:117], v[130:131]
	scratch_load_b128 v[128:131], off, off offset:368
	s_wait_dscnt 0x0
	v_fmac_f64_e32 v[150:151], v[118:119], v[132:133]
	scratch_load_b128 v[116:119], off, off offset:384
	s_wait_loadcnt 0x5
	v_fmac_f64_e32 v[150:151], v[142:143], v[134:135]
	ds_load_2addr_b64 v[132:135], v2 offset0:95 offset1:96
	ds_load_2addr_b64 v[140:143], v2 offset0:97 offset1:98
	s_wait_dscnt 0x1
	v_fmac_f64_e32 v[150:151], v[144:145], v[132:133]
	s_wait_loadcnt 0x4
	s_delay_alu instid0(VALU_DEP_1)
	v_fmac_f64_e32 v[150:151], v[120:121], v[134:135]
	scratch_load_b128 v[132:135], off, off offset:400
	s_wait_dscnt 0x0
	v_fmac_f64_e32 v[150:151], v[122:123], v[140:141]
	scratch_load_b128 v[120:123], off, off offset:416
	s_wait_loadcnt 0x5
	v_fmac_f64_e32 v[150:151], v[136:137], v[142:143]
	ds_load_2addr_b64 v[140:143], v2 offset0:99 offset1:100
	ds_load_2addr_b64 v[144:147], v2 offset0:101 offset1:102
	s_wait_dscnt 0x1
	v_fmac_f64_e32 v[150:151], v[138:139], v[140:141]
	scratch_load_b64 v[140:141], off, off offset:432
	s_wait_loadcnt 0x5
	v_fmac_f64_e32 v[150:151], v[124:125], v[142:143]
	s_wait_dscnt 0x0
	s_delay_alu instid0(VALU_DEP_1)
	v_fmac_f64_e32 v[150:151], v[126:127], v[144:145]
	ds_load_2addr_b64 v[124:127], v2 offset0:103 offset1:104
	ds_load_2addr_b64 v[136:139], v2 offset0:105 offset1:106
	s_wait_loadcnt 0x4
	v_fmac_f64_e32 v[150:151], v[128:129], v[146:147]
	s_wait_dscnt 0x1
	s_delay_alu instid0(VALU_DEP_1) | instskip(SKIP_1) | instid1(VALU_DEP_1)
	v_fmac_f64_e32 v[150:151], v[130:131], v[124:125]
	s_wait_loadcnt 0x3
	v_fmac_f64_e32 v[150:151], v[116:117], v[126:127]
	s_wait_dscnt 0x0
	s_delay_alu instid0(VALU_DEP_1)
	v_fmac_f64_e32 v[150:151], v[118:119], v[136:137]
	ds_load_2addr_b64 v[116:119], v2 offset0:107 offset1:108
	ds_load_2addr_b64 v[124:127], v2 offset0:109 offset1:110
	s_wait_loadcnt 0x2
	v_fmac_f64_e32 v[150:151], v[132:133], v[138:139]
	s_wait_dscnt 0x1
	s_delay_alu instid0(VALU_DEP_1) | instskip(SKIP_1) | instid1(VALU_DEP_1)
	v_fmac_f64_e32 v[150:151], v[134:135], v[116:117]
	s_wait_loadcnt 0x1
	v_fmac_f64_e32 v[150:151], v[120:121], v[118:119]
	s_wait_dscnt 0x0
	s_delay_alu instid0(VALU_DEP_1) | instskip(SKIP_1) | instid1(VALU_DEP_1)
	v_fmac_f64_e32 v[150:151], v[122:123], v[124:125]
	s_wait_loadcnt 0x0
	v_fmac_f64_e32 v[150:151], v[140:141], v[126:127]
	s_delay_alu instid0(VALU_DEP_1)
	v_add_f64_e64 v[2:3], v[114:115], -v[150:151]
	scratch_store_b64 off, v[2:3], off offset:80
	s_wait_xcnt 0x0
	v_cmpx_lt_u32_e32 9, v0
	s_cbranch_execz .LBB54_321
; %bb.320:
	scratch_load_b64 v[2:3], off, off offset:72
	v_mov_b64_e32 v[114:115], 0
	scratch_store_b64 off, v[114:115], off offset:72
	s_wait_loadcnt 0x0
	ds_store_b64 v1, v[2:3]
.LBB54_321:
	s_wait_xcnt 0x0
	s_or_b32 exec_lo, exec_lo, s0
	s_wait_storecnt_dscnt 0x0
	s_barrier_signal -1
	s_barrier_wait -1
	s_clause 0x5
	scratch_load_b128 v[114:117], off, off offset:72
	scratch_load_b128 v[118:121], off, off offset:88
	;; [unrolled: 1-line block ×6, first 2 shown]
	v_mov_b32_e32 v2, 0
	ds_load_b128 v[138:141], v2 offset:528
	ds_load_b128 v[142:145], v2 offset:544
	scratch_load_b128 v[146:149], off, off offset:168
	s_mov_b32 s0, exec_lo
	s_wait_loadcnt_dscnt 0x601
	v_fma_f64 v[150:151], v[116:117], v[138:139], 0
	s_wait_loadcnt 0x5
	s_delay_alu instid0(VALU_DEP_1) | instskip(SKIP_4) | instid1(VALU_DEP_1)
	v_fmac_f64_e32 v[150:151], v[118:119], v[140:141]
	scratch_load_b128 v[116:119], off, off offset:184
	s_wait_dscnt 0x0
	v_fmac_f64_e32 v[150:151], v[120:121], v[142:143]
	s_wait_loadcnt 0x5
	v_fmac_f64_e32 v[150:151], v[122:123], v[144:145]
	ds_load_b128 v[120:123], v2 offset:560
	ds_load_b128 v[138:141], v2 offset:576
	scratch_load_b128 v[142:145], off, off offset:200
	s_wait_dscnt 0x1
	v_fmac_f64_e32 v[150:151], v[124:125], v[120:121]
	s_wait_loadcnt 0x5
	s_delay_alu instid0(VALU_DEP_1) | instskip(SKIP_4) | instid1(VALU_DEP_1)
	v_fmac_f64_e32 v[150:151], v[126:127], v[122:123]
	scratch_load_b128 v[120:123], off, off offset:216
	s_wait_dscnt 0x0
	v_fmac_f64_e32 v[150:151], v[128:129], v[138:139]
	s_wait_loadcnt 0x5
	v_fmac_f64_e32 v[150:151], v[130:131], v[140:141]
	ds_load_b128 v[124:127], v2 offset:592
	ds_load_b128 v[128:131], v2 offset:608
	scratch_load_b128 v[138:141], off, off offset:232
	s_wait_dscnt 0x1
	v_fmac_f64_e32 v[150:151], v[132:133], v[124:125]
	s_wait_loadcnt 0x5
	s_delay_alu instid0(VALU_DEP_1) | instskip(SKIP_4) | instid1(VALU_DEP_1)
	v_fmac_f64_e32 v[150:151], v[134:135], v[126:127]
	scratch_load_b128 v[124:127], off, off offset:248
	s_wait_dscnt 0x0
	v_fmac_f64_e32 v[150:151], v[136:137], v[128:129]
	s_wait_loadcnt 0x5
	v_fmac_f64_e32 v[150:151], v[146:147], v[130:131]
	ds_load_b128 v[128:131], v2 offset:624
	ds_load_b128 v[132:135], v2 offset:640
	s_wait_dscnt 0x1
	v_fmac_f64_e32 v[150:151], v[148:149], v[128:129]
	scratch_load_b128 v[146:149], off, off offset:264
	s_wait_loadcnt 0x5
	v_fmac_f64_e32 v[150:151], v[116:117], v[130:131]
	s_wait_dscnt 0x0
	s_delay_alu instid0(VALU_DEP_1)
	v_fmac_f64_e32 v[150:151], v[118:119], v[132:133]
	scratch_load_b128 v[116:119], off, off offset:280
	s_wait_loadcnt 0x5
	v_fmac_f64_e32 v[150:151], v[142:143], v[134:135]
	ds_load_b128 v[128:131], v2 offset:656
	ds_load_b128 v[132:135], v2 offset:672
	s_wait_dscnt 0x1
	v_fmac_f64_e32 v[150:151], v[144:145], v[128:129]
	scratch_load_b128 v[142:145], off, off offset:296
	s_wait_loadcnt 0x5
	v_fmac_f64_e32 v[150:151], v[120:121], v[130:131]
	s_wait_dscnt 0x0
	s_delay_alu instid0(VALU_DEP_1)
	v_fmac_f64_e32 v[150:151], v[122:123], v[132:133]
	scratch_load_b128 v[120:123], off, off offset:312
	s_wait_loadcnt 0x5
	v_fmac_f64_e32 v[150:151], v[138:139], v[134:135]
	ds_load_b128 v[128:131], v2 offset:688
	ds_load_b128 v[132:135], v2 offset:704
	scratch_load_b128 v[136:139], off, off offset:328
	s_wait_dscnt 0x1
	v_fmac_f64_e32 v[150:151], v[140:141], v[128:129]
	s_wait_loadcnt 0x5
	s_delay_alu instid0(VALU_DEP_1) | instskip(SKIP_1) | instid1(VALU_DEP_1)
	v_fmac_f64_e32 v[150:151], v[124:125], v[130:131]
	s_wait_dscnt 0x0
	v_fmac_f64_e32 v[150:151], v[126:127], v[132:133]
	scratch_load_b128 v[124:127], off, off offset:344
	s_wait_loadcnt 0x5
	v_fmac_f64_e32 v[150:151], v[146:147], v[134:135]
	ds_load_b128 v[128:131], v2 offset:720
	ds_load_b128 v[132:135], v2 offset:736
	s_wait_dscnt 0x1
	v_fmac_f64_e32 v[150:151], v[148:149], v[128:129]
	s_wait_loadcnt 0x4
	s_delay_alu instid0(VALU_DEP_1)
	v_fmac_f64_e32 v[150:151], v[116:117], v[130:131]
	scratch_load_b128 v[128:131], off, off offset:360
	s_wait_dscnt 0x0
	v_fmac_f64_e32 v[150:151], v[118:119], v[132:133]
	scratch_load_b128 v[116:119], off, off offset:376
	s_wait_loadcnt 0x5
	v_fmac_f64_e32 v[150:151], v[142:143], v[134:135]
	ds_load_b128 v[132:135], v2 offset:752
	ds_load_b128 v[140:143], v2 offset:768
	s_wait_dscnt 0x1
	v_fmac_f64_e32 v[150:151], v[144:145], v[132:133]
	s_wait_loadcnt 0x4
	s_delay_alu instid0(VALU_DEP_1)
	v_fmac_f64_e32 v[150:151], v[120:121], v[134:135]
	scratch_load_b128 v[132:135], off, off offset:392
	s_wait_dscnt 0x0
	v_fmac_f64_e32 v[150:151], v[122:123], v[140:141]
	scratch_load_b128 v[120:123], off, off offset:408
	s_wait_loadcnt 0x5
	v_fmac_f64_e32 v[150:151], v[136:137], v[142:143]
	ds_load_b128 v[140:143], v2 offset:784
	ds_load_b128 v[144:147], v2 offset:800
	s_wait_dscnt 0x1
	v_fmac_f64_e32 v[150:151], v[138:139], v[140:141]
	scratch_load_b128 v[136:139], off, off offset:424
	s_wait_loadcnt 0x5
	v_fmac_f64_e32 v[150:151], v[124:125], v[142:143]
	s_wait_dscnt 0x0
	s_delay_alu instid0(VALU_DEP_1)
	v_fmac_f64_e32 v[150:151], v[126:127], v[144:145]
	ds_load_b128 v[124:127], v2 offset:816
	ds_load_b128 v[140:143], v2 offset:832
	s_wait_loadcnt 0x4
	v_fmac_f64_e32 v[150:151], v[128:129], v[146:147]
	s_wait_dscnt 0x1
	s_delay_alu instid0(VALU_DEP_1) | instskip(SKIP_1) | instid1(VALU_DEP_1)
	v_fmac_f64_e32 v[150:151], v[130:131], v[124:125]
	s_wait_loadcnt 0x3
	v_fmac_f64_e32 v[150:151], v[116:117], v[126:127]
	s_wait_dscnt 0x0
	s_delay_alu instid0(VALU_DEP_1)
	v_fmac_f64_e32 v[150:151], v[118:119], v[140:141]
	ds_load_b128 v[116:119], v2 offset:848
	ds_load_b128 v[124:127], v2 offset:864
	s_wait_loadcnt 0x2
	v_fmac_f64_e32 v[150:151], v[132:133], v[142:143]
	s_wait_dscnt 0x1
	s_delay_alu instid0(VALU_DEP_1) | instskip(SKIP_4) | instid1(VALU_DEP_1)
	v_fmac_f64_e32 v[150:151], v[134:135], v[116:117]
	ds_load_b64 v[116:117], v2 offset:880
	s_wait_loadcnt 0x1
	v_fmac_f64_e32 v[150:151], v[120:121], v[118:119]
	s_wait_dscnt 0x1
	v_fmac_f64_e32 v[150:151], v[122:123], v[124:125]
	s_wait_loadcnt 0x0
	s_delay_alu instid0(VALU_DEP_1) | instskip(SKIP_1) | instid1(VALU_DEP_1)
	v_fmac_f64_e32 v[150:151], v[136:137], v[126:127]
	s_wait_dscnt 0x0
	v_fmac_f64_e32 v[150:151], v[138:139], v[116:117]
	s_delay_alu instid0(VALU_DEP_1)
	v_add_f64_e64 v[114:115], v[114:115], -v[150:151]
	scratch_store_b64 off, v[114:115], off offset:72
	s_wait_xcnt 0x0
	v_cmpx_lt_u32_e32 8, v0
	s_cbranch_execz .LBB54_323
; %bb.322:
	scratch_load_b64 v[114:115], off, off offset:64
	v_mov_b64_e32 v[116:117], 0
	scratch_store_b64 off, v[116:117], off offset:64
	s_wait_loadcnt 0x0
	ds_store_b64 v1, v[114:115]
.LBB54_323:
	s_wait_xcnt 0x0
	s_or_b32 exec_lo, exec_lo, s0
	s_wait_storecnt_dscnt 0x0
	s_barrier_signal -1
	s_barrier_wait -1
	s_clause 0x5
	scratch_load_b128 v[114:117], off, off offset:64
	scratch_load_b128 v[118:121], off, off offset:80
	;; [unrolled: 1-line block ×6, first 2 shown]
	ds_load_2addr_b64 v[138:141], v2 offset0:65 offset1:66
	ds_load_2addr_b64 v[142:145], v2 offset0:67 offset1:68
	scratch_load_b128 v[146:149], off, off offset:160
	s_mov_b32 s0, exec_lo
	s_wait_loadcnt_dscnt 0x601
	v_fma_f64 v[150:151], v[116:117], v[138:139], 0
	s_wait_loadcnt 0x5
	s_delay_alu instid0(VALU_DEP_1) | instskip(SKIP_4) | instid1(VALU_DEP_1)
	v_fmac_f64_e32 v[150:151], v[118:119], v[140:141]
	scratch_load_b128 v[116:119], off, off offset:176
	s_wait_dscnt 0x0
	v_fmac_f64_e32 v[150:151], v[120:121], v[142:143]
	s_wait_loadcnt 0x5
	v_fmac_f64_e32 v[150:151], v[122:123], v[144:145]
	ds_load_2addr_b64 v[120:123], v2 offset0:69 offset1:70
	ds_load_2addr_b64 v[138:141], v2 offset0:71 offset1:72
	scratch_load_b128 v[142:145], off, off offset:192
	s_wait_dscnt 0x1
	v_fmac_f64_e32 v[150:151], v[124:125], v[120:121]
	s_wait_loadcnt 0x5
	s_delay_alu instid0(VALU_DEP_1) | instskip(SKIP_4) | instid1(VALU_DEP_1)
	v_fmac_f64_e32 v[150:151], v[126:127], v[122:123]
	scratch_load_b128 v[120:123], off, off offset:208
	s_wait_dscnt 0x0
	v_fmac_f64_e32 v[150:151], v[128:129], v[138:139]
	s_wait_loadcnt 0x5
	v_fmac_f64_e32 v[150:151], v[130:131], v[140:141]
	ds_load_2addr_b64 v[124:127], v2 offset0:73 offset1:74
	ds_load_2addr_b64 v[128:131], v2 offset0:75 offset1:76
	scratch_load_b128 v[138:141], off, off offset:224
	s_wait_dscnt 0x1
	v_fmac_f64_e32 v[150:151], v[132:133], v[124:125]
	s_wait_loadcnt 0x5
	s_delay_alu instid0(VALU_DEP_1) | instskip(SKIP_4) | instid1(VALU_DEP_1)
	v_fmac_f64_e32 v[150:151], v[134:135], v[126:127]
	scratch_load_b128 v[124:127], off, off offset:240
	s_wait_dscnt 0x0
	v_fmac_f64_e32 v[150:151], v[136:137], v[128:129]
	s_wait_loadcnt 0x5
	v_fmac_f64_e32 v[150:151], v[146:147], v[130:131]
	ds_load_2addr_b64 v[128:131], v2 offset0:77 offset1:78
	ds_load_2addr_b64 v[132:135], v2 offset0:79 offset1:80
	s_wait_dscnt 0x1
	v_fmac_f64_e32 v[150:151], v[148:149], v[128:129]
	scratch_load_b128 v[146:149], off, off offset:256
	s_wait_loadcnt 0x5
	v_fmac_f64_e32 v[150:151], v[116:117], v[130:131]
	s_wait_dscnt 0x0
	s_delay_alu instid0(VALU_DEP_1)
	v_fmac_f64_e32 v[150:151], v[118:119], v[132:133]
	scratch_load_b128 v[116:119], off, off offset:272
	s_wait_loadcnt 0x5
	v_fmac_f64_e32 v[150:151], v[142:143], v[134:135]
	ds_load_2addr_b64 v[128:131], v2 offset0:81 offset1:82
	ds_load_2addr_b64 v[132:135], v2 offset0:83 offset1:84
	s_wait_dscnt 0x1
	v_fmac_f64_e32 v[150:151], v[144:145], v[128:129]
	scratch_load_b128 v[142:145], off, off offset:288
	s_wait_loadcnt 0x5
	v_fmac_f64_e32 v[150:151], v[120:121], v[130:131]
	s_wait_dscnt 0x0
	s_delay_alu instid0(VALU_DEP_1)
	v_fmac_f64_e32 v[150:151], v[122:123], v[132:133]
	scratch_load_b128 v[120:123], off, off offset:304
	s_wait_loadcnt 0x5
	v_fmac_f64_e32 v[150:151], v[138:139], v[134:135]
	ds_load_2addr_b64 v[128:131], v2 offset0:85 offset1:86
	ds_load_2addr_b64 v[132:135], v2 offset0:87 offset1:88
	scratch_load_b128 v[136:139], off, off offset:320
	s_wait_dscnt 0x1
	v_fmac_f64_e32 v[150:151], v[140:141], v[128:129]
	s_wait_loadcnt 0x5
	s_delay_alu instid0(VALU_DEP_1) | instskip(SKIP_1) | instid1(VALU_DEP_1)
	v_fmac_f64_e32 v[150:151], v[124:125], v[130:131]
	s_wait_dscnt 0x0
	v_fmac_f64_e32 v[150:151], v[126:127], v[132:133]
	scratch_load_b128 v[124:127], off, off offset:336
	s_wait_loadcnt 0x5
	v_fmac_f64_e32 v[150:151], v[146:147], v[134:135]
	ds_load_2addr_b64 v[128:131], v2 offset0:89 offset1:90
	ds_load_2addr_b64 v[132:135], v2 offset0:91 offset1:92
	s_wait_dscnt 0x1
	v_fmac_f64_e32 v[150:151], v[148:149], v[128:129]
	scratch_load_b128 v[146:149], off, off offset:352
	s_wait_loadcnt 0x5
	v_fmac_f64_e32 v[150:151], v[116:117], v[130:131]
	s_wait_dscnt 0x0
	s_delay_alu instid0(VALU_DEP_1)
	v_fmac_f64_e32 v[150:151], v[118:119], v[132:133]
	scratch_load_b128 v[116:119], off, off offset:368
	s_wait_loadcnt 0x5
	v_fmac_f64_e32 v[150:151], v[142:143], v[134:135]
	ds_load_2addr_b64 v[128:131], v2 offset0:93 offset1:94
	ds_load_2addr_b64 v[132:135], v2 offset0:95 offset1:96
	s_wait_dscnt 0x1
	v_fmac_f64_e32 v[150:151], v[144:145], v[128:129]
	s_wait_loadcnt 0x4
	s_delay_alu instid0(VALU_DEP_1)
	v_fmac_f64_e32 v[150:151], v[120:121], v[130:131]
	scratch_load_b128 v[128:131], off, off offset:384
	s_wait_dscnt 0x0
	v_fmac_f64_e32 v[150:151], v[122:123], v[132:133]
	scratch_load_b128 v[120:123], off, off offset:400
	s_wait_loadcnt 0x5
	v_fmac_f64_e32 v[150:151], v[136:137], v[134:135]
	ds_load_2addr_b64 v[132:135], v2 offset0:97 offset1:98
	ds_load_2addr_b64 v[140:143], v2 offset0:99 offset1:100
	s_wait_dscnt 0x1
	v_fmac_f64_e32 v[150:151], v[138:139], v[132:133]
	s_wait_loadcnt 0x4
	s_delay_alu instid0(VALU_DEP_1)
	v_fmac_f64_e32 v[150:151], v[124:125], v[134:135]
	scratch_load_b128 v[132:135], off, off offset:416
	s_wait_dscnt 0x0
	v_fmac_f64_e32 v[150:151], v[126:127], v[140:141]
	scratch_load_b64 v[140:141], off, off offset:432
	ds_load_2addr_b64 v[124:127], v2 offset0:101 offset1:102
	ds_load_2addr_b64 v[136:139], v2 offset0:103 offset1:104
	s_wait_loadcnt 0x5
	v_fmac_f64_e32 v[150:151], v[146:147], v[142:143]
	s_wait_dscnt 0x1
	s_delay_alu instid0(VALU_DEP_1) | instskip(SKIP_1) | instid1(VALU_DEP_1)
	v_fmac_f64_e32 v[150:151], v[148:149], v[124:125]
	s_wait_loadcnt 0x4
	v_fmac_f64_e32 v[150:151], v[116:117], v[126:127]
	s_wait_dscnt 0x0
	s_delay_alu instid0(VALU_DEP_1)
	v_fmac_f64_e32 v[150:151], v[118:119], v[136:137]
	ds_load_2addr_b64 v[116:119], v2 offset0:105 offset1:106
	ds_load_2addr_b64 v[124:127], v2 offset0:107 offset1:108
	s_wait_loadcnt 0x3
	v_fmac_f64_e32 v[150:151], v[128:129], v[138:139]
	s_wait_dscnt 0x1
	s_delay_alu instid0(VALU_DEP_1) | instskip(SKIP_1) | instid1(VALU_DEP_1)
	v_fmac_f64_e32 v[150:151], v[130:131], v[116:117]
	s_wait_loadcnt 0x2
	v_fmac_f64_e32 v[150:151], v[120:121], v[118:119]
	ds_load_2addr_b64 v[116:119], v2 offset0:109 offset1:110
	s_wait_dscnt 0x1
	v_fmac_f64_e32 v[150:151], v[122:123], v[124:125]
	s_wait_loadcnt 0x1
	s_delay_alu instid0(VALU_DEP_1) | instskip(SKIP_1) | instid1(VALU_DEP_1)
	v_fmac_f64_e32 v[150:151], v[132:133], v[126:127]
	s_wait_dscnt 0x0
	v_fmac_f64_e32 v[150:151], v[134:135], v[116:117]
	s_wait_loadcnt 0x0
	s_delay_alu instid0(VALU_DEP_1) | instskip(NEXT) | instid1(VALU_DEP_1)
	v_fmac_f64_e32 v[150:151], v[140:141], v[118:119]
	v_add_f64_e64 v[2:3], v[114:115], -v[150:151]
	scratch_store_b64 off, v[2:3], off offset:64
	s_wait_xcnt 0x0
	v_cmpx_lt_u32_e32 7, v0
	s_cbranch_execz .LBB54_325
; %bb.324:
	scratch_load_b64 v[2:3], off, off offset:56
	v_mov_b64_e32 v[114:115], 0
	scratch_store_b64 off, v[114:115], off offset:56
	s_wait_loadcnt 0x0
	ds_store_b64 v1, v[2:3]
.LBB54_325:
	s_wait_xcnt 0x0
	s_or_b32 exec_lo, exec_lo, s0
	s_wait_storecnt_dscnt 0x0
	s_barrier_signal -1
	s_barrier_wait -1
	s_clause 0x5
	scratch_load_b128 v[114:117], off, off offset:56
	scratch_load_b128 v[118:121], off, off offset:72
	;; [unrolled: 1-line block ×6, first 2 shown]
	v_mov_b32_e32 v2, 0
	ds_load_b128 v[138:141], v2 offset:512
	ds_load_b128 v[142:145], v2 offset:528
	scratch_load_b128 v[146:149], off, off offset:152
	s_mov_b32 s0, exec_lo
	s_wait_loadcnt_dscnt 0x601
	v_fma_f64 v[150:151], v[116:117], v[138:139], 0
	s_wait_loadcnt 0x5
	s_delay_alu instid0(VALU_DEP_1) | instskip(SKIP_4) | instid1(VALU_DEP_1)
	v_fmac_f64_e32 v[150:151], v[118:119], v[140:141]
	scratch_load_b128 v[116:119], off, off offset:168
	s_wait_dscnt 0x0
	v_fmac_f64_e32 v[150:151], v[120:121], v[142:143]
	s_wait_loadcnt 0x5
	v_fmac_f64_e32 v[150:151], v[122:123], v[144:145]
	ds_load_b128 v[120:123], v2 offset:544
	ds_load_b128 v[138:141], v2 offset:560
	scratch_load_b128 v[142:145], off, off offset:184
	s_wait_dscnt 0x1
	v_fmac_f64_e32 v[150:151], v[124:125], v[120:121]
	s_wait_loadcnt 0x5
	s_delay_alu instid0(VALU_DEP_1) | instskip(SKIP_4) | instid1(VALU_DEP_1)
	v_fmac_f64_e32 v[150:151], v[126:127], v[122:123]
	scratch_load_b128 v[120:123], off, off offset:200
	s_wait_dscnt 0x0
	v_fmac_f64_e32 v[150:151], v[128:129], v[138:139]
	s_wait_loadcnt 0x5
	v_fmac_f64_e32 v[150:151], v[130:131], v[140:141]
	ds_load_b128 v[124:127], v2 offset:576
	ds_load_b128 v[128:131], v2 offset:592
	scratch_load_b128 v[138:141], off, off offset:216
	s_wait_dscnt 0x1
	v_fmac_f64_e32 v[150:151], v[132:133], v[124:125]
	s_wait_loadcnt 0x5
	s_delay_alu instid0(VALU_DEP_1) | instskip(SKIP_4) | instid1(VALU_DEP_1)
	v_fmac_f64_e32 v[150:151], v[134:135], v[126:127]
	scratch_load_b128 v[124:127], off, off offset:232
	s_wait_dscnt 0x0
	v_fmac_f64_e32 v[150:151], v[136:137], v[128:129]
	s_wait_loadcnt 0x5
	v_fmac_f64_e32 v[150:151], v[146:147], v[130:131]
	ds_load_b128 v[128:131], v2 offset:608
	ds_load_b128 v[132:135], v2 offset:624
	s_wait_dscnt 0x1
	v_fmac_f64_e32 v[150:151], v[148:149], v[128:129]
	scratch_load_b128 v[146:149], off, off offset:248
	s_wait_loadcnt 0x5
	v_fmac_f64_e32 v[150:151], v[116:117], v[130:131]
	s_wait_dscnt 0x0
	s_delay_alu instid0(VALU_DEP_1)
	v_fmac_f64_e32 v[150:151], v[118:119], v[132:133]
	scratch_load_b128 v[116:119], off, off offset:264
	s_wait_loadcnt 0x5
	v_fmac_f64_e32 v[150:151], v[142:143], v[134:135]
	ds_load_b128 v[128:131], v2 offset:640
	ds_load_b128 v[132:135], v2 offset:656
	s_wait_dscnt 0x1
	v_fmac_f64_e32 v[150:151], v[144:145], v[128:129]
	scratch_load_b128 v[142:145], off, off offset:280
	s_wait_loadcnt 0x5
	v_fmac_f64_e32 v[150:151], v[120:121], v[130:131]
	s_wait_dscnt 0x0
	s_delay_alu instid0(VALU_DEP_1)
	v_fmac_f64_e32 v[150:151], v[122:123], v[132:133]
	scratch_load_b128 v[120:123], off, off offset:296
	s_wait_loadcnt 0x5
	v_fmac_f64_e32 v[150:151], v[138:139], v[134:135]
	ds_load_b128 v[128:131], v2 offset:672
	ds_load_b128 v[132:135], v2 offset:688
	scratch_load_b128 v[136:139], off, off offset:312
	s_wait_dscnt 0x1
	v_fmac_f64_e32 v[150:151], v[140:141], v[128:129]
	s_wait_loadcnt 0x5
	s_delay_alu instid0(VALU_DEP_1) | instskip(SKIP_1) | instid1(VALU_DEP_1)
	v_fmac_f64_e32 v[150:151], v[124:125], v[130:131]
	s_wait_dscnt 0x0
	v_fmac_f64_e32 v[150:151], v[126:127], v[132:133]
	scratch_load_b128 v[124:127], off, off offset:328
	s_wait_loadcnt 0x5
	v_fmac_f64_e32 v[150:151], v[146:147], v[134:135]
	ds_load_b128 v[128:131], v2 offset:704
	ds_load_b128 v[132:135], v2 offset:720
	s_wait_dscnt 0x1
	v_fmac_f64_e32 v[150:151], v[148:149], v[128:129]
	scratch_load_b128 v[146:149], off, off offset:344
	s_wait_loadcnt 0x5
	v_fmac_f64_e32 v[150:151], v[116:117], v[130:131]
	s_wait_dscnt 0x0
	s_delay_alu instid0(VALU_DEP_1)
	v_fmac_f64_e32 v[150:151], v[118:119], v[132:133]
	scratch_load_b128 v[116:119], off, off offset:360
	s_wait_loadcnt 0x5
	v_fmac_f64_e32 v[150:151], v[142:143], v[134:135]
	ds_load_b128 v[128:131], v2 offset:736
	ds_load_b128 v[132:135], v2 offset:752
	s_wait_dscnt 0x1
	v_fmac_f64_e32 v[150:151], v[144:145], v[128:129]
	s_wait_loadcnt 0x4
	s_delay_alu instid0(VALU_DEP_1)
	v_fmac_f64_e32 v[150:151], v[120:121], v[130:131]
	scratch_load_b128 v[128:131], off, off offset:376
	s_wait_dscnt 0x0
	v_fmac_f64_e32 v[150:151], v[122:123], v[132:133]
	scratch_load_b128 v[120:123], off, off offset:392
	s_wait_loadcnt 0x5
	v_fmac_f64_e32 v[150:151], v[136:137], v[134:135]
	ds_load_b128 v[132:135], v2 offset:768
	ds_load_b128 v[140:143], v2 offset:784
	s_wait_dscnt 0x1
	v_fmac_f64_e32 v[150:151], v[138:139], v[132:133]
	s_wait_loadcnt 0x4
	s_delay_alu instid0(VALU_DEP_1)
	v_fmac_f64_e32 v[150:151], v[124:125], v[134:135]
	scratch_load_b128 v[132:135], off, off offset:408
	s_wait_dscnt 0x0
	v_fmac_f64_e32 v[150:151], v[126:127], v[140:141]
	scratch_load_b128 v[124:127], off, off offset:424
	s_wait_loadcnt 0x5
	v_fmac_f64_e32 v[150:151], v[146:147], v[142:143]
	ds_load_b128 v[136:139], v2 offset:800
	ds_load_b128 v[140:143], v2 offset:816
	s_wait_dscnt 0x1
	v_fmac_f64_e32 v[150:151], v[148:149], v[136:137]
	s_wait_loadcnt 0x4
	s_delay_alu instid0(VALU_DEP_1) | instskip(SKIP_1) | instid1(VALU_DEP_1)
	v_fmac_f64_e32 v[150:151], v[116:117], v[138:139]
	s_wait_dscnt 0x0
	v_fmac_f64_e32 v[150:151], v[118:119], v[140:141]
	ds_load_b128 v[116:119], v2 offset:832
	ds_load_b128 v[136:139], v2 offset:848
	s_wait_loadcnt 0x3
	v_fmac_f64_e32 v[150:151], v[128:129], v[142:143]
	s_wait_dscnt 0x1
	s_delay_alu instid0(VALU_DEP_1) | instskip(SKIP_1) | instid1(VALU_DEP_1)
	v_fmac_f64_e32 v[150:151], v[130:131], v[116:117]
	s_wait_loadcnt 0x2
	v_fmac_f64_e32 v[150:151], v[120:121], v[118:119]
	ds_load_b128 v[116:119], v2 offset:864
	ds_load_b64 v[120:121], v2 offset:880
	s_wait_dscnt 0x2
	v_fmac_f64_e32 v[150:151], v[122:123], v[136:137]
	s_wait_loadcnt 0x1
	s_delay_alu instid0(VALU_DEP_1) | instskip(SKIP_1) | instid1(VALU_DEP_1)
	v_fmac_f64_e32 v[150:151], v[132:133], v[138:139]
	s_wait_dscnt 0x1
	v_fmac_f64_e32 v[150:151], v[134:135], v[116:117]
	s_wait_loadcnt 0x0
	s_delay_alu instid0(VALU_DEP_1) | instskip(SKIP_1) | instid1(VALU_DEP_1)
	v_fmac_f64_e32 v[150:151], v[124:125], v[118:119]
	s_wait_dscnt 0x0
	v_fmac_f64_e32 v[150:151], v[126:127], v[120:121]
	s_delay_alu instid0(VALU_DEP_1)
	v_add_f64_e64 v[114:115], v[114:115], -v[150:151]
	scratch_store_b64 off, v[114:115], off offset:56
	s_wait_xcnt 0x0
	v_cmpx_lt_u32_e32 6, v0
	s_cbranch_execz .LBB54_327
; %bb.326:
	scratch_load_b64 v[114:115], off, off offset:48
	v_mov_b64_e32 v[116:117], 0
	scratch_store_b64 off, v[116:117], off offset:48
	s_wait_loadcnt 0x0
	ds_store_b64 v1, v[114:115]
.LBB54_327:
	s_wait_xcnt 0x0
	s_or_b32 exec_lo, exec_lo, s0
	s_wait_storecnt_dscnt 0x0
	s_barrier_signal -1
	s_barrier_wait -1
	s_clause 0x5
	scratch_load_b128 v[114:117], off, off offset:48
	scratch_load_b128 v[118:121], off, off offset:64
	;; [unrolled: 1-line block ×6, first 2 shown]
	ds_load_2addr_b64 v[138:141], v2 offset0:63 offset1:64
	ds_load_2addr_b64 v[142:145], v2 offset0:65 offset1:66
	scratch_load_b128 v[146:149], off, off offset:144
	s_mov_b32 s0, exec_lo
	s_wait_loadcnt_dscnt 0x601
	v_fma_f64 v[150:151], v[116:117], v[138:139], 0
	s_wait_loadcnt 0x5
	s_delay_alu instid0(VALU_DEP_1) | instskip(SKIP_4) | instid1(VALU_DEP_1)
	v_fmac_f64_e32 v[150:151], v[118:119], v[140:141]
	scratch_load_b128 v[116:119], off, off offset:160
	s_wait_dscnt 0x0
	v_fmac_f64_e32 v[150:151], v[120:121], v[142:143]
	s_wait_loadcnt 0x5
	v_fmac_f64_e32 v[150:151], v[122:123], v[144:145]
	ds_load_2addr_b64 v[120:123], v2 offset0:67 offset1:68
	ds_load_2addr_b64 v[138:141], v2 offset0:69 offset1:70
	scratch_load_b128 v[142:145], off, off offset:176
	s_wait_dscnt 0x1
	v_fmac_f64_e32 v[150:151], v[124:125], v[120:121]
	s_wait_loadcnt 0x5
	s_delay_alu instid0(VALU_DEP_1) | instskip(SKIP_4) | instid1(VALU_DEP_1)
	v_fmac_f64_e32 v[150:151], v[126:127], v[122:123]
	scratch_load_b128 v[120:123], off, off offset:192
	s_wait_dscnt 0x0
	v_fmac_f64_e32 v[150:151], v[128:129], v[138:139]
	s_wait_loadcnt 0x5
	v_fmac_f64_e32 v[150:151], v[130:131], v[140:141]
	ds_load_2addr_b64 v[124:127], v2 offset0:71 offset1:72
	ds_load_2addr_b64 v[128:131], v2 offset0:73 offset1:74
	scratch_load_b128 v[138:141], off, off offset:208
	s_wait_dscnt 0x1
	v_fmac_f64_e32 v[150:151], v[132:133], v[124:125]
	s_wait_loadcnt 0x5
	s_delay_alu instid0(VALU_DEP_1) | instskip(SKIP_4) | instid1(VALU_DEP_1)
	v_fmac_f64_e32 v[150:151], v[134:135], v[126:127]
	scratch_load_b128 v[124:127], off, off offset:224
	s_wait_dscnt 0x0
	v_fmac_f64_e32 v[150:151], v[136:137], v[128:129]
	s_wait_loadcnt 0x5
	v_fmac_f64_e32 v[150:151], v[146:147], v[130:131]
	ds_load_2addr_b64 v[128:131], v2 offset0:75 offset1:76
	ds_load_2addr_b64 v[132:135], v2 offset0:77 offset1:78
	s_wait_dscnt 0x1
	v_fmac_f64_e32 v[150:151], v[148:149], v[128:129]
	scratch_load_b128 v[146:149], off, off offset:240
	s_wait_loadcnt 0x5
	v_fmac_f64_e32 v[150:151], v[116:117], v[130:131]
	s_wait_dscnt 0x0
	s_delay_alu instid0(VALU_DEP_1)
	v_fmac_f64_e32 v[150:151], v[118:119], v[132:133]
	scratch_load_b128 v[116:119], off, off offset:256
	s_wait_loadcnt 0x5
	v_fmac_f64_e32 v[150:151], v[142:143], v[134:135]
	ds_load_2addr_b64 v[128:131], v2 offset0:79 offset1:80
	ds_load_2addr_b64 v[132:135], v2 offset0:81 offset1:82
	s_wait_dscnt 0x1
	v_fmac_f64_e32 v[150:151], v[144:145], v[128:129]
	scratch_load_b128 v[142:145], off, off offset:272
	s_wait_loadcnt 0x5
	v_fmac_f64_e32 v[150:151], v[120:121], v[130:131]
	s_wait_dscnt 0x0
	s_delay_alu instid0(VALU_DEP_1)
	v_fmac_f64_e32 v[150:151], v[122:123], v[132:133]
	scratch_load_b128 v[120:123], off, off offset:288
	s_wait_loadcnt 0x5
	v_fmac_f64_e32 v[150:151], v[138:139], v[134:135]
	ds_load_2addr_b64 v[128:131], v2 offset0:83 offset1:84
	ds_load_2addr_b64 v[132:135], v2 offset0:85 offset1:86
	scratch_load_b128 v[136:139], off, off offset:304
	s_wait_dscnt 0x1
	v_fmac_f64_e32 v[150:151], v[140:141], v[128:129]
	s_wait_loadcnt 0x5
	s_delay_alu instid0(VALU_DEP_1) | instskip(SKIP_1) | instid1(VALU_DEP_1)
	v_fmac_f64_e32 v[150:151], v[124:125], v[130:131]
	s_wait_dscnt 0x0
	v_fmac_f64_e32 v[150:151], v[126:127], v[132:133]
	scratch_load_b128 v[124:127], off, off offset:320
	s_wait_loadcnt 0x5
	v_fmac_f64_e32 v[150:151], v[146:147], v[134:135]
	ds_load_2addr_b64 v[128:131], v2 offset0:87 offset1:88
	ds_load_2addr_b64 v[132:135], v2 offset0:89 offset1:90
	s_wait_dscnt 0x1
	v_fmac_f64_e32 v[150:151], v[148:149], v[128:129]
	scratch_load_b128 v[146:149], off, off offset:336
	s_wait_loadcnt 0x5
	v_fmac_f64_e32 v[150:151], v[116:117], v[130:131]
	s_wait_dscnt 0x0
	s_delay_alu instid0(VALU_DEP_1)
	v_fmac_f64_e32 v[150:151], v[118:119], v[132:133]
	scratch_load_b128 v[116:119], off, off offset:352
	s_wait_loadcnt 0x5
	v_fmac_f64_e32 v[150:151], v[142:143], v[134:135]
	ds_load_2addr_b64 v[128:131], v2 offset0:91 offset1:92
	ds_load_2addr_b64 v[132:135], v2 offset0:93 offset1:94
	s_wait_dscnt 0x1
	v_fmac_f64_e32 v[150:151], v[144:145], v[128:129]
	s_wait_loadcnt 0x4
	s_delay_alu instid0(VALU_DEP_1)
	v_fmac_f64_e32 v[150:151], v[120:121], v[130:131]
	scratch_load_b128 v[128:131], off, off offset:368
	s_wait_dscnt 0x0
	v_fmac_f64_e32 v[150:151], v[122:123], v[132:133]
	scratch_load_b128 v[120:123], off, off offset:384
	s_wait_loadcnt 0x5
	v_fmac_f64_e32 v[150:151], v[136:137], v[134:135]
	ds_load_2addr_b64 v[132:135], v2 offset0:95 offset1:96
	ds_load_2addr_b64 v[140:143], v2 offset0:97 offset1:98
	s_wait_dscnt 0x1
	v_fmac_f64_e32 v[150:151], v[138:139], v[132:133]
	s_wait_loadcnt 0x4
	s_delay_alu instid0(VALU_DEP_1)
	v_fmac_f64_e32 v[150:151], v[124:125], v[134:135]
	scratch_load_b128 v[132:135], off, off offset:400
	s_wait_dscnt 0x0
	v_fmac_f64_e32 v[150:151], v[126:127], v[140:141]
	scratch_load_b128 v[124:127], off, off offset:416
	s_wait_loadcnt 0x5
	v_fmac_f64_e32 v[150:151], v[146:147], v[142:143]
	ds_load_2addr_b64 v[136:139], v2 offset0:99 offset1:100
	ds_load_2addr_b64 v[140:143], v2 offset0:101 offset1:102
	scratch_load_b64 v[144:145], off, off offset:432
	s_wait_dscnt 0x1
	v_fmac_f64_e32 v[150:151], v[148:149], v[136:137]
	s_wait_loadcnt 0x5
	s_delay_alu instid0(VALU_DEP_1) | instskip(SKIP_1) | instid1(VALU_DEP_1)
	v_fmac_f64_e32 v[150:151], v[116:117], v[138:139]
	s_wait_dscnt 0x0
	v_fmac_f64_e32 v[150:151], v[118:119], v[140:141]
	ds_load_2addr_b64 v[116:119], v2 offset0:103 offset1:104
	ds_load_2addr_b64 v[136:139], v2 offset0:105 offset1:106
	s_wait_loadcnt 0x4
	v_fmac_f64_e32 v[150:151], v[128:129], v[142:143]
	s_wait_dscnt 0x1
	s_delay_alu instid0(VALU_DEP_1) | instskip(SKIP_1) | instid1(VALU_DEP_1)
	v_fmac_f64_e32 v[150:151], v[130:131], v[116:117]
	s_wait_loadcnt 0x3
	v_fmac_f64_e32 v[150:151], v[120:121], v[118:119]
	s_wait_dscnt 0x0
	s_delay_alu instid0(VALU_DEP_1)
	v_fmac_f64_e32 v[150:151], v[122:123], v[136:137]
	ds_load_2addr_b64 v[116:119], v2 offset0:107 offset1:108
	ds_load_2addr_b64 v[120:123], v2 offset0:109 offset1:110
	s_wait_loadcnt 0x2
	v_fmac_f64_e32 v[150:151], v[132:133], v[138:139]
	s_wait_dscnt 0x1
	s_delay_alu instid0(VALU_DEP_1) | instskip(SKIP_1) | instid1(VALU_DEP_1)
	v_fmac_f64_e32 v[150:151], v[134:135], v[116:117]
	s_wait_loadcnt 0x1
	v_fmac_f64_e32 v[150:151], v[124:125], v[118:119]
	s_wait_dscnt 0x0
	s_delay_alu instid0(VALU_DEP_1) | instskip(SKIP_1) | instid1(VALU_DEP_1)
	v_fmac_f64_e32 v[150:151], v[126:127], v[120:121]
	s_wait_loadcnt 0x0
	v_fmac_f64_e32 v[150:151], v[144:145], v[122:123]
	s_delay_alu instid0(VALU_DEP_1)
	v_add_f64_e64 v[2:3], v[114:115], -v[150:151]
	scratch_store_b64 off, v[2:3], off offset:48
	s_wait_xcnt 0x0
	v_cmpx_lt_u32_e32 5, v0
	s_cbranch_execz .LBB54_329
; %bb.328:
	scratch_load_b64 v[2:3], off, off offset:40
	v_mov_b64_e32 v[114:115], 0
	scratch_store_b64 off, v[114:115], off offset:40
	s_wait_loadcnt 0x0
	ds_store_b64 v1, v[2:3]
.LBB54_329:
	s_wait_xcnt 0x0
	s_or_b32 exec_lo, exec_lo, s0
	s_wait_storecnt_dscnt 0x0
	s_barrier_signal -1
	s_barrier_wait -1
	s_clause 0x5
	scratch_load_b128 v[114:117], off, off offset:40
	scratch_load_b128 v[118:121], off, off offset:56
	;; [unrolled: 1-line block ×6, first 2 shown]
	v_mov_b32_e32 v2, 0
	ds_load_b128 v[138:141], v2 offset:496
	ds_load_b128 v[142:145], v2 offset:512
	scratch_load_b128 v[146:149], off, off offset:136
	s_mov_b32 s0, exec_lo
	s_wait_loadcnt_dscnt 0x601
	v_fma_f64 v[150:151], v[116:117], v[138:139], 0
	s_wait_loadcnt 0x5
	s_delay_alu instid0(VALU_DEP_1) | instskip(SKIP_4) | instid1(VALU_DEP_1)
	v_fmac_f64_e32 v[150:151], v[118:119], v[140:141]
	scratch_load_b128 v[116:119], off, off offset:152
	s_wait_dscnt 0x0
	v_fmac_f64_e32 v[150:151], v[120:121], v[142:143]
	s_wait_loadcnt 0x5
	v_fmac_f64_e32 v[150:151], v[122:123], v[144:145]
	ds_load_b128 v[120:123], v2 offset:528
	ds_load_b128 v[138:141], v2 offset:544
	scratch_load_b128 v[142:145], off, off offset:168
	s_wait_dscnt 0x1
	v_fmac_f64_e32 v[150:151], v[124:125], v[120:121]
	s_wait_loadcnt 0x5
	s_delay_alu instid0(VALU_DEP_1) | instskip(SKIP_4) | instid1(VALU_DEP_1)
	v_fmac_f64_e32 v[150:151], v[126:127], v[122:123]
	scratch_load_b128 v[120:123], off, off offset:184
	s_wait_dscnt 0x0
	v_fmac_f64_e32 v[150:151], v[128:129], v[138:139]
	s_wait_loadcnt 0x5
	v_fmac_f64_e32 v[150:151], v[130:131], v[140:141]
	ds_load_b128 v[124:127], v2 offset:560
	ds_load_b128 v[128:131], v2 offset:576
	scratch_load_b128 v[138:141], off, off offset:200
	s_wait_dscnt 0x1
	v_fmac_f64_e32 v[150:151], v[132:133], v[124:125]
	s_wait_loadcnt 0x5
	s_delay_alu instid0(VALU_DEP_1) | instskip(SKIP_4) | instid1(VALU_DEP_1)
	v_fmac_f64_e32 v[150:151], v[134:135], v[126:127]
	scratch_load_b128 v[124:127], off, off offset:216
	s_wait_dscnt 0x0
	v_fmac_f64_e32 v[150:151], v[136:137], v[128:129]
	s_wait_loadcnt 0x5
	v_fmac_f64_e32 v[150:151], v[146:147], v[130:131]
	ds_load_b128 v[128:131], v2 offset:592
	ds_load_b128 v[132:135], v2 offset:608
	s_wait_dscnt 0x1
	v_fmac_f64_e32 v[150:151], v[148:149], v[128:129]
	scratch_load_b128 v[146:149], off, off offset:232
	s_wait_loadcnt 0x5
	v_fmac_f64_e32 v[150:151], v[116:117], v[130:131]
	s_wait_dscnt 0x0
	s_delay_alu instid0(VALU_DEP_1)
	v_fmac_f64_e32 v[150:151], v[118:119], v[132:133]
	scratch_load_b128 v[116:119], off, off offset:248
	s_wait_loadcnt 0x5
	v_fmac_f64_e32 v[150:151], v[142:143], v[134:135]
	ds_load_b128 v[128:131], v2 offset:624
	ds_load_b128 v[132:135], v2 offset:640
	s_wait_dscnt 0x1
	v_fmac_f64_e32 v[150:151], v[144:145], v[128:129]
	scratch_load_b128 v[142:145], off, off offset:264
	s_wait_loadcnt 0x5
	v_fmac_f64_e32 v[150:151], v[120:121], v[130:131]
	s_wait_dscnt 0x0
	s_delay_alu instid0(VALU_DEP_1)
	v_fmac_f64_e32 v[150:151], v[122:123], v[132:133]
	scratch_load_b128 v[120:123], off, off offset:280
	s_wait_loadcnt 0x5
	v_fmac_f64_e32 v[150:151], v[138:139], v[134:135]
	ds_load_b128 v[128:131], v2 offset:656
	ds_load_b128 v[132:135], v2 offset:672
	scratch_load_b128 v[136:139], off, off offset:296
	s_wait_dscnt 0x1
	v_fmac_f64_e32 v[150:151], v[140:141], v[128:129]
	s_wait_loadcnt 0x5
	s_delay_alu instid0(VALU_DEP_1) | instskip(SKIP_1) | instid1(VALU_DEP_1)
	v_fmac_f64_e32 v[150:151], v[124:125], v[130:131]
	s_wait_dscnt 0x0
	v_fmac_f64_e32 v[150:151], v[126:127], v[132:133]
	scratch_load_b128 v[124:127], off, off offset:312
	s_wait_loadcnt 0x5
	v_fmac_f64_e32 v[150:151], v[146:147], v[134:135]
	ds_load_b128 v[128:131], v2 offset:688
	ds_load_b128 v[132:135], v2 offset:704
	s_wait_dscnt 0x1
	v_fmac_f64_e32 v[150:151], v[148:149], v[128:129]
	scratch_load_b128 v[146:149], off, off offset:328
	s_wait_loadcnt 0x5
	v_fmac_f64_e32 v[150:151], v[116:117], v[130:131]
	s_wait_dscnt 0x0
	s_delay_alu instid0(VALU_DEP_1)
	v_fmac_f64_e32 v[150:151], v[118:119], v[132:133]
	scratch_load_b128 v[116:119], off, off offset:344
	s_wait_loadcnt 0x5
	v_fmac_f64_e32 v[150:151], v[142:143], v[134:135]
	ds_load_b128 v[128:131], v2 offset:720
	ds_load_b128 v[132:135], v2 offset:736
	s_wait_dscnt 0x1
	v_fmac_f64_e32 v[150:151], v[144:145], v[128:129]
	s_wait_loadcnt 0x4
	s_delay_alu instid0(VALU_DEP_1)
	v_fmac_f64_e32 v[150:151], v[120:121], v[130:131]
	scratch_load_b128 v[128:131], off, off offset:360
	s_wait_dscnt 0x0
	v_fmac_f64_e32 v[150:151], v[122:123], v[132:133]
	scratch_load_b128 v[120:123], off, off offset:376
	s_wait_loadcnt 0x5
	v_fmac_f64_e32 v[150:151], v[136:137], v[134:135]
	ds_load_b128 v[132:135], v2 offset:752
	ds_load_b128 v[140:143], v2 offset:768
	s_wait_dscnt 0x1
	v_fmac_f64_e32 v[150:151], v[138:139], v[132:133]
	s_wait_loadcnt 0x4
	s_delay_alu instid0(VALU_DEP_1)
	v_fmac_f64_e32 v[150:151], v[124:125], v[134:135]
	scratch_load_b128 v[132:135], off, off offset:392
	s_wait_dscnt 0x0
	v_fmac_f64_e32 v[150:151], v[126:127], v[140:141]
	scratch_load_b128 v[124:127], off, off offset:408
	s_wait_loadcnt 0x5
	v_fmac_f64_e32 v[150:151], v[146:147], v[142:143]
	ds_load_b128 v[136:139], v2 offset:784
	ds_load_b128 v[140:143], v2 offset:800
	s_wait_dscnt 0x1
	v_fmac_f64_e32 v[150:151], v[148:149], v[136:137]
	s_wait_loadcnt 0x4
	s_delay_alu instid0(VALU_DEP_1) | instskip(SKIP_4) | instid1(VALU_DEP_1)
	v_fmac_f64_e32 v[150:151], v[116:117], v[138:139]
	scratch_load_b128 v[136:139], off, off offset:424
	s_wait_dscnt 0x0
	v_fmac_f64_e32 v[150:151], v[118:119], v[140:141]
	s_wait_loadcnt 0x4
	v_fmac_f64_e32 v[150:151], v[128:129], v[142:143]
	ds_load_b128 v[116:119], v2 offset:816
	ds_load_b128 v[140:143], v2 offset:832
	s_wait_dscnt 0x1
	v_fmac_f64_e32 v[150:151], v[130:131], v[116:117]
	s_wait_loadcnt 0x3
	s_delay_alu instid0(VALU_DEP_1) | instskip(SKIP_1) | instid1(VALU_DEP_1)
	v_fmac_f64_e32 v[150:151], v[120:121], v[118:119]
	s_wait_dscnt 0x0
	v_fmac_f64_e32 v[150:151], v[122:123], v[140:141]
	ds_load_b128 v[116:119], v2 offset:848
	ds_load_b128 v[120:123], v2 offset:864
	s_wait_loadcnt 0x2
	v_fmac_f64_e32 v[150:151], v[132:133], v[142:143]
	s_wait_dscnt 0x1
	s_delay_alu instid0(VALU_DEP_1) | instskip(SKIP_4) | instid1(VALU_DEP_1)
	v_fmac_f64_e32 v[150:151], v[134:135], v[116:117]
	ds_load_b64 v[116:117], v2 offset:880
	s_wait_loadcnt 0x1
	v_fmac_f64_e32 v[150:151], v[124:125], v[118:119]
	s_wait_dscnt 0x1
	v_fmac_f64_e32 v[150:151], v[126:127], v[120:121]
	s_wait_loadcnt 0x0
	s_delay_alu instid0(VALU_DEP_1) | instskip(SKIP_1) | instid1(VALU_DEP_1)
	v_fmac_f64_e32 v[150:151], v[136:137], v[122:123]
	s_wait_dscnt 0x0
	v_fmac_f64_e32 v[150:151], v[138:139], v[116:117]
	s_delay_alu instid0(VALU_DEP_1)
	v_add_f64_e64 v[114:115], v[114:115], -v[150:151]
	scratch_store_b64 off, v[114:115], off offset:40
	s_wait_xcnt 0x0
	v_cmpx_lt_u32_e32 4, v0
	s_cbranch_execz .LBB54_331
; %bb.330:
	scratch_load_b64 v[114:115], off, off offset:32
	v_mov_b64_e32 v[116:117], 0
	scratch_store_b64 off, v[116:117], off offset:32
	s_wait_loadcnt 0x0
	ds_store_b64 v1, v[114:115]
.LBB54_331:
	s_wait_xcnt 0x0
	s_or_b32 exec_lo, exec_lo, s0
	s_wait_storecnt_dscnt 0x0
	s_barrier_signal -1
	s_barrier_wait -1
	s_clause 0x5
	scratch_load_b128 v[114:117], off, off offset:32
	scratch_load_b128 v[118:121], off, off offset:48
	scratch_load_b128 v[122:125], off, off offset:64
	scratch_load_b128 v[126:129], off, off offset:80
	scratch_load_b128 v[130:133], off, off offset:96
	scratch_load_b128 v[134:137], off, off offset:112
	ds_load_2addr_b64 v[138:141], v2 offset0:61 offset1:62
	ds_load_2addr_b64 v[142:145], v2 offset0:63 offset1:64
	scratch_load_b128 v[146:149], off, off offset:128
	s_mov_b32 s0, exec_lo
	s_wait_loadcnt_dscnt 0x601
	v_fma_f64 v[150:151], v[116:117], v[138:139], 0
	s_wait_loadcnt 0x5
	s_delay_alu instid0(VALU_DEP_1) | instskip(SKIP_4) | instid1(VALU_DEP_1)
	v_fmac_f64_e32 v[150:151], v[118:119], v[140:141]
	scratch_load_b128 v[116:119], off, off offset:144
	s_wait_dscnt 0x0
	v_fmac_f64_e32 v[150:151], v[120:121], v[142:143]
	s_wait_loadcnt 0x5
	v_fmac_f64_e32 v[150:151], v[122:123], v[144:145]
	ds_load_2addr_b64 v[120:123], v2 offset0:65 offset1:66
	ds_load_2addr_b64 v[138:141], v2 offset0:67 offset1:68
	scratch_load_b128 v[142:145], off, off offset:160
	s_wait_dscnt 0x1
	v_fmac_f64_e32 v[150:151], v[124:125], v[120:121]
	s_wait_loadcnt 0x5
	s_delay_alu instid0(VALU_DEP_1) | instskip(SKIP_4) | instid1(VALU_DEP_1)
	v_fmac_f64_e32 v[150:151], v[126:127], v[122:123]
	scratch_load_b128 v[120:123], off, off offset:176
	s_wait_dscnt 0x0
	v_fmac_f64_e32 v[150:151], v[128:129], v[138:139]
	s_wait_loadcnt 0x5
	v_fmac_f64_e32 v[150:151], v[130:131], v[140:141]
	ds_load_2addr_b64 v[124:127], v2 offset0:69 offset1:70
	ds_load_2addr_b64 v[128:131], v2 offset0:71 offset1:72
	scratch_load_b128 v[138:141], off, off offset:192
	s_wait_dscnt 0x1
	v_fmac_f64_e32 v[150:151], v[132:133], v[124:125]
	s_wait_loadcnt 0x5
	s_delay_alu instid0(VALU_DEP_1) | instskip(SKIP_4) | instid1(VALU_DEP_1)
	v_fmac_f64_e32 v[150:151], v[134:135], v[126:127]
	scratch_load_b128 v[124:127], off, off offset:208
	s_wait_dscnt 0x0
	v_fmac_f64_e32 v[150:151], v[136:137], v[128:129]
	s_wait_loadcnt 0x5
	v_fmac_f64_e32 v[150:151], v[146:147], v[130:131]
	ds_load_2addr_b64 v[128:131], v2 offset0:73 offset1:74
	ds_load_2addr_b64 v[132:135], v2 offset0:75 offset1:76
	s_wait_dscnt 0x1
	v_fmac_f64_e32 v[150:151], v[148:149], v[128:129]
	scratch_load_b128 v[146:149], off, off offset:224
	s_wait_loadcnt 0x5
	v_fmac_f64_e32 v[150:151], v[116:117], v[130:131]
	s_wait_dscnt 0x0
	s_delay_alu instid0(VALU_DEP_1)
	v_fmac_f64_e32 v[150:151], v[118:119], v[132:133]
	scratch_load_b128 v[116:119], off, off offset:240
	s_wait_loadcnt 0x5
	v_fmac_f64_e32 v[150:151], v[142:143], v[134:135]
	ds_load_2addr_b64 v[128:131], v2 offset0:77 offset1:78
	ds_load_2addr_b64 v[132:135], v2 offset0:79 offset1:80
	s_wait_dscnt 0x1
	v_fmac_f64_e32 v[150:151], v[144:145], v[128:129]
	scratch_load_b128 v[142:145], off, off offset:256
	s_wait_loadcnt 0x5
	v_fmac_f64_e32 v[150:151], v[120:121], v[130:131]
	s_wait_dscnt 0x0
	s_delay_alu instid0(VALU_DEP_1)
	v_fmac_f64_e32 v[150:151], v[122:123], v[132:133]
	scratch_load_b128 v[120:123], off, off offset:272
	s_wait_loadcnt 0x5
	v_fmac_f64_e32 v[150:151], v[138:139], v[134:135]
	ds_load_2addr_b64 v[128:131], v2 offset0:81 offset1:82
	ds_load_2addr_b64 v[132:135], v2 offset0:83 offset1:84
	scratch_load_b128 v[136:139], off, off offset:288
	s_wait_dscnt 0x1
	v_fmac_f64_e32 v[150:151], v[140:141], v[128:129]
	s_wait_loadcnt 0x5
	s_delay_alu instid0(VALU_DEP_1) | instskip(SKIP_1) | instid1(VALU_DEP_1)
	v_fmac_f64_e32 v[150:151], v[124:125], v[130:131]
	s_wait_dscnt 0x0
	v_fmac_f64_e32 v[150:151], v[126:127], v[132:133]
	scratch_load_b128 v[124:127], off, off offset:304
	s_wait_loadcnt 0x5
	v_fmac_f64_e32 v[150:151], v[146:147], v[134:135]
	ds_load_2addr_b64 v[128:131], v2 offset0:85 offset1:86
	ds_load_2addr_b64 v[132:135], v2 offset0:87 offset1:88
	s_wait_dscnt 0x1
	v_fmac_f64_e32 v[150:151], v[148:149], v[128:129]
	scratch_load_b128 v[146:149], off, off offset:320
	s_wait_loadcnt 0x5
	v_fmac_f64_e32 v[150:151], v[116:117], v[130:131]
	s_wait_dscnt 0x0
	s_delay_alu instid0(VALU_DEP_1)
	v_fmac_f64_e32 v[150:151], v[118:119], v[132:133]
	scratch_load_b128 v[116:119], off, off offset:336
	s_wait_loadcnt 0x5
	v_fmac_f64_e32 v[150:151], v[142:143], v[134:135]
	ds_load_2addr_b64 v[128:131], v2 offset0:89 offset1:90
	ds_load_2addr_b64 v[132:135], v2 offset0:91 offset1:92
	scratch_load_b128 v[140:143], off, off offset:352
	s_wait_dscnt 0x1
	v_fmac_f64_e32 v[150:151], v[144:145], v[128:129]
	s_wait_loadcnt 0x5
	s_delay_alu instid0(VALU_DEP_1) | instskip(SKIP_1) | instid1(VALU_DEP_1)
	v_fmac_f64_e32 v[150:151], v[120:121], v[130:131]
	s_wait_dscnt 0x0
	v_fmac_f64_e32 v[150:151], v[122:123], v[132:133]
	scratch_load_b128 v[120:123], off, off offset:368
	s_wait_loadcnt 0x5
	v_fmac_f64_e32 v[150:151], v[136:137], v[134:135]
	ds_load_2addr_b64 v[128:131], v2 offset0:93 offset1:94
	ds_load_2addr_b64 v[132:135], v2 offset0:95 offset1:96
	s_wait_dscnt 0x1
	v_fmac_f64_e32 v[150:151], v[138:139], v[128:129]
	s_wait_loadcnt 0x4
	s_delay_alu instid0(VALU_DEP_1)
	v_fmac_f64_e32 v[150:151], v[124:125], v[130:131]
	scratch_load_b128 v[128:131], off, off offset:384
	s_wait_dscnt 0x0
	v_fmac_f64_e32 v[150:151], v[126:127], v[132:133]
	scratch_load_b128 v[124:127], off, off offset:400
	s_wait_loadcnt 0x5
	v_fmac_f64_e32 v[150:151], v[146:147], v[134:135]
	ds_load_2addr_b64 v[132:135], v2 offset0:97 offset1:98
	ds_load_2addr_b64 v[136:139], v2 offset0:99 offset1:100
	s_wait_dscnt 0x1
	v_fmac_f64_e32 v[150:151], v[148:149], v[132:133]
	s_wait_loadcnt 0x4
	s_delay_alu instid0(VALU_DEP_1) | instskip(SKIP_4) | instid1(VALU_DEP_1)
	v_fmac_f64_e32 v[150:151], v[116:117], v[134:135]
	scratch_load_b128 v[132:135], off, off offset:416
	s_wait_dscnt 0x0
	v_fmac_f64_e32 v[150:151], v[118:119], v[136:137]
	s_wait_loadcnt 0x4
	v_fmac_f64_e32 v[150:151], v[140:141], v[138:139]
	scratch_load_b64 v[140:141], off, off offset:432
	ds_load_2addr_b64 v[116:119], v2 offset0:101 offset1:102
	ds_load_2addr_b64 v[136:139], v2 offset0:103 offset1:104
	s_wait_dscnt 0x1
	v_fmac_f64_e32 v[150:151], v[142:143], v[116:117]
	s_wait_loadcnt 0x4
	s_delay_alu instid0(VALU_DEP_1) | instskip(SKIP_1) | instid1(VALU_DEP_1)
	v_fmac_f64_e32 v[150:151], v[120:121], v[118:119]
	s_wait_dscnt 0x0
	v_fmac_f64_e32 v[150:151], v[122:123], v[136:137]
	ds_load_2addr_b64 v[116:119], v2 offset0:105 offset1:106
	ds_load_2addr_b64 v[120:123], v2 offset0:107 offset1:108
	s_wait_loadcnt 0x3
	v_fmac_f64_e32 v[150:151], v[128:129], v[138:139]
	s_wait_dscnt 0x1
	s_delay_alu instid0(VALU_DEP_1) | instskip(SKIP_1) | instid1(VALU_DEP_1)
	v_fmac_f64_e32 v[150:151], v[130:131], v[116:117]
	s_wait_loadcnt 0x2
	v_fmac_f64_e32 v[150:151], v[124:125], v[118:119]
	ds_load_2addr_b64 v[116:119], v2 offset0:109 offset1:110
	s_wait_dscnt 0x1
	v_fmac_f64_e32 v[150:151], v[126:127], v[120:121]
	s_wait_loadcnt 0x1
	s_delay_alu instid0(VALU_DEP_1) | instskip(SKIP_1) | instid1(VALU_DEP_1)
	v_fmac_f64_e32 v[150:151], v[132:133], v[122:123]
	s_wait_dscnt 0x0
	v_fmac_f64_e32 v[150:151], v[134:135], v[116:117]
	s_wait_loadcnt 0x0
	s_delay_alu instid0(VALU_DEP_1) | instskip(NEXT) | instid1(VALU_DEP_1)
	v_fmac_f64_e32 v[150:151], v[140:141], v[118:119]
	v_add_f64_e64 v[2:3], v[114:115], -v[150:151]
	scratch_store_b64 off, v[2:3], off offset:32
	s_wait_xcnt 0x0
	v_cmpx_lt_u32_e32 3, v0
	s_cbranch_execz .LBB54_333
; %bb.332:
	scratch_load_b64 v[2:3], off, off offset:24
	v_mov_b64_e32 v[114:115], 0
	scratch_store_b64 off, v[114:115], off offset:24
	s_wait_loadcnt 0x0
	ds_store_b64 v1, v[2:3]
.LBB54_333:
	s_wait_xcnt 0x0
	s_or_b32 exec_lo, exec_lo, s0
	s_wait_storecnt_dscnt 0x0
	s_barrier_signal -1
	s_barrier_wait -1
	s_clause 0x5
	scratch_load_b128 v[114:117], off, off offset:24
	scratch_load_b128 v[118:121], off, off offset:40
	;; [unrolled: 1-line block ×6, first 2 shown]
	v_mov_b32_e32 v2, 0
	ds_load_b128 v[138:141], v2 offset:480
	ds_load_b128 v[142:145], v2 offset:496
	scratch_load_b128 v[146:149], off, off offset:120
	s_mov_b32 s0, exec_lo
	s_wait_loadcnt_dscnt 0x601
	v_fma_f64 v[150:151], v[116:117], v[138:139], 0
	s_wait_loadcnt 0x5
	s_delay_alu instid0(VALU_DEP_1) | instskip(SKIP_4) | instid1(VALU_DEP_1)
	v_fmac_f64_e32 v[150:151], v[118:119], v[140:141]
	scratch_load_b128 v[116:119], off, off offset:136
	s_wait_dscnt 0x0
	v_fmac_f64_e32 v[150:151], v[120:121], v[142:143]
	s_wait_loadcnt 0x5
	v_fmac_f64_e32 v[150:151], v[122:123], v[144:145]
	ds_load_b128 v[120:123], v2 offset:512
	ds_load_b128 v[138:141], v2 offset:528
	scratch_load_b128 v[142:145], off, off offset:152
	s_wait_dscnt 0x1
	v_fmac_f64_e32 v[150:151], v[124:125], v[120:121]
	s_wait_loadcnt 0x5
	s_delay_alu instid0(VALU_DEP_1) | instskip(SKIP_4) | instid1(VALU_DEP_1)
	v_fmac_f64_e32 v[150:151], v[126:127], v[122:123]
	scratch_load_b128 v[120:123], off, off offset:168
	s_wait_dscnt 0x0
	v_fmac_f64_e32 v[150:151], v[128:129], v[138:139]
	s_wait_loadcnt 0x5
	v_fmac_f64_e32 v[150:151], v[130:131], v[140:141]
	ds_load_b128 v[124:127], v2 offset:544
	ds_load_b128 v[128:131], v2 offset:560
	scratch_load_b128 v[138:141], off, off offset:184
	s_wait_dscnt 0x1
	v_fmac_f64_e32 v[150:151], v[132:133], v[124:125]
	s_wait_loadcnt 0x5
	s_delay_alu instid0(VALU_DEP_1) | instskip(SKIP_4) | instid1(VALU_DEP_1)
	v_fmac_f64_e32 v[150:151], v[134:135], v[126:127]
	scratch_load_b128 v[124:127], off, off offset:200
	s_wait_dscnt 0x0
	v_fmac_f64_e32 v[150:151], v[136:137], v[128:129]
	s_wait_loadcnt 0x5
	v_fmac_f64_e32 v[150:151], v[146:147], v[130:131]
	ds_load_b128 v[128:131], v2 offset:576
	ds_load_b128 v[132:135], v2 offset:592
	s_wait_dscnt 0x1
	v_fmac_f64_e32 v[150:151], v[148:149], v[128:129]
	scratch_load_b128 v[146:149], off, off offset:216
	s_wait_loadcnt 0x5
	v_fmac_f64_e32 v[150:151], v[116:117], v[130:131]
	s_wait_dscnt 0x0
	s_delay_alu instid0(VALU_DEP_1)
	v_fmac_f64_e32 v[150:151], v[118:119], v[132:133]
	scratch_load_b128 v[116:119], off, off offset:232
	s_wait_loadcnt 0x5
	v_fmac_f64_e32 v[150:151], v[142:143], v[134:135]
	ds_load_b128 v[128:131], v2 offset:608
	ds_load_b128 v[132:135], v2 offset:624
	s_wait_dscnt 0x1
	v_fmac_f64_e32 v[150:151], v[144:145], v[128:129]
	scratch_load_b128 v[142:145], off, off offset:248
	s_wait_loadcnt 0x5
	v_fmac_f64_e32 v[150:151], v[120:121], v[130:131]
	s_wait_dscnt 0x0
	s_delay_alu instid0(VALU_DEP_1)
	v_fmac_f64_e32 v[150:151], v[122:123], v[132:133]
	scratch_load_b128 v[120:123], off, off offset:264
	s_wait_loadcnt 0x5
	v_fmac_f64_e32 v[150:151], v[138:139], v[134:135]
	ds_load_b128 v[128:131], v2 offset:640
	ds_load_b128 v[132:135], v2 offset:656
	scratch_load_b128 v[136:139], off, off offset:280
	s_wait_dscnt 0x1
	v_fmac_f64_e32 v[150:151], v[140:141], v[128:129]
	s_wait_loadcnt 0x5
	s_delay_alu instid0(VALU_DEP_1) | instskip(SKIP_1) | instid1(VALU_DEP_1)
	v_fmac_f64_e32 v[150:151], v[124:125], v[130:131]
	s_wait_dscnt 0x0
	v_fmac_f64_e32 v[150:151], v[126:127], v[132:133]
	scratch_load_b128 v[124:127], off, off offset:296
	s_wait_loadcnt 0x5
	v_fmac_f64_e32 v[150:151], v[146:147], v[134:135]
	ds_load_b128 v[128:131], v2 offset:672
	ds_load_b128 v[132:135], v2 offset:688
	s_wait_dscnt 0x1
	v_fmac_f64_e32 v[150:151], v[148:149], v[128:129]
	scratch_load_b128 v[146:149], off, off offset:312
	s_wait_loadcnt 0x5
	v_fmac_f64_e32 v[150:151], v[116:117], v[130:131]
	s_wait_dscnt 0x0
	s_delay_alu instid0(VALU_DEP_1)
	v_fmac_f64_e32 v[150:151], v[118:119], v[132:133]
	scratch_load_b128 v[116:119], off, off offset:328
	s_wait_loadcnt 0x5
	v_fmac_f64_e32 v[150:151], v[142:143], v[134:135]
	ds_load_b128 v[128:131], v2 offset:704
	ds_load_b128 v[132:135], v2 offset:720
	scratch_load_b128 v[140:143], off, off offset:344
	s_wait_dscnt 0x1
	v_fmac_f64_e32 v[150:151], v[144:145], v[128:129]
	s_wait_loadcnt 0x5
	s_delay_alu instid0(VALU_DEP_1) | instskip(SKIP_1) | instid1(VALU_DEP_1)
	v_fmac_f64_e32 v[150:151], v[120:121], v[130:131]
	s_wait_dscnt 0x0
	v_fmac_f64_e32 v[150:151], v[122:123], v[132:133]
	scratch_load_b128 v[120:123], off, off offset:360
	s_wait_loadcnt 0x5
	v_fmac_f64_e32 v[150:151], v[136:137], v[134:135]
	ds_load_b128 v[128:131], v2 offset:736
	ds_load_b128 v[132:135], v2 offset:752
	s_wait_dscnt 0x1
	v_fmac_f64_e32 v[150:151], v[138:139], v[128:129]
	s_wait_loadcnt 0x4
	s_delay_alu instid0(VALU_DEP_1)
	v_fmac_f64_e32 v[150:151], v[124:125], v[130:131]
	scratch_load_b128 v[128:131], off, off offset:376
	s_wait_dscnt 0x0
	v_fmac_f64_e32 v[150:151], v[126:127], v[132:133]
	scratch_load_b128 v[124:127], off, off offset:392
	s_wait_loadcnt 0x5
	v_fmac_f64_e32 v[150:151], v[146:147], v[134:135]
	ds_load_b128 v[132:135], v2 offset:768
	ds_load_b128 v[136:139], v2 offset:784
	s_wait_dscnt 0x1
	v_fmac_f64_e32 v[150:151], v[148:149], v[132:133]
	s_wait_loadcnt 0x4
	s_delay_alu instid0(VALU_DEP_1)
	v_fmac_f64_e32 v[150:151], v[116:117], v[134:135]
	scratch_load_b128 v[132:135], off, off offset:408
	s_wait_dscnt 0x0
	v_fmac_f64_e32 v[150:151], v[118:119], v[136:137]
	scratch_load_b128 v[116:119], off, off offset:424
	s_wait_loadcnt 0x5
	v_fmac_f64_e32 v[150:151], v[140:141], v[138:139]
	ds_load_b128 v[136:139], v2 offset:800
	ds_load_b128 v[144:147], v2 offset:816
	s_wait_dscnt 0x1
	v_fmac_f64_e32 v[150:151], v[142:143], v[136:137]
	s_wait_loadcnt 0x4
	s_delay_alu instid0(VALU_DEP_1) | instskip(SKIP_1) | instid1(VALU_DEP_1)
	v_fmac_f64_e32 v[150:151], v[120:121], v[138:139]
	s_wait_dscnt 0x0
	v_fmac_f64_e32 v[150:151], v[122:123], v[144:145]
	ds_load_b128 v[120:123], v2 offset:832
	ds_load_b128 v[136:139], v2 offset:848
	s_wait_loadcnt 0x3
	v_fmac_f64_e32 v[150:151], v[128:129], v[146:147]
	s_wait_dscnt 0x1
	s_delay_alu instid0(VALU_DEP_1) | instskip(SKIP_1) | instid1(VALU_DEP_1)
	v_fmac_f64_e32 v[150:151], v[130:131], v[120:121]
	s_wait_loadcnt 0x2
	v_fmac_f64_e32 v[150:151], v[124:125], v[122:123]
	ds_load_b128 v[120:123], v2 offset:864
	ds_load_b64 v[124:125], v2 offset:880
	s_wait_dscnt 0x2
	v_fmac_f64_e32 v[150:151], v[126:127], v[136:137]
	s_wait_loadcnt 0x1
	s_delay_alu instid0(VALU_DEP_1) | instskip(SKIP_1) | instid1(VALU_DEP_1)
	v_fmac_f64_e32 v[150:151], v[132:133], v[138:139]
	s_wait_dscnt 0x1
	v_fmac_f64_e32 v[150:151], v[134:135], v[120:121]
	s_wait_loadcnt 0x0
	s_delay_alu instid0(VALU_DEP_1) | instskip(SKIP_1) | instid1(VALU_DEP_1)
	v_fmac_f64_e32 v[150:151], v[116:117], v[122:123]
	s_wait_dscnt 0x0
	v_fmac_f64_e32 v[150:151], v[118:119], v[124:125]
	s_delay_alu instid0(VALU_DEP_1)
	v_add_f64_e64 v[114:115], v[114:115], -v[150:151]
	scratch_store_b64 off, v[114:115], off offset:24
	s_wait_xcnt 0x0
	v_cmpx_lt_u32_e32 2, v0
	s_cbranch_execz .LBB54_335
; %bb.334:
	scratch_load_b64 v[114:115], off, off offset:16
	v_mov_b64_e32 v[116:117], 0
	scratch_store_b64 off, v[116:117], off offset:16
	s_wait_loadcnt 0x0
	ds_store_b64 v1, v[114:115]
.LBB54_335:
	s_wait_xcnt 0x0
	s_or_b32 exec_lo, exec_lo, s0
	s_wait_storecnt_dscnt 0x0
	s_barrier_signal -1
	s_barrier_wait -1
	s_clause 0x5
	scratch_load_b128 v[114:117], off, off offset:16
	scratch_load_b128 v[118:121], off, off offset:32
	;; [unrolled: 1-line block ×6, first 2 shown]
	ds_load_2addr_b64 v[138:141], v2 offset0:59 offset1:60
	ds_load_2addr_b64 v[142:145], v2 offset0:61 offset1:62
	scratch_load_b128 v[146:149], off, off offset:112
	s_mov_b32 s0, exec_lo
	s_wait_loadcnt_dscnt 0x601
	v_fma_f64 v[150:151], v[116:117], v[138:139], 0
	s_wait_loadcnt 0x5
	s_delay_alu instid0(VALU_DEP_1) | instskip(SKIP_4) | instid1(VALU_DEP_1)
	v_fmac_f64_e32 v[150:151], v[118:119], v[140:141]
	scratch_load_b128 v[116:119], off, off offset:128
	s_wait_dscnt 0x0
	v_fmac_f64_e32 v[150:151], v[120:121], v[142:143]
	s_wait_loadcnt 0x5
	v_fmac_f64_e32 v[150:151], v[122:123], v[144:145]
	ds_load_2addr_b64 v[120:123], v2 offset0:63 offset1:64
	ds_load_2addr_b64 v[138:141], v2 offset0:65 offset1:66
	scratch_load_b128 v[142:145], off, off offset:144
	s_wait_dscnt 0x1
	v_fmac_f64_e32 v[150:151], v[124:125], v[120:121]
	s_wait_loadcnt 0x5
	s_delay_alu instid0(VALU_DEP_1) | instskip(SKIP_4) | instid1(VALU_DEP_1)
	v_fmac_f64_e32 v[150:151], v[126:127], v[122:123]
	scratch_load_b128 v[120:123], off, off offset:160
	s_wait_dscnt 0x0
	v_fmac_f64_e32 v[150:151], v[128:129], v[138:139]
	s_wait_loadcnt 0x5
	v_fmac_f64_e32 v[150:151], v[130:131], v[140:141]
	ds_load_2addr_b64 v[124:127], v2 offset0:67 offset1:68
	ds_load_2addr_b64 v[128:131], v2 offset0:69 offset1:70
	scratch_load_b128 v[138:141], off, off offset:176
	s_wait_dscnt 0x1
	v_fmac_f64_e32 v[150:151], v[132:133], v[124:125]
	s_wait_loadcnt 0x5
	s_delay_alu instid0(VALU_DEP_1) | instskip(SKIP_4) | instid1(VALU_DEP_1)
	v_fmac_f64_e32 v[150:151], v[134:135], v[126:127]
	scratch_load_b128 v[124:127], off, off offset:192
	s_wait_dscnt 0x0
	v_fmac_f64_e32 v[150:151], v[136:137], v[128:129]
	s_wait_loadcnt 0x5
	v_fmac_f64_e32 v[150:151], v[146:147], v[130:131]
	ds_load_2addr_b64 v[128:131], v2 offset0:71 offset1:72
	ds_load_2addr_b64 v[132:135], v2 offset0:73 offset1:74
	s_wait_dscnt 0x1
	v_fmac_f64_e32 v[150:151], v[148:149], v[128:129]
	scratch_load_b128 v[146:149], off, off offset:208
	s_wait_loadcnt 0x5
	v_fmac_f64_e32 v[150:151], v[116:117], v[130:131]
	s_wait_dscnt 0x0
	s_delay_alu instid0(VALU_DEP_1)
	v_fmac_f64_e32 v[150:151], v[118:119], v[132:133]
	scratch_load_b128 v[116:119], off, off offset:224
	s_wait_loadcnt 0x5
	v_fmac_f64_e32 v[150:151], v[142:143], v[134:135]
	ds_load_2addr_b64 v[128:131], v2 offset0:75 offset1:76
	ds_load_2addr_b64 v[132:135], v2 offset0:77 offset1:78
	s_wait_dscnt 0x1
	v_fmac_f64_e32 v[150:151], v[144:145], v[128:129]
	scratch_load_b128 v[142:145], off, off offset:240
	s_wait_loadcnt 0x5
	v_fmac_f64_e32 v[150:151], v[120:121], v[130:131]
	s_wait_dscnt 0x0
	s_delay_alu instid0(VALU_DEP_1)
	v_fmac_f64_e32 v[150:151], v[122:123], v[132:133]
	scratch_load_b128 v[120:123], off, off offset:256
	s_wait_loadcnt 0x5
	v_fmac_f64_e32 v[150:151], v[138:139], v[134:135]
	ds_load_2addr_b64 v[128:131], v2 offset0:79 offset1:80
	ds_load_2addr_b64 v[132:135], v2 offset0:81 offset1:82
	scratch_load_b128 v[136:139], off, off offset:272
	s_wait_dscnt 0x1
	v_fmac_f64_e32 v[150:151], v[140:141], v[128:129]
	s_wait_loadcnt 0x5
	s_delay_alu instid0(VALU_DEP_1) | instskip(SKIP_1) | instid1(VALU_DEP_1)
	v_fmac_f64_e32 v[150:151], v[124:125], v[130:131]
	s_wait_dscnt 0x0
	v_fmac_f64_e32 v[150:151], v[126:127], v[132:133]
	scratch_load_b128 v[124:127], off, off offset:288
	s_wait_loadcnt 0x5
	v_fmac_f64_e32 v[150:151], v[146:147], v[134:135]
	ds_load_2addr_b64 v[128:131], v2 offset0:83 offset1:84
	ds_load_2addr_b64 v[132:135], v2 offset0:85 offset1:86
	s_wait_dscnt 0x1
	v_fmac_f64_e32 v[150:151], v[148:149], v[128:129]
	scratch_load_b128 v[146:149], off, off offset:304
	s_wait_loadcnt 0x5
	v_fmac_f64_e32 v[150:151], v[116:117], v[130:131]
	s_wait_dscnt 0x0
	s_delay_alu instid0(VALU_DEP_1)
	v_fmac_f64_e32 v[150:151], v[118:119], v[132:133]
	scratch_load_b128 v[116:119], off, off offset:320
	s_wait_loadcnt 0x5
	v_fmac_f64_e32 v[150:151], v[142:143], v[134:135]
	ds_load_2addr_b64 v[128:131], v2 offset0:87 offset1:88
	ds_load_2addr_b64 v[132:135], v2 offset0:89 offset1:90
	scratch_load_b128 v[140:143], off, off offset:336
	s_wait_dscnt 0x1
	v_fmac_f64_e32 v[150:151], v[144:145], v[128:129]
	s_wait_loadcnt 0x5
	s_delay_alu instid0(VALU_DEP_1) | instskip(SKIP_1) | instid1(VALU_DEP_1)
	v_fmac_f64_e32 v[150:151], v[120:121], v[130:131]
	s_wait_dscnt 0x0
	v_fmac_f64_e32 v[150:151], v[122:123], v[132:133]
	scratch_load_b128 v[120:123], off, off offset:352
	s_wait_loadcnt 0x5
	v_fmac_f64_e32 v[150:151], v[136:137], v[134:135]
	ds_load_2addr_b64 v[128:131], v2 offset0:91 offset1:92
	ds_load_2addr_b64 v[132:135], v2 offset0:93 offset1:94
	s_wait_dscnt 0x1
	v_fmac_f64_e32 v[150:151], v[138:139], v[128:129]
	s_wait_loadcnt 0x4
	s_delay_alu instid0(VALU_DEP_1)
	v_fmac_f64_e32 v[150:151], v[124:125], v[130:131]
	scratch_load_b128 v[128:131], off, off offset:368
	s_wait_dscnt 0x0
	v_fmac_f64_e32 v[150:151], v[126:127], v[132:133]
	scratch_load_b128 v[124:127], off, off offset:384
	s_wait_loadcnt 0x5
	v_fmac_f64_e32 v[150:151], v[146:147], v[134:135]
	ds_load_2addr_b64 v[132:135], v2 offset0:95 offset1:96
	ds_load_2addr_b64 v[136:139], v2 offset0:97 offset1:98
	s_wait_dscnt 0x1
	v_fmac_f64_e32 v[150:151], v[148:149], v[132:133]
	s_wait_loadcnt 0x4
	s_delay_alu instid0(VALU_DEP_1)
	v_fmac_f64_e32 v[150:151], v[116:117], v[134:135]
	scratch_load_b128 v[132:135], off, off offset:400
	s_wait_dscnt 0x0
	v_fmac_f64_e32 v[150:151], v[118:119], v[136:137]
	scratch_load_b128 v[116:119], off, off offset:416
	s_wait_loadcnt 0x5
	v_fmac_f64_e32 v[150:151], v[140:141], v[138:139]
	ds_load_2addr_b64 v[136:139], v2 offset0:99 offset1:100
	ds_load_2addr_b64 v[144:147], v2 offset0:101 offset1:102
	scratch_load_b64 v[140:141], off, off offset:432
	s_wait_dscnt 0x1
	v_fmac_f64_e32 v[150:151], v[142:143], v[136:137]
	s_wait_loadcnt 0x5
	s_delay_alu instid0(VALU_DEP_1) | instskip(SKIP_1) | instid1(VALU_DEP_1)
	v_fmac_f64_e32 v[150:151], v[120:121], v[138:139]
	s_wait_dscnt 0x0
	v_fmac_f64_e32 v[150:151], v[122:123], v[144:145]
	ds_load_2addr_b64 v[120:123], v2 offset0:103 offset1:104
	ds_load_2addr_b64 v[136:139], v2 offset0:105 offset1:106
	s_wait_loadcnt 0x4
	v_fmac_f64_e32 v[150:151], v[128:129], v[146:147]
	s_wait_dscnt 0x1
	s_delay_alu instid0(VALU_DEP_1) | instskip(SKIP_1) | instid1(VALU_DEP_1)
	v_fmac_f64_e32 v[150:151], v[130:131], v[120:121]
	s_wait_loadcnt 0x3
	v_fmac_f64_e32 v[150:151], v[124:125], v[122:123]
	s_wait_dscnt 0x0
	s_delay_alu instid0(VALU_DEP_1)
	v_fmac_f64_e32 v[150:151], v[126:127], v[136:137]
	ds_load_2addr_b64 v[120:123], v2 offset0:107 offset1:108
	ds_load_2addr_b64 v[124:127], v2 offset0:109 offset1:110
	s_wait_loadcnt 0x2
	v_fmac_f64_e32 v[150:151], v[132:133], v[138:139]
	s_wait_dscnt 0x1
	s_delay_alu instid0(VALU_DEP_1) | instskip(SKIP_1) | instid1(VALU_DEP_1)
	v_fmac_f64_e32 v[150:151], v[134:135], v[120:121]
	s_wait_loadcnt 0x1
	v_fmac_f64_e32 v[150:151], v[116:117], v[122:123]
	s_wait_dscnt 0x0
	s_delay_alu instid0(VALU_DEP_1) | instskip(SKIP_1) | instid1(VALU_DEP_1)
	v_fmac_f64_e32 v[150:151], v[118:119], v[124:125]
	s_wait_loadcnt 0x0
	v_fmac_f64_e32 v[150:151], v[140:141], v[126:127]
	s_delay_alu instid0(VALU_DEP_1)
	v_add_f64_e64 v[2:3], v[114:115], -v[150:151]
	scratch_store_b64 off, v[2:3], off offset:16
	s_wait_xcnt 0x0
	v_cmpx_lt_u32_e32 1, v0
	s_cbranch_execz .LBB54_337
; %bb.336:
	scratch_load_b64 v[2:3], off, off offset:8
	v_mov_b64_e32 v[114:115], 0
	scratch_store_b64 off, v[114:115], off offset:8
	s_wait_loadcnt 0x0
	ds_store_b64 v1, v[2:3]
.LBB54_337:
	s_wait_xcnt 0x0
	s_or_b32 exec_lo, exec_lo, s0
	s_wait_storecnt_dscnt 0x0
	s_barrier_signal -1
	s_barrier_wait -1
	s_clause 0x3
	scratch_load_b128 v[116:119], off, off offset:8
	scratch_load_b128 v[120:123], off, off offset:24
	;; [unrolled: 1-line block ×4, first 2 shown]
	v_dual_mov_b32 v114, 0 :: v_dual_ashrrev_i32 v9, 31, v8
	ds_load_b128 v[132:135], v114 offset:464
	ds_load_b128 v[136:139], v114 offset:480
	scratch_load_b128 v[140:143], off, off offset:72
	v_dual_ashrrev_i32 v11, 31, v10 :: v_dual_ashrrev_i32 v13, 31, v12
	v_dual_ashrrev_i32 v15, 31, v14 :: v_dual_ashrrev_i32 v17, 31, v16
	;; [unrolled: 1-line block ×25, first 2 shown]
	v_ashrrev_i32_e32 v111, 31, v110
	s_mov_b32 s0, exec_lo
	v_ashrrev_i32_e32 v65, 31, v64
	s_wait_loadcnt_dscnt 0x401
	v_fma_f64 v[2:3], v[118:119], v[132:133], 0
	s_wait_loadcnt 0x3
	s_delay_alu instid0(VALU_DEP_1) | instskip(SKIP_4) | instid1(VALU_DEP_1)
	v_fmac_f64_e32 v[2:3], v[120:121], v[134:135]
	scratch_load_b128 v[118:121], off, off offset:88
	s_wait_dscnt 0x0
	v_fmac_f64_e32 v[2:3], v[122:123], v[136:137]
	s_wait_loadcnt 0x3
	v_fmac_f64_e32 v[2:3], v[124:125], v[138:139]
	ds_load_b128 v[122:125], v114 offset:496
	ds_load_b128 v[132:135], v114 offset:512
	scratch_load_b128 v[136:139], off, off offset:104
	s_wait_dscnt 0x1
	v_fmac_f64_e32 v[2:3], v[126:127], v[122:123]
	s_wait_loadcnt 0x3
	s_delay_alu instid0(VALU_DEP_1)
	v_fmac_f64_e32 v[2:3], v[128:129], v[124:125]
	scratch_load_b128 v[122:125], off, off offset:120
	s_wait_dscnt 0x0
	v_fmac_f64_e32 v[2:3], v[130:131], v[132:133]
	ds_load_b128 v[126:129], v114 offset:528
	ds_load_b128 v[130:133], v114 offset:544
	s_wait_loadcnt 0x3
	v_fmac_f64_e32 v[2:3], v[140:141], v[134:135]
	s_wait_dscnt 0x1
	s_delay_alu instid0(VALU_DEP_1) | instskip(SKIP_4) | instid1(VALU_DEP_1)
	v_fmac_f64_e32 v[2:3], v[142:143], v[126:127]
	scratch_load_b128 v[140:143], off, off offset:136
	s_wait_loadcnt 0x3
	v_fmac_f64_e32 v[2:3], v[118:119], v[128:129]
	s_wait_dscnt 0x0
	v_fmac_f64_e32 v[2:3], v[120:121], v[130:131]
	scratch_load_b128 v[118:121], off, off offset:152
	s_wait_loadcnt 0x3
	v_fmac_f64_e32 v[2:3], v[136:137], v[132:133]
	ds_load_b128 v[126:129], v114 offset:560
	ds_load_b128 v[130:133], v114 offset:576
	scratch_load_b128 v[134:137], off, off offset:168
	s_wait_dscnt 0x1
	v_fmac_f64_e32 v[2:3], v[138:139], v[126:127]
	s_wait_loadcnt 0x3
	s_delay_alu instid0(VALU_DEP_1) | instskip(SKIP_1) | instid1(VALU_DEP_1)
	v_fmac_f64_e32 v[2:3], v[122:123], v[128:129]
	s_wait_dscnt 0x0
	v_fmac_f64_e32 v[2:3], v[124:125], v[130:131]
	scratch_load_b128 v[122:125], off, off offset:184
	s_wait_loadcnt 0x3
	v_fmac_f64_e32 v[2:3], v[140:141], v[132:133]
	ds_load_b128 v[126:129], v114 offset:592
	ds_load_b128 v[130:133], v114 offset:608
	scratch_load_b128 v[138:141], off, off offset:200
	s_wait_dscnt 0x1
	v_fmac_f64_e32 v[2:3], v[142:143], v[126:127]
	s_wait_loadcnt 0x3
	s_delay_alu instid0(VALU_DEP_1) | instskip(SKIP_1) | instid1(VALU_DEP_1)
	v_fmac_f64_e32 v[2:3], v[118:119], v[128:129]
	s_wait_dscnt 0x0
	v_fmac_f64_e32 v[2:3], v[120:121], v[130:131]
	scratch_load_b128 v[118:121], off, off offset:216
	s_wait_loadcnt 0x3
	v_fmac_f64_e32 v[2:3], v[134:135], v[132:133]
	ds_load_b128 v[126:129], v114 offset:624
	ds_load_b128 v[130:133], v114 offset:640
	s_wait_dscnt 0x1
	v_fmac_f64_e32 v[2:3], v[136:137], v[126:127]
	scratch_load_b128 v[134:137], off, off offset:232
	s_wait_loadcnt 0x3
	v_fmac_f64_e32 v[2:3], v[122:123], v[128:129]
	s_wait_dscnt 0x0
	s_delay_alu instid0(VALU_DEP_1)
	v_fmac_f64_e32 v[2:3], v[124:125], v[130:131]
	scratch_load_b128 v[122:125], off, off offset:248
	s_wait_loadcnt 0x3
	v_fmac_f64_e32 v[2:3], v[138:139], v[132:133]
	ds_load_b128 v[126:129], v114 offset:656
	ds_load_b128 v[130:133], v114 offset:672
	s_wait_dscnt 0x1
	v_fmac_f64_e32 v[2:3], v[140:141], v[126:127]
	scratch_load_b128 v[138:141], off, off offset:264
	s_wait_loadcnt 0x3
	v_fmac_f64_e32 v[2:3], v[118:119], v[128:129]
	s_wait_dscnt 0x0
	s_delay_alu instid0(VALU_DEP_1)
	;; [unrolled: 13-line block ×7, first 2 shown]
	v_fmac_f64_e32 v[2:3], v[124:125], v[130:131]
	ds_load_b128 v[122:125], v114 offset:848
	ds_load_b128 v[126:129], v114 offset:864
	s_wait_loadcnt 0x2
	v_fmac_f64_e32 v[2:3], v[138:139], v[132:133]
	s_wait_dscnt 0x1
	s_delay_alu instid0(VALU_DEP_1) | instskip(SKIP_1) | instid1(VALU_DEP_1)
	v_fmac_f64_e32 v[2:3], v[140:141], v[122:123]
	s_wait_loadcnt 0x1
	v_fmac_f64_e32 v[2:3], v[118:119], v[124:125]
	ds_load_b64 v[118:119], v114 offset:880
	s_wait_dscnt 0x1
	v_fmac_f64_e32 v[2:3], v[120:121], v[126:127]
	s_wait_loadcnt 0x0
	s_delay_alu instid0(VALU_DEP_1) | instskip(SKIP_1) | instid1(VALU_DEP_1)
	v_fmac_f64_e32 v[2:3], v[134:135], v[128:129]
	s_wait_dscnt 0x0
	v_fmac_f64_e32 v[2:3], v[136:137], v[118:119]
	s_delay_alu instid0(VALU_DEP_1)
	v_add_f64_e64 v[2:3], v[116:117], -v[2:3]
	scratch_store_b64 off, v[2:3], off offset:8
	s_wait_xcnt 0x0
	v_cmpx_ne_u32_e32 0, v0
	s_cbranch_execz .LBB54_339
; %bb.338:
	scratch_load_b64 v[2:3], off, off
	v_mov_b64_e32 v[116:117], 0
	scratch_store_b64 off, v[116:117], off
	s_wait_loadcnt 0x0
	ds_store_b64 v1, v[2:3]
.LBB54_339:
	s_wait_xcnt 0x0
	s_or_b32 exec_lo, exec_lo, s0
	s_wait_storecnt_dscnt 0x0
	s_barrier_signal -1
	s_barrier_wait -1
	s_clause 0x5
	scratch_load_b128 v[116:119], off, off
	scratch_load_b128 v[0:3], off, off offset:16
	scratch_load_b128 v[120:123], off, off offset:32
	;; [unrolled: 1-line block ×5, first 2 shown]
	ds_load_2addr_b64 v[136:139], v114 offset0:57 offset1:58
	scratch_load_b128 v[140:143], off, off offset:96
	s_and_b32 vcc_lo, exec_lo, s18
	s_wait_loadcnt_dscnt 0x600
	v_fma_f64 v[146:147], v[118:119], v[136:137], 0
	s_wait_loadcnt 0x5
	s_delay_alu instid0(VALU_DEP_1)
	v_fmac_f64_e32 v[146:147], v[0:1], v[138:139]
	ds_load_2addr_b64 v[136:139], v114 offset0:59 offset1:60
	s_wait_dscnt 0x0
	v_fmac_f64_e32 v[146:147], v[2:3], v[136:137]
	scratch_load_b128 v[0:3], off, off offset:112
	s_wait_loadcnt 0x5
	v_fmac_f64_e32 v[146:147], v[120:121], v[138:139]
	ds_load_2addr_b64 v[118:121], v114 offset0:61 offset1:62
	scratch_load_b128 v[136:139], off, off offset:128
	s_wait_dscnt 0x0
	v_fmac_f64_e32 v[146:147], v[122:123], v[118:119]
	s_wait_loadcnt 0x5
	s_delay_alu instid0(VALU_DEP_1)
	v_fmac_f64_e32 v[146:147], v[124:125], v[120:121]
	ds_load_2addr_b64 v[118:121], v114 offset0:63 offset1:64
	scratch_load_b128 v[122:125], off, off offset:144
	s_wait_dscnt 0x0
	v_fmac_f64_e32 v[146:147], v[126:127], v[118:119]
	s_wait_loadcnt 0x5
	s_delay_alu instid0(VALU_DEP_1)
	;; [unrolled: 7-line block ×4, first 2 shown]
	v_fmac_f64_e32 v[146:147], v[140:141], v[120:121]
	ds_load_2addr_b64 v[118:121], v114 offset0:69 offset1:70
	s_wait_dscnt 0x0
	v_fmac_f64_e32 v[146:147], v[142:143], v[118:119]
	scratch_load_b128 v[140:143], off, off offset:192
	s_wait_loadcnt 0x5
	v_fmac_f64_e32 v[146:147], v[0:1], v[120:121]
	ds_load_2addr_b64 v[118:121], v114 offset0:71 offset1:72
	s_wait_dscnt 0x0
	v_fmac_f64_e32 v[146:147], v[2:3], v[118:119]
	scratch_load_b128 v[0:3], off, off offset:208
	s_wait_loadcnt 0x5
	v_fmac_f64_e32 v[146:147], v[136:137], v[120:121]
	ds_load_2addr_b64 v[118:121], v114 offset0:73 offset1:74
	scratch_load_b128 v[134:137], off, off offset:224
	s_wait_dscnt 0x0
	v_fmac_f64_e32 v[146:147], v[138:139], v[118:119]
	s_wait_loadcnt 0x5
	s_delay_alu instid0(VALU_DEP_1)
	v_fmac_f64_e32 v[146:147], v[122:123], v[120:121]
	ds_load_2addr_b64 v[118:121], v114 offset0:75 offset1:76
	s_wait_dscnt 0x0
	v_fmac_f64_e32 v[146:147], v[124:125], v[118:119]
	scratch_load_b128 v[122:125], off, off offset:240
	s_wait_loadcnt 0x5
	v_fmac_f64_e32 v[146:147], v[126:127], v[120:121]
	ds_load_2addr_b64 v[118:121], v114 offset0:77 offset1:78
	s_wait_dscnt 0x0
	v_fmac_f64_e32 v[146:147], v[128:129], v[118:119]
	scratch_load_b128 v[126:129], off, off offset:256
	s_wait_loadcnt 0x5
	;; [unrolled: 6-line block ×3, first 2 shown]
	v_fmac_f64_e32 v[146:147], v[140:141], v[120:121]
	ds_load_2addr_b64 v[118:121], v114 offset0:81 offset1:82
	scratch_load_b128 v[138:141], off, off offset:288
	s_wait_dscnt 0x0
	v_fmac_f64_e32 v[146:147], v[142:143], v[118:119]
	scratch_load_b128 v[142:145], off, off offset:400
	s_wait_loadcnt 0x6
	v_fmac_f64_e32 v[146:147], v[0:1], v[120:121]
	ds_load_2addr_b64 v[118:121], v114 offset0:83 offset1:84
	s_wait_dscnt 0x0
	v_fmac_f64_e32 v[146:147], v[2:3], v[118:119]
	scratch_load_b128 v[0:3], off, off offset:304
	s_wait_loadcnt 0x6
	v_fmac_f64_e32 v[146:147], v[134:135], v[120:121]
	ds_load_2addr_b64 v[118:121], v114 offset0:85 offset1:86
	s_wait_dscnt 0x0
	v_fmac_f64_e32 v[146:147], v[136:137], v[118:119]
	scratch_load_b128 v[134:137], off, off offset:320
	s_wait_loadcnt 0x6
	v_fmac_f64_e32 v[146:147], v[122:123], v[120:121]
	ds_load_2addr_b64 v[118:121], v114 offset0:87 offset1:88
	s_wait_dscnt 0x0
	v_fmac_f64_e32 v[146:147], v[124:125], v[118:119]
	scratch_load_b128 v[122:125], off, off offset:336
	s_wait_loadcnt 0x6
	v_fmac_f64_e32 v[146:147], v[126:127], v[120:121]
	ds_load_2addr_b64 v[118:121], v114 offset0:89 offset1:90
	s_wait_dscnt 0x0
	v_fmac_f64_e32 v[146:147], v[128:129], v[118:119]
	scratch_load_b128 v[126:129], off, off offset:352
	s_wait_loadcnt 0x6
	v_fmac_f64_e32 v[146:147], v[130:131], v[120:121]
	ds_load_2addr_b64 v[118:121], v114 offset0:91 offset1:92
	s_wait_dscnt 0x0
	v_fmac_f64_e32 v[146:147], v[132:133], v[118:119]
	scratch_load_b128 v[130:133], off, off offset:368
	s_wait_loadcnt 0x6
	v_fmac_f64_e32 v[146:147], v[138:139], v[120:121]
	ds_load_2addr_b64 v[118:121], v114 offset0:93 offset1:94
	s_wait_dscnt 0x0
	v_fmac_f64_e32 v[146:147], v[140:141], v[118:119]
	scratch_load_b128 v[138:141], off, off offset:384
	s_wait_loadcnt 0x5
	v_fmac_f64_e32 v[146:147], v[0:1], v[120:121]
	ds_load_2addr_b64 v[118:121], v114 offset0:95 offset1:96
	s_wait_dscnt 0x0
	v_fmac_f64_e32 v[146:147], v[2:3], v[118:119]
	scratch_load_b128 v[0:3], off, off offset:416
	s_wait_loadcnt 0x5
	v_fmac_f64_e32 v[146:147], v[134:135], v[120:121]
	ds_load_2addr_b64 v[118:121], v114 offset0:97 offset1:98
	s_wait_dscnt 0x0
	v_fmac_f64_e32 v[146:147], v[136:137], v[118:119]
	s_wait_loadcnt 0x4
	s_delay_alu instid0(VALU_DEP_1)
	v_fmac_f64_e32 v[146:147], v[122:123], v[120:121]
	ds_load_2addr_b64 v[118:121], v114 offset0:99 offset1:100
	scratch_load_b64 v[122:123], off, off offset:432
	s_wait_dscnt 0x0
	v_fmac_f64_e32 v[146:147], v[124:125], v[118:119]
	s_wait_loadcnt 0x4
	s_delay_alu instid0(VALU_DEP_1) | instskip(SKIP_4) | instid1(VALU_DEP_1)
	v_fmac_f64_e32 v[146:147], v[126:127], v[120:121]
	ds_load_2addr_b64 v[118:121], v114 offset0:101 offset1:102
	s_wait_dscnt 0x0
	v_fmac_f64_e32 v[146:147], v[128:129], v[118:119]
	s_wait_loadcnt 0x3
	v_fmac_f64_e32 v[146:147], v[130:131], v[120:121]
	ds_load_2addr_b64 v[118:121], v114 offset0:103 offset1:104
	s_wait_dscnt 0x0
	v_fmac_f64_e32 v[146:147], v[132:133], v[118:119]
	s_wait_loadcnt 0x2
	s_delay_alu instid0(VALU_DEP_1) | instskip(SKIP_3) | instid1(VALU_DEP_1)
	v_fmac_f64_e32 v[146:147], v[138:139], v[120:121]
	ds_load_2addr_b64 v[118:121], v114 offset0:105 offset1:106
	s_wait_dscnt 0x0
	v_fmac_f64_e32 v[146:147], v[140:141], v[118:119]
	v_fmac_f64_e32 v[146:147], v[142:143], v[120:121]
	ds_load_2addr_b64 v[118:121], v114 offset0:107 offset1:108
	s_wait_dscnt 0x0
	v_fmac_f64_e32 v[146:147], v[144:145], v[118:119]
	s_wait_loadcnt 0x1
	s_delay_alu instid0(VALU_DEP_1) | instskip(SKIP_4) | instid1(VALU_DEP_1)
	v_fmac_f64_e32 v[146:147], v[0:1], v[120:121]
	ds_load_2addr_b64 v[118:121], v114 offset0:109 offset1:110
	s_wait_dscnt 0x0
	v_fmac_f64_e32 v[146:147], v[2:3], v[118:119]
	s_wait_loadcnt 0x0
	v_fmac_f64_e32 v[146:147], v[122:123], v[120:121]
	s_delay_alu instid0(VALU_DEP_1)
	v_add_f64_e64 v[146:147], v[116:117], -v[146:147]
	scratch_store_b64 off, v[146:147], off
	s_cbranch_vccz .LBB54_448
; %bb.340:
	v_mov_b32_e32 v0, 0
	global_load_b32 v1, v0, s[2:3] offset:212
	s_wait_loadcnt 0x0
	v_cmp_ne_u32_e32 vcc_lo, 54, v1
	s_cbranch_vccz .LBB54_342
; %bb.341:
	v_lshlrev_b32_e32 v1, 3, v1
	scratch_load_b64 v[114:115], v1, off offset:-8
	s_wait_loadcnt 0x0
	scratch_store_b64 off, v[114:115], off offset:424
	scratch_store_b64 v1, v[2:3], off offset:-8
.LBB54_342:
	global_load_b32 v0, v0, s[2:3] offset:208
	s_wait_loadcnt 0x0
	v_cmp_eq_u32_e32 vcc_lo, 53, v0
	s_cbranch_vccnz .LBB54_344
; %bb.343:
	s_wait_xcnt 0x0
	v_lshlrev_b32_e32 v0, 3, v0
	s_delay_alu instid0(VALU_DEP_1)
	v_mov_b32_e32 v114, v0
	scratch_load_b64 v[0:1], v114, off offset:-8
	scratch_load_b64 v[2:3], off, off offset:416
	s_wait_loadcnt 0x1
	scratch_store_b64 off, v[0:1], off offset:416
	s_wait_loadcnt 0x0
	scratch_store_b64 v114, v[2:3], off offset:-8
.LBB54_344:
	s_wait_xcnt 0x0
	v_mov_b32_e32 v0, 0
	global_load_b32 v1, v0, s[2:3] offset:204
	s_wait_loadcnt 0x0
	v_cmp_eq_u32_e32 vcc_lo, 52, v1
	s_cbranch_vccnz .LBB54_346
; %bb.345:
	v_lshlrev_b32_e32 v1, 3, v1
	scratch_load_b64 v[2:3], v1, off offset:-8
	scratch_load_b64 v[114:115], off, off offset:408
	s_wait_loadcnt 0x1
	scratch_store_b64 off, v[2:3], off offset:408
	s_wait_loadcnt 0x0
	scratch_store_b64 v1, v[114:115], off offset:-8
.LBB54_346:
	global_load_b32 v0, v0, s[2:3] offset:200
	s_wait_loadcnt 0x0
	v_cmp_eq_u32_e32 vcc_lo, 51, v0
	s_cbranch_vccnz .LBB54_348
; %bb.347:
	s_wait_xcnt 0x0
	v_lshlrev_b32_e32 v0, 3, v0
	s_delay_alu instid0(VALU_DEP_1)
	v_mov_b32_e32 v114, v0
	scratch_load_b64 v[0:1], v114, off offset:-8
	scratch_load_b64 v[2:3], off, off offset:400
	s_wait_loadcnt 0x1
	scratch_store_b64 off, v[0:1], off offset:400
	s_wait_loadcnt 0x0
	scratch_store_b64 v114, v[2:3], off offset:-8
.LBB54_348:
	s_wait_xcnt 0x0
	v_mov_b32_e32 v0, 0
	global_load_b32 v1, v0, s[2:3] offset:196
	s_wait_loadcnt 0x0
	v_cmp_eq_u32_e32 vcc_lo, 50, v1
	s_cbranch_vccnz .LBB54_350
; %bb.349:
	v_lshlrev_b32_e32 v1, 3, v1
	scratch_load_b64 v[2:3], v1, off offset:-8
	scratch_load_b64 v[114:115], off, off offset:392
	s_wait_loadcnt 0x1
	scratch_store_b64 off, v[2:3], off offset:392
	s_wait_loadcnt 0x0
	scratch_store_b64 v1, v[114:115], off offset:-8
.LBB54_350:
	;; [unrolled: 31-line block ×26, first 2 shown]
	global_load_b32 v0, v0, s[2:3]
	scratch_load_b64 v[146:147], off, off
	s_wait_loadcnt 0x1
	v_cmp_eq_u32_e32 vcc_lo, 1, v0
	s_cbranch_vccnz .LBB54_448
; %bb.447:
	s_wait_xcnt 0x1
	v_lshlrev_b32_e32 v0, 3, v0
	s_delay_alu instid0(VALU_DEP_1)
	v_mov_b32_e32 v2, v0
	scratch_load_b64 v[0:1], v2, off offset:-8
	s_wait_loadcnt 0x0
	scratch_store_b64 off, v[0:1], off
	scratch_store_b64 v2, v[146:147], off offset:-8
	scratch_load_b64 v[146:147], off, off
.LBB54_448:
	v_lshl_add_u64 v[152:153], v[8:9], 3, s[4:5]
	v_lshl_add_u64 v[148:149], v[10:11], 3, s[4:5]
	;; [unrolled: 1-line block ×36, first 2 shown]
	s_clause 0x6
	scratch_load_b128 v[72:75], off, off offset:8
	scratch_load_b128 v[76:79], off, off offset:24
	;; [unrolled: 1-line block ×7, first 2 shown]
	v_lshl_add_u64 v[136:137], v[24:25], 3, s[4:5]
	v_lshl_add_u64 v[130:131], v[26:27], 3, s[4:5]
	;; [unrolled: 1-line block ×6, first 2 shown]
	scratch_load_b128 v[100:103], off, off offset:120
	s_wait_loadcnt 0x8
	global_store_b64 v[4:5], v[146:147], off
	v_lshl_add_u64 v[132:133], v[28:29], 3, s[4:5]
	v_lshl_add_u64 v[126:127], v[30:31], 3, s[4:5]
	;; [unrolled: 1-line block ×9, first 2 shown]
	s_wait_xcnt 0xa
	v_lshl_add_u64 v[0:1], v[110:111], 3, s[4:5]
	v_lshl_add_u64 v[2:3], v[112:113], 3, s[4:5]
	s_wait_loadcnt 0x7
	s_clause 0x1
	global_store_b64 v[6:7], v[72:73], off
	global_store_b64 v[152:153], v[74:75], off
	s_clause 0x1
	scratch_load_b128 v[4:7], off, off offset:136
	scratch_load_b128 v[72:75], off, off offset:152
	s_wait_loadcnt 0x8
	s_clause 0x1
	global_store_b64 v[148:149], v[76:77], off
	global_store_b64 v[150:151], v[78:79], off
	s_clause 0x1
	scratch_load_b128 v[76:79], off, off offset:168
	scratch_load_b128 v[104:107], off, off offset:184
	;; [unrolled: 7-line block ×9, first 2 shown]
	s_wait_loadcnt 0x10
	s_clause 0x1
	global_store_b64 v[114:115], v[72:73], off
	global_store_b64 v[116:117], v[74:75], off
	scratch_load_b128 v[72:75], off, off offset:424
	s_wait_loadcnt 0x10
	s_clause 0x1
	global_store_b64 v[8:9], v[76:77], off
	global_store_b64 v[10:11], v[78:79], off
	s_wait_loadcnt 0xf
	s_clause 0x1
	global_store_b64 v[12:13], v[104:105], off
	global_store_b64 v[14:15], v[106:107], off
	;; [unrolled: 4-line block ×17, first 2 shown]
	s_sendmsg sendmsg(MSG_DEALLOC_VGPRS)
	s_endpgm
	.section	.rodata,"a",@progbits
	.p2align	6, 0x0
	.amdhsa_kernel _ZN9rocsolver6v33100L18getri_kernel_smallILi55EdPdEEvT1_iilPiilS4_bb
		.amdhsa_group_segment_fixed_size 888
		.amdhsa_private_segment_fixed_size 448
		.amdhsa_kernarg_size 60
		.amdhsa_user_sgpr_count 2
		.amdhsa_user_sgpr_dispatch_ptr 0
		.amdhsa_user_sgpr_queue_ptr 0
		.amdhsa_user_sgpr_kernarg_segment_ptr 1
		.amdhsa_user_sgpr_dispatch_id 0
		.amdhsa_user_sgpr_kernarg_preload_length 0
		.amdhsa_user_sgpr_kernarg_preload_offset 0
		.amdhsa_user_sgpr_private_segment_size 0
		.amdhsa_wavefront_size32 1
		.amdhsa_uses_dynamic_stack 0
		.amdhsa_enable_private_segment 1
		.amdhsa_system_sgpr_workgroup_id_x 1
		.amdhsa_system_sgpr_workgroup_id_y 0
		.amdhsa_system_sgpr_workgroup_id_z 0
		.amdhsa_system_sgpr_workgroup_info 0
		.amdhsa_system_vgpr_workitem_id 0
		.amdhsa_next_free_vgpr 166
		.amdhsa_next_free_sgpr 19
		.amdhsa_named_barrier_count 0
		.amdhsa_reserve_vcc 1
		.amdhsa_float_round_mode_32 0
		.amdhsa_float_round_mode_16_64 0
		.amdhsa_float_denorm_mode_32 3
		.amdhsa_float_denorm_mode_16_64 3
		.amdhsa_fp16_overflow 0
		.amdhsa_memory_ordered 1
		.amdhsa_forward_progress 1
		.amdhsa_inst_pref_size 255
		.amdhsa_round_robin_scheduling 0
		.amdhsa_exception_fp_ieee_invalid_op 0
		.amdhsa_exception_fp_denorm_src 0
		.amdhsa_exception_fp_ieee_div_zero 0
		.amdhsa_exception_fp_ieee_overflow 0
		.amdhsa_exception_fp_ieee_underflow 0
		.amdhsa_exception_fp_ieee_inexact 0
		.amdhsa_exception_int_div_zero 0
	.end_amdhsa_kernel
	.section	.text._ZN9rocsolver6v33100L18getri_kernel_smallILi55EdPdEEvT1_iilPiilS4_bb,"axG",@progbits,_ZN9rocsolver6v33100L18getri_kernel_smallILi55EdPdEEvT1_iilPiilS4_bb,comdat
.Lfunc_end54:
	.size	_ZN9rocsolver6v33100L18getri_kernel_smallILi55EdPdEEvT1_iilPiilS4_bb, .Lfunc_end54-_ZN9rocsolver6v33100L18getri_kernel_smallILi55EdPdEEvT1_iilPiilS4_bb
                                        ; -- End function
	.set _ZN9rocsolver6v33100L18getri_kernel_smallILi55EdPdEEvT1_iilPiilS4_bb.num_vgpr, 166
	.set _ZN9rocsolver6v33100L18getri_kernel_smallILi55EdPdEEvT1_iilPiilS4_bb.num_agpr, 0
	.set _ZN9rocsolver6v33100L18getri_kernel_smallILi55EdPdEEvT1_iilPiilS4_bb.numbered_sgpr, 19
	.set _ZN9rocsolver6v33100L18getri_kernel_smallILi55EdPdEEvT1_iilPiilS4_bb.num_named_barrier, 0
	.set _ZN9rocsolver6v33100L18getri_kernel_smallILi55EdPdEEvT1_iilPiilS4_bb.private_seg_size, 448
	.set _ZN9rocsolver6v33100L18getri_kernel_smallILi55EdPdEEvT1_iilPiilS4_bb.uses_vcc, 1
	.set _ZN9rocsolver6v33100L18getri_kernel_smallILi55EdPdEEvT1_iilPiilS4_bb.uses_flat_scratch, 1
	.set _ZN9rocsolver6v33100L18getri_kernel_smallILi55EdPdEEvT1_iilPiilS4_bb.has_dyn_sized_stack, 0
	.set _ZN9rocsolver6v33100L18getri_kernel_smallILi55EdPdEEvT1_iilPiilS4_bb.has_recursion, 0
	.set _ZN9rocsolver6v33100L18getri_kernel_smallILi55EdPdEEvT1_iilPiilS4_bb.has_indirect_call, 0
	.section	.AMDGPU.csdata,"",@progbits
; Kernel info:
; codeLenInByte = 55000
; TotalNumSgprs: 21
; NumVgprs: 166
; ScratchSize: 448
; MemoryBound: 0
; FloatMode: 240
; IeeeMode: 1
; LDSByteSize: 888 bytes/workgroup (compile time only)
; SGPRBlocks: 0
; VGPRBlocks: 10
; NumSGPRsForWavesPerEU: 21
; NumVGPRsForWavesPerEU: 166
; NamedBarCnt: 0
; Occupancy: 5
; WaveLimiterHint : 1
; COMPUTE_PGM_RSRC2:SCRATCH_EN: 1
; COMPUTE_PGM_RSRC2:USER_SGPR: 2
; COMPUTE_PGM_RSRC2:TRAP_HANDLER: 0
; COMPUTE_PGM_RSRC2:TGID_X_EN: 1
; COMPUTE_PGM_RSRC2:TGID_Y_EN: 0
; COMPUTE_PGM_RSRC2:TGID_Z_EN: 0
; COMPUTE_PGM_RSRC2:TIDIG_COMP_CNT: 0
	.section	.text._ZN9rocsolver6v33100L18getri_kernel_smallILi56EdPdEEvT1_iilPiilS4_bb,"axG",@progbits,_ZN9rocsolver6v33100L18getri_kernel_smallILi56EdPdEEvT1_iilPiilS4_bb,comdat
	.globl	_ZN9rocsolver6v33100L18getri_kernel_smallILi56EdPdEEvT1_iilPiilS4_bb ; -- Begin function _ZN9rocsolver6v33100L18getri_kernel_smallILi56EdPdEEvT1_iilPiilS4_bb
	.p2align	8
	.type	_ZN9rocsolver6v33100L18getri_kernel_smallILi56EdPdEEvT1_iilPiilS4_bb,@function
_ZN9rocsolver6v33100L18getri_kernel_smallILi56EdPdEEvT1_iilPiilS4_bb: ; @_ZN9rocsolver6v33100L18getri_kernel_smallILi56EdPdEEvT1_iilPiilS4_bb
; %bb.0:
	s_mov_b32 s2, exec_lo
	v_cmpx_gt_u32_e32 56, v0
	s_cbranch_execz .LBB55_234
; %bb.1:
	s_clause 0x2
	s_load_b32 s2, s[0:1], 0x38
	s_load_b128 s[12:15], s[0:1], 0x10
	s_load_b128 s[4:7], s[0:1], 0x28
	s_getreg_b32 s9, hwreg(HW_REG_IB_STS2, 6, 4)
	s_wait_kmcnt 0x0
	s_bitcmp1_b32 s2, 8
	s_cselect_b32 s18, -1, 0
	s_bfe_u32 s3, ttmp6, 0x4000c
	s_and_b32 s8, ttmp6, 15
	s_add_co_i32 s3, s3, 1
	s_delay_alu instid0(SALU_CYCLE_1) | instskip(NEXT) | instid1(SALU_CYCLE_1)
	s_mul_i32 s3, ttmp9, s3
	s_add_co_i32 s8, s8, s3
	s_cmp_eq_u32 s9, 0
	s_cselect_b32 s16, ttmp9, s8
	s_bfe_u32 s2, s2, 0x10008
	s_ashr_i32 s17, s16, 31
	s_cmp_eq_u32 s2, 0
                                        ; implicit-def: $sgpr2_sgpr3
	s_cbranch_scc1 .LBB55_3
; %bb.2:
	s_load_b32 s2, s[0:1], 0x20
	s_mul_u64 s[4:5], s[4:5], s[16:17]
	s_delay_alu instid0(SALU_CYCLE_1) | instskip(NEXT) | instid1(SALU_CYCLE_1)
	s_lshl_b64 s[4:5], s[4:5], 2
	s_add_nc_u64 s[4:5], s[14:15], s[4:5]
	s_wait_kmcnt 0x0
	s_ashr_i32 s3, s2, 31
	s_delay_alu instid0(SALU_CYCLE_1) | instskip(NEXT) | instid1(SALU_CYCLE_1)
	s_lshl_b64 s[2:3], s[2:3], 2
	s_add_nc_u64 s[2:3], s[4:5], s[2:3]
.LBB55_3:
	s_clause 0x1
	s_load_b128 s[8:11], s[0:1], 0x0
	s_load_b32 s14, s[0:1], 0x38
	s_wait_xcnt 0x0
	s_mul_u64 s[0:1], s[12:13], s[16:17]
	v_mov_b32_e32 v3, 0
	s_lshl_b64 s[0:1], s[0:1], 3
	s_wait_kmcnt 0x0
	v_add3_u32 v8, s11, s11, v0
	s_ashr_i32 s5, s10, 31
	s_mov_b32 s4, s10
	s_add_nc_u64 s[0:1], s[8:9], s[0:1]
	s_lshl_b64 s[4:5], s[4:5], 3
	v_add_nc_u32_e32 v10, s11, v8
	s_add_nc_u64 s[4:5], s[0:1], s[4:5]
	s_ashr_i32 s1, s11, 31
	s_mov_b32 s0, s11
	s_bitcmp0_b32 s14, 0
	v_add_nc_u32_e32 v12, s11, v10
	s_delay_alu instid0(VALU_DEP_1) | instskip(NEXT) | instid1(VALU_DEP_1)
	v_add_nc_u32_e32 v14, s11, v12
	v_add_nc_u32_e32 v16, s11, v14
	s_delay_alu instid0(VALU_DEP_1) | instskip(NEXT) | instid1(VALU_DEP_1)
	v_add_nc_u32_e32 v18, s11, v16
	;; [unrolled: 3-line block ×3, first 2 shown]
	v_dual_lshlrev_b32 v2, 3, v0 :: v_dual_add_nc_u32 v24, s11, v22
	s_delay_alu instid0(VALU_DEP_1) | instskip(NEXT) | instid1(VALU_DEP_2)
	v_add_nc_u64_e32 v[6:7], s[4:5], v[2:3]
	v_add_nc_u32_e32 v26, s11, v24
	s_delay_alu instid0(VALU_DEP_2) | instskip(SKIP_1) | instid1(VALU_DEP_2)
	v_lshl_add_u64 v[4:5], s[0:1], 3, v[6:7]
	s_mov_b32 s1, -1
	v_add_nc_u32_e32 v28, s11, v26
	s_clause 0x9
	global_load_b64 v[84:85], v0, s[4:5] scale_offset
	global_load_b64 v[86:87], v[4:5], off
	global_load_b64 v[88:89], v8, s[4:5] scale_offset
	global_load_b64 v[90:91], v10, s[4:5] scale_offset
	;; [unrolled: 1-line block ×8, first 2 shown]
	v_add_nc_u32_e32 v30, s11, v28
	s_delay_alu instid0(VALU_DEP_1) | instskip(NEXT) | instid1(VALU_DEP_1)
	v_add_nc_u32_e32 v32, s11, v30
	v_add_nc_u32_e32 v34, s11, v32
	s_delay_alu instid0(VALU_DEP_1)
	v_add_nc_u32_e32 v36, s11, v34
	s_clause 0x3
	global_load_b64 v[104:105], v24, s[4:5] scale_offset
	global_load_b64 v[106:107], v26, s[4:5] scale_offset
	global_load_b64 v[108:109], v28, s[4:5] scale_offset
	global_load_b64 v[110:111], v30, s[4:5] scale_offset
	v_add_nc_u32_e32 v38, s11, v36
	s_delay_alu instid0(VALU_DEP_1) | instskip(NEXT) | instid1(VALU_DEP_1)
	v_add_nc_u32_e32 v40, s11, v38
	v_add_nc_u32_e32 v42, s11, v40
	s_delay_alu instid0(VALU_DEP_1)
	v_add_nc_u32_e32 v44, s11, v42
	s_clause 0x3
	global_load_b64 v[112:113], v32, s[4:5] scale_offset
	global_load_b64 v[114:115], v34, s[4:5] scale_offset
	;; [unrolled: 1-line block ×4, first 2 shown]
	v_add_nc_u32_e32 v46, s11, v44
	s_delay_alu instid0(VALU_DEP_1)
	v_add_nc_u32_e32 v48, s11, v46
	s_clause 0x3
	global_load_b64 v[120:121], v40, s[4:5] scale_offset
	global_load_b64 v[122:123], v42, s[4:5] scale_offset
	;; [unrolled: 1-line block ×4, first 2 shown]
	v_add_nc_u32_e32 v50, s11, v48
	s_delay_alu instid0(VALU_DEP_1) | instskip(NEXT) | instid1(VALU_DEP_1)
	v_add_nc_u32_e32 v52, s11, v50
	v_add_nc_u32_e32 v54, s11, v52
	s_delay_alu instid0(VALU_DEP_1) | instskip(SKIP_4) | instid1(VALU_DEP_1)
	v_add_nc_u32_e32 v56, s11, v54
	s_clause 0x1
	global_load_b64 v[128:129], v48, s[4:5] scale_offset
	global_load_b64 v[130:131], v50, s[4:5] scale_offset
	v_add_nc_u32_e32 v58, s11, v56
	v_add_nc_u32_e32 v60, s11, v58
	s_clause 0x3
	global_load_b64 v[132:133], v52, s[4:5] scale_offset
	global_load_b64 v[134:135], v54, s[4:5] scale_offset
	;; [unrolled: 1-line block ×4, first 2 shown]
	v_add_nc_u32_e32 v62, s11, v60
	s_delay_alu instid0(VALU_DEP_1) | instskip(NEXT) | instid1(VALU_DEP_1)
	v_add_nc_u32_e32 v64, s11, v62
	v_add_nc_u32_e32 v66, s11, v64
	s_delay_alu instid0(VALU_DEP_1) | instskip(NEXT) | instid1(VALU_DEP_1)
	v_add_nc_u32_e32 v68, s11, v66
	;; [unrolled: 3-line block ×5, first 2 shown]
	v_add_nc_u32_e32 v82, s11, v80
	s_wait_loadcnt 0x1a
	scratch_store_b128 off, v[84:87], off
	s_wait_xcnt 0x0
	v_add_nc_u32_e32 v84, s11, v82
	s_clause 0x1
	global_load_b64 v[140:141], v60, s[4:5] scale_offset
	global_load_b64 v[142:143], v62, s[4:5] scale_offset
	s_wait_loadcnt 0x1a
	scratch_store_b128 off, v[88:91], off offset:16
	s_wait_loadcnt 0x18
	scratch_store_b128 off, v[92:95], off offset:32
	;; [unrolled: 2-line block ×3, first 2 shown]
	s_clause 0x3
	global_load_b64 v[144:145], v64, s[4:5] scale_offset
	global_load_b64 v[146:147], v66, s[4:5] scale_offset
	;; [unrolled: 1-line block ×4, first 2 shown]
	v_add_nc_u32_e32 v86, s11, v84
	s_wait_loadcnt 0x18
	scratch_store_b128 off, v[100:103], off offset:64
	s_wait_loadcnt 0x16
	scratch_store_b128 off, v[104:107], off offset:80
	s_wait_xcnt 0x8
	v_add_nc_u32_e32 v88, s11, v86
	s_clause 0x3
	global_load_b64 v[152:153], v72, s[4:5] scale_offset
	global_load_b64 v[154:155], v74, s[4:5] scale_offset
	;; [unrolled: 1-line block ×4, first 2 shown]
	s_wait_loadcnt 0x18
	scratch_store_b128 off, v[108:111], off offset:96
	s_wait_loadcnt 0x16
	scratch_store_b128 off, v[112:115], off offset:112
	;; [unrolled: 2-line block ×3, first 2 shown]
	v_add_nc_u32_e32 v90, s11, v88
	s_wait_xcnt 0xe
	s_delay_alu instid0(VALU_DEP_1)
	v_add_nc_u32_e32 v92, s11, v90
	s_clause 0x3
	global_load_b64 v[116:117], v80, s[4:5] scale_offset
	global_load_b64 v[118:119], v82, s[4:5] scale_offset
	;; [unrolled: 1-line block ×4, first 2 shown]
	s_wait_loadcnt 0x16
	scratch_store_b128 off, v[120:123], off offset:144
	v_add_nc_u32_e32 v94, s11, v92
	s_delay_alu instid0(VALU_DEP_1)
	v_add_nc_u32_e32 v96, s11, v94
	s_clause 0x1
	global_load_b64 v[120:121], v88, s[4:5] scale_offset
	global_load_b64 v[122:123], v90, s[4:5] scale_offset
	s_wait_loadcnt 0x16
	scratch_store_b128 off, v[124:127], off offset:160
	v_add_nc_u32_e32 v98, s11, v96
	s_delay_alu instid0(VALU_DEP_1) | instskip(SKIP_3) | instid1(VALU_DEP_1)
	v_add_nc_u32_e32 v100, s11, v98
	s_wait_loadcnt 0x14
	scratch_store_b128 off, v[128:131], off offset:176
	v_add_nc_u32_e32 v102, s11, v100
	v_add_nc_u32_e32 v104, s11, v102
	s_wait_loadcnt 0x12
	scratch_store_b128 off, v[132:135], off offset:192
	s_wait_loadcnt 0x10
	scratch_store_b128 off, v[136:139], off offset:208
	v_add_nc_u32_e32 v106, s11, v104
	s_delay_alu instid0(VALU_DEP_1) | instskip(NEXT) | instid1(VALU_DEP_1)
	v_add_nc_u32_e32 v108, s11, v106
	v_add_nc_u32_e32 v110, s11, v108
	s_delay_alu instid0(VALU_DEP_1) | instskip(NEXT) | instid1(VALU_DEP_1)
	v_add_nc_u32_e32 v112, s11, v110
	v_add_nc_u32_e32 v114, s11, v112
	s_wait_loadcnt 0xe
	scratch_store_b128 off, v[140:143], off offset:224
	s_wait_loadcnt 0xc
	scratch_store_b128 off, v[144:147], off offset:240
	s_clause 0x1
	global_load_b64 v[124:125], v92, s[4:5] scale_offset
	global_load_b64 v[126:127], v94, s[4:5] scale_offset
	s_wait_loadcnt 0xc
	scratch_store_b128 off, v[148:151], off offset:256
	s_wait_loadcnt 0xa
	scratch_store_b128 off, v[152:155], off offset:272
	;; [unrolled: 2-line block ×3, first 2 shown]
	s_clause 0x3
	global_load_b64 v[128:129], v96, s[4:5] scale_offset
	global_load_b64 v[130:131], v98, s[4:5] scale_offset
	;; [unrolled: 1-line block ×4, first 2 shown]
	s_wait_loadcnt 0xa
	scratch_store_b128 off, v[116:119], off offset:304
	s_wait_loadcnt 0x8
	scratch_store_b128 off, v[160:163], off offset:320
	s_clause 0x3
	global_load_b64 v[116:117], v104, s[4:5] scale_offset
	global_load_b64 v[118:119], v106, s[4:5] scale_offset
	;; [unrolled: 1-line block ×4, first 2 shown]
	s_wait_loadcnt 0xa
	scratch_store_b128 off, v[120:123], off offset:336
	s_clause 0x1
	global_load_b64 v[120:121], v112, s[4:5] scale_offset
	global_load_b64 v[122:123], v114, s[4:5] scale_offset
	s_wait_loadcnt 0xa
	scratch_store_b128 off, v[124:127], off offset:352
	s_wait_loadcnt 0x8
	scratch_store_b128 off, v[128:131], off offset:368
	;; [unrolled: 2-line block ×6, first 2 shown]
	s_cbranch_scc1 .LBB55_232
; %bb.4:
	v_cmp_eq_u32_e64 s0, 0, v0
	s_wait_xcnt 0x0
	s_and_saveexec_b32 s1, s0
; %bb.5:
	v_mov_b32_e32 v1, 0
	ds_store_b32 v1, v1 offset:896
; %bb.6:
	s_or_b32 exec_lo, exec_lo, s1
	s_wait_storecnt_dscnt 0x0
	s_barrier_signal -1
	s_barrier_wait -1
	scratch_load_b64 v[116:117], v0, off scale_offset
	s_mov_b32 s8, exec_lo
	s_wait_loadcnt 0x0
	v_cmpx_eq_f64_e32 0, v[116:117]
	s_cbranch_execz .LBB55_10
; %bb.7:
	v_mov_b32_e32 v1, 0
	s_mov_b32 s9, 0
	ds_load_b32 v3, v1 offset:896
	s_wait_dscnt 0x0
	v_readfirstlane_b32 s1, v3
	v_add_nc_u32_e32 v3, 1, v0
	s_cmp_eq_u32 s1, 0
	s_delay_alu instid0(VALU_DEP_1) | instskip(SKIP_1) | instid1(SALU_CYCLE_1)
	v_cmp_gt_i32_e32 vcc_lo, s1, v3
	s_cselect_b32 s10, -1, 0
	s_or_b32 s10, s10, vcc_lo
	s_delay_alu instid0(SALU_CYCLE_1)
	s_and_b32 exec_lo, exec_lo, s10
	s_cbranch_execz .LBB55_10
; %bb.8:
	v_mov_b32_e32 v9, s1
.LBB55_9:                               ; =>This Inner Loop Header: Depth=1
	ds_cmpstore_rtn_b32 v9, v1, v3, v9 offset:896
	s_wait_dscnt 0x0
	v_cmp_ne_u32_e32 vcc_lo, 0, v9
	v_cmp_le_i32_e64 s1, v9, v3
	s_and_b32 s1, vcc_lo, s1
	s_delay_alu instid0(SALU_CYCLE_1) | instskip(NEXT) | instid1(SALU_CYCLE_1)
	s_and_b32 s1, exec_lo, s1
	s_or_b32 s9, s1, s9
	s_delay_alu instid0(SALU_CYCLE_1)
	s_and_not1_b32 exec_lo, exec_lo, s9
	s_cbranch_execnz .LBB55_9
.LBB55_10:
	s_or_b32 exec_lo, exec_lo, s8
	v_mov_b32_e32 v1, 0
	s_barrier_signal -1
	s_barrier_wait -1
	ds_load_b32 v3, v1 offset:896
	s_and_saveexec_b32 s1, s0
	s_cbranch_execz .LBB55_12
; %bb.11:
	s_lshl_b64 s[8:9], s[16:17], 2
	s_delay_alu instid0(SALU_CYCLE_1)
	s_add_nc_u64 s[8:9], s[6:7], s[8:9]
	s_wait_dscnt 0x0
	global_store_b32 v1, v3, s[8:9]
.LBB55_12:
	s_wait_xcnt 0x0
	s_or_b32 exec_lo, exec_lo, s1
	s_wait_dscnt 0x0
	v_cmp_ne_u32_e32 vcc_lo, 0, v3
	s_mov_b32 s1, 0
	s_cbranch_vccnz .LBB55_232
; %bb.13:
	v_lshl_add_u32 v3, v0, 3, 0
	v_add_nc_u32_e32 v1, 0x1c0, v2
	scratch_load_b64 v[116:117], v3, off
	s_wait_loadcnt 0x0
	v_div_scale_f64 v[118:119], null, v[116:117], v[116:117], 1.0
	v_div_scale_f64 v[124:125], vcc_lo, 1.0, v[116:117], 1.0
	s_delay_alu instid0(VALU_DEP_2) | instskip(SKIP_1) | instid1(TRANS32_DEP_1)
	v_rcp_f64_e32 v[120:121], v[118:119]
	v_nop
	v_fma_f64 v[122:123], -v[118:119], v[120:121], 1.0
	s_delay_alu instid0(VALU_DEP_1) | instskip(NEXT) | instid1(VALU_DEP_1)
	v_fmac_f64_e32 v[120:121], v[120:121], v[122:123]
	v_fma_f64 v[122:123], -v[118:119], v[120:121], 1.0
	s_delay_alu instid0(VALU_DEP_1) | instskip(NEXT) | instid1(VALU_DEP_1)
	v_fmac_f64_e32 v[120:121], v[120:121], v[122:123]
	v_mul_f64_e32 v[122:123], v[124:125], v[120:121]
	s_delay_alu instid0(VALU_DEP_1) | instskip(NEXT) | instid1(VALU_DEP_1)
	v_fma_f64 v[118:119], -v[118:119], v[122:123], v[124:125]
	v_div_fmas_f64 v[118:119], v[118:119], v[120:121], v[122:123]
	s_delay_alu instid0(VALU_DEP_1)
	v_div_fixup_f64 v[116:117], v[118:119], v[116:117], 1.0
	scratch_store_b64 v3, v[116:117], off
	scratch_load_b64 v[118:119], off, off offset:8
	s_wait_xcnt 0x1
	v_xor_b32_e32 v117, 0x80000000, v117
	s_wait_loadcnt 0x0
	ds_store_2addr_b64 v2, v[116:117], v[118:119] offset1:56
	s_wait_storecnt_dscnt 0x0
	s_barrier_signal -1
	s_barrier_wait -1
	s_wait_xcnt 0x0
	s_and_saveexec_b32 s1, s0
	s_cbranch_execz .LBB55_15
; %bb.14:
	scratch_load_b64 v[116:117], v3, off
	ds_load_b64 v[118:119], v1
	s_wait_loadcnt_dscnt 0x0
	v_fma_f64 v[116:117], v[116:117], v[118:119], 0
	v_mov_b32_e32 v9, 0
	ds_load_b64 v[120:121], v9 offset:8
	s_wait_dscnt 0x0
	v_mul_f64_e32 v[116:117], v[116:117], v[120:121]
	scratch_store_b64 off, v[116:117], off offset:8
.LBB55_15:
	s_wait_xcnt 0x0
	s_or_b32 exec_lo, exec_lo, s1
	s_wait_storecnt 0x0
	s_barrier_signal -1
	s_barrier_wait -1
	scratch_load_b64 v[116:117], off, off offset:16
	s_mov_b32 s1, exec_lo
	s_wait_loadcnt 0x0
	ds_store_b64 v1, v[116:117]
	s_wait_dscnt 0x0
	s_barrier_signal -1
	s_barrier_wait -1
	v_cmpx_gt_u32_e32 2, v0
	s_cbranch_execz .LBB55_19
; %bb.16:
	scratch_load_b64 v[116:117], v3, off
	ds_load_b64 v[118:119], v1
	s_wait_loadcnt_dscnt 0x0
	v_fma_f64 v[116:117], v[116:117], v[118:119], 0
	s_and_saveexec_b32 s8, s0
	s_cbranch_execz .LBB55_18
; %bb.17:
	scratch_load_b64 v[118:119], off, off offset:8
	v_mov_b32_e32 v3, 0
	ds_load_b64 v[120:121], v3 offset:456
	s_wait_loadcnt_dscnt 0x0
	v_fmac_f64_e32 v[116:117], v[118:119], v[120:121]
.LBB55_18:
	s_or_b32 exec_lo, exec_lo, s8
	v_mov_b32_e32 v3, 0
	ds_load_b64 v[118:119], v3 offset:16
	s_wait_dscnt 0x0
	v_mul_f64_e32 v[116:117], v[116:117], v[118:119]
	scratch_store_b64 off, v[116:117], off offset:16
.LBB55_19:
	s_wait_xcnt 0x0
	s_or_b32 exec_lo, exec_lo, s1
	s_wait_storecnt 0x0
	s_barrier_signal -1
	s_barrier_wait -1
	scratch_load_b64 v[116:117], off, off offset:24
	v_add_nc_u32_e32 v3, -1, v0
	s_mov_b32 s0, exec_lo
	s_wait_loadcnt 0x0
	ds_store_b64 v1, v[116:117]
	s_wait_dscnt 0x0
	s_barrier_signal -1
	s_barrier_wait -1
	v_cmpx_gt_u32_e32 3, v0
	s_cbranch_execz .LBB55_23
; %bb.20:
	v_mov_b64_e32 v[116:117], 0
	v_dual_add_nc_u32 v9, -1, v0 :: v_dual_mov_b32 v13, v2
	v_add_nc_u32_e32 v11, 0x1c0, v2
	s_mov_b32 s1, 0
.LBB55_21:                              ; =>This Inner Loop Header: Depth=1
	scratch_load_b64 v[118:119], v13, off
	ds_load_b64 v[120:121], v11
	v_dual_add_nc_u32 v9, 1, v9 :: v_dual_add_nc_u32 v11, 8, v11
	s_wait_xcnt 0x0
	v_add_nc_u32_e32 v13, 8, v13
	s_delay_alu instid0(VALU_DEP_2)
	v_cmp_lt_u32_e32 vcc_lo, 1, v9
	s_or_b32 s1, vcc_lo, s1
	s_wait_loadcnt_dscnt 0x0
	v_fmac_f64_e32 v[116:117], v[118:119], v[120:121]
	s_and_not1_b32 exec_lo, exec_lo, s1
	s_cbranch_execnz .LBB55_21
; %bb.22:
	s_or_b32 exec_lo, exec_lo, s1
	v_mov_b32_e32 v9, 0
	ds_load_b64 v[118:119], v9 offset:24
	s_wait_dscnt 0x0
	v_mul_f64_e32 v[116:117], v[116:117], v[118:119]
	scratch_store_b64 off, v[116:117], off offset:24
.LBB55_23:
	s_wait_xcnt 0x0
	s_or_b32 exec_lo, exec_lo, s0
	s_wait_storecnt 0x0
	s_barrier_signal -1
	s_barrier_wait -1
	scratch_load_b64 v[116:117], off, off offset:32
	s_mov_b32 s0, exec_lo
	s_wait_loadcnt 0x0
	ds_store_b64 v1, v[116:117]
	s_wait_dscnt 0x0
	s_barrier_signal -1
	s_barrier_wait -1
	v_cmpx_gt_u32_e32 4, v0
	s_cbranch_execz .LBB55_27
; %bb.24:
	v_mov_b64_e32 v[116:117], 0
	v_dual_add_nc_u32 v9, -1, v0 :: v_dual_mov_b32 v13, v2
	v_add_nc_u32_e32 v11, 0x1c0, v2
	s_mov_b32 s1, 0
.LBB55_25:                              ; =>This Inner Loop Header: Depth=1
	scratch_load_b64 v[118:119], v13, off
	ds_load_b64 v[120:121], v11
	v_dual_add_nc_u32 v9, 1, v9 :: v_dual_add_nc_u32 v11, 8, v11
	s_wait_xcnt 0x0
	v_add_nc_u32_e32 v13, 8, v13
	s_delay_alu instid0(VALU_DEP_2)
	v_cmp_lt_u32_e32 vcc_lo, 2, v9
	s_or_b32 s1, vcc_lo, s1
	s_wait_loadcnt_dscnt 0x0
	v_fmac_f64_e32 v[116:117], v[118:119], v[120:121]
	s_and_not1_b32 exec_lo, exec_lo, s1
	s_cbranch_execnz .LBB55_25
; %bb.26:
	s_or_b32 exec_lo, exec_lo, s1
	v_mov_b32_e32 v9, 0
	ds_load_b64 v[118:119], v9 offset:32
	s_wait_dscnt 0x0
	v_mul_f64_e32 v[116:117], v[116:117], v[118:119]
	scratch_store_b64 off, v[116:117], off offset:32
.LBB55_27:
	s_wait_xcnt 0x0
	s_or_b32 exec_lo, exec_lo, s0
	s_wait_storecnt 0x0
	s_barrier_signal -1
	s_barrier_wait -1
	scratch_load_b64 v[116:117], off, off offset:40
	;; [unrolled: 40-line block ×20, first 2 shown]
	s_mov_b32 s0, exec_lo
	s_wait_loadcnt 0x0
	ds_store_b64 v1, v[116:117]
	s_wait_dscnt 0x0
	s_barrier_signal -1
	s_barrier_wait -1
	v_cmpx_gt_u32_e32 23, v0
	s_cbranch_execz .LBB55_103
; %bb.100:
	v_mov_b64_e32 v[116:117], 0
	v_dual_add_nc_u32 v9, -1, v0 :: v_dual_mov_b32 v13, v2
	v_add_nc_u32_e32 v11, 0x1c0, v2
	s_mov_b32 s1, 0
.LBB55_101:                             ; =>This Inner Loop Header: Depth=1
	scratch_load_b64 v[118:119], v13, off
	ds_load_b64 v[120:121], v11
	v_dual_add_nc_u32 v9, 1, v9 :: v_dual_add_nc_u32 v11, 8, v11
	s_wait_xcnt 0x0
	v_add_nc_u32_e32 v13, 8, v13
	s_delay_alu instid0(VALU_DEP_2)
	v_cmp_lt_u32_e32 vcc_lo, 21, v9
	s_or_b32 s1, vcc_lo, s1
	s_wait_loadcnt_dscnt 0x0
	v_fmac_f64_e32 v[116:117], v[118:119], v[120:121]
	s_and_not1_b32 exec_lo, exec_lo, s1
	s_cbranch_execnz .LBB55_101
; %bb.102:
	s_or_b32 exec_lo, exec_lo, s1
	v_mov_b32_e32 v9, 0
	ds_load_b64 v[118:119], v9 offset:184
	s_wait_dscnt 0x0
	v_mul_f64_e32 v[116:117], v[116:117], v[118:119]
	scratch_store_b64 off, v[116:117], off offset:184
.LBB55_103:
	s_wait_xcnt 0x0
	s_or_b32 exec_lo, exec_lo, s0
	s_wait_storecnt 0x0
	s_barrier_signal -1
	s_barrier_wait -1
	scratch_load_b64 v[116:117], off, off offset:192
	s_mov_b32 s0, exec_lo
	s_wait_loadcnt 0x0
	ds_store_b64 v1, v[116:117]
	s_wait_dscnt 0x0
	s_barrier_signal -1
	s_barrier_wait -1
	v_cmpx_gt_u32_e32 24, v0
	s_cbranch_execz .LBB55_107
; %bb.104:
	v_mov_b64_e32 v[116:117], 0
	v_dual_add_nc_u32 v9, -1, v0 :: v_dual_mov_b32 v13, v2
	v_add_nc_u32_e32 v11, 0x1c0, v2
	s_mov_b32 s1, 0
.LBB55_105:                             ; =>This Inner Loop Header: Depth=1
	scratch_load_b64 v[118:119], v13, off
	ds_load_b64 v[120:121], v11
	v_dual_add_nc_u32 v9, 1, v9 :: v_dual_add_nc_u32 v11, 8, v11
	s_wait_xcnt 0x0
	v_add_nc_u32_e32 v13, 8, v13
	s_delay_alu instid0(VALU_DEP_2)
	v_cmp_lt_u32_e32 vcc_lo, 22, v9
	s_or_b32 s1, vcc_lo, s1
	s_wait_loadcnt_dscnt 0x0
	v_fmac_f64_e32 v[116:117], v[118:119], v[120:121]
	s_and_not1_b32 exec_lo, exec_lo, s1
	s_cbranch_execnz .LBB55_105
; %bb.106:
	s_or_b32 exec_lo, exec_lo, s1
	v_mov_b32_e32 v9, 0
	ds_load_b64 v[118:119], v9 offset:192
	s_wait_dscnt 0x0
	v_mul_f64_e32 v[116:117], v[116:117], v[118:119]
	scratch_store_b64 off, v[116:117], off offset:192
.LBB55_107:
	s_wait_xcnt 0x0
	s_or_b32 exec_lo, exec_lo, s0
	s_wait_storecnt 0x0
	s_barrier_signal -1
	s_barrier_wait -1
	scratch_load_b64 v[116:117], off, off offset:200
	;; [unrolled: 40-line block ×32, first 2 shown]
	s_mov_b32 s0, exec_lo
	s_wait_loadcnt 0x0
	ds_store_b64 v1, v[116:117]
	s_wait_dscnt 0x0
	s_barrier_signal -1
	s_barrier_wait -1
	v_cmpx_ne_u32_e32 55, v0
	s_cbranch_execz .LBB55_231
; %bb.228:
	v_mov_b64_e32 v[116:117], 0
	s_mov_b32 s1, 0
.LBB55_229:                             ; =>This Inner Loop Header: Depth=1
	scratch_load_b64 v[118:119], v2, off
	ds_load_b64 v[120:121], v1
	v_dual_add_nc_u32 v3, 1, v3 :: v_dual_add_nc_u32 v1, 8, v1
	s_wait_xcnt 0x0
	v_add_nc_u32_e32 v2, 8, v2
	s_delay_alu instid0(VALU_DEP_2)
	v_cmp_lt_u32_e32 vcc_lo, 53, v3
	s_or_b32 s1, vcc_lo, s1
	s_wait_loadcnt_dscnt 0x0
	v_fmac_f64_e32 v[116:117], v[118:119], v[120:121]
	s_and_not1_b32 exec_lo, exec_lo, s1
	s_cbranch_execnz .LBB55_229
; %bb.230:
	s_or_b32 exec_lo, exec_lo, s1
	v_mov_b32_e32 v1, 0
	ds_load_b64 v[2:3], v1 offset:440
	s_wait_dscnt 0x0
	v_mul_f64_e32 v[2:3], v[116:117], v[2:3]
	scratch_store_b64 off, v[2:3], off offset:440
.LBB55_231:
	s_wait_xcnt 0x0
	s_or_b32 exec_lo, exec_lo, s0
	s_mov_b32 s1, -1
	s_wait_storecnt 0x0
	s_barrier_signal -1
	s_barrier_wait -1
.LBB55_232:
	s_and_b32 vcc_lo, exec_lo, s1
	s_cbranch_vccz .LBB55_234
; %bb.233:
	v_mov_b32_e32 v1, 0
	s_lshl_b64 s[0:1], s[16:17], 2
	s_delay_alu instid0(SALU_CYCLE_1)
	s_add_nc_u64 s[0:1], s[6:7], s[0:1]
	global_load_b32 v1, v1, s[0:1]
	s_wait_loadcnt 0x0
	v_cmp_ne_u32_e32 vcc_lo, 0, v1
	s_cbranch_vccz .LBB55_235
.LBB55_234:
	s_sendmsg sendmsg(MSG_DEALLOC_VGPRS)
	s_endpgm
.LBB55_235:
	s_wait_xcnt 0x0
	v_lshl_add_u32 v1, v0, 3, 0x1c0
	s_mov_b32 s0, exec_lo
	v_cmpx_eq_u32_e32 55, v0
	s_cbranch_execz .LBB55_237
; %bb.236:
	scratch_load_b64 v[2:3], off, off offset:432
	v_mov_b64_e32 v[116:117], 0
	scratch_store_b64 off, v[116:117], off offset:432
	s_wait_loadcnt 0x0
	ds_store_b64 v1, v[2:3]
.LBB55_237:
	s_wait_xcnt 0x0
	s_or_b32 exec_lo, exec_lo, s0
	s_wait_storecnt_dscnt 0x0
	s_barrier_signal -1
	s_barrier_wait -1
	scratch_load_b128 v[116:119], off, off offset:432
	v_mov_b32_e32 v2, 0
	s_mov_b32 s0, exec_lo
	ds_load_b64 v[120:121], v2 offset:888
	s_wait_loadcnt_dscnt 0x0
	v_fma_f64 v[118:119], v[118:119], v[120:121], 0
	s_delay_alu instid0(VALU_DEP_1)
	v_add_f64_e64 v[116:117], v[116:117], -v[118:119]
	scratch_store_b64 off, v[116:117], off offset:432
	s_wait_xcnt 0x0
	v_cmpx_lt_u32_e32 53, v0
	s_cbranch_execz .LBB55_239
; %bb.238:
	scratch_load_b64 v[116:117], off, off offset:424
	v_mov_b64_e32 v[118:119], 0
	scratch_store_b64 off, v[118:119], off offset:424
	s_wait_loadcnt 0x0
	ds_store_b64 v1, v[116:117]
.LBB55_239:
	s_wait_xcnt 0x0
	s_or_b32 exec_lo, exec_lo, s0
	s_wait_storecnt_dscnt 0x0
	s_barrier_signal -1
	s_barrier_wait -1
	s_clause 0x1
	scratch_load_b128 v[116:119], off, off offset:424
	scratch_load_b64 v[124:125], off, off offset:440
	ds_load_b128 v[120:123], v2 offset:880
	s_mov_b32 s0, exec_lo
	s_wait_loadcnt_dscnt 0x100
	v_fma_f64 v[2:3], v[118:119], v[120:121], 0
	s_wait_loadcnt 0x0
	s_delay_alu instid0(VALU_DEP_1) | instskip(NEXT) | instid1(VALU_DEP_1)
	v_fmac_f64_e32 v[2:3], v[124:125], v[122:123]
	v_add_f64_e64 v[2:3], v[116:117], -v[2:3]
	scratch_store_b64 off, v[2:3], off offset:424
	s_wait_xcnt 0x0
	v_cmpx_lt_u32_e32 52, v0
	s_cbranch_execz .LBB55_241
; %bb.240:
	scratch_load_b64 v[2:3], off, off offset:416
	v_mov_b64_e32 v[116:117], 0
	scratch_store_b64 off, v[116:117], off offset:416
	s_wait_loadcnt 0x0
	ds_store_b64 v1, v[2:3]
.LBB55_241:
	s_wait_xcnt 0x0
	s_or_b32 exec_lo, exec_lo, s0
	s_wait_storecnt_dscnt 0x0
	s_barrier_signal -1
	s_barrier_wait -1
	s_clause 0x1
	scratch_load_b128 v[116:119], off, off offset:416
	scratch_load_b128 v[120:123], off, off offset:432
	v_mov_b32_e32 v2, 0
	ds_load_2addr_b64 v[124:127], v2 offset0:109 offset1:110
	ds_load_b64 v[128:129], v2 offset:888
	s_mov_b32 s0, exec_lo
	s_wait_loadcnt_dscnt 0x101
	v_fma_f64 v[118:119], v[118:119], v[124:125], 0
	s_wait_loadcnt 0x0
	s_delay_alu instid0(VALU_DEP_1) | instskip(SKIP_1) | instid1(VALU_DEP_1)
	v_fmac_f64_e32 v[118:119], v[120:121], v[126:127]
	s_wait_dscnt 0x0
	v_fmac_f64_e32 v[118:119], v[122:123], v[128:129]
	s_delay_alu instid0(VALU_DEP_1)
	v_add_f64_e64 v[116:117], v[116:117], -v[118:119]
	scratch_store_b64 off, v[116:117], off offset:416
	s_wait_xcnt 0x0
	v_cmpx_lt_u32_e32 51, v0
	s_cbranch_execz .LBB55_243
; %bb.242:
	scratch_load_b64 v[116:117], off, off offset:408
	v_mov_b64_e32 v[118:119], 0
	scratch_store_b64 off, v[118:119], off offset:408
	s_wait_loadcnt 0x0
	ds_store_b64 v1, v[116:117]
.LBB55_243:
	s_wait_xcnt 0x0
	s_or_b32 exec_lo, exec_lo, s0
	s_wait_storecnt_dscnt 0x0
	s_barrier_signal -1
	s_barrier_wait -1
	s_clause 0x2
	scratch_load_b128 v[116:119], off, off offset:408
	scratch_load_b128 v[120:123], off, off offset:424
	scratch_load_b64 v[132:133], off, off offset:440
	ds_load_b128 v[124:127], v2 offset:864
	ds_load_b128 v[128:131], v2 offset:880
	s_mov_b32 s0, exec_lo
	s_wait_loadcnt_dscnt 0x201
	v_fma_f64 v[2:3], v[118:119], v[124:125], 0
	s_wait_loadcnt 0x1
	s_delay_alu instid0(VALU_DEP_1) | instskip(SKIP_1) | instid1(VALU_DEP_1)
	v_fmac_f64_e32 v[2:3], v[120:121], v[126:127]
	s_wait_dscnt 0x0
	v_fmac_f64_e32 v[2:3], v[122:123], v[128:129]
	s_wait_loadcnt 0x0
	s_delay_alu instid0(VALU_DEP_1) | instskip(NEXT) | instid1(VALU_DEP_1)
	v_fmac_f64_e32 v[2:3], v[132:133], v[130:131]
	v_add_f64_e64 v[2:3], v[116:117], -v[2:3]
	scratch_store_b64 off, v[2:3], off offset:408
	s_wait_xcnt 0x0
	v_cmpx_lt_u32_e32 50, v0
	s_cbranch_execz .LBB55_245
; %bb.244:
	scratch_load_b64 v[2:3], off, off offset:400
	v_mov_b64_e32 v[116:117], 0
	scratch_store_b64 off, v[116:117], off offset:400
	s_wait_loadcnt 0x0
	ds_store_b64 v1, v[2:3]
.LBB55_245:
	s_wait_xcnt 0x0
	s_or_b32 exec_lo, exec_lo, s0
	s_wait_storecnt_dscnt 0x0
	s_barrier_signal -1
	s_barrier_wait -1
	s_clause 0x2
	scratch_load_b128 v[116:119], off, off offset:400
	scratch_load_b128 v[120:123], off, off offset:416
	;; [unrolled: 1-line block ×3, first 2 shown]
	v_mov_b32_e32 v2, 0
	ds_load_2addr_b64 v[128:131], v2 offset0:107 offset1:108
	ds_load_2addr_b64 v[132:135], v2 offset0:109 offset1:110
	s_mov_b32 s0, exec_lo
	s_wait_loadcnt_dscnt 0x201
	v_fma_f64 v[118:119], v[118:119], v[128:129], 0
	s_wait_loadcnt 0x1
	s_delay_alu instid0(VALU_DEP_1) | instskip(SKIP_4) | instid1(VALU_DEP_1)
	v_fmac_f64_e32 v[118:119], v[120:121], v[130:131]
	ds_load_b64 v[120:121], v2 offset:888
	s_wait_dscnt 0x1
	v_fmac_f64_e32 v[118:119], v[122:123], v[132:133]
	s_wait_loadcnt 0x0
	v_fmac_f64_e32 v[118:119], v[124:125], v[134:135]
	s_wait_dscnt 0x0
	s_delay_alu instid0(VALU_DEP_1) | instskip(NEXT) | instid1(VALU_DEP_1)
	v_fmac_f64_e32 v[118:119], v[126:127], v[120:121]
	v_add_f64_e64 v[116:117], v[116:117], -v[118:119]
	scratch_store_b64 off, v[116:117], off offset:400
	s_wait_xcnt 0x0
	v_cmpx_lt_u32_e32 49, v0
	s_cbranch_execz .LBB55_247
; %bb.246:
	scratch_load_b64 v[116:117], off, off offset:392
	v_mov_b64_e32 v[118:119], 0
	scratch_store_b64 off, v[118:119], off offset:392
	s_wait_loadcnt 0x0
	ds_store_b64 v1, v[116:117]
.LBB55_247:
	s_wait_xcnt 0x0
	s_or_b32 exec_lo, exec_lo, s0
	s_wait_storecnt_dscnt 0x0
	s_barrier_signal -1
	s_barrier_wait -1
	s_clause 0x3
	scratch_load_b128 v[116:119], off, off offset:392
	scratch_load_b128 v[120:123], off, off offset:408
	;; [unrolled: 1-line block ×3, first 2 shown]
	scratch_load_b64 v[136:137], off, off offset:440
	ds_load_b128 v[128:131], v2 offset:848
	ds_load_b128 v[132:135], v2 offset:864
	s_mov_b32 s0, exec_lo
	s_wait_loadcnt_dscnt 0x301
	v_fma_f64 v[128:129], v[118:119], v[128:129], 0
	s_wait_loadcnt 0x2
	s_delay_alu instid0(VALU_DEP_1) | instskip(SKIP_4) | instid1(VALU_DEP_1)
	v_fmac_f64_e32 v[128:129], v[120:121], v[130:131]
	ds_load_b128 v[118:121], v2 offset:880
	s_wait_dscnt 0x1
	v_fmac_f64_e32 v[128:129], v[122:123], v[132:133]
	s_wait_loadcnt 0x1
	v_fmac_f64_e32 v[128:129], v[124:125], v[134:135]
	s_wait_dscnt 0x0
	s_delay_alu instid0(VALU_DEP_1) | instskip(SKIP_1) | instid1(VALU_DEP_1)
	v_fmac_f64_e32 v[128:129], v[126:127], v[118:119]
	s_wait_loadcnt 0x0
	v_fmac_f64_e32 v[128:129], v[136:137], v[120:121]
	s_delay_alu instid0(VALU_DEP_1)
	v_add_f64_e64 v[2:3], v[116:117], -v[128:129]
	scratch_store_b64 off, v[2:3], off offset:392
	s_wait_xcnt 0x0
	v_cmpx_lt_u32_e32 48, v0
	s_cbranch_execz .LBB55_249
; %bb.248:
	scratch_load_b64 v[2:3], off, off offset:384
	v_mov_b64_e32 v[116:117], 0
	scratch_store_b64 off, v[116:117], off offset:384
	s_wait_loadcnt 0x0
	ds_store_b64 v1, v[2:3]
.LBB55_249:
	s_wait_xcnt 0x0
	s_or_b32 exec_lo, exec_lo, s0
	s_wait_storecnt_dscnt 0x0
	s_barrier_signal -1
	s_barrier_wait -1
	s_clause 0x3
	scratch_load_b128 v[116:119], off, off offset:384
	scratch_load_b128 v[120:123], off, off offset:400
	;; [unrolled: 1-line block ×4, first 2 shown]
	v_mov_b32_e32 v2, 0
	ds_load_2addr_b64 v[132:135], v2 offset0:105 offset1:106
	ds_load_2addr_b64 v[136:139], v2 offset0:107 offset1:108
	s_mov_b32 s0, exec_lo
	s_wait_loadcnt_dscnt 0x301
	v_fma_f64 v[132:133], v[118:119], v[132:133], 0
	s_wait_loadcnt 0x2
	s_delay_alu instid0(VALU_DEP_1) | instskip(SKIP_1) | instid1(VALU_DEP_1)
	v_fmac_f64_e32 v[132:133], v[120:121], v[134:135]
	s_wait_dscnt 0x0
	v_fmac_f64_e32 v[132:133], v[122:123], v[136:137]
	ds_load_2addr_b64 v[118:121], v2 offset0:109 offset1:110
	ds_load_b64 v[122:123], v2 offset:888
	s_wait_loadcnt 0x1
	v_fmac_f64_e32 v[132:133], v[124:125], v[138:139]
	s_wait_dscnt 0x1
	s_delay_alu instid0(VALU_DEP_1) | instskip(SKIP_1) | instid1(VALU_DEP_1)
	v_fmac_f64_e32 v[132:133], v[126:127], v[118:119]
	s_wait_loadcnt 0x0
	v_fmac_f64_e32 v[132:133], v[128:129], v[120:121]
	s_wait_dscnt 0x0
	s_delay_alu instid0(VALU_DEP_1) | instskip(NEXT) | instid1(VALU_DEP_1)
	v_fmac_f64_e32 v[132:133], v[130:131], v[122:123]
	v_add_f64_e64 v[116:117], v[116:117], -v[132:133]
	scratch_store_b64 off, v[116:117], off offset:384
	s_wait_xcnt 0x0
	v_cmpx_lt_u32_e32 47, v0
	s_cbranch_execz .LBB55_251
; %bb.250:
	scratch_load_b64 v[116:117], off, off offset:376
	v_mov_b64_e32 v[118:119], 0
	scratch_store_b64 off, v[118:119], off offset:376
	s_wait_loadcnt 0x0
	ds_store_b64 v1, v[116:117]
.LBB55_251:
	s_wait_xcnt 0x0
	s_or_b32 exec_lo, exec_lo, s0
	s_wait_storecnt_dscnt 0x0
	s_barrier_signal -1
	s_barrier_wait -1
	s_clause 0x4
	scratch_load_b128 v[116:119], off, off offset:376
	scratch_load_b128 v[120:123], off, off offset:392
	;; [unrolled: 1-line block ×4, first 2 shown]
	scratch_load_b64 v[140:141], off, off offset:440
	ds_load_b128 v[132:135], v2 offset:832
	ds_load_b128 v[136:139], v2 offset:848
	s_mov_b32 s0, exec_lo
	s_wait_loadcnt_dscnt 0x401
	v_fma_f64 v[132:133], v[118:119], v[132:133], 0
	s_wait_loadcnt 0x3
	s_delay_alu instid0(VALU_DEP_1) | instskip(SKIP_1) | instid1(VALU_DEP_1)
	v_fmac_f64_e32 v[132:133], v[120:121], v[134:135]
	s_wait_dscnt 0x0
	v_fmac_f64_e32 v[132:133], v[122:123], v[136:137]
	s_wait_loadcnt 0x2
	s_delay_alu instid0(VALU_DEP_1)
	v_fmac_f64_e32 v[132:133], v[124:125], v[138:139]
	ds_load_b128 v[118:121], v2 offset:864
	ds_load_b128 v[122:125], v2 offset:880
	s_wait_dscnt 0x1
	v_fmac_f64_e32 v[132:133], v[126:127], v[118:119]
	s_wait_loadcnt 0x1
	s_delay_alu instid0(VALU_DEP_1) | instskip(SKIP_1) | instid1(VALU_DEP_1)
	v_fmac_f64_e32 v[132:133], v[128:129], v[120:121]
	s_wait_dscnt 0x0
	v_fmac_f64_e32 v[132:133], v[130:131], v[122:123]
	s_wait_loadcnt 0x0
	s_delay_alu instid0(VALU_DEP_1) | instskip(NEXT) | instid1(VALU_DEP_1)
	v_fmac_f64_e32 v[132:133], v[140:141], v[124:125]
	v_add_f64_e64 v[2:3], v[116:117], -v[132:133]
	scratch_store_b64 off, v[2:3], off offset:376
	s_wait_xcnt 0x0
	v_cmpx_lt_u32_e32 46, v0
	s_cbranch_execz .LBB55_253
; %bb.252:
	scratch_load_b64 v[2:3], off, off offset:368
	v_mov_b64_e32 v[116:117], 0
	scratch_store_b64 off, v[116:117], off offset:368
	s_wait_loadcnt 0x0
	ds_store_b64 v1, v[2:3]
.LBB55_253:
	s_wait_xcnt 0x0
	s_or_b32 exec_lo, exec_lo, s0
	s_wait_storecnt_dscnt 0x0
	s_barrier_signal -1
	s_barrier_wait -1
	s_clause 0x4
	scratch_load_b128 v[116:119], off, off offset:368
	scratch_load_b128 v[120:123], off, off offset:384
	;; [unrolled: 1-line block ×5, first 2 shown]
	v_mov_b32_e32 v2, 0
	ds_load_2addr_b64 v[136:139], v2 offset0:103 offset1:104
	ds_load_2addr_b64 v[140:143], v2 offset0:105 offset1:106
	s_mov_b32 s0, exec_lo
	s_wait_loadcnt_dscnt 0x401
	v_fma_f64 v[136:137], v[118:119], v[136:137], 0
	s_wait_loadcnt 0x3
	s_delay_alu instid0(VALU_DEP_1) | instskip(SKIP_1) | instid1(VALU_DEP_1)
	v_fmac_f64_e32 v[136:137], v[120:121], v[138:139]
	s_wait_dscnt 0x0
	v_fmac_f64_e32 v[136:137], v[122:123], v[140:141]
	s_wait_loadcnt 0x2
	s_delay_alu instid0(VALU_DEP_1)
	v_fmac_f64_e32 v[136:137], v[124:125], v[142:143]
	ds_load_2addr_b64 v[118:121], v2 offset0:107 offset1:108
	ds_load_2addr_b64 v[122:125], v2 offset0:109 offset1:110
	s_wait_dscnt 0x1
	v_fmac_f64_e32 v[136:137], v[126:127], v[118:119]
	ds_load_b64 v[118:119], v2 offset:888
	s_wait_loadcnt 0x1
	v_fmac_f64_e32 v[136:137], v[128:129], v[120:121]
	s_wait_dscnt 0x1
	s_delay_alu instid0(VALU_DEP_1) | instskip(SKIP_1) | instid1(VALU_DEP_1)
	v_fmac_f64_e32 v[136:137], v[130:131], v[122:123]
	s_wait_loadcnt 0x0
	v_fmac_f64_e32 v[136:137], v[132:133], v[124:125]
	s_wait_dscnt 0x0
	s_delay_alu instid0(VALU_DEP_1) | instskip(NEXT) | instid1(VALU_DEP_1)
	v_fmac_f64_e32 v[136:137], v[134:135], v[118:119]
	v_add_f64_e64 v[116:117], v[116:117], -v[136:137]
	scratch_store_b64 off, v[116:117], off offset:368
	s_wait_xcnt 0x0
	v_cmpx_lt_u32_e32 45, v0
	s_cbranch_execz .LBB55_255
; %bb.254:
	scratch_load_b64 v[116:117], off, off offset:360
	v_mov_b64_e32 v[118:119], 0
	scratch_store_b64 off, v[118:119], off offset:360
	s_wait_loadcnt 0x0
	ds_store_b64 v1, v[116:117]
.LBB55_255:
	s_wait_xcnt 0x0
	s_or_b32 exec_lo, exec_lo, s0
	s_wait_storecnt_dscnt 0x0
	s_barrier_signal -1
	s_barrier_wait -1
	s_clause 0x5
	scratch_load_b128 v[116:119], off, off offset:360
	scratch_load_b128 v[120:123], off, off offset:376
	;; [unrolled: 1-line block ×5, first 2 shown]
	scratch_load_b64 v[144:145], off, off offset:440
	ds_load_b128 v[136:139], v2 offset:816
	ds_load_b128 v[140:143], v2 offset:832
	s_mov_b32 s0, exec_lo
	s_wait_loadcnt_dscnt 0x501
	v_fma_f64 v[136:137], v[118:119], v[136:137], 0
	s_wait_loadcnt 0x4
	s_delay_alu instid0(VALU_DEP_1) | instskip(SKIP_1) | instid1(VALU_DEP_1)
	v_fmac_f64_e32 v[136:137], v[120:121], v[138:139]
	s_wait_dscnt 0x0
	v_fmac_f64_e32 v[136:137], v[122:123], v[140:141]
	s_wait_loadcnt 0x3
	s_delay_alu instid0(VALU_DEP_1)
	v_fmac_f64_e32 v[136:137], v[124:125], v[142:143]
	ds_load_b128 v[118:121], v2 offset:848
	ds_load_b128 v[122:125], v2 offset:864
	s_wait_dscnt 0x1
	v_fmac_f64_e32 v[136:137], v[126:127], v[118:119]
	s_wait_loadcnt 0x2
	s_delay_alu instid0(VALU_DEP_1) | instskip(SKIP_4) | instid1(VALU_DEP_1)
	v_fmac_f64_e32 v[136:137], v[128:129], v[120:121]
	ds_load_b128 v[118:121], v2 offset:880
	s_wait_dscnt 0x1
	v_fmac_f64_e32 v[136:137], v[130:131], v[122:123]
	s_wait_loadcnt 0x1
	v_fmac_f64_e32 v[136:137], v[132:133], v[124:125]
	s_wait_dscnt 0x0
	s_delay_alu instid0(VALU_DEP_1) | instskip(SKIP_1) | instid1(VALU_DEP_1)
	v_fmac_f64_e32 v[136:137], v[134:135], v[118:119]
	s_wait_loadcnt 0x0
	v_fmac_f64_e32 v[136:137], v[144:145], v[120:121]
	s_delay_alu instid0(VALU_DEP_1)
	v_add_f64_e64 v[2:3], v[116:117], -v[136:137]
	scratch_store_b64 off, v[2:3], off offset:360
	s_wait_xcnt 0x0
	v_cmpx_lt_u32_e32 44, v0
	s_cbranch_execz .LBB55_257
; %bb.256:
	scratch_load_b64 v[2:3], off, off offset:352
	v_mov_b64_e32 v[116:117], 0
	scratch_store_b64 off, v[116:117], off offset:352
	s_wait_loadcnt 0x0
	ds_store_b64 v1, v[2:3]
.LBB55_257:
	s_wait_xcnt 0x0
	s_or_b32 exec_lo, exec_lo, s0
	s_wait_storecnt_dscnt 0x0
	s_barrier_signal -1
	s_barrier_wait -1
	s_clause 0x5
	scratch_load_b128 v[116:119], off, off offset:352
	scratch_load_b128 v[120:123], off, off offset:368
	scratch_load_b128 v[124:127], off, off offset:384
	scratch_load_b128 v[128:131], off, off offset:400
	scratch_load_b128 v[132:135], off, off offset:416
	scratch_load_b128 v[136:139], off, off offset:432
	v_mov_b32_e32 v2, 0
	ds_load_2addr_b64 v[140:143], v2 offset0:101 offset1:102
	ds_load_2addr_b64 v[144:147], v2 offset0:103 offset1:104
	s_mov_b32 s0, exec_lo
	s_wait_loadcnt_dscnt 0x501
	v_fma_f64 v[140:141], v[118:119], v[140:141], 0
	s_wait_loadcnt 0x4
	s_delay_alu instid0(VALU_DEP_1) | instskip(SKIP_1) | instid1(VALU_DEP_1)
	v_fmac_f64_e32 v[140:141], v[120:121], v[142:143]
	s_wait_dscnt 0x0
	v_fmac_f64_e32 v[140:141], v[122:123], v[144:145]
	s_wait_loadcnt 0x3
	s_delay_alu instid0(VALU_DEP_1)
	v_fmac_f64_e32 v[140:141], v[124:125], v[146:147]
	ds_load_2addr_b64 v[118:121], v2 offset0:105 offset1:106
	ds_load_2addr_b64 v[122:125], v2 offset0:107 offset1:108
	s_wait_dscnt 0x1
	v_fmac_f64_e32 v[140:141], v[126:127], v[118:119]
	s_wait_loadcnt 0x2
	s_delay_alu instid0(VALU_DEP_1) | instskip(SKIP_1) | instid1(VALU_DEP_1)
	v_fmac_f64_e32 v[140:141], v[128:129], v[120:121]
	s_wait_dscnt 0x0
	v_fmac_f64_e32 v[140:141], v[130:131], v[122:123]
	ds_load_2addr_b64 v[118:121], v2 offset0:109 offset1:110
	ds_load_b64 v[122:123], v2 offset:888
	s_wait_loadcnt 0x1
	v_fmac_f64_e32 v[140:141], v[132:133], v[124:125]
	s_wait_dscnt 0x1
	s_delay_alu instid0(VALU_DEP_1) | instskip(SKIP_1) | instid1(VALU_DEP_1)
	v_fmac_f64_e32 v[140:141], v[134:135], v[118:119]
	s_wait_loadcnt 0x0
	v_fmac_f64_e32 v[140:141], v[136:137], v[120:121]
	s_wait_dscnt 0x0
	s_delay_alu instid0(VALU_DEP_1) | instskip(NEXT) | instid1(VALU_DEP_1)
	v_fmac_f64_e32 v[140:141], v[138:139], v[122:123]
	v_add_f64_e64 v[116:117], v[116:117], -v[140:141]
	scratch_store_b64 off, v[116:117], off offset:352
	s_wait_xcnt 0x0
	v_cmpx_lt_u32_e32 43, v0
	s_cbranch_execz .LBB55_259
; %bb.258:
	scratch_load_b64 v[116:117], off, off offset:344
	v_mov_b64_e32 v[118:119], 0
	scratch_store_b64 off, v[118:119], off offset:344
	s_wait_loadcnt 0x0
	ds_store_b64 v1, v[116:117]
.LBB55_259:
	s_wait_xcnt 0x0
	s_or_b32 exec_lo, exec_lo, s0
	s_wait_storecnt_dscnt 0x0
	s_barrier_signal -1
	s_barrier_wait -1
	s_clause 0x5
	scratch_load_b128 v[116:119], off, off offset:344
	scratch_load_b128 v[120:123], off, off offset:360
	;; [unrolled: 1-line block ×6, first 2 shown]
	ds_load_b128 v[140:143], v2 offset:800
	ds_load_b128 v[144:147], v2 offset:816
	s_mov_b32 s0, exec_lo
	s_wait_loadcnt_dscnt 0x501
	v_fma_f64 v[140:141], v[118:119], v[140:141], 0
	s_wait_loadcnt 0x4
	s_delay_alu instid0(VALU_DEP_1) | instskip(SKIP_4) | instid1(VALU_DEP_1)
	v_fmac_f64_e32 v[140:141], v[120:121], v[142:143]
	scratch_load_b64 v[142:143], off, off offset:440
	s_wait_dscnt 0x0
	v_fmac_f64_e32 v[140:141], v[122:123], v[144:145]
	s_wait_loadcnt 0x4
	v_fmac_f64_e32 v[140:141], v[124:125], v[146:147]
	ds_load_b128 v[118:121], v2 offset:832
	ds_load_b128 v[122:125], v2 offset:848
	s_wait_dscnt 0x1
	v_fmac_f64_e32 v[140:141], v[126:127], v[118:119]
	s_wait_loadcnt 0x3
	s_delay_alu instid0(VALU_DEP_1) | instskip(SKIP_1) | instid1(VALU_DEP_1)
	v_fmac_f64_e32 v[140:141], v[128:129], v[120:121]
	s_wait_dscnt 0x0
	v_fmac_f64_e32 v[140:141], v[130:131], v[122:123]
	s_wait_loadcnt 0x2
	s_delay_alu instid0(VALU_DEP_1)
	v_fmac_f64_e32 v[140:141], v[132:133], v[124:125]
	ds_load_b128 v[118:121], v2 offset:864
	ds_load_b128 v[122:125], v2 offset:880
	s_wait_dscnt 0x1
	v_fmac_f64_e32 v[140:141], v[134:135], v[118:119]
	s_wait_loadcnt 0x1
	s_delay_alu instid0(VALU_DEP_1) | instskip(SKIP_1) | instid1(VALU_DEP_1)
	v_fmac_f64_e32 v[140:141], v[136:137], v[120:121]
	s_wait_dscnt 0x0
	v_fmac_f64_e32 v[140:141], v[138:139], v[122:123]
	s_wait_loadcnt 0x0
	s_delay_alu instid0(VALU_DEP_1) | instskip(NEXT) | instid1(VALU_DEP_1)
	v_fmac_f64_e32 v[140:141], v[142:143], v[124:125]
	v_add_f64_e64 v[2:3], v[116:117], -v[140:141]
	scratch_store_b64 off, v[2:3], off offset:344
	s_wait_xcnt 0x0
	v_cmpx_lt_u32_e32 42, v0
	s_cbranch_execz .LBB55_261
; %bb.260:
	scratch_load_b64 v[2:3], off, off offset:336
	v_mov_b64_e32 v[116:117], 0
	scratch_store_b64 off, v[116:117], off offset:336
	s_wait_loadcnt 0x0
	ds_store_b64 v1, v[2:3]
.LBB55_261:
	s_wait_xcnt 0x0
	s_or_b32 exec_lo, exec_lo, s0
	s_wait_storecnt_dscnt 0x0
	s_barrier_signal -1
	s_barrier_wait -1
	s_clause 0x5
	scratch_load_b128 v[116:119], off, off offset:336
	scratch_load_b128 v[120:123], off, off offset:352
	;; [unrolled: 1-line block ×6, first 2 shown]
	v_mov_b32_e32 v2, 0
	ds_load_2addr_b64 v[140:143], v2 offset0:99 offset1:100
	ds_load_2addr_b64 v[144:147], v2 offset0:101 offset1:102
	s_mov_b32 s0, exec_lo
	s_wait_loadcnt_dscnt 0x501
	v_fma_f64 v[148:149], v[118:119], v[140:141], 0
	s_wait_loadcnt 0x4
	s_delay_alu instid0(VALU_DEP_1) | instskip(SKIP_4) | instid1(VALU_DEP_1)
	v_fmac_f64_e32 v[148:149], v[120:121], v[142:143]
	scratch_load_b128 v[118:121], off, off offset:432
	s_wait_dscnt 0x0
	v_fmac_f64_e32 v[148:149], v[122:123], v[144:145]
	s_wait_loadcnt 0x4
	v_fmac_f64_e32 v[148:149], v[124:125], v[146:147]
	ds_load_2addr_b64 v[122:125], v2 offset0:103 offset1:104
	ds_load_2addr_b64 v[140:143], v2 offset0:105 offset1:106
	s_wait_dscnt 0x1
	v_fmac_f64_e32 v[148:149], v[126:127], v[122:123]
	s_wait_loadcnt 0x3
	s_delay_alu instid0(VALU_DEP_1)
	v_fmac_f64_e32 v[148:149], v[128:129], v[124:125]
	ds_load_2addr_b64 v[122:125], v2 offset0:107 offset1:108
	ds_load_2addr_b64 v[126:129], v2 offset0:109 offset1:110
	s_wait_dscnt 0x2
	v_fmac_f64_e32 v[148:149], v[130:131], v[140:141]
	s_wait_loadcnt 0x2
	s_delay_alu instid0(VALU_DEP_1) | instskip(SKIP_1) | instid1(VALU_DEP_1)
	v_fmac_f64_e32 v[148:149], v[132:133], v[142:143]
	s_wait_dscnt 0x1
	v_fmac_f64_e32 v[148:149], v[134:135], v[122:123]
	s_wait_loadcnt 0x1
	s_delay_alu instid0(VALU_DEP_1) | instskip(SKIP_1) | instid1(VALU_DEP_1)
	v_fmac_f64_e32 v[148:149], v[136:137], v[124:125]
	s_wait_dscnt 0x0
	v_fmac_f64_e32 v[148:149], v[138:139], v[126:127]
	s_wait_loadcnt 0x0
	s_delay_alu instid0(VALU_DEP_1) | instskip(SKIP_3) | instid1(VALU_DEP_1)
	v_fmac_f64_e32 v[148:149], v[118:119], v[128:129]
	ds_load_b64 v[118:119], v2 offset:888
	s_wait_dscnt 0x0
	v_fmac_f64_e32 v[148:149], v[120:121], v[118:119]
	v_add_f64_e64 v[116:117], v[116:117], -v[148:149]
	scratch_store_b64 off, v[116:117], off offset:336
	s_wait_xcnt 0x0
	v_cmpx_lt_u32_e32 41, v0
	s_cbranch_execz .LBB55_263
; %bb.262:
	scratch_load_b64 v[116:117], off, off offset:328
	v_mov_b64_e32 v[118:119], 0
	scratch_store_b64 off, v[118:119], off offset:328
	s_wait_loadcnt 0x0
	ds_store_b64 v1, v[116:117]
.LBB55_263:
	s_wait_xcnt 0x0
	s_or_b32 exec_lo, exec_lo, s0
	s_wait_storecnt_dscnt 0x0
	s_barrier_signal -1
	s_barrier_wait -1
	s_clause 0x5
	scratch_load_b128 v[116:119], off, off offset:328
	scratch_load_b128 v[120:123], off, off offset:344
	;; [unrolled: 1-line block ×6, first 2 shown]
	ds_load_b128 v[140:143], v2 offset:784
	ds_load_b128 v[144:147], v2 offset:800
	s_mov_b32 s0, exec_lo
	s_wait_loadcnt_dscnt 0x501
	v_fma_f64 v[148:149], v[118:119], v[140:141], 0
	s_wait_loadcnt 0x4
	s_delay_alu instid0(VALU_DEP_1)
	v_fmac_f64_e32 v[148:149], v[120:121], v[142:143]
	scratch_load_b128 v[118:121], off, off offset:424
	s_wait_dscnt 0x0
	v_fmac_f64_e32 v[148:149], v[122:123], v[144:145]
	scratch_load_b64 v[144:145], off, off offset:440
	s_wait_loadcnt 0x5
	v_fmac_f64_e32 v[148:149], v[124:125], v[146:147]
	ds_load_b128 v[122:125], v2 offset:816
	ds_load_b128 v[140:143], v2 offset:832
	s_wait_dscnt 0x1
	v_fmac_f64_e32 v[148:149], v[126:127], v[122:123]
	s_wait_loadcnt 0x4
	s_delay_alu instid0(VALU_DEP_1)
	v_fmac_f64_e32 v[148:149], v[128:129], v[124:125]
	ds_load_b128 v[122:125], v2 offset:848
	ds_load_b128 v[126:129], v2 offset:864
	s_wait_dscnt 0x2
	v_fmac_f64_e32 v[148:149], v[130:131], v[140:141]
	s_wait_loadcnt 0x3
	s_delay_alu instid0(VALU_DEP_1) | instskip(SKIP_1) | instid1(VALU_DEP_1)
	v_fmac_f64_e32 v[148:149], v[132:133], v[142:143]
	s_wait_dscnt 0x1
	v_fmac_f64_e32 v[148:149], v[134:135], v[122:123]
	s_wait_loadcnt 0x2
	s_delay_alu instid0(VALU_DEP_1) | instskip(SKIP_4) | instid1(VALU_DEP_1)
	v_fmac_f64_e32 v[148:149], v[136:137], v[124:125]
	ds_load_b128 v[122:125], v2 offset:880
	s_wait_dscnt 0x1
	v_fmac_f64_e32 v[148:149], v[138:139], v[126:127]
	s_wait_loadcnt 0x1
	v_fmac_f64_e32 v[148:149], v[118:119], v[128:129]
	s_wait_dscnt 0x0
	s_delay_alu instid0(VALU_DEP_1) | instskip(SKIP_1) | instid1(VALU_DEP_1)
	v_fmac_f64_e32 v[148:149], v[120:121], v[122:123]
	s_wait_loadcnt 0x0
	v_fmac_f64_e32 v[148:149], v[144:145], v[124:125]
	s_delay_alu instid0(VALU_DEP_1)
	v_add_f64_e64 v[2:3], v[116:117], -v[148:149]
	scratch_store_b64 off, v[2:3], off offset:328
	s_wait_xcnt 0x0
	v_cmpx_lt_u32_e32 40, v0
	s_cbranch_execz .LBB55_265
; %bb.264:
	scratch_load_b64 v[2:3], off, off offset:320
	v_mov_b64_e32 v[116:117], 0
	scratch_store_b64 off, v[116:117], off offset:320
	s_wait_loadcnt 0x0
	ds_store_b64 v1, v[2:3]
.LBB55_265:
	s_wait_xcnt 0x0
	s_or_b32 exec_lo, exec_lo, s0
	s_wait_storecnt_dscnt 0x0
	s_barrier_signal -1
	s_barrier_wait -1
	s_clause 0x5
	scratch_load_b128 v[116:119], off, off offset:320
	scratch_load_b128 v[120:123], off, off offset:336
	;; [unrolled: 1-line block ×6, first 2 shown]
	v_mov_b32_e32 v2, 0
	ds_load_2addr_b64 v[140:143], v2 offset0:97 offset1:98
	ds_load_2addr_b64 v[144:147], v2 offset0:99 offset1:100
	s_mov_b32 s0, exec_lo
	s_wait_loadcnt_dscnt 0x501
	v_fma_f64 v[148:149], v[118:119], v[140:141], 0
	s_wait_loadcnt 0x4
	s_delay_alu instid0(VALU_DEP_1) | instskip(SKIP_4) | instid1(VALU_DEP_1)
	v_fmac_f64_e32 v[148:149], v[120:121], v[142:143]
	scratch_load_b128 v[118:121], off, off offset:416
	s_wait_dscnt 0x0
	v_fmac_f64_e32 v[148:149], v[122:123], v[144:145]
	s_wait_loadcnt 0x4
	v_fmac_f64_e32 v[148:149], v[124:125], v[146:147]
	scratch_load_b128 v[122:125], off, off offset:432
	ds_load_2addr_b64 v[140:143], v2 offset0:101 offset1:102
	ds_load_2addr_b64 v[144:147], v2 offset0:103 offset1:104
	s_wait_dscnt 0x1
	v_fmac_f64_e32 v[148:149], v[126:127], v[140:141]
	s_wait_loadcnt 0x4
	s_delay_alu instid0(VALU_DEP_1) | instskip(SKIP_1) | instid1(VALU_DEP_1)
	v_fmac_f64_e32 v[148:149], v[128:129], v[142:143]
	s_wait_dscnt 0x0
	v_fmac_f64_e32 v[148:149], v[130:131], v[144:145]
	s_wait_loadcnt 0x3
	s_delay_alu instid0(VALU_DEP_1)
	v_fmac_f64_e32 v[148:149], v[132:133], v[146:147]
	ds_load_2addr_b64 v[126:129], v2 offset0:105 offset1:106
	ds_load_2addr_b64 v[130:133], v2 offset0:107 offset1:108
	s_wait_dscnt 0x1
	v_fmac_f64_e32 v[148:149], v[134:135], v[126:127]
	s_wait_loadcnt 0x2
	s_delay_alu instid0(VALU_DEP_1) | instskip(SKIP_1) | instid1(VALU_DEP_1)
	v_fmac_f64_e32 v[148:149], v[136:137], v[128:129]
	s_wait_dscnt 0x0
	v_fmac_f64_e32 v[148:149], v[138:139], v[130:131]
	s_wait_loadcnt 0x1
	s_delay_alu instid0(VALU_DEP_1)
	v_fmac_f64_e32 v[148:149], v[118:119], v[132:133]
	ds_load_2addr_b64 v[126:129], v2 offset0:109 offset1:110
	ds_load_b64 v[118:119], v2 offset:888
	s_wait_dscnt 0x1
	v_fmac_f64_e32 v[148:149], v[120:121], v[126:127]
	s_wait_loadcnt 0x0
	s_delay_alu instid0(VALU_DEP_1) | instskip(SKIP_1) | instid1(VALU_DEP_1)
	v_fmac_f64_e32 v[148:149], v[122:123], v[128:129]
	s_wait_dscnt 0x0
	v_fmac_f64_e32 v[148:149], v[124:125], v[118:119]
	s_delay_alu instid0(VALU_DEP_1)
	v_add_f64_e64 v[116:117], v[116:117], -v[148:149]
	scratch_store_b64 off, v[116:117], off offset:320
	s_wait_xcnt 0x0
	v_cmpx_lt_u32_e32 39, v0
	s_cbranch_execz .LBB55_267
; %bb.266:
	scratch_load_b64 v[116:117], off, off offset:312
	v_mov_b64_e32 v[118:119], 0
	scratch_store_b64 off, v[118:119], off offset:312
	s_wait_loadcnt 0x0
	ds_store_b64 v1, v[116:117]
.LBB55_267:
	s_wait_xcnt 0x0
	s_or_b32 exec_lo, exec_lo, s0
	s_wait_storecnt_dscnt 0x0
	s_barrier_signal -1
	s_barrier_wait -1
	s_clause 0x5
	scratch_load_b128 v[116:119], off, off offset:312
	scratch_load_b128 v[120:123], off, off offset:328
	;; [unrolled: 1-line block ×6, first 2 shown]
	ds_load_b128 v[140:143], v2 offset:768
	ds_load_b128 v[144:147], v2 offset:784
	s_mov_b32 s0, exec_lo
	s_wait_loadcnt_dscnt 0x501
	v_fma_f64 v[148:149], v[118:119], v[140:141], 0
	s_wait_loadcnt 0x4
	s_delay_alu instid0(VALU_DEP_1) | instskip(SKIP_4) | instid1(VALU_DEP_1)
	v_fmac_f64_e32 v[148:149], v[120:121], v[142:143]
	scratch_load_b128 v[118:121], off, off offset:408
	s_wait_dscnt 0x0
	v_fmac_f64_e32 v[148:149], v[122:123], v[144:145]
	s_wait_loadcnt 0x4
	v_fmac_f64_e32 v[148:149], v[124:125], v[146:147]
	scratch_load_b128 v[122:125], off, off offset:424
	ds_load_b128 v[140:143], v2 offset:800
	ds_load_b128 v[144:147], v2 offset:816
	s_wait_dscnt 0x1
	v_fmac_f64_e32 v[148:149], v[126:127], v[140:141]
	scratch_load_b64 v[140:141], off, off offset:440
	s_wait_loadcnt 0x5
	v_fmac_f64_e32 v[148:149], v[128:129], v[142:143]
	s_wait_dscnt 0x0
	s_delay_alu instid0(VALU_DEP_1) | instskip(SKIP_1) | instid1(VALU_DEP_1)
	v_fmac_f64_e32 v[148:149], v[130:131], v[144:145]
	s_wait_loadcnt 0x4
	v_fmac_f64_e32 v[148:149], v[132:133], v[146:147]
	ds_load_b128 v[126:129], v2 offset:832
	ds_load_b128 v[130:133], v2 offset:848
	s_wait_dscnt 0x1
	v_fmac_f64_e32 v[148:149], v[134:135], v[126:127]
	s_wait_loadcnt 0x3
	s_delay_alu instid0(VALU_DEP_1) | instskip(SKIP_1) | instid1(VALU_DEP_1)
	v_fmac_f64_e32 v[148:149], v[136:137], v[128:129]
	s_wait_dscnt 0x0
	v_fmac_f64_e32 v[148:149], v[138:139], v[130:131]
	s_wait_loadcnt 0x2
	s_delay_alu instid0(VALU_DEP_1)
	v_fmac_f64_e32 v[148:149], v[118:119], v[132:133]
	ds_load_b128 v[126:129], v2 offset:864
	ds_load_b128 v[130:133], v2 offset:880
	s_wait_dscnt 0x1
	v_fmac_f64_e32 v[148:149], v[120:121], v[126:127]
	s_wait_loadcnt 0x1
	s_delay_alu instid0(VALU_DEP_1) | instskip(SKIP_1) | instid1(VALU_DEP_1)
	v_fmac_f64_e32 v[148:149], v[122:123], v[128:129]
	s_wait_dscnt 0x0
	v_fmac_f64_e32 v[148:149], v[124:125], v[130:131]
	s_wait_loadcnt 0x0
	s_delay_alu instid0(VALU_DEP_1) | instskip(NEXT) | instid1(VALU_DEP_1)
	v_fmac_f64_e32 v[148:149], v[140:141], v[132:133]
	v_add_f64_e64 v[2:3], v[116:117], -v[148:149]
	scratch_store_b64 off, v[2:3], off offset:312
	s_wait_xcnt 0x0
	v_cmpx_lt_u32_e32 38, v0
	s_cbranch_execz .LBB55_269
; %bb.268:
	scratch_load_b64 v[2:3], off, off offset:304
	v_mov_b64_e32 v[116:117], 0
	scratch_store_b64 off, v[116:117], off offset:304
	s_wait_loadcnt 0x0
	ds_store_b64 v1, v[2:3]
.LBB55_269:
	s_wait_xcnt 0x0
	s_or_b32 exec_lo, exec_lo, s0
	s_wait_storecnt_dscnt 0x0
	s_barrier_signal -1
	s_barrier_wait -1
	s_clause 0x5
	scratch_load_b128 v[116:119], off, off offset:304
	scratch_load_b128 v[120:123], off, off offset:320
	;; [unrolled: 1-line block ×6, first 2 shown]
	v_mov_b32_e32 v2, 0
	ds_load_2addr_b64 v[140:143], v2 offset0:95 offset1:96
	ds_load_2addr_b64 v[144:147], v2 offset0:97 offset1:98
	s_mov_b32 s0, exec_lo
	s_wait_loadcnt_dscnt 0x501
	v_fma_f64 v[148:149], v[118:119], v[140:141], 0
	s_wait_loadcnt 0x4
	s_delay_alu instid0(VALU_DEP_1) | instskip(SKIP_4) | instid1(VALU_DEP_1)
	v_fmac_f64_e32 v[148:149], v[120:121], v[142:143]
	scratch_load_b128 v[118:121], off, off offset:400
	s_wait_dscnt 0x0
	v_fmac_f64_e32 v[148:149], v[122:123], v[144:145]
	s_wait_loadcnt 0x4
	v_fmac_f64_e32 v[148:149], v[124:125], v[146:147]
	scratch_load_b128 v[122:125], off, off offset:416
	ds_load_2addr_b64 v[140:143], v2 offset0:99 offset1:100
	ds_load_2addr_b64 v[144:147], v2 offset0:101 offset1:102
	s_wait_dscnt 0x1
	v_fmac_f64_e32 v[148:149], v[126:127], v[140:141]
	s_wait_loadcnt 0x4
	s_delay_alu instid0(VALU_DEP_1) | instskip(SKIP_4) | instid1(VALU_DEP_1)
	v_fmac_f64_e32 v[148:149], v[128:129], v[142:143]
	scratch_load_b128 v[126:129], off, off offset:432
	s_wait_dscnt 0x0
	v_fmac_f64_e32 v[148:149], v[130:131], v[144:145]
	s_wait_loadcnt 0x4
	v_fmac_f64_e32 v[148:149], v[132:133], v[146:147]
	ds_load_2addr_b64 v[130:133], v2 offset0:103 offset1:104
	ds_load_2addr_b64 v[140:143], v2 offset0:105 offset1:106
	s_wait_dscnt 0x1
	v_fmac_f64_e32 v[148:149], v[134:135], v[130:131]
	s_wait_loadcnt 0x3
	s_delay_alu instid0(VALU_DEP_1)
	v_fmac_f64_e32 v[148:149], v[136:137], v[132:133]
	ds_load_2addr_b64 v[130:133], v2 offset0:107 offset1:108
	ds_load_2addr_b64 v[134:137], v2 offset0:109 offset1:110
	s_wait_dscnt 0x2
	v_fmac_f64_e32 v[148:149], v[138:139], v[140:141]
	s_wait_loadcnt 0x2
	s_delay_alu instid0(VALU_DEP_1) | instskip(SKIP_4) | instid1(VALU_DEP_1)
	v_fmac_f64_e32 v[148:149], v[118:119], v[142:143]
	ds_load_b64 v[118:119], v2 offset:888
	s_wait_dscnt 0x2
	v_fmac_f64_e32 v[148:149], v[120:121], v[130:131]
	s_wait_loadcnt 0x1
	v_fmac_f64_e32 v[148:149], v[122:123], v[132:133]
	s_wait_dscnt 0x1
	s_delay_alu instid0(VALU_DEP_1) | instskip(SKIP_1) | instid1(VALU_DEP_1)
	v_fmac_f64_e32 v[148:149], v[124:125], v[134:135]
	s_wait_loadcnt 0x0
	v_fmac_f64_e32 v[148:149], v[126:127], v[136:137]
	s_wait_dscnt 0x0
	s_delay_alu instid0(VALU_DEP_1) | instskip(NEXT) | instid1(VALU_DEP_1)
	v_fmac_f64_e32 v[148:149], v[128:129], v[118:119]
	v_add_f64_e64 v[116:117], v[116:117], -v[148:149]
	scratch_store_b64 off, v[116:117], off offset:304
	s_wait_xcnt 0x0
	v_cmpx_lt_u32_e32 37, v0
	s_cbranch_execz .LBB55_271
; %bb.270:
	scratch_load_b64 v[116:117], off, off offset:296
	v_mov_b64_e32 v[118:119], 0
	scratch_store_b64 off, v[118:119], off offset:296
	s_wait_loadcnt 0x0
	ds_store_b64 v1, v[116:117]
.LBB55_271:
	s_wait_xcnt 0x0
	s_or_b32 exec_lo, exec_lo, s0
	s_wait_storecnt_dscnt 0x0
	s_barrier_signal -1
	s_barrier_wait -1
	s_clause 0x5
	scratch_load_b128 v[116:119], off, off offset:296
	scratch_load_b128 v[120:123], off, off offset:312
	;; [unrolled: 1-line block ×6, first 2 shown]
	ds_load_b128 v[140:143], v2 offset:752
	ds_load_b128 v[144:147], v2 offset:768
	s_mov_b32 s0, exec_lo
	s_wait_loadcnt_dscnt 0x501
	v_fma_f64 v[148:149], v[118:119], v[140:141], 0
	s_wait_loadcnt 0x4
	s_delay_alu instid0(VALU_DEP_1) | instskip(SKIP_4) | instid1(VALU_DEP_1)
	v_fmac_f64_e32 v[148:149], v[120:121], v[142:143]
	scratch_load_b128 v[118:121], off, off offset:392
	s_wait_dscnt 0x0
	v_fmac_f64_e32 v[148:149], v[122:123], v[144:145]
	s_wait_loadcnt 0x4
	v_fmac_f64_e32 v[148:149], v[124:125], v[146:147]
	scratch_load_b128 v[122:125], off, off offset:408
	ds_load_b128 v[140:143], v2 offset:784
	ds_load_b128 v[144:147], v2 offset:800
	s_wait_dscnt 0x1
	v_fmac_f64_e32 v[148:149], v[126:127], v[140:141]
	s_wait_loadcnt 0x4
	s_delay_alu instid0(VALU_DEP_1)
	v_fmac_f64_e32 v[148:149], v[128:129], v[142:143]
	scratch_load_b128 v[126:129], off, off offset:424
	s_wait_dscnt 0x0
	v_fmac_f64_e32 v[148:149], v[130:131], v[144:145]
	scratch_load_b64 v[144:145], off, off offset:440
	s_wait_loadcnt 0x5
	v_fmac_f64_e32 v[148:149], v[132:133], v[146:147]
	ds_load_b128 v[130:133], v2 offset:816
	ds_load_b128 v[140:143], v2 offset:832
	s_wait_dscnt 0x1
	v_fmac_f64_e32 v[148:149], v[134:135], v[130:131]
	s_wait_loadcnt 0x4
	s_delay_alu instid0(VALU_DEP_1)
	v_fmac_f64_e32 v[148:149], v[136:137], v[132:133]
	ds_load_b128 v[130:133], v2 offset:848
	ds_load_b128 v[134:137], v2 offset:864
	s_wait_dscnt 0x2
	v_fmac_f64_e32 v[148:149], v[138:139], v[140:141]
	s_wait_loadcnt 0x3
	s_delay_alu instid0(VALU_DEP_1) | instskip(SKIP_1) | instid1(VALU_DEP_1)
	v_fmac_f64_e32 v[148:149], v[118:119], v[142:143]
	s_wait_dscnt 0x1
	v_fmac_f64_e32 v[148:149], v[120:121], v[130:131]
	ds_load_b128 v[118:121], v2 offset:880
	s_wait_loadcnt 0x2
	v_fmac_f64_e32 v[148:149], v[122:123], v[132:133]
	s_wait_dscnt 0x1
	s_delay_alu instid0(VALU_DEP_1) | instskip(SKIP_1) | instid1(VALU_DEP_1)
	v_fmac_f64_e32 v[148:149], v[124:125], v[134:135]
	s_wait_loadcnt 0x1
	v_fmac_f64_e32 v[148:149], v[126:127], v[136:137]
	s_wait_dscnt 0x0
	s_delay_alu instid0(VALU_DEP_1) | instskip(SKIP_1) | instid1(VALU_DEP_1)
	v_fmac_f64_e32 v[148:149], v[128:129], v[118:119]
	s_wait_loadcnt 0x0
	v_fmac_f64_e32 v[148:149], v[144:145], v[120:121]
	s_delay_alu instid0(VALU_DEP_1)
	v_add_f64_e64 v[2:3], v[116:117], -v[148:149]
	scratch_store_b64 off, v[2:3], off offset:296
	s_wait_xcnt 0x0
	v_cmpx_lt_u32_e32 36, v0
	s_cbranch_execz .LBB55_273
; %bb.272:
	scratch_load_b64 v[2:3], off, off offset:288
	v_mov_b64_e32 v[116:117], 0
	scratch_store_b64 off, v[116:117], off offset:288
	s_wait_loadcnt 0x0
	ds_store_b64 v1, v[2:3]
.LBB55_273:
	s_wait_xcnt 0x0
	s_or_b32 exec_lo, exec_lo, s0
	s_wait_storecnt_dscnt 0x0
	s_barrier_signal -1
	s_barrier_wait -1
	s_clause 0x5
	scratch_load_b128 v[116:119], off, off offset:288
	scratch_load_b128 v[120:123], off, off offset:304
	;; [unrolled: 1-line block ×6, first 2 shown]
	v_mov_b32_e32 v2, 0
	ds_load_2addr_b64 v[140:143], v2 offset0:93 offset1:94
	ds_load_2addr_b64 v[144:147], v2 offset0:95 offset1:96
	s_mov_b32 s0, exec_lo
	s_wait_loadcnt_dscnt 0x501
	v_fma_f64 v[148:149], v[118:119], v[140:141], 0
	s_wait_loadcnt 0x4
	s_delay_alu instid0(VALU_DEP_1) | instskip(SKIP_4) | instid1(VALU_DEP_1)
	v_fmac_f64_e32 v[148:149], v[120:121], v[142:143]
	scratch_load_b128 v[118:121], off, off offset:384
	s_wait_dscnt 0x0
	v_fmac_f64_e32 v[148:149], v[122:123], v[144:145]
	s_wait_loadcnt 0x4
	v_fmac_f64_e32 v[148:149], v[124:125], v[146:147]
	scratch_load_b128 v[122:125], off, off offset:400
	ds_load_2addr_b64 v[140:143], v2 offset0:97 offset1:98
	ds_load_2addr_b64 v[144:147], v2 offset0:99 offset1:100
	s_wait_dscnt 0x1
	v_fmac_f64_e32 v[148:149], v[126:127], v[140:141]
	s_wait_loadcnt 0x4
	s_delay_alu instid0(VALU_DEP_1) | instskip(SKIP_4) | instid1(VALU_DEP_1)
	v_fmac_f64_e32 v[148:149], v[128:129], v[142:143]
	scratch_load_b128 v[126:129], off, off offset:416
	s_wait_dscnt 0x0
	v_fmac_f64_e32 v[148:149], v[130:131], v[144:145]
	s_wait_loadcnt 0x4
	v_fmac_f64_e32 v[148:149], v[132:133], v[146:147]
	scratch_load_b128 v[130:133], off, off offset:432
	ds_load_2addr_b64 v[140:143], v2 offset0:101 offset1:102
	ds_load_2addr_b64 v[144:147], v2 offset0:103 offset1:104
	s_wait_dscnt 0x1
	v_fmac_f64_e32 v[148:149], v[134:135], v[140:141]
	s_wait_loadcnt 0x4
	s_delay_alu instid0(VALU_DEP_1) | instskip(SKIP_1) | instid1(VALU_DEP_1)
	v_fmac_f64_e32 v[148:149], v[136:137], v[142:143]
	s_wait_dscnt 0x0
	v_fmac_f64_e32 v[148:149], v[138:139], v[144:145]
	ds_load_2addr_b64 v[134:137], v2 offset0:105 offset1:106
	ds_load_2addr_b64 v[138:141], v2 offset0:107 offset1:108
	s_wait_loadcnt 0x3
	v_fmac_f64_e32 v[148:149], v[118:119], v[146:147]
	s_wait_dscnt 0x1
	s_delay_alu instid0(VALU_DEP_1) | instskip(SKIP_1) | instid1(VALU_DEP_1)
	v_fmac_f64_e32 v[148:149], v[120:121], v[134:135]
	s_wait_loadcnt 0x2
	v_fmac_f64_e32 v[148:149], v[122:123], v[136:137]
	ds_load_2addr_b64 v[118:121], v2 offset0:109 offset1:110
	ds_load_b64 v[122:123], v2 offset:888
	s_wait_dscnt 0x2
	v_fmac_f64_e32 v[148:149], v[124:125], v[138:139]
	s_wait_loadcnt 0x1
	s_delay_alu instid0(VALU_DEP_1) | instskip(SKIP_1) | instid1(VALU_DEP_1)
	v_fmac_f64_e32 v[148:149], v[126:127], v[140:141]
	s_wait_dscnt 0x1
	v_fmac_f64_e32 v[148:149], v[128:129], v[118:119]
	s_wait_loadcnt 0x0
	s_delay_alu instid0(VALU_DEP_1) | instskip(SKIP_1) | instid1(VALU_DEP_1)
	v_fmac_f64_e32 v[148:149], v[130:131], v[120:121]
	s_wait_dscnt 0x0
	v_fmac_f64_e32 v[148:149], v[132:133], v[122:123]
	s_delay_alu instid0(VALU_DEP_1)
	v_add_f64_e64 v[116:117], v[116:117], -v[148:149]
	scratch_store_b64 off, v[116:117], off offset:288
	s_wait_xcnt 0x0
	v_cmpx_lt_u32_e32 35, v0
	s_cbranch_execz .LBB55_275
; %bb.274:
	scratch_load_b64 v[116:117], off, off offset:280
	v_mov_b64_e32 v[118:119], 0
	scratch_store_b64 off, v[118:119], off offset:280
	s_wait_loadcnt 0x0
	ds_store_b64 v1, v[116:117]
.LBB55_275:
	s_wait_xcnt 0x0
	s_or_b32 exec_lo, exec_lo, s0
	s_wait_storecnt_dscnt 0x0
	s_barrier_signal -1
	s_barrier_wait -1
	s_clause 0x5
	scratch_load_b128 v[116:119], off, off offset:280
	scratch_load_b128 v[120:123], off, off offset:296
	;; [unrolled: 1-line block ×6, first 2 shown]
	ds_load_b128 v[140:143], v2 offset:736
	ds_load_b128 v[144:147], v2 offset:752
	s_mov_b32 s0, exec_lo
	s_wait_loadcnt_dscnt 0x501
	v_fma_f64 v[148:149], v[118:119], v[140:141], 0
	s_wait_loadcnt 0x4
	s_delay_alu instid0(VALU_DEP_1) | instskip(SKIP_4) | instid1(VALU_DEP_1)
	v_fmac_f64_e32 v[148:149], v[120:121], v[142:143]
	scratch_load_b128 v[118:121], off, off offset:376
	s_wait_dscnt 0x0
	v_fmac_f64_e32 v[148:149], v[122:123], v[144:145]
	s_wait_loadcnt 0x4
	v_fmac_f64_e32 v[148:149], v[124:125], v[146:147]
	scratch_load_b128 v[122:125], off, off offset:392
	ds_load_b128 v[140:143], v2 offset:768
	ds_load_b128 v[144:147], v2 offset:784
	s_wait_dscnt 0x1
	v_fmac_f64_e32 v[148:149], v[126:127], v[140:141]
	s_wait_loadcnt 0x4
	s_delay_alu instid0(VALU_DEP_1) | instskip(SKIP_4) | instid1(VALU_DEP_1)
	v_fmac_f64_e32 v[148:149], v[128:129], v[142:143]
	scratch_load_b128 v[126:129], off, off offset:408
	s_wait_dscnt 0x0
	v_fmac_f64_e32 v[148:149], v[130:131], v[144:145]
	s_wait_loadcnt 0x4
	v_fmac_f64_e32 v[148:149], v[132:133], v[146:147]
	scratch_load_b128 v[130:133], off, off offset:424
	ds_load_b128 v[140:143], v2 offset:800
	ds_load_b128 v[144:147], v2 offset:816
	s_wait_dscnt 0x1
	v_fmac_f64_e32 v[148:149], v[134:135], v[140:141]
	s_wait_loadcnt 0x4
	s_delay_alu instid0(VALU_DEP_1)
	v_fmac_f64_e32 v[148:149], v[136:137], v[142:143]
	scratch_load_b64 v[142:143], off, off offset:440
	s_wait_dscnt 0x0
	v_fmac_f64_e32 v[148:149], v[138:139], v[144:145]
	ds_load_b128 v[134:137], v2 offset:832
	ds_load_b128 v[138:141], v2 offset:848
	s_wait_loadcnt 0x4
	v_fmac_f64_e32 v[148:149], v[118:119], v[146:147]
	s_wait_dscnt 0x1
	s_delay_alu instid0(VALU_DEP_1) | instskip(SKIP_1) | instid1(VALU_DEP_1)
	v_fmac_f64_e32 v[148:149], v[120:121], v[134:135]
	s_wait_loadcnt 0x3
	v_fmac_f64_e32 v[148:149], v[122:123], v[136:137]
	s_wait_dscnt 0x0
	s_delay_alu instid0(VALU_DEP_1)
	v_fmac_f64_e32 v[148:149], v[124:125], v[138:139]
	ds_load_b128 v[118:121], v2 offset:864
	ds_load_b128 v[122:125], v2 offset:880
	s_wait_loadcnt 0x2
	v_fmac_f64_e32 v[148:149], v[126:127], v[140:141]
	s_wait_dscnt 0x1
	s_delay_alu instid0(VALU_DEP_1) | instskip(SKIP_1) | instid1(VALU_DEP_1)
	v_fmac_f64_e32 v[148:149], v[128:129], v[118:119]
	s_wait_loadcnt 0x1
	v_fmac_f64_e32 v[148:149], v[130:131], v[120:121]
	s_wait_dscnt 0x0
	s_delay_alu instid0(VALU_DEP_1) | instskip(SKIP_1) | instid1(VALU_DEP_1)
	v_fmac_f64_e32 v[148:149], v[132:133], v[122:123]
	s_wait_loadcnt 0x0
	v_fmac_f64_e32 v[148:149], v[142:143], v[124:125]
	s_delay_alu instid0(VALU_DEP_1)
	v_add_f64_e64 v[2:3], v[116:117], -v[148:149]
	scratch_store_b64 off, v[2:3], off offset:280
	s_wait_xcnt 0x0
	v_cmpx_lt_u32_e32 34, v0
	s_cbranch_execz .LBB55_277
; %bb.276:
	scratch_load_b64 v[2:3], off, off offset:272
	v_mov_b64_e32 v[116:117], 0
	scratch_store_b64 off, v[116:117], off offset:272
	s_wait_loadcnt 0x0
	ds_store_b64 v1, v[2:3]
.LBB55_277:
	s_wait_xcnt 0x0
	s_or_b32 exec_lo, exec_lo, s0
	s_wait_storecnt_dscnt 0x0
	s_barrier_signal -1
	s_barrier_wait -1
	s_clause 0x5
	scratch_load_b128 v[116:119], off, off offset:272
	scratch_load_b128 v[120:123], off, off offset:288
	;; [unrolled: 1-line block ×6, first 2 shown]
	v_mov_b32_e32 v2, 0
	ds_load_2addr_b64 v[140:143], v2 offset0:91 offset1:92
	ds_load_2addr_b64 v[144:147], v2 offset0:93 offset1:94
	s_mov_b32 s0, exec_lo
	s_wait_loadcnt_dscnt 0x501
	v_fma_f64 v[148:149], v[118:119], v[140:141], 0
	s_wait_loadcnt 0x4
	s_delay_alu instid0(VALU_DEP_1) | instskip(SKIP_4) | instid1(VALU_DEP_1)
	v_fmac_f64_e32 v[148:149], v[120:121], v[142:143]
	scratch_load_b128 v[118:121], off, off offset:368
	s_wait_dscnt 0x0
	v_fmac_f64_e32 v[148:149], v[122:123], v[144:145]
	s_wait_loadcnt 0x4
	v_fmac_f64_e32 v[148:149], v[124:125], v[146:147]
	scratch_load_b128 v[122:125], off, off offset:384
	ds_load_2addr_b64 v[140:143], v2 offset0:95 offset1:96
	ds_load_2addr_b64 v[144:147], v2 offset0:97 offset1:98
	s_wait_dscnt 0x1
	v_fmac_f64_e32 v[148:149], v[126:127], v[140:141]
	s_wait_loadcnt 0x4
	s_delay_alu instid0(VALU_DEP_1) | instskip(SKIP_4) | instid1(VALU_DEP_1)
	v_fmac_f64_e32 v[148:149], v[128:129], v[142:143]
	scratch_load_b128 v[126:129], off, off offset:400
	s_wait_dscnt 0x0
	v_fmac_f64_e32 v[148:149], v[130:131], v[144:145]
	s_wait_loadcnt 0x4
	v_fmac_f64_e32 v[148:149], v[132:133], v[146:147]
	scratch_load_b128 v[130:133], off, off offset:416
	ds_load_2addr_b64 v[140:143], v2 offset0:99 offset1:100
	ds_load_2addr_b64 v[144:147], v2 offset0:101 offset1:102
	s_wait_dscnt 0x1
	v_fmac_f64_e32 v[148:149], v[134:135], v[140:141]
	s_wait_loadcnt 0x4
	s_delay_alu instid0(VALU_DEP_1)
	v_fmac_f64_e32 v[148:149], v[136:137], v[142:143]
	scratch_load_b128 v[134:137], off, off offset:432
	s_wait_dscnt 0x0
	v_fmac_f64_e32 v[148:149], v[138:139], v[144:145]
	ds_load_2addr_b64 v[138:141], v2 offset0:103 offset1:104
	ds_load_2addr_b64 v[142:145], v2 offset0:105 offset1:106
	s_wait_loadcnt 0x4
	v_fmac_f64_e32 v[148:149], v[118:119], v[146:147]
	s_wait_dscnt 0x1
	s_delay_alu instid0(VALU_DEP_1) | instskip(SKIP_1) | instid1(VALU_DEP_1)
	v_fmac_f64_e32 v[148:149], v[120:121], v[138:139]
	s_wait_loadcnt 0x3
	v_fmac_f64_e32 v[148:149], v[122:123], v[140:141]
	s_wait_dscnt 0x0
	s_delay_alu instid0(VALU_DEP_1)
	v_fmac_f64_e32 v[148:149], v[124:125], v[142:143]
	ds_load_2addr_b64 v[118:121], v2 offset0:107 offset1:108
	ds_load_2addr_b64 v[122:125], v2 offset0:109 offset1:110
	s_wait_loadcnt 0x2
	v_fmac_f64_e32 v[148:149], v[126:127], v[144:145]
	s_wait_dscnt 0x1
	s_delay_alu instid0(VALU_DEP_1) | instskip(SKIP_4) | instid1(VALU_DEP_1)
	v_fmac_f64_e32 v[148:149], v[128:129], v[118:119]
	ds_load_b64 v[118:119], v2 offset:888
	s_wait_loadcnt 0x1
	v_fmac_f64_e32 v[148:149], v[130:131], v[120:121]
	s_wait_dscnt 0x1
	v_fmac_f64_e32 v[148:149], v[132:133], v[122:123]
	s_wait_loadcnt 0x0
	s_delay_alu instid0(VALU_DEP_1) | instskip(SKIP_1) | instid1(VALU_DEP_1)
	v_fmac_f64_e32 v[148:149], v[134:135], v[124:125]
	s_wait_dscnt 0x0
	v_fmac_f64_e32 v[148:149], v[136:137], v[118:119]
	s_delay_alu instid0(VALU_DEP_1)
	v_add_f64_e64 v[116:117], v[116:117], -v[148:149]
	scratch_store_b64 off, v[116:117], off offset:272
	s_wait_xcnt 0x0
	v_cmpx_lt_u32_e32 33, v0
	s_cbranch_execz .LBB55_279
; %bb.278:
	scratch_load_b64 v[116:117], off, off offset:264
	v_mov_b64_e32 v[118:119], 0
	scratch_store_b64 off, v[118:119], off offset:264
	s_wait_loadcnt 0x0
	ds_store_b64 v1, v[116:117]
.LBB55_279:
	s_wait_xcnt 0x0
	s_or_b32 exec_lo, exec_lo, s0
	s_wait_storecnt_dscnt 0x0
	s_barrier_signal -1
	s_barrier_wait -1
	s_clause 0x5
	scratch_load_b128 v[116:119], off, off offset:264
	scratch_load_b128 v[120:123], off, off offset:280
	scratch_load_b128 v[124:127], off, off offset:296
	scratch_load_b128 v[128:131], off, off offset:312
	scratch_load_b128 v[132:135], off, off offset:328
	scratch_load_b128 v[136:139], off, off offset:344
	ds_load_b128 v[140:143], v2 offset:720
	ds_load_b128 v[144:147], v2 offset:736
	scratch_load_b128 v[148:151], off, off offset:360
	s_mov_b32 s0, exec_lo
	s_wait_loadcnt_dscnt 0x601
	v_fma_f64 v[152:153], v[118:119], v[140:141], 0
	s_wait_loadcnt 0x5
	s_delay_alu instid0(VALU_DEP_1) | instskip(SKIP_4) | instid1(VALU_DEP_1)
	v_fmac_f64_e32 v[152:153], v[120:121], v[142:143]
	scratch_load_b128 v[118:121], off, off offset:376
	s_wait_dscnt 0x0
	v_fmac_f64_e32 v[152:153], v[122:123], v[144:145]
	s_wait_loadcnt 0x5
	v_fmac_f64_e32 v[152:153], v[124:125], v[146:147]
	ds_load_b128 v[122:125], v2 offset:752
	ds_load_b128 v[140:143], v2 offset:768
	s_wait_dscnt 0x1
	v_fmac_f64_e32 v[152:153], v[126:127], v[122:123]
	s_wait_loadcnt 0x4
	s_delay_alu instid0(VALU_DEP_1)
	v_fmac_f64_e32 v[152:153], v[128:129], v[124:125]
	s_clause 0x1
	scratch_load_b128 v[122:125], off, off offset:392
	scratch_load_b128 v[126:129], off, off offset:408
	s_wait_dscnt 0x0
	v_fmac_f64_e32 v[152:153], v[130:131], v[140:141]
	s_wait_loadcnt 0x5
	s_delay_alu instid0(VALU_DEP_1)
	v_fmac_f64_e32 v[152:153], v[132:133], v[142:143]
	ds_load_b128 v[130:133], v2 offset:784
	ds_load_b128 v[140:143], v2 offset:800
	s_wait_dscnt 0x1
	v_fmac_f64_e32 v[152:153], v[134:135], v[130:131]
	s_wait_loadcnt 0x4
	s_delay_alu instid0(VALU_DEP_1) | instskip(SKIP_4) | instid1(VALU_DEP_1)
	v_fmac_f64_e32 v[152:153], v[136:137], v[132:133]
	scratch_load_b128 v[130:133], off, off offset:424
	s_wait_dscnt 0x0
	v_fmac_f64_e32 v[152:153], v[138:139], v[140:141]
	s_wait_loadcnt 0x4
	v_fmac_f64_e32 v[152:153], v[148:149], v[142:143]
	scratch_load_b64 v[142:143], off, off offset:440
	ds_load_b128 v[134:137], v2 offset:816
	ds_load_b128 v[138:141], v2 offset:832
	s_wait_dscnt 0x1
	v_fmac_f64_e32 v[152:153], v[150:151], v[134:135]
	s_wait_loadcnt 0x4
	s_delay_alu instid0(VALU_DEP_1) | instskip(SKIP_1) | instid1(VALU_DEP_1)
	v_fmac_f64_e32 v[152:153], v[118:119], v[136:137]
	s_wait_dscnt 0x0
	v_fmac_f64_e32 v[152:153], v[120:121], v[138:139]
	ds_load_b128 v[118:121], v2 offset:848
	ds_load_b128 v[134:137], v2 offset:864
	s_wait_loadcnt 0x3
	v_fmac_f64_e32 v[152:153], v[122:123], v[140:141]
	s_wait_dscnt 0x1
	s_delay_alu instid0(VALU_DEP_1) | instskip(SKIP_1) | instid1(VALU_DEP_1)
	v_fmac_f64_e32 v[152:153], v[124:125], v[118:119]
	s_wait_loadcnt 0x2
	v_fmac_f64_e32 v[152:153], v[126:127], v[120:121]
	ds_load_b128 v[118:121], v2 offset:880
	s_wait_dscnt 0x1
	v_fmac_f64_e32 v[152:153], v[128:129], v[134:135]
	s_wait_loadcnt 0x1
	s_delay_alu instid0(VALU_DEP_1) | instskip(SKIP_1) | instid1(VALU_DEP_1)
	v_fmac_f64_e32 v[152:153], v[130:131], v[136:137]
	s_wait_dscnt 0x0
	v_fmac_f64_e32 v[152:153], v[132:133], v[118:119]
	s_wait_loadcnt 0x0
	s_delay_alu instid0(VALU_DEP_1) | instskip(NEXT) | instid1(VALU_DEP_1)
	v_fmac_f64_e32 v[152:153], v[142:143], v[120:121]
	v_add_f64_e64 v[2:3], v[116:117], -v[152:153]
	scratch_store_b64 off, v[2:3], off offset:264
	s_wait_xcnt 0x0
	v_cmpx_lt_u32_e32 32, v0
	s_cbranch_execz .LBB55_281
; %bb.280:
	scratch_load_b64 v[2:3], off, off offset:256
	v_mov_b64_e32 v[116:117], 0
	scratch_store_b64 off, v[116:117], off offset:256
	s_wait_loadcnt 0x0
	ds_store_b64 v1, v[2:3]
.LBB55_281:
	s_wait_xcnt 0x0
	s_or_b32 exec_lo, exec_lo, s0
	s_wait_storecnt_dscnt 0x0
	s_barrier_signal -1
	s_barrier_wait -1
	s_clause 0x5
	scratch_load_b128 v[116:119], off, off offset:256
	scratch_load_b128 v[120:123], off, off offset:272
	;; [unrolled: 1-line block ×6, first 2 shown]
	v_mov_b32_e32 v2, 0
	ds_load_2addr_b64 v[140:143], v2 offset0:89 offset1:90
	ds_load_2addr_b64 v[144:147], v2 offset0:91 offset1:92
	scratch_load_b128 v[148:151], off, off offset:352
	s_mov_b32 s0, exec_lo
	s_wait_loadcnt_dscnt 0x601
	v_fma_f64 v[152:153], v[118:119], v[140:141], 0
	s_wait_loadcnt 0x5
	s_delay_alu instid0(VALU_DEP_1) | instskip(SKIP_4) | instid1(VALU_DEP_1)
	v_fmac_f64_e32 v[152:153], v[120:121], v[142:143]
	scratch_load_b128 v[118:121], off, off offset:368
	s_wait_dscnt 0x0
	v_fmac_f64_e32 v[152:153], v[122:123], v[144:145]
	s_wait_loadcnt 0x5
	v_fmac_f64_e32 v[152:153], v[124:125], v[146:147]
	ds_load_2addr_b64 v[122:125], v2 offset0:93 offset1:94
	ds_load_2addr_b64 v[140:143], v2 offset0:95 offset1:96
	s_wait_dscnt 0x1
	v_fmac_f64_e32 v[152:153], v[126:127], v[122:123]
	s_wait_loadcnt 0x4
	s_delay_alu instid0(VALU_DEP_1)
	v_fmac_f64_e32 v[152:153], v[128:129], v[124:125]
	s_clause 0x1
	scratch_load_b128 v[122:125], off, off offset:384
	scratch_load_b128 v[126:129], off, off offset:400
	s_wait_dscnt 0x0
	v_fmac_f64_e32 v[152:153], v[130:131], v[140:141]
	s_wait_loadcnt 0x5
	s_delay_alu instid0(VALU_DEP_1)
	v_fmac_f64_e32 v[152:153], v[132:133], v[142:143]
	ds_load_2addr_b64 v[130:133], v2 offset0:97 offset1:98
	ds_load_2addr_b64 v[140:143], v2 offset0:99 offset1:100
	s_wait_dscnt 0x1
	v_fmac_f64_e32 v[152:153], v[134:135], v[130:131]
	s_wait_loadcnt 0x4
	s_delay_alu instid0(VALU_DEP_1)
	v_fmac_f64_e32 v[152:153], v[136:137], v[132:133]
	s_clause 0x1
	scratch_load_b128 v[130:133], off, off offset:416
	scratch_load_b128 v[134:137], off, off offset:432
	s_wait_dscnt 0x0
	v_fmac_f64_e32 v[152:153], v[138:139], v[140:141]
	s_wait_loadcnt 0x5
	s_delay_alu instid0(VALU_DEP_1)
	v_fmac_f64_e32 v[152:153], v[148:149], v[142:143]
	ds_load_2addr_b64 v[138:141], v2 offset0:101 offset1:102
	ds_load_2addr_b64 v[142:145], v2 offset0:103 offset1:104
	s_wait_dscnt 0x1
	v_fmac_f64_e32 v[152:153], v[150:151], v[138:139]
	s_wait_loadcnt 0x4
	s_delay_alu instid0(VALU_DEP_1) | instskip(SKIP_1) | instid1(VALU_DEP_1)
	v_fmac_f64_e32 v[152:153], v[118:119], v[140:141]
	s_wait_dscnt 0x0
	v_fmac_f64_e32 v[152:153], v[120:121], v[142:143]
	ds_load_2addr_b64 v[118:121], v2 offset0:105 offset1:106
	ds_load_2addr_b64 v[138:141], v2 offset0:107 offset1:108
	s_wait_loadcnt 0x3
	v_fmac_f64_e32 v[152:153], v[122:123], v[144:145]
	s_wait_dscnt 0x1
	s_delay_alu instid0(VALU_DEP_1) | instskip(SKIP_1) | instid1(VALU_DEP_1)
	v_fmac_f64_e32 v[152:153], v[124:125], v[118:119]
	s_wait_loadcnt 0x2
	v_fmac_f64_e32 v[152:153], v[126:127], v[120:121]
	ds_load_2addr_b64 v[118:121], v2 offset0:109 offset1:110
	ds_load_b64 v[122:123], v2 offset:888
	s_wait_dscnt 0x2
	v_fmac_f64_e32 v[152:153], v[128:129], v[138:139]
	s_wait_loadcnt 0x1
	s_delay_alu instid0(VALU_DEP_1) | instskip(SKIP_1) | instid1(VALU_DEP_1)
	v_fmac_f64_e32 v[152:153], v[130:131], v[140:141]
	s_wait_dscnt 0x1
	v_fmac_f64_e32 v[152:153], v[132:133], v[118:119]
	s_wait_loadcnt 0x0
	s_delay_alu instid0(VALU_DEP_1) | instskip(SKIP_1) | instid1(VALU_DEP_1)
	v_fmac_f64_e32 v[152:153], v[134:135], v[120:121]
	s_wait_dscnt 0x0
	v_fmac_f64_e32 v[152:153], v[136:137], v[122:123]
	s_delay_alu instid0(VALU_DEP_1)
	v_add_f64_e64 v[116:117], v[116:117], -v[152:153]
	scratch_store_b64 off, v[116:117], off offset:256
	s_wait_xcnt 0x0
	v_cmpx_lt_u32_e32 31, v0
	s_cbranch_execz .LBB55_283
; %bb.282:
	scratch_load_b64 v[116:117], off, off offset:248
	v_mov_b64_e32 v[118:119], 0
	scratch_store_b64 off, v[118:119], off offset:248
	s_wait_loadcnt 0x0
	ds_store_b64 v1, v[116:117]
.LBB55_283:
	s_wait_xcnt 0x0
	s_or_b32 exec_lo, exec_lo, s0
	s_wait_storecnt_dscnt 0x0
	s_barrier_signal -1
	s_barrier_wait -1
	s_clause 0x5
	scratch_load_b128 v[116:119], off, off offset:248
	scratch_load_b128 v[120:123], off, off offset:264
	;; [unrolled: 1-line block ×6, first 2 shown]
	ds_load_b128 v[140:143], v2 offset:704
	ds_load_b128 v[144:147], v2 offset:720
	scratch_load_b128 v[148:151], off, off offset:344
	s_mov_b32 s0, exec_lo
	s_wait_loadcnt_dscnt 0x601
	v_fma_f64 v[152:153], v[118:119], v[140:141], 0
	s_wait_loadcnt 0x5
	s_delay_alu instid0(VALU_DEP_1) | instskip(SKIP_4) | instid1(VALU_DEP_1)
	v_fmac_f64_e32 v[152:153], v[120:121], v[142:143]
	scratch_load_b128 v[118:121], off, off offset:360
	s_wait_dscnt 0x0
	v_fmac_f64_e32 v[152:153], v[122:123], v[144:145]
	s_wait_loadcnt 0x5
	v_fmac_f64_e32 v[152:153], v[124:125], v[146:147]
	ds_load_b128 v[122:125], v2 offset:736
	ds_load_b128 v[140:143], v2 offset:752
	s_wait_dscnt 0x1
	v_fmac_f64_e32 v[152:153], v[126:127], v[122:123]
	s_wait_loadcnt 0x4
	s_delay_alu instid0(VALU_DEP_1)
	v_fmac_f64_e32 v[152:153], v[128:129], v[124:125]
	s_clause 0x1
	scratch_load_b128 v[122:125], off, off offset:376
	scratch_load_b128 v[126:129], off, off offset:392
	s_wait_dscnt 0x0
	v_fmac_f64_e32 v[152:153], v[130:131], v[140:141]
	s_wait_loadcnt 0x5
	s_delay_alu instid0(VALU_DEP_1)
	v_fmac_f64_e32 v[152:153], v[132:133], v[142:143]
	ds_load_b128 v[130:133], v2 offset:768
	ds_load_b128 v[140:143], v2 offset:784
	s_wait_dscnt 0x1
	v_fmac_f64_e32 v[152:153], v[134:135], v[130:131]
	s_wait_loadcnt 0x4
	s_delay_alu instid0(VALU_DEP_1)
	v_fmac_f64_e32 v[152:153], v[136:137], v[132:133]
	s_clause 0x1
	scratch_load_b128 v[130:133], off, off offset:408
	scratch_load_b128 v[134:137], off, off offset:424
	s_wait_dscnt 0x0
	v_fmac_f64_e32 v[152:153], v[138:139], v[140:141]
	s_wait_loadcnt 0x5
	s_delay_alu instid0(VALU_DEP_1)
	v_fmac_f64_e32 v[152:153], v[148:149], v[142:143]
	ds_load_b128 v[138:141], v2 offset:800
	ds_load_b128 v[142:145], v2 offset:816
	scratch_load_b64 v[146:147], off, off offset:440
	s_wait_dscnt 0x1
	v_fmac_f64_e32 v[152:153], v[150:151], v[138:139]
	s_wait_loadcnt 0x5
	s_delay_alu instid0(VALU_DEP_1) | instskip(SKIP_1) | instid1(VALU_DEP_1)
	v_fmac_f64_e32 v[152:153], v[118:119], v[140:141]
	s_wait_dscnt 0x0
	v_fmac_f64_e32 v[152:153], v[120:121], v[142:143]
	ds_load_b128 v[118:121], v2 offset:832
	ds_load_b128 v[138:141], v2 offset:848
	s_wait_loadcnt 0x4
	v_fmac_f64_e32 v[152:153], v[122:123], v[144:145]
	s_wait_dscnt 0x1
	s_delay_alu instid0(VALU_DEP_1) | instskip(SKIP_1) | instid1(VALU_DEP_1)
	v_fmac_f64_e32 v[152:153], v[124:125], v[118:119]
	s_wait_loadcnt 0x3
	v_fmac_f64_e32 v[152:153], v[126:127], v[120:121]
	ds_load_b128 v[118:121], v2 offset:864
	ds_load_b128 v[122:125], v2 offset:880
	s_wait_dscnt 0x2
	v_fmac_f64_e32 v[152:153], v[128:129], v[138:139]
	s_wait_loadcnt 0x2
	s_delay_alu instid0(VALU_DEP_1) | instskip(SKIP_1) | instid1(VALU_DEP_1)
	v_fmac_f64_e32 v[152:153], v[130:131], v[140:141]
	s_wait_dscnt 0x1
	v_fmac_f64_e32 v[152:153], v[132:133], v[118:119]
	s_wait_loadcnt 0x1
	s_delay_alu instid0(VALU_DEP_1) | instskip(SKIP_1) | instid1(VALU_DEP_1)
	v_fmac_f64_e32 v[152:153], v[134:135], v[120:121]
	s_wait_dscnt 0x0
	v_fmac_f64_e32 v[152:153], v[136:137], v[122:123]
	s_wait_loadcnt 0x0
	s_delay_alu instid0(VALU_DEP_1) | instskip(NEXT) | instid1(VALU_DEP_1)
	v_fmac_f64_e32 v[152:153], v[146:147], v[124:125]
	v_add_f64_e64 v[2:3], v[116:117], -v[152:153]
	scratch_store_b64 off, v[2:3], off offset:248
	s_wait_xcnt 0x0
	v_cmpx_lt_u32_e32 30, v0
	s_cbranch_execz .LBB55_285
; %bb.284:
	scratch_load_b64 v[2:3], off, off offset:240
	v_mov_b64_e32 v[116:117], 0
	scratch_store_b64 off, v[116:117], off offset:240
	s_wait_loadcnt 0x0
	ds_store_b64 v1, v[2:3]
.LBB55_285:
	s_wait_xcnt 0x0
	s_or_b32 exec_lo, exec_lo, s0
	s_wait_storecnt_dscnt 0x0
	s_barrier_signal -1
	s_barrier_wait -1
	s_clause 0x5
	scratch_load_b128 v[116:119], off, off offset:240
	scratch_load_b128 v[120:123], off, off offset:256
	;; [unrolled: 1-line block ×6, first 2 shown]
	v_mov_b32_e32 v2, 0
	ds_load_2addr_b64 v[140:143], v2 offset0:87 offset1:88
	ds_load_2addr_b64 v[144:147], v2 offset0:89 offset1:90
	scratch_load_b128 v[148:151], off, off offset:336
	s_mov_b32 s0, exec_lo
	s_wait_loadcnt_dscnt 0x601
	v_fma_f64 v[152:153], v[118:119], v[140:141], 0
	s_wait_loadcnt 0x5
	s_delay_alu instid0(VALU_DEP_1) | instskip(SKIP_4) | instid1(VALU_DEP_1)
	v_fmac_f64_e32 v[152:153], v[120:121], v[142:143]
	scratch_load_b128 v[118:121], off, off offset:352
	s_wait_dscnt 0x0
	v_fmac_f64_e32 v[152:153], v[122:123], v[144:145]
	s_wait_loadcnt 0x5
	v_fmac_f64_e32 v[152:153], v[124:125], v[146:147]
	ds_load_2addr_b64 v[122:125], v2 offset0:91 offset1:92
	ds_load_2addr_b64 v[140:143], v2 offset0:93 offset1:94
	s_wait_dscnt 0x1
	v_fmac_f64_e32 v[152:153], v[126:127], v[122:123]
	s_wait_loadcnt 0x4
	s_delay_alu instid0(VALU_DEP_1)
	v_fmac_f64_e32 v[152:153], v[128:129], v[124:125]
	s_clause 0x1
	scratch_load_b128 v[122:125], off, off offset:368
	scratch_load_b128 v[126:129], off, off offset:384
	s_wait_dscnt 0x0
	v_fmac_f64_e32 v[152:153], v[130:131], v[140:141]
	s_wait_loadcnt 0x5
	s_delay_alu instid0(VALU_DEP_1)
	v_fmac_f64_e32 v[152:153], v[132:133], v[142:143]
	ds_load_2addr_b64 v[130:133], v2 offset0:95 offset1:96
	ds_load_2addr_b64 v[140:143], v2 offset0:97 offset1:98
	s_wait_dscnt 0x1
	v_fmac_f64_e32 v[152:153], v[134:135], v[130:131]
	s_wait_loadcnt 0x4
	s_delay_alu instid0(VALU_DEP_1)
	v_fmac_f64_e32 v[152:153], v[136:137], v[132:133]
	s_clause 0x1
	scratch_load_b128 v[130:133], off, off offset:400
	scratch_load_b128 v[134:137], off, off offset:416
	s_wait_dscnt 0x0
	v_fmac_f64_e32 v[152:153], v[138:139], v[140:141]
	s_wait_loadcnt 0x5
	s_delay_alu instid0(VALU_DEP_1)
	v_fmac_f64_e32 v[152:153], v[148:149], v[142:143]
	ds_load_2addr_b64 v[138:141], v2 offset0:99 offset1:100
	ds_load_2addr_b64 v[142:145], v2 offset0:101 offset1:102
	s_wait_dscnt 0x1
	v_fmac_f64_e32 v[152:153], v[150:151], v[138:139]
	s_wait_loadcnt 0x4
	s_delay_alu instid0(VALU_DEP_1) | instskip(SKIP_4) | instid1(VALU_DEP_1)
	v_fmac_f64_e32 v[152:153], v[118:119], v[140:141]
	scratch_load_b128 v[138:141], off, off offset:432
	s_wait_dscnt 0x0
	v_fmac_f64_e32 v[152:153], v[120:121], v[142:143]
	s_wait_loadcnt 0x4
	v_fmac_f64_e32 v[152:153], v[122:123], v[144:145]
	ds_load_2addr_b64 v[118:121], v2 offset0:103 offset1:104
	ds_load_2addr_b64 v[142:145], v2 offset0:105 offset1:106
	s_wait_dscnt 0x1
	v_fmac_f64_e32 v[152:153], v[124:125], v[118:119]
	s_wait_loadcnt 0x3
	s_delay_alu instid0(VALU_DEP_1)
	v_fmac_f64_e32 v[152:153], v[126:127], v[120:121]
	ds_load_2addr_b64 v[118:121], v2 offset0:107 offset1:108
	ds_load_2addr_b64 v[122:125], v2 offset0:109 offset1:110
	s_wait_dscnt 0x2
	v_fmac_f64_e32 v[152:153], v[128:129], v[142:143]
	s_wait_loadcnt 0x2
	s_delay_alu instid0(VALU_DEP_1) | instskip(SKIP_1) | instid1(VALU_DEP_1)
	v_fmac_f64_e32 v[152:153], v[130:131], v[144:145]
	s_wait_dscnt 0x1
	v_fmac_f64_e32 v[152:153], v[132:133], v[118:119]
	ds_load_b64 v[118:119], v2 offset:888
	s_wait_loadcnt 0x1
	v_fmac_f64_e32 v[152:153], v[134:135], v[120:121]
	s_wait_dscnt 0x1
	s_delay_alu instid0(VALU_DEP_1) | instskip(SKIP_1) | instid1(VALU_DEP_1)
	v_fmac_f64_e32 v[152:153], v[136:137], v[122:123]
	s_wait_loadcnt 0x0
	v_fmac_f64_e32 v[152:153], v[138:139], v[124:125]
	s_wait_dscnt 0x0
	s_delay_alu instid0(VALU_DEP_1) | instskip(NEXT) | instid1(VALU_DEP_1)
	v_fmac_f64_e32 v[152:153], v[140:141], v[118:119]
	v_add_f64_e64 v[116:117], v[116:117], -v[152:153]
	scratch_store_b64 off, v[116:117], off offset:240
	s_wait_xcnt 0x0
	v_cmpx_lt_u32_e32 29, v0
	s_cbranch_execz .LBB55_287
; %bb.286:
	scratch_load_b64 v[116:117], off, off offset:232
	v_mov_b64_e32 v[118:119], 0
	scratch_store_b64 off, v[118:119], off offset:232
	s_wait_loadcnt 0x0
	ds_store_b64 v1, v[116:117]
.LBB55_287:
	s_wait_xcnt 0x0
	s_or_b32 exec_lo, exec_lo, s0
	s_wait_storecnt_dscnt 0x0
	s_barrier_signal -1
	s_barrier_wait -1
	s_clause 0x5
	scratch_load_b128 v[116:119], off, off offset:232
	scratch_load_b128 v[120:123], off, off offset:248
	;; [unrolled: 1-line block ×6, first 2 shown]
	ds_load_b128 v[140:143], v2 offset:688
	ds_load_b128 v[144:147], v2 offset:704
	scratch_load_b128 v[148:151], off, off offset:328
	s_mov_b32 s0, exec_lo
	s_wait_loadcnt_dscnt 0x601
	v_fma_f64 v[152:153], v[118:119], v[140:141], 0
	s_wait_loadcnt 0x5
	s_delay_alu instid0(VALU_DEP_1) | instskip(SKIP_4) | instid1(VALU_DEP_1)
	v_fmac_f64_e32 v[152:153], v[120:121], v[142:143]
	scratch_load_b128 v[118:121], off, off offset:344
	s_wait_dscnt 0x0
	v_fmac_f64_e32 v[152:153], v[122:123], v[144:145]
	s_wait_loadcnt 0x5
	v_fmac_f64_e32 v[152:153], v[124:125], v[146:147]
	ds_load_b128 v[122:125], v2 offset:720
	ds_load_b128 v[140:143], v2 offset:736
	scratch_load_b128 v[144:147], off, off offset:360
	s_wait_dscnt 0x1
	v_fmac_f64_e32 v[152:153], v[126:127], v[122:123]
	s_wait_loadcnt 0x5
	s_delay_alu instid0(VALU_DEP_1) | instskip(SKIP_4) | instid1(VALU_DEP_1)
	v_fmac_f64_e32 v[152:153], v[128:129], v[124:125]
	scratch_load_b128 v[122:125], off, off offset:376
	s_wait_dscnt 0x0
	v_fmac_f64_e32 v[152:153], v[130:131], v[140:141]
	s_wait_loadcnt 0x5
	v_fmac_f64_e32 v[152:153], v[132:133], v[142:143]
	ds_load_b128 v[126:129], v2 offset:752
	ds_load_b128 v[130:133], v2 offset:768
	s_wait_dscnt 0x1
	v_fmac_f64_e32 v[152:153], v[134:135], v[126:127]
	s_wait_loadcnt 0x4
	s_delay_alu instid0(VALU_DEP_1) | instskip(SKIP_4) | instid1(VALU_DEP_1)
	v_fmac_f64_e32 v[152:153], v[136:137], v[128:129]
	scratch_load_b128 v[126:129], off, off offset:392
	s_wait_dscnt 0x0
	v_fmac_f64_e32 v[152:153], v[138:139], v[130:131]
	s_wait_loadcnt 0x4
	v_fmac_f64_e32 v[152:153], v[148:149], v[132:133]
	scratch_load_b128 v[130:133], off, off offset:408
	ds_load_b128 v[134:137], v2 offset:784
	ds_load_b128 v[138:141], v2 offset:800
	scratch_load_b64 v[142:143], off, off offset:440
	s_wait_dscnt 0x1
	v_fmac_f64_e32 v[152:153], v[150:151], v[134:135]
	s_wait_loadcnt 0x5
	s_delay_alu instid0(VALU_DEP_1) | instskip(SKIP_4) | instid1(VALU_DEP_1)
	v_fmac_f64_e32 v[152:153], v[118:119], v[136:137]
	scratch_load_b128 v[134:137], off, off offset:424
	s_wait_dscnt 0x0
	v_fmac_f64_e32 v[152:153], v[120:121], v[138:139]
	s_wait_loadcnt 0x5
	v_fmac_f64_e32 v[152:153], v[144:145], v[140:141]
	ds_load_b128 v[118:121], v2 offset:816
	ds_load_b128 v[138:141], v2 offset:832
	s_wait_dscnt 0x1
	v_fmac_f64_e32 v[152:153], v[146:147], v[118:119]
	s_wait_loadcnt 0x4
	s_delay_alu instid0(VALU_DEP_1) | instskip(SKIP_1) | instid1(VALU_DEP_1)
	v_fmac_f64_e32 v[152:153], v[122:123], v[120:121]
	s_wait_dscnt 0x0
	v_fmac_f64_e32 v[152:153], v[124:125], v[138:139]
	ds_load_b128 v[118:121], v2 offset:848
	ds_load_b128 v[122:125], v2 offset:864
	s_wait_loadcnt 0x3
	v_fmac_f64_e32 v[152:153], v[126:127], v[140:141]
	s_wait_dscnt 0x1
	s_delay_alu instid0(VALU_DEP_1) | instskip(SKIP_1) | instid1(VALU_DEP_1)
	v_fmac_f64_e32 v[152:153], v[128:129], v[118:119]
	s_wait_loadcnt 0x2
	v_fmac_f64_e32 v[152:153], v[130:131], v[120:121]
	ds_load_b128 v[118:121], v2 offset:880
	s_wait_dscnt 0x1
	v_fmac_f64_e32 v[152:153], v[132:133], v[122:123]
	s_wait_loadcnt 0x0
	s_delay_alu instid0(VALU_DEP_1) | instskip(SKIP_1) | instid1(VALU_DEP_1)
	v_fmac_f64_e32 v[152:153], v[134:135], v[124:125]
	s_wait_dscnt 0x0
	v_fmac_f64_e32 v[152:153], v[136:137], v[118:119]
	s_delay_alu instid0(VALU_DEP_1) | instskip(NEXT) | instid1(VALU_DEP_1)
	v_fmac_f64_e32 v[152:153], v[142:143], v[120:121]
	v_add_f64_e64 v[2:3], v[116:117], -v[152:153]
	scratch_store_b64 off, v[2:3], off offset:232
	s_wait_xcnt 0x0
	v_cmpx_lt_u32_e32 28, v0
	s_cbranch_execz .LBB55_289
; %bb.288:
	scratch_load_b64 v[2:3], off, off offset:224
	v_mov_b64_e32 v[116:117], 0
	scratch_store_b64 off, v[116:117], off offset:224
	s_wait_loadcnt 0x0
	ds_store_b64 v1, v[2:3]
.LBB55_289:
	s_wait_xcnt 0x0
	s_or_b32 exec_lo, exec_lo, s0
	s_wait_storecnt_dscnt 0x0
	s_barrier_signal -1
	s_barrier_wait -1
	s_clause 0x5
	scratch_load_b128 v[116:119], off, off offset:224
	scratch_load_b128 v[120:123], off, off offset:240
	;; [unrolled: 1-line block ×6, first 2 shown]
	v_mov_b32_e32 v2, 0
	ds_load_2addr_b64 v[140:143], v2 offset0:85 offset1:86
	ds_load_2addr_b64 v[144:147], v2 offset0:87 offset1:88
	scratch_load_b128 v[148:151], off, off offset:320
	s_mov_b32 s0, exec_lo
	s_wait_loadcnt_dscnt 0x601
	v_fma_f64 v[152:153], v[118:119], v[140:141], 0
	s_wait_loadcnt 0x5
	s_delay_alu instid0(VALU_DEP_1) | instskip(SKIP_4) | instid1(VALU_DEP_1)
	v_fmac_f64_e32 v[152:153], v[120:121], v[142:143]
	scratch_load_b128 v[118:121], off, off offset:336
	s_wait_dscnt 0x0
	v_fmac_f64_e32 v[152:153], v[122:123], v[144:145]
	s_wait_loadcnt 0x5
	v_fmac_f64_e32 v[152:153], v[124:125], v[146:147]
	ds_load_2addr_b64 v[122:125], v2 offset0:89 offset1:90
	ds_load_2addr_b64 v[140:143], v2 offset0:91 offset1:92
	scratch_load_b128 v[144:147], off, off offset:352
	s_wait_dscnt 0x1
	v_fmac_f64_e32 v[152:153], v[126:127], v[122:123]
	s_wait_loadcnt 0x5
	s_delay_alu instid0(VALU_DEP_1) | instskip(SKIP_4) | instid1(VALU_DEP_1)
	v_fmac_f64_e32 v[152:153], v[128:129], v[124:125]
	scratch_load_b128 v[122:125], off, off offset:368
	s_wait_dscnt 0x0
	v_fmac_f64_e32 v[152:153], v[130:131], v[140:141]
	s_wait_loadcnt 0x5
	v_fmac_f64_e32 v[152:153], v[132:133], v[142:143]
	ds_load_2addr_b64 v[126:129], v2 offset0:93 offset1:94
	ds_load_2addr_b64 v[130:133], v2 offset0:95 offset1:96
	s_wait_dscnt 0x1
	v_fmac_f64_e32 v[152:153], v[134:135], v[126:127]
	s_wait_loadcnt 0x4
	s_delay_alu instid0(VALU_DEP_1) | instskip(SKIP_4) | instid1(VALU_DEP_1)
	v_fmac_f64_e32 v[152:153], v[136:137], v[128:129]
	scratch_load_b128 v[126:129], off, off offset:384
	s_wait_dscnt 0x0
	v_fmac_f64_e32 v[152:153], v[138:139], v[130:131]
	s_wait_loadcnt 0x4
	v_fmac_f64_e32 v[152:153], v[148:149], v[132:133]
	scratch_load_b128 v[130:133], off, off offset:400
	ds_load_2addr_b64 v[134:137], v2 offset0:97 offset1:98
	ds_load_2addr_b64 v[138:141], v2 offset0:99 offset1:100
	s_wait_dscnt 0x1
	v_fmac_f64_e32 v[152:153], v[150:151], v[134:135]
	s_wait_loadcnt 0x4
	s_delay_alu instid0(VALU_DEP_1)
	v_fmac_f64_e32 v[152:153], v[118:119], v[136:137]
	scratch_load_b128 v[134:137], off, off offset:416
	s_wait_dscnt 0x0
	v_fmac_f64_e32 v[152:153], v[120:121], v[138:139]
	scratch_load_b128 v[118:121], off, off offset:432
	s_wait_loadcnt 0x5
	v_fmac_f64_e32 v[152:153], v[144:145], v[140:141]
	ds_load_2addr_b64 v[138:141], v2 offset0:101 offset1:102
	ds_load_2addr_b64 v[142:145], v2 offset0:103 offset1:104
	s_wait_dscnt 0x1
	v_fmac_f64_e32 v[152:153], v[146:147], v[138:139]
	s_wait_loadcnt 0x4
	s_delay_alu instid0(VALU_DEP_1) | instskip(SKIP_1) | instid1(VALU_DEP_1)
	v_fmac_f64_e32 v[152:153], v[122:123], v[140:141]
	s_wait_dscnt 0x0
	v_fmac_f64_e32 v[152:153], v[124:125], v[142:143]
	ds_load_2addr_b64 v[122:125], v2 offset0:105 offset1:106
	ds_load_2addr_b64 v[138:141], v2 offset0:107 offset1:108
	s_wait_loadcnt 0x3
	v_fmac_f64_e32 v[152:153], v[126:127], v[144:145]
	s_wait_dscnt 0x1
	s_delay_alu instid0(VALU_DEP_1) | instskip(SKIP_1) | instid1(VALU_DEP_1)
	v_fmac_f64_e32 v[152:153], v[128:129], v[122:123]
	s_wait_loadcnt 0x2
	v_fmac_f64_e32 v[152:153], v[130:131], v[124:125]
	ds_load_2addr_b64 v[122:125], v2 offset0:109 offset1:110
	ds_load_b64 v[126:127], v2 offset:888
	s_wait_dscnt 0x2
	v_fmac_f64_e32 v[152:153], v[132:133], v[138:139]
	s_wait_loadcnt 0x1
	s_delay_alu instid0(VALU_DEP_1) | instskip(SKIP_1) | instid1(VALU_DEP_1)
	v_fmac_f64_e32 v[152:153], v[134:135], v[140:141]
	s_wait_dscnt 0x1
	v_fmac_f64_e32 v[152:153], v[136:137], v[122:123]
	s_wait_loadcnt 0x0
	s_delay_alu instid0(VALU_DEP_1) | instskip(SKIP_1) | instid1(VALU_DEP_1)
	v_fmac_f64_e32 v[152:153], v[118:119], v[124:125]
	s_wait_dscnt 0x0
	v_fmac_f64_e32 v[152:153], v[120:121], v[126:127]
	s_delay_alu instid0(VALU_DEP_1)
	v_add_f64_e64 v[116:117], v[116:117], -v[152:153]
	scratch_store_b64 off, v[116:117], off offset:224
	s_wait_xcnt 0x0
	v_cmpx_lt_u32_e32 27, v0
	s_cbranch_execz .LBB55_291
; %bb.290:
	scratch_load_b64 v[116:117], off, off offset:216
	v_mov_b64_e32 v[118:119], 0
	scratch_store_b64 off, v[118:119], off offset:216
	s_wait_loadcnt 0x0
	ds_store_b64 v1, v[116:117]
.LBB55_291:
	s_wait_xcnt 0x0
	s_or_b32 exec_lo, exec_lo, s0
	s_wait_storecnt_dscnt 0x0
	s_barrier_signal -1
	s_barrier_wait -1
	s_clause 0x5
	scratch_load_b128 v[116:119], off, off offset:216
	scratch_load_b128 v[120:123], off, off offset:232
	;; [unrolled: 1-line block ×6, first 2 shown]
	ds_load_b128 v[140:143], v2 offset:672
	ds_load_b128 v[144:147], v2 offset:688
	scratch_load_b128 v[148:151], off, off offset:312
	s_mov_b32 s0, exec_lo
	s_wait_loadcnt_dscnt 0x601
	v_fma_f64 v[152:153], v[118:119], v[140:141], 0
	s_wait_loadcnt 0x5
	s_delay_alu instid0(VALU_DEP_1) | instskip(SKIP_4) | instid1(VALU_DEP_1)
	v_fmac_f64_e32 v[152:153], v[120:121], v[142:143]
	scratch_load_b128 v[118:121], off, off offset:328
	s_wait_dscnt 0x0
	v_fmac_f64_e32 v[152:153], v[122:123], v[144:145]
	s_wait_loadcnt 0x5
	v_fmac_f64_e32 v[152:153], v[124:125], v[146:147]
	ds_load_b128 v[122:125], v2 offset:704
	ds_load_b128 v[140:143], v2 offset:720
	scratch_load_b128 v[144:147], off, off offset:344
	s_wait_dscnt 0x1
	v_fmac_f64_e32 v[152:153], v[126:127], v[122:123]
	s_wait_loadcnt 0x5
	s_delay_alu instid0(VALU_DEP_1) | instskip(SKIP_4) | instid1(VALU_DEP_1)
	v_fmac_f64_e32 v[152:153], v[128:129], v[124:125]
	scratch_load_b128 v[122:125], off, off offset:360
	s_wait_dscnt 0x0
	v_fmac_f64_e32 v[152:153], v[130:131], v[140:141]
	s_wait_loadcnt 0x5
	v_fmac_f64_e32 v[152:153], v[132:133], v[142:143]
	ds_load_b128 v[126:129], v2 offset:736
	ds_load_b128 v[130:133], v2 offset:752
	s_wait_dscnt 0x1
	v_fmac_f64_e32 v[152:153], v[134:135], v[126:127]
	s_wait_loadcnt 0x4
	s_delay_alu instid0(VALU_DEP_1) | instskip(SKIP_4) | instid1(VALU_DEP_1)
	v_fmac_f64_e32 v[152:153], v[136:137], v[128:129]
	scratch_load_b128 v[126:129], off, off offset:376
	s_wait_dscnt 0x0
	v_fmac_f64_e32 v[152:153], v[138:139], v[130:131]
	s_wait_loadcnt 0x4
	v_fmac_f64_e32 v[152:153], v[148:149], v[132:133]
	scratch_load_b128 v[130:133], off, off offset:392
	ds_load_b128 v[134:137], v2 offset:768
	ds_load_b128 v[138:141], v2 offset:784
	s_wait_dscnt 0x1
	v_fmac_f64_e32 v[152:153], v[150:151], v[134:135]
	s_wait_loadcnt 0x4
	s_delay_alu instid0(VALU_DEP_1)
	v_fmac_f64_e32 v[152:153], v[118:119], v[136:137]
	scratch_load_b128 v[134:137], off, off offset:408
	s_wait_dscnt 0x0
	v_fmac_f64_e32 v[152:153], v[120:121], v[138:139]
	scratch_load_b128 v[118:121], off, off offset:424
	s_wait_loadcnt 0x5
	v_fmac_f64_e32 v[152:153], v[144:145], v[140:141]
	ds_load_b128 v[138:141], v2 offset:800
	ds_load_b128 v[142:145], v2 offset:816
	s_wait_dscnt 0x1
	v_fmac_f64_e32 v[152:153], v[146:147], v[138:139]
	scratch_load_b64 v[146:147], off, off offset:440
	s_wait_loadcnt 0x5
	v_fmac_f64_e32 v[152:153], v[122:123], v[140:141]
	s_wait_dscnt 0x0
	s_delay_alu instid0(VALU_DEP_1)
	v_fmac_f64_e32 v[152:153], v[124:125], v[142:143]
	ds_load_b128 v[122:125], v2 offset:832
	ds_load_b128 v[138:141], v2 offset:848
	s_wait_loadcnt 0x4
	v_fmac_f64_e32 v[152:153], v[126:127], v[144:145]
	s_wait_dscnt 0x1
	s_delay_alu instid0(VALU_DEP_1) | instskip(SKIP_1) | instid1(VALU_DEP_1)
	v_fmac_f64_e32 v[152:153], v[128:129], v[122:123]
	s_wait_loadcnt 0x3
	v_fmac_f64_e32 v[152:153], v[130:131], v[124:125]
	ds_load_b128 v[122:125], v2 offset:864
	ds_load_b128 v[126:129], v2 offset:880
	s_wait_dscnt 0x2
	v_fmac_f64_e32 v[152:153], v[132:133], v[138:139]
	s_wait_loadcnt 0x2
	s_delay_alu instid0(VALU_DEP_1) | instskip(SKIP_1) | instid1(VALU_DEP_1)
	v_fmac_f64_e32 v[152:153], v[134:135], v[140:141]
	s_wait_dscnt 0x1
	v_fmac_f64_e32 v[152:153], v[136:137], v[122:123]
	s_wait_loadcnt 0x1
	s_delay_alu instid0(VALU_DEP_1) | instskip(SKIP_1) | instid1(VALU_DEP_1)
	v_fmac_f64_e32 v[152:153], v[118:119], v[124:125]
	s_wait_dscnt 0x0
	v_fmac_f64_e32 v[152:153], v[120:121], v[126:127]
	s_wait_loadcnt 0x0
	s_delay_alu instid0(VALU_DEP_1) | instskip(NEXT) | instid1(VALU_DEP_1)
	v_fmac_f64_e32 v[152:153], v[146:147], v[128:129]
	v_add_f64_e64 v[2:3], v[116:117], -v[152:153]
	scratch_store_b64 off, v[2:3], off offset:216
	s_wait_xcnt 0x0
	v_cmpx_lt_u32_e32 26, v0
	s_cbranch_execz .LBB55_293
; %bb.292:
	scratch_load_b64 v[2:3], off, off offset:208
	v_mov_b64_e32 v[116:117], 0
	scratch_store_b64 off, v[116:117], off offset:208
	s_wait_loadcnt 0x0
	ds_store_b64 v1, v[2:3]
.LBB55_293:
	s_wait_xcnt 0x0
	s_or_b32 exec_lo, exec_lo, s0
	s_wait_storecnt_dscnt 0x0
	s_barrier_signal -1
	s_barrier_wait -1
	s_clause 0x5
	scratch_load_b128 v[116:119], off, off offset:208
	scratch_load_b128 v[120:123], off, off offset:224
	;; [unrolled: 1-line block ×6, first 2 shown]
	v_mov_b32_e32 v2, 0
	ds_load_2addr_b64 v[140:143], v2 offset0:83 offset1:84
	ds_load_2addr_b64 v[144:147], v2 offset0:85 offset1:86
	scratch_load_b128 v[148:151], off, off offset:304
	s_mov_b32 s0, exec_lo
	s_wait_loadcnt_dscnt 0x601
	v_fma_f64 v[152:153], v[118:119], v[140:141], 0
	s_wait_loadcnt 0x5
	s_delay_alu instid0(VALU_DEP_1) | instskip(SKIP_4) | instid1(VALU_DEP_1)
	v_fmac_f64_e32 v[152:153], v[120:121], v[142:143]
	scratch_load_b128 v[118:121], off, off offset:320
	s_wait_dscnt 0x0
	v_fmac_f64_e32 v[152:153], v[122:123], v[144:145]
	s_wait_loadcnt 0x5
	v_fmac_f64_e32 v[152:153], v[124:125], v[146:147]
	ds_load_2addr_b64 v[122:125], v2 offset0:87 offset1:88
	ds_load_2addr_b64 v[140:143], v2 offset0:89 offset1:90
	scratch_load_b128 v[144:147], off, off offset:336
	s_wait_dscnt 0x1
	v_fmac_f64_e32 v[152:153], v[126:127], v[122:123]
	s_wait_loadcnt 0x5
	s_delay_alu instid0(VALU_DEP_1) | instskip(SKIP_4) | instid1(VALU_DEP_1)
	v_fmac_f64_e32 v[152:153], v[128:129], v[124:125]
	scratch_load_b128 v[122:125], off, off offset:352
	s_wait_dscnt 0x0
	v_fmac_f64_e32 v[152:153], v[130:131], v[140:141]
	s_wait_loadcnt 0x5
	v_fmac_f64_e32 v[152:153], v[132:133], v[142:143]
	ds_load_2addr_b64 v[126:129], v2 offset0:91 offset1:92
	ds_load_2addr_b64 v[130:133], v2 offset0:93 offset1:94
	s_wait_dscnt 0x1
	v_fmac_f64_e32 v[152:153], v[134:135], v[126:127]
	s_wait_loadcnt 0x4
	s_delay_alu instid0(VALU_DEP_1) | instskip(SKIP_4) | instid1(VALU_DEP_1)
	v_fmac_f64_e32 v[152:153], v[136:137], v[128:129]
	scratch_load_b128 v[126:129], off, off offset:368
	s_wait_dscnt 0x0
	v_fmac_f64_e32 v[152:153], v[138:139], v[130:131]
	s_wait_loadcnt 0x4
	v_fmac_f64_e32 v[152:153], v[148:149], v[132:133]
	scratch_load_b128 v[130:133], off, off offset:384
	ds_load_2addr_b64 v[134:137], v2 offset0:95 offset1:96
	ds_load_2addr_b64 v[138:141], v2 offset0:97 offset1:98
	s_wait_dscnt 0x1
	v_fmac_f64_e32 v[152:153], v[150:151], v[134:135]
	s_wait_loadcnt 0x4
	s_delay_alu instid0(VALU_DEP_1)
	v_fmac_f64_e32 v[152:153], v[118:119], v[136:137]
	scratch_load_b128 v[134:137], off, off offset:400
	s_wait_dscnt 0x0
	v_fmac_f64_e32 v[152:153], v[120:121], v[138:139]
	scratch_load_b128 v[118:121], off, off offset:416
	s_wait_loadcnt 0x5
	v_fmac_f64_e32 v[152:153], v[144:145], v[140:141]
	ds_load_2addr_b64 v[138:141], v2 offset0:99 offset1:100
	ds_load_2addr_b64 v[142:145], v2 offset0:101 offset1:102
	s_wait_dscnt 0x1
	v_fmac_f64_e32 v[152:153], v[146:147], v[138:139]
	s_wait_loadcnt 0x4
	s_delay_alu instid0(VALU_DEP_1) | instskip(SKIP_4) | instid1(VALU_DEP_1)
	v_fmac_f64_e32 v[152:153], v[122:123], v[140:141]
	scratch_load_b128 v[138:141], off, off offset:432
	s_wait_dscnt 0x0
	v_fmac_f64_e32 v[152:153], v[124:125], v[142:143]
	s_wait_loadcnt 0x4
	v_fmac_f64_e32 v[152:153], v[126:127], v[144:145]
	ds_load_2addr_b64 v[122:125], v2 offset0:103 offset1:104
	ds_load_2addr_b64 v[142:145], v2 offset0:105 offset1:106
	s_wait_dscnt 0x1
	v_fmac_f64_e32 v[152:153], v[128:129], v[122:123]
	s_wait_loadcnt 0x3
	s_delay_alu instid0(VALU_DEP_1)
	v_fmac_f64_e32 v[152:153], v[130:131], v[124:125]
	ds_load_2addr_b64 v[122:125], v2 offset0:107 offset1:108
	ds_load_2addr_b64 v[126:129], v2 offset0:109 offset1:110
	s_wait_dscnt 0x2
	v_fmac_f64_e32 v[152:153], v[132:133], v[142:143]
	s_wait_loadcnt 0x2
	s_delay_alu instid0(VALU_DEP_1) | instskip(SKIP_1) | instid1(VALU_DEP_1)
	v_fmac_f64_e32 v[152:153], v[134:135], v[144:145]
	s_wait_dscnt 0x1
	v_fmac_f64_e32 v[152:153], v[136:137], v[122:123]
	s_wait_loadcnt 0x1
	s_delay_alu instid0(VALU_DEP_1) | instskip(SKIP_4) | instid1(VALU_DEP_1)
	v_fmac_f64_e32 v[152:153], v[118:119], v[124:125]
	ds_load_b64 v[118:119], v2 offset:888
	s_wait_dscnt 0x1
	v_fmac_f64_e32 v[152:153], v[120:121], v[126:127]
	s_wait_loadcnt 0x0
	v_fmac_f64_e32 v[152:153], v[138:139], v[128:129]
	s_wait_dscnt 0x0
	s_delay_alu instid0(VALU_DEP_1) | instskip(NEXT) | instid1(VALU_DEP_1)
	v_fmac_f64_e32 v[152:153], v[140:141], v[118:119]
	v_add_f64_e64 v[116:117], v[116:117], -v[152:153]
	scratch_store_b64 off, v[116:117], off offset:208
	s_wait_xcnt 0x0
	v_cmpx_lt_u32_e32 25, v0
	s_cbranch_execz .LBB55_295
; %bb.294:
	scratch_load_b64 v[116:117], off, off offset:200
	v_mov_b64_e32 v[118:119], 0
	scratch_store_b64 off, v[118:119], off offset:200
	s_wait_loadcnt 0x0
	ds_store_b64 v1, v[116:117]
.LBB55_295:
	s_wait_xcnt 0x0
	s_or_b32 exec_lo, exec_lo, s0
	s_wait_storecnt_dscnt 0x0
	s_barrier_signal -1
	s_barrier_wait -1
	s_clause 0x5
	scratch_load_b128 v[116:119], off, off offset:200
	scratch_load_b128 v[120:123], off, off offset:216
	;; [unrolled: 1-line block ×6, first 2 shown]
	ds_load_b128 v[140:143], v2 offset:656
	ds_load_b128 v[144:147], v2 offset:672
	scratch_load_b128 v[148:151], off, off offset:296
	s_mov_b32 s0, exec_lo
	s_wait_loadcnt_dscnt 0x601
	v_fma_f64 v[152:153], v[118:119], v[140:141], 0
	s_wait_loadcnt 0x5
	s_delay_alu instid0(VALU_DEP_1) | instskip(SKIP_4) | instid1(VALU_DEP_1)
	v_fmac_f64_e32 v[152:153], v[120:121], v[142:143]
	scratch_load_b128 v[118:121], off, off offset:312
	s_wait_dscnt 0x0
	v_fmac_f64_e32 v[152:153], v[122:123], v[144:145]
	s_wait_loadcnt 0x5
	v_fmac_f64_e32 v[152:153], v[124:125], v[146:147]
	ds_load_b128 v[122:125], v2 offset:688
	ds_load_b128 v[140:143], v2 offset:704
	scratch_load_b128 v[144:147], off, off offset:328
	s_wait_dscnt 0x1
	v_fmac_f64_e32 v[152:153], v[126:127], v[122:123]
	s_wait_loadcnt 0x5
	s_delay_alu instid0(VALU_DEP_1) | instskip(SKIP_4) | instid1(VALU_DEP_1)
	v_fmac_f64_e32 v[152:153], v[128:129], v[124:125]
	scratch_load_b128 v[122:125], off, off offset:344
	s_wait_dscnt 0x0
	v_fmac_f64_e32 v[152:153], v[130:131], v[140:141]
	s_wait_loadcnt 0x5
	v_fmac_f64_e32 v[152:153], v[132:133], v[142:143]
	ds_load_b128 v[126:129], v2 offset:720
	ds_load_b128 v[130:133], v2 offset:736
	scratch_load_b128 v[140:143], off, off offset:360
	s_wait_dscnt 0x1
	v_fmac_f64_e32 v[152:153], v[134:135], v[126:127]
	s_wait_loadcnt 0x5
	s_delay_alu instid0(VALU_DEP_1) | instskip(SKIP_4) | instid1(VALU_DEP_1)
	v_fmac_f64_e32 v[152:153], v[136:137], v[128:129]
	scratch_load_b128 v[126:129], off, off offset:376
	s_wait_dscnt 0x0
	v_fmac_f64_e32 v[152:153], v[138:139], v[130:131]
	s_wait_loadcnt 0x5
	v_fmac_f64_e32 v[152:153], v[148:149], v[132:133]
	ds_load_b128 v[130:133], v2 offset:752
	ds_load_b128 v[134:137], v2 offset:768
	s_wait_dscnt 0x1
	v_fmac_f64_e32 v[152:153], v[150:151], v[130:131]
	s_wait_loadcnt 0x4
	s_delay_alu instid0(VALU_DEP_1)
	v_fmac_f64_e32 v[152:153], v[118:119], v[132:133]
	scratch_load_b128 v[130:133], off, off offset:392
	s_wait_dscnt 0x0
	v_fmac_f64_e32 v[152:153], v[120:121], v[134:135]
	scratch_load_b128 v[118:121], off, off offset:408
	s_wait_loadcnt 0x5
	v_fmac_f64_e32 v[152:153], v[144:145], v[136:137]
	ds_load_b128 v[134:137], v2 offset:784
	ds_load_b128 v[148:151], v2 offset:800
	scratch_load_b64 v[144:145], off, off offset:440
	s_wait_dscnt 0x1
	v_fmac_f64_e32 v[152:153], v[146:147], v[134:135]
	s_wait_loadcnt 0x5
	s_delay_alu instid0(VALU_DEP_1) | instskip(SKIP_4) | instid1(VALU_DEP_1)
	v_fmac_f64_e32 v[152:153], v[122:123], v[136:137]
	scratch_load_b128 v[134:137], off, off offset:424
	s_wait_dscnt 0x0
	v_fmac_f64_e32 v[152:153], v[124:125], v[148:149]
	s_wait_loadcnt 0x5
	v_fmac_f64_e32 v[152:153], v[140:141], v[150:151]
	ds_load_b128 v[122:125], v2 offset:816
	ds_load_b128 v[138:141], v2 offset:832
	s_wait_dscnt 0x1
	v_fmac_f64_e32 v[152:153], v[142:143], v[122:123]
	s_wait_loadcnt 0x4
	s_delay_alu instid0(VALU_DEP_1) | instskip(SKIP_1) | instid1(VALU_DEP_1)
	v_fmac_f64_e32 v[152:153], v[126:127], v[124:125]
	s_wait_dscnt 0x0
	v_fmac_f64_e32 v[152:153], v[128:129], v[138:139]
	ds_load_b128 v[122:125], v2 offset:848
	ds_load_b128 v[126:129], v2 offset:864
	s_wait_loadcnt 0x3
	v_fmac_f64_e32 v[152:153], v[130:131], v[140:141]
	s_wait_dscnt 0x1
	s_delay_alu instid0(VALU_DEP_1) | instskip(SKIP_1) | instid1(VALU_DEP_1)
	v_fmac_f64_e32 v[152:153], v[132:133], v[122:123]
	s_wait_loadcnt 0x2
	v_fmac_f64_e32 v[152:153], v[118:119], v[124:125]
	s_wait_dscnt 0x0
	s_delay_alu instid0(VALU_DEP_1) | instskip(SKIP_4) | instid1(VALU_DEP_1)
	v_fmac_f64_e32 v[152:153], v[120:121], v[126:127]
	ds_load_b128 v[118:121], v2 offset:880
	s_wait_loadcnt 0x0
	v_fmac_f64_e32 v[152:153], v[134:135], v[128:129]
	s_wait_dscnt 0x0
	v_fmac_f64_e32 v[152:153], v[136:137], v[118:119]
	s_delay_alu instid0(VALU_DEP_1) | instskip(NEXT) | instid1(VALU_DEP_1)
	v_fmac_f64_e32 v[152:153], v[144:145], v[120:121]
	v_add_f64_e64 v[2:3], v[116:117], -v[152:153]
	scratch_store_b64 off, v[2:3], off offset:200
	s_wait_xcnt 0x0
	v_cmpx_lt_u32_e32 24, v0
	s_cbranch_execz .LBB55_297
; %bb.296:
	scratch_load_b64 v[2:3], off, off offset:192
	v_mov_b64_e32 v[116:117], 0
	scratch_store_b64 off, v[116:117], off offset:192
	s_wait_loadcnt 0x0
	ds_store_b64 v1, v[2:3]
.LBB55_297:
	s_wait_xcnt 0x0
	s_or_b32 exec_lo, exec_lo, s0
	s_wait_storecnt_dscnt 0x0
	s_barrier_signal -1
	s_barrier_wait -1
	s_clause 0x5
	scratch_load_b128 v[116:119], off, off offset:192
	scratch_load_b128 v[120:123], off, off offset:208
	;; [unrolled: 1-line block ×6, first 2 shown]
	v_mov_b32_e32 v2, 0
	ds_load_2addr_b64 v[140:143], v2 offset0:81 offset1:82
	ds_load_2addr_b64 v[144:147], v2 offset0:83 offset1:84
	scratch_load_b128 v[148:151], off, off offset:288
	s_mov_b32 s0, exec_lo
	s_wait_loadcnt_dscnt 0x601
	v_fma_f64 v[152:153], v[118:119], v[140:141], 0
	s_wait_loadcnt 0x5
	s_delay_alu instid0(VALU_DEP_1) | instskip(SKIP_4) | instid1(VALU_DEP_1)
	v_fmac_f64_e32 v[152:153], v[120:121], v[142:143]
	scratch_load_b128 v[118:121], off, off offset:304
	s_wait_dscnt 0x0
	v_fmac_f64_e32 v[152:153], v[122:123], v[144:145]
	s_wait_loadcnt 0x5
	v_fmac_f64_e32 v[152:153], v[124:125], v[146:147]
	ds_load_2addr_b64 v[122:125], v2 offset0:85 offset1:86
	ds_load_2addr_b64 v[140:143], v2 offset0:87 offset1:88
	scratch_load_b128 v[144:147], off, off offset:320
	s_wait_dscnt 0x1
	v_fmac_f64_e32 v[152:153], v[126:127], v[122:123]
	s_wait_loadcnt 0x5
	s_delay_alu instid0(VALU_DEP_1) | instskip(SKIP_4) | instid1(VALU_DEP_1)
	v_fmac_f64_e32 v[152:153], v[128:129], v[124:125]
	scratch_load_b128 v[122:125], off, off offset:336
	s_wait_dscnt 0x0
	v_fmac_f64_e32 v[152:153], v[130:131], v[140:141]
	s_wait_loadcnt 0x5
	v_fmac_f64_e32 v[152:153], v[132:133], v[142:143]
	ds_load_2addr_b64 v[126:129], v2 offset0:89 offset1:90
	ds_load_2addr_b64 v[130:133], v2 offset0:91 offset1:92
	scratch_load_b128 v[140:143], off, off offset:352
	s_wait_dscnt 0x1
	v_fmac_f64_e32 v[152:153], v[134:135], v[126:127]
	s_wait_loadcnt 0x5
	s_delay_alu instid0(VALU_DEP_1) | instskip(SKIP_4) | instid1(VALU_DEP_1)
	v_fmac_f64_e32 v[152:153], v[136:137], v[128:129]
	scratch_load_b128 v[126:129], off, off offset:368
	s_wait_dscnt 0x0
	v_fmac_f64_e32 v[152:153], v[138:139], v[130:131]
	s_wait_loadcnt 0x5
	v_fmac_f64_e32 v[152:153], v[148:149], v[132:133]
	ds_load_2addr_b64 v[130:133], v2 offset0:93 offset1:94
	ds_load_2addr_b64 v[134:137], v2 offset0:95 offset1:96
	s_wait_dscnt 0x1
	v_fmac_f64_e32 v[152:153], v[150:151], v[130:131]
	s_wait_loadcnt 0x4
	s_delay_alu instid0(VALU_DEP_1)
	v_fmac_f64_e32 v[152:153], v[118:119], v[132:133]
	scratch_load_b128 v[130:133], off, off offset:384
	s_wait_dscnt 0x0
	v_fmac_f64_e32 v[152:153], v[120:121], v[134:135]
	scratch_load_b128 v[118:121], off, off offset:400
	s_wait_loadcnt 0x5
	v_fmac_f64_e32 v[152:153], v[144:145], v[136:137]
	ds_load_2addr_b64 v[134:137], v2 offset0:97 offset1:98
	ds_load_2addr_b64 v[148:151], v2 offset0:99 offset1:100
	s_wait_dscnt 0x1
	v_fmac_f64_e32 v[152:153], v[146:147], v[134:135]
	s_wait_loadcnt 0x4
	s_delay_alu instid0(VALU_DEP_1)
	v_fmac_f64_e32 v[152:153], v[122:123], v[136:137]
	scratch_load_b128 v[134:137], off, off offset:416
	s_wait_dscnt 0x0
	v_fmac_f64_e32 v[152:153], v[124:125], v[148:149]
	scratch_load_b128 v[122:125], off, off offset:432
	s_wait_loadcnt 0x5
	v_fmac_f64_e32 v[152:153], v[140:141], v[150:151]
	ds_load_2addr_b64 v[138:141], v2 offset0:101 offset1:102
	ds_load_2addr_b64 v[144:147], v2 offset0:103 offset1:104
	s_wait_dscnt 0x1
	v_fmac_f64_e32 v[152:153], v[142:143], v[138:139]
	s_wait_loadcnt 0x4
	s_delay_alu instid0(VALU_DEP_1) | instskip(SKIP_1) | instid1(VALU_DEP_1)
	v_fmac_f64_e32 v[152:153], v[126:127], v[140:141]
	s_wait_dscnt 0x0
	v_fmac_f64_e32 v[152:153], v[128:129], v[144:145]
	ds_load_2addr_b64 v[126:129], v2 offset0:105 offset1:106
	ds_load_2addr_b64 v[138:141], v2 offset0:107 offset1:108
	s_wait_loadcnt 0x3
	v_fmac_f64_e32 v[152:153], v[130:131], v[146:147]
	s_wait_dscnt 0x1
	s_delay_alu instid0(VALU_DEP_1) | instskip(SKIP_1) | instid1(VALU_DEP_1)
	v_fmac_f64_e32 v[152:153], v[132:133], v[126:127]
	s_wait_loadcnt 0x2
	v_fmac_f64_e32 v[152:153], v[118:119], v[128:129]
	s_wait_dscnt 0x0
	s_delay_alu instid0(VALU_DEP_1)
	v_fmac_f64_e32 v[152:153], v[120:121], v[138:139]
	ds_load_2addr_b64 v[118:121], v2 offset0:109 offset1:110
	ds_load_b64 v[126:127], v2 offset:888
	s_wait_loadcnt 0x1
	v_fmac_f64_e32 v[152:153], v[134:135], v[140:141]
	s_wait_dscnt 0x1
	s_delay_alu instid0(VALU_DEP_1) | instskip(SKIP_1) | instid1(VALU_DEP_1)
	v_fmac_f64_e32 v[152:153], v[136:137], v[118:119]
	s_wait_loadcnt 0x0
	v_fmac_f64_e32 v[152:153], v[122:123], v[120:121]
	s_wait_dscnt 0x0
	s_delay_alu instid0(VALU_DEP_1) | instskip(NEXT) | instid1(VALU_DEP_1)
	v_fmac_f64_e32 v[152:153], v[124:125], v[126:127]
	v_add_f64_e64 v[116:117], v[116:117], -v[152:153]
	scratch_store_b64 off, v[116:117], off offset:192
	s_wait_xcnt 0x0
	v_cmpx_lt_u32_e32 23, v0
	s_cbranch_execz .LBB55_299
; %bb.298:
	scratch_load_b64 v[116:117], off, off offset:184
	v_mov_b64_e32 v[118:119], 0
	scratch_store_b64 off, v[118:119], off offset:184
	s_wait_loadcnt 0x0
	ds_store_b64 v1, v[116:117]
.LBB55_299:
	s_wait_xcnt 0x0
	s_or_b32 exec_lo, exec_lo, s0
	s_wait_storecnt_dscnt 0x0
	s_barrier_signal -1
	s_barrier_wait -1
	s_clause 0x5
	scratch_load_b128 v[116:119], off, off offset:184
	scratch_load_b128 v[120:123], off, off offset:200
	;; [unrolled: 1-line block ×6, first 2 shown]
	ds_load_b128 v[140:143], v2 offset:640
	ds_load_b128 v[144:147], v2 offset:656
	scratch_load_b128 v[148:151], off, off offset:280
	s_mov_b32 s0, exec_lo
	s_wait_loadcnt_dscnt 0x601
	v_fma_f64 v[152:153], v[118:119], v[140:141], 0
	s_wait_loadcnt 0x5
	s_delay_alu instid0(VALU_DEP_1) | instskip(SKIP_4) | instid1(VALU_DEP_1)
	v_fmac_f64_e32 v[152:153], v[120:121], v[142:143]
	scratch_load_b128 v[118:121], off, off offset:296
	s_wait_dscnt 0x0
	v_fmac_f64_e32 v[152:153], v[122:123], v[144:145]
	s_wait_loadcnt 0x5
	v_fmac_f64_e32 v[152:153], v[124:125], v[146:147]
	ds_load_b128 v[122:125], v2 offset:672
	ds_load_b128 v[140:143], v2 offset:688
	scratch_load_b128 v[144:147], off, off offset:312
	s_wait_dscnt 0x1
	v_fmac_f64_e32 v[152:153], v[126:127], v[122:123]
	s_wait_loadcnt 0x5
	s_delay_alu instid0(VALU_DEP_1) | instskip(SKIP_4) | instid1(VALU_DEP_1)
	v_fmac_f64_e32 v[152:153], v[128:129], v[124:125]
	scratch_load_b128 v[122:125], off, off offset:328
	s_wait_dscnt 0x0
	v_fmac_f64_e32 v[152:153], v[130:131], v[140:141]
	s_wait_loadcnt 0x5
	v_fmac_f64_e32 v[152:153], v[132:133], v[142:143]
	ds_load_b128 v[126:129], v2 offset:704
	ds_load_b128 v[130:133], v2 offset:720
	scratch_load_b128 v[140:143], off, off offset:344
	s_wait_dscnt 0x1
	v_fmac_f64_e32 v[152:153], v[134:135], v[126:127]
	s_wait_loadcnt 0x5
	s_delay_alu instid0(VALU_DEP_1) | instskip(SKIP_4) | instid1(VALU_DEP_1)
	v_fmac_f64_e32 v[152:153], v[136:137], v[128:129]
	scratch_load_b128 v[126:129], off, off offset:360
	s_wait_dscnt 0x0
	v_fmac_f64_e32 v[152:153], v[138:139], v[130:131]
	s_wait_loadcnt 0x5
	v_fmac_f64_e32 v[152:153], v[148:149], v[132:133]
	ds_load_b128 v[130:133], v2 offset:736
	ds_load_b128 v[134:137], v2 offset:752
	s_wait_dscnt 0x1
	v_fmac_f64_e32 v[152:153], v[150:151], v[130:131]
	s_wait_loadcnt 0x4
	s_delay_alu instid0(VALU_DEP_1)
	v_fmac_f64_e32 v[152:153], v[118:119], v[132:133]
	scratch_load_b128 v[130:133], off, off offset:376
	s_wait_dscnt 0x0
	v_fmac_f64_e32 v[152:153], v[120:121], v[134:135]
	scratch_load_b128 v[118:121], off, off offset:392
	s_wait_loadcnt 0x5
	v_fmac_f64_e32 v[152:153], v[144:145], v[136:137]
	ds_load_b128 v[134:137], v2 offset:768
	ds_load_b128 v[148:151], v2 offset:784
	s_wait_dscnt 0x1
	v_fmac_f64_e32 v[152:153], v[146:147], v[134:135]
	s_wait_loadcnt 0x4
	s_delay_alu instid0(VALU_DEP_1)
	v_fmac_f64_e32 v[152:153], v[122:123], v[136:137]
	scratch_load_b128 v[134:137], off, off offset:408
	s_wait_dscnt 0x0
	v_fmac_f64_e32 v[152:153], v[124:125], v[148:149]
	scratch_load_b128 v[122:125], off, off offset:424
	s_wait_loadcnt 0x5
	v_fmac_f64_e32 v[152:153], v[140:141], v[150:151]
	ds_load_b128 v[138:141], v2 offset:800
	ds_load_b128 v[144:147], v2 offset:816
	s_wait_dscnt 0x1
	v_fmac_f64_e32 v[152:153], v[142:143], v[138:139]
	scratch_load_b64 v[142:143], off, off offset:440
	s_wait_loadcnt 0x5
	v_fmac_f64_e32 v[152:153], v[126:127], v[140:141]
	s_wait_dscnt 0x0
	s_delay_alu instid0(VALU_DEP_1)
	v_fmac_f64_e32 v[152:153], v[128:129], v[144:145]
	ds_load_b128 v[126:129], v2 offset:832
	ds_load_b128 v[138:141], v2 offset:848
	s_wait_loadcnt 0x4
	v_fmac_f64_e32 v[152:153], v[130:131], v[146:147]
	s_wait_dscnt 0x1
	s_delay_alu instid0(VALU_DEP_1) | instskip(SKIP_1) | instid1(VALU_DEP_1)
	v_fmac_f64_e32 v[152:153], v[132:133], v[126:127]
	s_wait_loadcnt 0x3
	v_fmac_f64_e32 v[152:153], v[118:119], v[128:129]
	s_wait_dscnt 0x0
	s_delay_alu instid0(VALU_DEP_1)
	v_fmac_f64_e32 v[152:153], v[120:121], v[138:139]
	ds_load_b128 v[118:121], v2 offset:864
	ds_load_b128 v[126:129], v2 offset:880
	s_wait_loadcnt 0x2
	v_fmac_f64_e32 v[152:153], v[134:135], v[140:141]
	s_wait_dscnt 0x1
	s_delay_alu instid0(VALU_DEP_1) | instskip(SKIP_1) | instid1(VALU_DEP_1)
	v_fmac_f64_e32 v[152:153], v[136:137], v[118:119]
	s_wait_loadcnt 0x1
	v_fmac_f64_e32 v[152:153], v[122:123], v[120:121]
	s_wait_dscnt 0x0
	s_delay_alu instid0(VALU_DEP_1) | instskip(SKIP_1) | instid1(VALU_DEP_1)
	v_fmac_f64_e32 v[152:153], v[124:125], v[126:127]
	s_wait_loadcnt 0x0
	v_fmac_f64_e32 v[152:153], v[142:143], v[128:129]
	s_delay_alu instid0(VALU_DEP_1)
	v_add_f64_e64 v[2:3], v[116:117], -v[152:153]
	scratch_store_b64 off, v[2:3], off offset:184
	s_wait_xcnt 0x0
	v_cmpx_lt_u32_e32 22, v0
	s_cbranch_execz .LBB55_301
; %bb.300:
	scratch_load_b64 v[2:3], off, off offset:176
	v_mov_b64_e32 v[116:117], 0
	scratch_store_b64 off, v[116:117], off offset:176
	s_wait_loadcnt 0x0
	ds_store_b64 v1, v[2:3]
.LBB55_301:
	s_wait_xcnt 0x0
	s_or_b32 exec_lo, exec_lo, s0
	s_wait_storecnt_dscnt 0x0
	s_barrier_signal -1
	s_barrier_wait -1
	s_clause 0x5
	scratch_load_b128 v[116:119], off, off offset:176
	scratch_load_b128 v[120:123], off, off offset:192
	;; [unrolled: 1-line block ×6, first 2 shown]
	v_mov_b32_e32 v2, 0
	ds_load_2addr_b64 v[140:143], v2 offset0:79 offset1:80
	ds_load_2addr_b64 v[144:147], v2 offset0:81 offset1:82
	scratch_load_b128 v[148:151], off, off offset:272
	s_mov_b32 s0, exec_lo
	s_wait_loadcnt_dscnt 0x601
	v_fma_f64 v[152:153], v[118:119], v[140:141], 0
	s_wait_loadcnt 0x5
	s_delay_alu instid0(VALU_DEP_1) | instskip(SKIP_4) | instid1(VALU_DEP_1)
	v_fmac_f64_e32 v[152:153], v[120:121], v[142:143]
	scratch_load_b128 v[118:121], off, off offset:288
	s_wait_dscnt 0x0
	v_fmac_f64_e32 v[152:153], v[122:123], v[144:145]
	s_wait_loadcnt 0x5
	v_fmac_f64_e32 v[152:153], v[124:125], v[146:147]
	ds_load_2addr_b64 v[122:125], v2 offset0:83 offset1:84
	ds_load_2addr_b64 v[140:143], v2 offset0:85 offset1:86
	scratch_load_b128 v[144:147], off, off offset:304
	s_wait_dscnt 0x1
	v_fmac_f64_e32 v[152:153], v[126:127], v[122:123]
	s_wait_loadcnt 0x5
	s_delay_alu instid0(VALU_DEP_1) | instskip(SKIP_4) | instid1(VALU_DEP_1)
	v_fmac_f64_e32 v[152:153], v[128:129], v[124:125]
	scratch_load_b128 v[122:125], off, off offset:320
	s_wait_dscnt 0x0
	v_fmac_f64_e32 v[152:153], v[130:131], v[140:141]
	s_wait_loadcnt 0x5
	v_fmac_f64_e32 v[152:153], v[132:133], v[142:143]
	ds_load_2addr_b64 v[126:129], v2 offset0:87 offset1:88
	ds_load_2addr_b64 v[130:133], v2 offset0:89 offset1:90
	scratch_load_b128 v[140:143], off, off offset:336
	s_wait_dscnt 0x1
	v_fmac_f64_e32 v[152:153], v[134:135], v[126:127]
	s_wait_loadcnt 0x5
	s_delay_alu instid0(VALU_DEP_1) | instskip(SKIP_4) | instid1(VALU_DEP_1)
	v_fmac_f64_e32 v[152:153], v[136:137], v[128:129]
	scratch_load_b128 v[126:129], off, off offset:352
	s_wait_dscnt 0x0
	v_fmac_f64_e32 v[152:153], v[138:139], v[130:131]
	s_wait_loadcnt 0x5
	v_fmac_f64_e32 v[152:153], v[148:149], v[132:133]
	ds_load_2addr_b64 v[130:133], v2 offset0:91 offset1:92
	ds_load_2addr_b64 v[134:137], v2 offset0:93 offset1:94
	s_wait_dscnt 0x1
	v_fmac_f64_e32 v[152:153], v[150:151], v[130:131]
	s_wait_loadcnt 0x4
	s_delay_alu instid0(VALU_DEP_1)
	v_fmac_f64_e32 v[152:153], v[118:119], v[132:133]
	scratch_load_b128 v[130:133], off, off offset:368
	s_wait_dscnt 0x0
	v_fmac_f64_e32 v[152:153], v[120:121], v[134:135]
	scratch_load_b128 v[118:121], off, off offset:384
	s_wait_loadcnt 0x5
	v_fmac_f64_e32 v[152:153], v[144:145], v[136:137]
	ds_load_2addr_b64 v[134:137], v2 offset0:95 offset1:96
	ds_load_2addr_b64 v[148:151], v2 offset0:97 offset1:98
	s_wait_dscnt 0x1
	v_fmac_f64_e32 v[152:153], v[146:147], v[134:135]
	s_wait_loadcnt 0x4
	s_delay_alu instid0(VALU_DEP_1)
	v_fmac_f64_e32 v[152:153], v[122:123], v[136:137]
	scratch_load_b128 v[134:137], off, off offset:400
	s_wait_dscnt 0x0
	v_fmac_f64_e32 v[152:153], v[124:125], v[148:149]
	scratch_load_b128 v[122:125], off, off offset:416
	s_wait_loadcnt 0x5
	v_fmac_f64_e32 v[152:153], v[140:141], v[150:151]
	ds_load_2addr_b64 v[138:141], v2 offset0:99 offset1:100
	ds_load_2addr_b64 v[144:147], v2 offset0:101 offset1:102
	s_wait_dscnt 0x1
	v_fmac_f64_e32 v[152:153], v[142:143], v[138:139]
	s_wait_loadcnt 0x4
	s_delay_alu instid0(VALU_DEP_1)
	v_fmac_f64_e32 v[152:153], v[126:127], v[140:141]
	scratch_load_b128 v[138:141], off, off offset:432
	s_wait_dscnt 0x0
	v_fmac_f64_e32 v[152:153], v[128:129], v[144:145]
	ds_load_2addr_b64 v[126:129], v2 offset0:103 offset1:104
	ds_load_2addr_b64 v[142:145], v2 offset0:105 offset1:106
	s_wait_loadcnt 0x4
	v_fmac_f64_e32 v[152:153], v[130:131], v[146:147]
	s_wait_dscnt 0x1
	s_delay_alu instid0(VALU_DEP_1) | instskip(SKIP_1) | instid1(VALU_DEP_1)
	v_fmac_f64_e32 v[152:153], v[132:133], v[126:127]
	s_wait_loadcnt 0x3
	v_fmac_f64_e32 v[152:153], v[118:119], v[128:129]
	s_wait_dscnt 0x0
	s_delay_alu instid0(VALU_DEP_1)
	v_fmac_f64_e32 v[152:153], v[120:121], v[142:143]
	ds_load_2addr_b64 v[118:121], v2 offset0:107 offset1:108
	ds_load_2addr_b64 v[126:129], v2 offset0:109 offset1:110
	s_wait_loadcnt 0x2
	v_fmac_f64_e32 v[152:153], v[134:135], v[144:145]
	s_wait_dscnt 0x1
	s_delay_alu instid0(VALU_DEP_1) | instskip(SKIP_4) | instid1(VALU_DEP_1)
	v_fmac_f64_e32 v[152:153], v[136:137], v[118:119]
	ds_load_b64 v[118:119], v2 offset:888
	s_wait_loadcnt 0x1
	v_fmac_f64_e32 v[152:153], v[122:123], v[120:121]
	s_wait_dscnt 0x1
	v_fmac_f64_e32 v[152:153], v[124:125], v[126:127]
	s_wait_loadcnt 0x0
	s_delay_alu instid0(VALU_DEP_1) | instskip(SKIP_1) | instid1(VALU_DEP_1)
	v_fmac_f64_e32 v[152:153], v[138:139], v[128:129]
	s_wait_dscnt 0x0
	v_fmac_f64_e32 v[152:153], v[140:141], v[118:119]
	s_delay_alu instid0(VALU_DEP_1)
	v_add_f64_e64 v[116:117], v[116:117], -v[152:153]
	scratch_store_b64 off, v[116:117], off offset:176
	s_wait_xcnt 0x0
	v_cmpx_lt_u32_e32 21, v0
	s_cbranch_execz .LBB55_303
; %bb.302:
	scratch_load_b64 v[116:117], off, off offset:168
	v_mov_b64_e32 v[118:119], 0
	scratch_store_b64 off, v[118:119], off offset:168
	s_wait_loadcnt 0x0
	ds_store_b64 v1, v[116:117]
.LBB55_303:
	s_wait_xcnt 0x0
	s_or_b32 exec_lo, exec_lo, s0
	s_wait_storecnt_dscnt 0x0
	s_barrier_signal -1
	s_barrier_wait -1
	s_clause 0x5
	scratch_load_b128 v[116:119], off, off offset:168
	scratch_load_b128 v[120:123], off, off offset:184
	;; [unrolled: 1-line block ×6, first 2 shown]
	ds_load_b128 v[140:143], v2 offset:624
	ds_load_b128 v[144:147], v2 offset:640
	scratch_load_b128 v[148:151], off, off offset:264
	s_mov_b32 s0, exec_lo
	s_wait_loadcnt_dscnt 0x601
	v_fma_f64 v[152:153], v[118:119], v[140:141], 0
	s_wait_loadcnt 0x5
	s_delay_alu instid0(VALU_DEP_1) | instskip(SKIP_4) | instid1(VALU_DEP_1)
	v_fmac_f64_e32 v[152:153], v[120:121], v[142:143]
	scratch_load_b128 v[118:121], off, off offset:280
	s_wait_dscnt 0x0
	v_fmac_f64_e32 v[152:153], v[122:123], v[144:145]
	s_wait_loadcnt 0x5
	v_fmac_f64_e32 v[152:153], v[124:125], v[146:147]
	ds_load_b128 v[122:125], v2 offset:656
	ds_load_b128 v[140:143], v2 offset:672
	scratch_load_b128 v[144:147], off, off offset:296
	s_wait_dscnt 0x1
	v_fmac_f64_e32 v[152:153], v[126:127], v[122:123]
	s_wait_loadcnt 0x5
	s_delay_alu instid0(VALU_DEP_1) | instskip(SKIP_4) | instid1(VALU_DEP_1)
	v_fmac_f64_e32 v[152:153], v[128:129], v[124:125]
	scratch_load_b128 v[122:125], off, off offset:312
	s_wait_dscnt 0x0
	v_fmac_f64_e32 v[152:153], v[130:131], v[140:141]
	s_wait_loadcnt 0x5
	v_fmac_f64_e32 v[152:153], v[132:133], v[142:143]
	ds_load_b128 v[126:129], v2 offset:688
	ds_load_b128 v[130:133], v2 offset:704
	scratch_load_b128 v[140:143], off, off offset:328
	s_wait_dscnt 0x1
	v_fmac_f64_e32 v[152:153], v[134:135], v[126:127]
	s_wait_loadcnt 0x5
	s_delay_alu instid0(VALU_DEP_1) | instskip(SKIP_4) | instid1(VALU_DEP_1)
	v_fmac_f64_e32 v[152:153], v[136:137], v[128:129]
	scratch_load_b128 v[126:129], off, off offset:344
	s_wait_dscnt 0x0
	v_fmac_f64_e32 v[152:153], v[138:139], v[130:131]
	s_wait_loadcnt 0x5
	v_fmac_f64_e32 v[152:153], v[148:149], v[132:133]
	ds_load_b128 v[130:133], v2 offset:720
	ds_load_b128 v[134:137], v2 offset:736
	s_wait_dscnt 0x1
	v_fmac_f64_e32 v[152:153], v[150:151], v[130:131]
	scratch_load_b128 v[148:151], off, off offset:360
	s_wait_loadcnt 0x5
	v_fmac_f64_e32 v[152:153], v[118:119], v[132:133]
	s_wait_dscnt 0x0
	s_delay_alu instid0(VALU_DEP_1)
	v_fmac_f64_e32 v[152:153], v[120:121], v[134:135]
	scratch_load_b128 v[118:121], off, off offset:376
	s_wait_loadcnt 0x5
	v_fmac_f64_e32 v[152:153], v[144:145], v[136:137]
	ds_load_b128 v[130:133], v2 offset:752
	ds_load_b128 v[134:137], v2 offset:768
	s_wait_dscnt 0x1
	v_fmac_f64_e32 v[152:153], v[146:147], v[130:131]
	s_wait_loadcnt 0x4
	s_delay_alu instid0(VALU_DEP_1)
	v_fmac_f64_e32 v[152:153], v[122:123], v[132:133]
	scratch_load_b128 v[130:133], off, off offset:392
	s_wait_dscnt 0x0
	v_fmac_f64_e32 v[152:153], v[124:125], v[134:135]
	scratch_load_b128 v[122:125], off, off offset:408
	s_wait_loadcnt 0x5
	v_fmac_f64_e32 v[152:153], v[140:141], v[136:137]
	ds_load_b128 v[134:137], v2 offset:784
	ds_load_b128 v[138:141], v2 offset:800
	s_wait_dscnt 0x1
	v_fmac_f64_e32 v[152:153], v[142:143], v[134:135]
	scratch_load_b64 v[142:143], off, off offset:440
	s_wait_loadcnt 0x5
	v_fmac_f64_e32 v[152:153], v[126:127], v[136:137]
	scratch_load_b128 v[134:137], off, off offset:424
	s_wait_dscnt 0x0
	v_fmac_f64_e32 v[152:153], v[128:129], v[138:139]
	s_wait_loadcnt 0x5
	s_delay_alu instid0(VALU_DEP_1)
	v_fmac_f64_e32 v[152:153], v[148:149], v[140:141]
	ds_load_b128 v[126:129], v2 offset:816
	ds_load_b128 v[138:141], v2 offset:832
	s_wait_dscnt 0x1
	v_fmac_f64_e32 v[152:153], v[150:151], v[126:127]
	s_wait_loadcnt 0x4
	s_delay_alu instid0(VALU_DEP_1) | instskip(SKIP_1) | instid1(VALU_DEP_1)
	v_fmac_f64_e32 v[152:153], v[118:119], v[128:129]
	s_wait_dscnt 0x0
	v_fmac_f64_e32 v[152:153], v[120:121], v[138:139]
	ds_load_b128 v[118:121], v2 offset:848
	ds_load_b128 v[126:129], v2 offset:864
	s_wait_loadcnt 0x3
	v_fmac_f64_e32 v[152:153], v[130:131], v[140:141]
	s_wait_dscnt 0x1
	s_delay_alu instid0(VALU_DEP_1) | instskip(SKIP_1) | instid1(VALU_DEP_1)
	v_fmac_f64_e32 v[152:153], v[132:133], v[118:119]
	s_wait_loadcnt 0x2
	v_fmac_f64_e32 v[152:153], v[122:123], v[120:121]
	ds_load_b128 v[118:121], v2 offset:880
	s_wait_dscnt 0x1
	v_fmac_f64_e32 v[152:153], v[124:125], v[126:127]
	s_wait_loadcnt 0x0
	s_delay_alu instid0(VALU_DEP_1) | instskip(SKIP_1) | instid1(VALU_DEP_1)
	v_fmac_f64_e32 v[152:153], v[134:135], v[128:129]
	s_wait_dscnt 0x0
	v_fmac_f64_e32 v[152:153], v[136:137], v[118:119]
	s_delay_alu instid0(VALU_DEP_1) | instskip(NEXT) | instid1(VALU_DEP_1)
	v_fmac_f64_e32 v[152:153], v[142:143], v[120:121]
	v_add_f64_e64 v[2:3], v[116:117], -v[152:153]
	scratch_store_b64 off, v[2:3], off offset:168
	s_wait_xcnt 0x0
	v_cmpx_lt_u32_e32 20, v0
	s_cbranch_execz .LBB55_305
; %bb.304:
	scratch_load_b64 v[2:3], off, off offset:160
	v_mov_b64_e32 v[116:117], 0
	scratch_store_b64 off, v[116:117], off offset:160
	s_wait_loadcnt 0x0
	ds_store_b64 v1, v[2:3]
.LBB55_305:
	s_wait_xcnt 0x0
	s_or_b32 exec_lo, exec_lo, s0
	s_wait_storecnt_dscnt 0x0
	s_barrier_signal -1
	s_barrier_wait -1
	s_clause 0x5
	scratch_load_b128 v[116:119], off, off offset:160
	scratch_load_b128 v[120:123], off, off offset:176
	;; [unrolled: 1-line block ×6, first 2 shown]
	v_mov_b32_e32 v2, 0
	ds_load_2addr_b64 v[140:143], v2 offset0:77 offset1:78
	ds_load_2addr_b64 v[144:147], v2 offset0:79 offset1:80
	scratch_load_b128 v[148:151], off, off offset:256
	s_mov_b32 s0, exec_lo
	s_wait_loadcnt_dscnt 0x601
	v_fma_f64 v[152:153], v[118:119], v[140:141], 0
	s_wait_loadcnt 0x5
	s_delay_alu instid0(VALU_DEP_1) | instskip(SKIP_4) | instid1(VALU_DEP_1)
	v_fmac_f64_e32 v[152:153], v[120:121], v[142:143]
	scratch_load_b128 v[118:121], off, off offset:272
	s_wait_dscnt 0x0
	v_fmac_f64_e32 v[152:153], v[122:123], v[144:145]
	s_wait_loadcnt 0x5
	v_fmac_f64_e32 v[152:153], v[124:125], v[146:147]
	ds_load_2addr_b64 v[122:125], v2 offset0:81 offset1:82
	ds_load_2addr_b64 v[140:143], v2 offset0:83 offset1:84
	scratch_load_b128 v[144:147], off, off offset:288
	s_wait_dscnt 0x1
	v_fmac_f64_e32 v[152:153], v[126:127], v[122:123]
	s_wait_loadcnt 0x5
	s_delay_alu instid0(VALU_DEP_1) | instskip(SKIP_4) | instid1(VALU_DEP_1)
	v_fmac_f64_e32 v[152:153], v[128:129], v[124:125]
	scratch_load_b128 v[122:125], off, off offset:304
	s_wait_dscnt 0x0
	v_fmac_f64_e32 v[152:153], v[130:131], v[140:141]
	s_wait_loadcnt 0x5
	v_fmac_f64_e32 v[152:153], v[132:133], v[142:143]
	ds_load_2addr_b64 v[126:129], v2 offset0:85 offset1:86
	ds_load_2addr_b64 v[130:133], v2 offset0:87 offset1:88
	scratch_load_b128 v[140:143], off, off offset:320
	s_wait_dscnt 0x1
	v_fmac_f64_e32 v[152:153], v[134:135], v[126:127]
	s_wait_loadcnt 0x5
	s_delay_alu instid0(VALU_DEP_1) | instskip(SKIP_4) | instid1(VALU_DEP_1)
	v_fmac_f64_e32 v[152:153], v[136:137], v[128:129]
	scratch_load_b128 v[126:129], off, off offset:336
	s_wait_dscnt 0x0
	v_fmac_f64_e32 v[152:153], v[138:139], v[130:131]
	s_wait_loadcnt 0x5
	v_fmac_f64_e32 v[152:153], v[148:149], v[132:133]
	ds_load_2addr_b64 v[130:133], v2 offset0:89 offset1:90
	ds_load_2addr_b64 v[134:137], v2 offset0:91 offset1:92
	s_wait_dscnt 0x1
	v_fmac_f64_e32 v[152:153], v[150:151], v[130:131]
	scratch_load_b128 v[148:151], off, off offset:352
	s_wait_loadcnt 0x5
	v_fmac_f64_e32 v[152:153], v[118:119], v[132:133]
	s_wait_dscnt 0x0
	s_delay_alu instid0(VALU_DEP_1)
	v_fmac_f64_e32 v[152:153], v[120:121], v[134:135]
	scratch_load_b128 v[118:121], off, off offset:368
	s_wait_loadcnt 0x5
	v_fmac_f64_e32 v[152:153], v[144:145], v[136:137]
	ds_load_2addr_b64 v[130:133], v2 offset0:93 offset1:94
	ds_load_2addr_b64 v[134:137], v2 offset0:95 offset1:96
	s_wait_dscnt 0x1
	v_fmac_f64_e32 v[152:153], v[146:147], v[130:131]
	s_wait_loadcnt 0x4
	s_delay_alu instid0(VALU_DEP_1)
	v_fmac_f64_e32 v[152:153], v[122:123], v[132:133]
	scratch_load_b128 v[130:133], off, off offset:384
	s_wait_dscnt 0x0
	v_fmac_f64_e32 v[152:153], v[124:125], v[134:135]
	scratch_load_b128 v[122:125], off, off offset:400
	s_wait_loadcnt 0x5
	v_fmac_f64_e32 v[152:153], v[140:141], v[136:137]
	ds_load_2addr_b64 v[134:137], v2 offset0:97 offset1:98
	ds_load_2addr_b64 v[138:141], v2 offset0:99 offset1:100
	s_wait_dscnt 0x1
	v_fmac_f64_e32 v[152:153], v[142:143], v[134:135]
	s_wait_loadcnt 0x4
	s_delay_alu instid0(VALU_DEP_1)
	v_fmac_f64_e32 v[152:153], v[126:127], v[136:137]
	scratch_load_b128 v[134:137], off, off offset:416
	s_wait_dscnt 0x0
	v_fmac_f64_e32 v[152:153], v[128:129], v[138:139]
	scratch_load_b128 v[126:129], off, off offset:432
	s_wait_loadcnt 0x5
	v_fmac_f64_e32 v[152:153], v[148:149], v[140:141]
	ds_load_2addr_b64 v[138:141], v2 offset0:101 offset1:102
	ds_load_2addr_b64 v[142:145], v2 offset0:103 offset1:104
	s_wait_dscnt 0x1
	v_fmac_f64_e32 v[152:153], v[150:151], v[138:139]
	s_wait_loadcnt 0x4
	s_delay_alu instid0(VALU_DEP_1) | instskip(SKIP_1) | instid1(VALU_DEP_1)
	v_fmac_f64_e32 v[152:153], v[118:119], v[140:141]
	s_wait_dscnt 0x0
	v_fmac_f64_e32 v[152:153], v[120:121], v[142:143]
	ds_load_2addr_b64 v[118:121], v2 offset0:105 offset1:106
	ds_load_2addr_b64 v[138:141], v2 offset0:107 offset1:108
	s_wait_loadcnt 0x3
	v_fmac_f64_e32 v[152:153], v[130:131], v[144:145]
	s_wait_dscnt 0x1
	s_delay_alu instid0(VALU_DEP_1) | instskip(SKIP_1) | instid1(VALU_DEP_1)
	v_fmac_f64_e32 v[152:153], v[132:133], v[118:119]
	s_wait_loadcnt 0x2
	v_fmac_f64_e32 v[152:153], v[122:123], v[120:121]
	ds_load_2addr_b64 v[118:121], v2 offset0:109 offset1:110
	ds_load_b64 v[122:123], v2 offset:888
	s_wait_dscnt 0x2
	v_fmac_f64_e32 v[152:153], v[124:125], v[138:139]
	s_wait_loadcnt 0x1
	s_delay_alu instid0(VALU_DEP_1) | instskip(SKIP_1) | instid1(VALU_DEP_1)
	v_fmac_f64_e32 v[152:153], v[134:135], v[140:141]
	s_wait_dscnt 0x1
	v_fmac_f64_e32 v[152:153], v[136:137], v[118:119]
	s_wait_loadcnt 0x0
	s_delay_alu instid0(VALU_DEP_1) | instskip(SKIP_1) | instid1(VALU_DEP_1)
	v_fmac_f64_e32 v[152:153], v[126:127], v[120:121]
	s_wait_dscnt 0x0
	v_fmac_f64_e32 v[152:153], v[128:129], v[122:123]
	s_delay_alu instid0(VALU_DEP_1)
	v_add_f64_e64 v[116:117], v[116:117], -v[152:153]
	scratch_store_b64 off, v[116:117], off offset:160
	s_wait_xcnt 0x0
	v_cmpx_lt_u32_e32 19, v0
	s_cbranch_execz .LBB55_307
; %bb.306:
	scratch_load_b64 v[116:117], off, off offset:152
	v_mov_b64_e32 v[118:119], 0
	scratch_store_b64 off, v[118:119], off offset:152
	s_wait_loadcnt 0x0
	ds_store_b64 v1, v[116:117]
.LBB55_307:
	s_wait_xcnt 0x0
	s_or_b32 exec_lo, exec_lo, s0
	s_wait_storecnt_dscnt 0x0
	s_barrier_signal -1
	s_barrier_wait -1
	s_clause 0x5
	scratch_load_b128 v[116:119], off, off offset:152
	scratch_load_b128 v[120:123], off, off offset:168
	scratch_load_b128 v[124:127], off, off offset:184
	scratch_load_b128 v[128:131], off, off offset:200
	scratch_load_b128 v[132:135], off, off offset:216
	scratch_load_b128 v[136:139], off, off offset:232
	ds_load_b128 v[140:143], v2 offset:608
	ds_load_b128 v[144:147], v2 offset:624
	scratch_load_b128 v[148:151], off, off offset:248
	s_mov_b32 s0, exec_lo
	s_wait_loadcnt_dscnt 0x601
	v_fma_f64 v[152:153], v[118:119], v[140:141], 0
	s_wait_loadcnt 0x5
	s_delay_alu instid0(VALU_DEP_1) | instskip(SKIP_4) | instid1(VALU_DEP_1)
	v_fmac_f64_e32 v[152:153], v[120:121], v[142:143]
	scratch_load_b128 v[118:121], off, off offset:264
	s_wait_dscnt 0x0
	v_fmac_f64_e32 v[152:153], v[122:123], v[144:145]
	s_wait_loadcnt 0x5
	v_fmac_f64_e32 v[152:153], v[124:125], v[146:147]
	ds_load_b128 v[122:125], v2 offset:640
	ds_load_b128 v[140:143], v2 offset:656
	scratch_load_b128 v[144:147], off, off offset:280
	s_wait_dscnt 0x1
	v_fmac_f64_e32 v[152:153], v[126:127], v[122:123]
	s_wait_loadcnt 0x5
	s_delay_alu instid0(VALU_DEP_1) | instskip(SKIP_4) | instid1(VALU_DEP_1)
	v_fmac_f64_e32 v[152:153], v[128:129], v[124:125]
	scratch_load_b128 v[122:125], off, off offset:296
	s_wait_dscnt 0x0
	v_fmac_f64_e32 v[152:153], v[130:131], v[140:141]
	s_wait_loadcnt 0x5
	v_fmac_f64_e32 v[152:153], v[132:133], v[142:143]
	ds_load_b128 v[126:129], v2 offset:672
	ds_load_b128 v[130:133], v2 offset:688
	scratch_load_b128 v[140:143], off, off offset:312
	s_wait_dscnt 0x1
	v_fmac_f64_e32 v[152:153], v[134:135], v[126:127]
	s_wait_loadcnt 0x5
	s_delay_alu instid0(VALU_DEP_1) | instskip(SKIP_4) | instid1(VALU_DEP_1)
	v_fmac_f64_e32 v[152:153], v[136:137], v[128:129]
	scratch_load_b128 v[126:129], off, off offset:328
	s_wait_dscnt 0x0
	v_fmac_f64_e32 v[152:153], v[138:139], v[130:131]
	s_wait_loadcnt 0x5
	v_fmac_f64_e32 v[152:153], v[148:149], v[132:133]
	ds_load_b128 v[130:133], v2 offset:704
	ds_load_b128 v[134:137], v2 offset:720
	s_wait_dscnt 0x1
	v_fmac_f64_e32 v[152:153], v[150:151], v[130:131]
	scratch_load_b128 v[148:151], off, off offset:344
	s_wait_loadcnt 0x5
	v_fmac_f64_e32 v[152:153], v[118:119], v[132:133]
	s_wait_dscnt 0x0
	s_delay_alu instid0(VALU_DEP_1)
	v_fmac_f64_e32 v[152:153], v[120:121], v[134:135]
	scratch_load_b128 v[118:121], off, off offset:360
	s_wait_loadcnt 0x5
	v_fmac_f64_e32 v[152:153], v[144:145], v[136:137]
	ds_load_b128 v[130:133], v2 offset:736
	ds_load_b128 v[134:137], v2 offset:752
	s_wait_dscnt 0x1
	v_fmac_f64_e32 v[152:153], v[146:147], v[130:131]
	s_wait_loadcnt 0x4
	s_delay_alu instid0(VALU_DEP_1)
	v_fmac_f64_e32 v[152:153], v[122:123], v[132:133]
	scratch_load_b128 v[130:133], off, off offset:376
	s_wait_dscnt 0x0
	v_fmac_f64_e32 v[152:153], v[124:125], v[134:135]
	scratch_load_b128 v[122:125], off, off offset:392
	s_wait_loadcnt 0x5
	v_fmac_f64_e32 v[152:153], v[140:141], v[136:137]
	ds_load_b128 v[134:137], v2 offset:768
	ds_load_b128 v[138:141], v2 offset:784
	s_wait_dscnt 0x1
	v_fmac_f64_e32 v[152:153], v[142:143], v[134:135]
	s_wait_loadcnt 0x4
	s_delay_alu instid0(VALU_DEP_1)
	v_fmac_f64_e32 v[152:153], v[126:127], v[136:137]
	scratch_load_b128 v[134:137], off, off offset:408
	s_wait_dscnt 0x0
	v_fmac_f64_e32 v[152:153], v[128:129], v[138:139]
	scratch_load_b128 v[126:129], off, off offset:424
	s_wait_loadcnt 0x5
	v_fmac_f64_e32 v[152:153], v[148:149], v[140:141]
	ds_load_b128 v[138:141], v2 offset:800
	ds_load_b128 v[142:145], v2 offset:816
	scratch_load_b64 v[146:147], off, off offset:440
	s_wait_dscnt 0x1
	v_fmac_f64_e32 v[152:153], v[150:151], v[138:139]
	s_wait_loadcnt 0x5
	s_delay_alu instid0(VALU_DEP_1) | instskip(SKIP_1) | instid1(VALU_DEP_1)
	v_fmac_f64_e32 v[152:153], v[118:119], v[140:141]
	s_wait_dscnt 0x0
	v_fmac_f64_e32 v[152:153], v[120:121], v[142:143]
	ds_load_b128 v[118:121], v2 offset:832
	ds_load_b128 v[138:141], v2 offset:848
	s_wait_loadcnt 0x4
	v_fmac_f64_e32 v[152:153], v[130:131], v[144:145]
	s_wait_dscnt 0x1
	s_delay_alu instid0(VALU_DEP_1) | instskip(SKIP_1) | instid1(VALU_DEP_1)
	v_fmac_f64_e32 v[152:153], v[132:133], v[118:119]
	s_wait_loadcnt 0x3
	v_fmac_f64_e32 v[152:153], v[122:123], v[120:121]
	s_wait_dscnt 0x0
	s_delay_alu instid0(VALU_DEP_1)
	v_fmac_f64_e32 v[152:153], v[124:125], v[138:139]
	ds_load_b128 v[118:121], v2 offset:864
	ds_load_b128 v[122:125], v2 offset:880
	s_wait_loadcnt 0x2
	v_fmac_f64_e32 v[152:153], v[134:135], v[140:141]
	s_wait_dscnt 0x1
	s_delay_alu instid0(VALU_DEP_1) | instskip(SKIP_1) | instid1(VALU_DEP_1)
	v_fmac_f64_e32 v[152:153], v[136:137], v[118:119]
	s_wait_loadcnt 0x1
	v_fmac_f64_e32 v[152:153], v[126:127], v[120:121]
	s_wait_dscnt 0x0
	s_delay_alu instid0(VALU_DEP_1) | instskip(SKIP_1) | instid1(VALU_DEP_1)
	v_fmac_f64_e32 v[152:153], v[128:129], v[122:123]
	s_wait_loadcnt 0x0
	v_fmac_f64_e32 v[152:153], v[146:147], v[124:125]
	s_delay_alu instid0(VALU_DEP_1)
	v_add_f64_e64 v[2:3], v[116:117], -v[152:153]
	scratch_store_b64 off, v[2:3], off offset:152
	s_wait_xcnt 0x0
	v_cmpx_lt_u32_e32 18, v0
	s_cbranch_execz .LBB55_309
; %bb.308:
	scratch_load_b64 v[2:3], off, off offset:144
	v_mov_b64_e32 v[116:117], 0
	scratch_store_b64 off, v[116:117], off offset:144
	s_wait_loadcnt 0x0
	ds_store_b64 v1, v[2:3]
.LBB55_309:
	s_wait_xcnt 0x0
	s_or_b32 exec_lo, exec_lo, s0
	s_wait_storecnt_dscnt 0x0
	s_barrier_signal -1
	s_barrier_wait -1
	s_clause 0x5
	scratch_load_b128 v[116:119], off, off offset:144
	scratch_load_b128 v[120:123], off, off offset:160
	;; [unrolled: 1-line block ×6, first 2 shown]
	v_mov_b32_e32 v2, 0
	ds_load_2addr_b64 v[140:143], v2 offset0:75 offset1:76
	ds_load_2addr_b64 v[144:147], v2 offset0:77 offset1:78
	scratch_load_b128 v[148:151], off, off offset:240
	s_mov_b32 s0, exec_lo
	s_wait_loadcnt_dscnt 0x601
	v_fma_f64 v[152:153], v[118:119], v[140:141], 0
	s_wait_loadcnt 0x5
	s_delay_alu instid0(VALU_DEP_1) | instskip(SKIP_4) | instid1(VALU_DEP_1)
	v_fmac_f64_e32 v[152:153], v[120:121], v[142:143]
	scratch_load_b128 v[118:121], off, off offset:256
	s_wait_dscnt 0x0
	v_fmac_f64_e32 v[152:153], v[122:123], v[144:145]
	s_wait_loadcnt 0x5
	v_fmac_f64_e32 v[152:153], v[124:125], v[146:147]
	ds_load_2addr_b64 v[122:125], v2 offset0:79 offset1:80
	ds_load_2addr_b64 v[140:143], v2 offset0:81 offset1:82
	scratch_load_b128 v[144:147], off, off offset:272
	s_wait_dscnt 0x1
	v_fmac_f64_e32 v[152:153], v[126:127], v[122:123]
	s_wait_loadcnt 0x5
	s_delay_alu instid0(VALU_DEP_1) | instskip(SKIP_4) | instid1(VALU_DEP_1)
	v_fmac_f64_e32 v[152:153], v[128:129], v[124:125]
	scratch_load_b128 v[122:125], off, off offset:288
	s_wait_dscnt 0x0
	v_fmac_f64_e32 v[152:153], v[130:131], v[140:141]
	s_wait_loadcnt 0x5
	v_fmac_f64_e32 v[152:153], v[132:133], v[142:143]
	ds_load_2addr_b64 v[126:129], v2 offset0:83 offset1:84
	ds_load_2addr_b64 v[130:133], v2 offset0:85 offset1:86
	scratch_load_b128 v[140:143], off, off offset:304
	s_wait_dscnt 0x1
	v_fmac_f64_e32 v[152:153], v[134:135], v[126:127]
	s_wait_loadcnt 0x5
	s_delay_alu instid0(VALU_DEP_1) | instskip(SKIP_4) | instid1(VALU_DEP_1)
	v_fmac_f64_e32 v[152:153], v[136:137], v[128:129]
	scratch_load_b128 v[126:129], off, off offset:320
	s_wait_dscnt 0x0
	v_fmac_f64_e32 v[152:153], v[138:139], v[130:131]
	s_wait_loadcnt 0x5
	v_fmac_f64_e32 v[152:153], v[148:149], v[132:133]
	ds_load_2addr_b64 v[130:133], v2 offset0:87 offset1:88
	ds_load_2addr_b64 v[134:137], v2 offset0:89 offset1:90
	s_wait_dscnt 0x1
	v_fmac_f64_e32 v[152:153], v[150:151], v[130:131]
	scratch_load_b128 v[148:151], off, off offset:336
	s_wait_loadcnt 0x5
	v_fmac_f64_e32 v[152:153], v[118:119], v[132:133]
	s_wait_dscnt 0x0
	s_delay_alu instid0(VALU_DEP_1)
	v_fmac_f64_e32 v[152:153], v[120:121], v[134:135]
	scratch_load_b128 v[118:121], off, off offset:352
	s_wait_loadcnt 0x5
	v_fmac_f64_e32 v[152:153], v[144:145], v[136:137]
	ds_load_2addr_b64 v[130:133], v2 offset0:91 offset1:92
	ds_load_2addr_b64 v[134:137], v2 offset0:93 offset1:94
	s_wait_dscnt 0x1
	v_fmac_f64_e32 v[152:153], v[146:147], v[130:131]
	s_wait_loadcnt 0x4
	s_delay_alu instid0(VALU_DEP_1)
	v_fmac_f64_e32 v[152:153], v[122:123], v[132:133]
	scratch_load_b128 v[130:133], off, off offset:368
	s_wait_dscnt 0x0
	v_fmac_f64_e32 v[152:153], v[124:125], v[134:135]
	scratch_load_b128 v[122:125], off, off offset:384
	s_wait_loadcnt 0x5
	v_fmac_f64_e32 v[152:153], v[140:141], v[136:137]
	ds_load_2addr_b64 v[134:137], v2 offset0:95 offset1:96
	ds_load_2addr_b64 v[138:141], v2 offset0:97 offset1:98
	s_wait_dscnt 0x1
	v_fmac_f64_e32 v[152:153], v[142:143], v[134:135]
	s_wait_loadcnt 0x4
	s_delay_alu instid0(VALU_DEP_1)
	v_fmac_f64_e32 v[152:153], v[126:127], v[136:137]
	scratch_load_b128 v[134:137], off, off offset:400
	s_wait_dscnt 0x0
	v_fmac_f64_e32 v[152:153], v[128:129], v[138:139]
	scratch_load_b128 v[126:129], off, off offset:416
	s_wait_loadcnt 0x5
	v_fmac_f64_e32 v[152:153], v[148:149], v[140:141]
	ds_load_2addr_b64 v[138:141], v2 offset0:99 offset1:100
	ds_load_2addr_b64 v[142:145], v2 offset0:101 offset1:102
	s_wait_dscnt 0x1
	v_fmac_f64_e32 v[152:153], v[150:151], v[138:139]
	s_wait_loadcnt 0x4
	s_delay_alu instid0(VALU_DEP_1) | instskip(SKIP_4) | instid1(VALU_DEP_1)
	v_fmac_f64_e32 v[152:153], v[118:119], v[140:141]
	scratch_load_b128 v[138:141], off, off offset:432
	s_wait_dscnt 0x0
	v_fmac_f64_e32 v[152:153], v[120:121], v[142:143]
	s_wait_loadcnt 0x4
	v_fmac_f64_e32 v[152:153], v[130:131], v[144:145]
	ds_load_2addr_b64 v[118:121], v2 offset0:103 offset1:104
	ds_load_2addr_b64 v[142:145], v2 offset0:105 offset1:106
	s_wait_dscnt 0x1
	v_fmac_f64_e32 v[152:153], v[132:133], v[118:119]
	s_wait_loadcnt 0x3
	s_delay_alu instid0(VALU_DEP_1) | instskip(SKIP_1) | instid1(VALU_DEP_1)
	v_fmac_f64_e32 v[152:153], v[122:123], v[120:121]
	s_wait_dscnt 0x0
	v_fmac_f64_e32 v[152:153], v[124:125], v[142:143]
	ds_load_2addr_b64 v[118:121], v2 offset0:107 offset1:108
	ds_load_2addr_b64 v[122:125], v2 offset0:109 offset1:110
	s_wait_loadcnt 0x2
	v_fmac_f64_e32 v[152:153], v[134:135], v[144:145]
	s_wait_dscnt 0x1
	s_delay_alu instid0(VALU_DEP_1) | instskip(SKIP_4) | instid1(VALU_DEP_1)
	v_fmac_f64_e32 v[152:153], v[136:137], v[118:119]
	ds_load_b64 v[118:119], v2 offset:888
	s_wait_loadcnt 0x1
	v_fmac_f64_e32 v[152:153], v[126:127], v[120:121]
	s_wait_dscnt 0x1
	v_fmac_f64_e32 v[152:153], v[128:129], v[122:123]
	s_wait_loadcnt 0x0
	s_delay_alu instid0(VALU_DEP_1) | instskip(SKIP_1) | instid1(VALU_DEP_1)
	v_fmac_f64_e32 v[152:153], v[138:139], v[124:125]
	s_wait_dscnt 0x0
	v_fmac_f64_e32 v[152:153], v[140:141], v[118:119]
	s_delay_alu instid0(VALU_DEP_1)
	v_add_f64_e64 v[116:117], v[116:117], -v[152:153]
	scratch_store_b64 off, v[116:117], off offset:144
	s_wait_xcnt 0x0
	v_cmpx_lt_u32_e32 17, v0
	s_cbranch_execz .LBB55_311
; %bb.310:
	scratch_load_b64 v[116:117], off, off offset:136
	v_mov_b64_e32 v[118:119], 0
	scratch_store_b64 off, v[118:119], off offset:136
	s_wait_loadcnt 0x0
	ds_store_b64 v1, v[116:117]
.LBB55_311:
	s_wait_xcnt 0x0
	s_or_b32 exec_lo, exec_lo, s0
	s_wait_storecnt_dscnt 0x0
	s_barrier_signal -1
	s_barrier_wait -1
	s_clause 0x5
	scratch_load_b128 v[116:119], off, off offset:136
	scratch_load_b128 v[120:123], off, off offset:152
	;; [unrolled: 1-line block ×6, first 2 shown]
	ds_load_b128 v[140:143], v2 offset:592
	ds_load_b128 v[144:147], v2 offset:608
	scratch_load_b128 v[148:151], off, off offset:232
	s_mov_b32 s0, exec_lo
	s_wait_loadcnt_dscnt 0x601
	v_fma_f64 v[152:153], v[118:119], v[140:141], 0
	s_wait_loadcnt 0x5
	s_delay_alu instid0(VALU_DEP_1) | instskip(SKIP_4) | instid1(VALU_DEP_1)
	v_fmac_f64_e32 v[152:153], v[120:121], v[142:143]
	scratch_load_b128 v[118:121], off, off offset:248
	s_wait_dscnt 0x0
	v_fmac_f64_e32 v[152:153], v[122:123], v[144:145]
	s_wait_loadcnt 0x5
	v_fmac_f64_e32 v[152:153], v[124:125], v[146:147]
	ds_load_b128 v[122:125], v2 offset:624
	ds_load_b128 v[140:143], v2 offset:640
	scratch_load_b128 v[144:147], off, off offset:264
	s_wait_dscnt 0x1
	v_fmac_f64_e32 v[152:153], v[126:127], v[122:123]
	s_wait_loadcnt 0x5
	s_delay_alu instid0(VALU_DEP_1) | instskip(SKIP_4) | instid1(VALU_DEP_1)
	v_fmac_f64_e32 v[152:153], v[128:129], v[124:125]
	scratch_load_b128 v[122:125], off, off offset:280
	s_wait_dscnt 0x0
	v_fmac_f64_e32 v[152:153], v[130:131], v[140:141]
	s_wait_loadcnt 0x5
	v_fmac_f64_e32 v[152:153], v[132:133], v[142:143]
	ds_load_b128 v[126:129], v2 offset:656
	ds_load_b128 v[130:133], v2 offset:672
	scratch_load_b128 v[140:143], off, off offset:296
	s_wait_dscnt 0x1
	v_fmac_f64_e32 v[152:153], v[134:135], v[126:127]
	s_wait_loadcnt 0x5
	s_delay_alu instid0(VALU_DEP_1) | instskip(SKIP_4) | instid1(VALU_DEP_1)
	v_fmac_f64_e32 v[152:153], v[136:137], v[128:129]
	scratch_load_b128 v[126:129], off, off offset:312
	s_wait_dscnt 0x0
	v_fmac_f64_e32 v[152:153], v[138:139], v[130:131]
	s_wait_loadcnt 0x5
	v_fmac_f64_e32 v[152:153], v[148:149], v[132:133]
	ds_load_b128 v[130:133], v2 offset:688
	ds_load_b128 v[134:137], v2 offset:704
	s_wait_dscnt 0x1
	v_fmac_f64_e32 v[152:153], v[150:151], v[130:131]
	scratch_load_b128 v[148:151], off, off offset:328
	s_wait_loadcnt 0x5
	v_fmac_f64_e32 v[152:153], v[118:119], v[132:133]
	s_wait_dscnt 0x0
	s_delay_alu instid0(VALU_DEP_1)
	v_fmac_f64_e32 v[152:153], v[120:121], v[134:135]
	scratch_load_b128 v[118:121], off, off offset:344
	s_wait_loadcnt 0x5
	v_fmac_f64_e32 v[152:153], v[144:145], v[136:137]
	ds_load_b128 v[130:133], v2 offset:720
	ds_load_b128 v[134:137], v2 offset:736
	s_wait_dscnt 0x1
	v_fmac_f64_e32 v[152:153], v[146:147], v[130:131]
	scratch_load_b128 v[144:147], off, off offset:360
	s_wait_loadcnt 0x5
	v_fmac_f64_e32 v[152:153], v[122:123], v[132:133]
	s_wait_dscnt 0x0
	s_delay_alu instid0(VALU_DEP_1)
	v_fmac_f64_e32 v[152:153], v[124:125], v[134:135]
	scratch_load_b128 v[122:125], off, off offset:376
	s_wait_loadcnt 0x5
	v_fmac_f64_e32 v[152:153], v[140:141], v[136:137]
	ds_load_b128 v[130:133], v2 offset:752
	ds_load_b128 v[134:137], v2 offset:768
	s_wait_dscnt 0x1
	v_fmac_f64_e32 v[152:153], v[142:143], v[130:131]
	s_wait_loadcnt 0x4
	s_delay_alu instid0(VALU_DEP_1)
	v_fmac_f64_e32 v[152:153], v[126:127], v[132:133]
	scratch_load_b128 v[130:133], off, off offset:392
	s_wait_dscnt 0x0
	v_fmac_f64_e32 v[152:153], v[128:129], v[134:135]
	scratch_load_b128 v[126:129], off, off offset:408
	s_wait_loadcnt 0x5
	v_fmac_f64_e32 v[152:153], v[148:149], v[136:137]
	ds_load_b128 v[134:137], v2 offset:784
	ds_load_b128 v[138:141], v2 offset:800
	scratch_load_b64 v[142:143], off, off offset:440
	s_wait_dscnt 0x1
	v_fmac_f64_e32 v[152:153], v[150:151], v[134:135]
	s_wait_loadcnt 0x5
	s_delay_alu instid0(VALU_DEP_1) | instskip(SKIP_4) | instid1(VALU_DEP_1)
	v_fmac_f64_e32 v[152:153], v[118:119], v[136:137]
	scratch_load_b128 v[134:137], off, off offset:424
	s_wait_dscnt 0x0
	v_fmac_f64_e32 v[152:153], v[120:121], v[138:139]
	s_wait_loadcnt 0x5
	v_fmac_f64_e32 v[152:153], v[144:145], v[140:141]
	ds_load_b128 v[118:121], v2 offset:816
	ds_load_b128 v[138:141], v2 offset:832
	s_wait_dscnt 0x1
	v_fmac_f64_e32 v[152:153], v[146:147], v[118:119]
	s_wait_loadcnt 0x4
	s_delay_alu instid0(VALU_DEP_1) | instskip(SKIP_1) | instid1(VALU_DEP_1)
	v_fmac_f64_e32 v[152:153], v[122:123], v[120:121]
	s_wait_dscnt 0x0
	v_fmac_f64_e32 v[152:153], v[124:125], v[138:139]
	ds_load_b128 v[118:121], v2 offset:848
	ds_load_b128 v[122:125], v2 offset:864
	s_wait_loadcnt 0x3
	v_fmac_f64_e32 v[152:153], v[130:131], v[140:141]
	s_wait_dscnt 0x1
	s_delay_alu instid0(VALU_DEP_1) | instskip(SKIP_1) | instid1(VALU_DEP_1)
	v_fmac_f64_e32 v[152:153], v[132:133], v[118:119]
	s_wait_loadcnt 0x2
	v_fmac_f64_e32 v[152:153], v[126:127], v[120:121]
	ds_load_b128 v[118:121], v2 offset:880
	s_wait_dscnt 0x1
	v_fmac_f64_e32 v[152:153], v[128:129], v[122:123]
	s_wait_loadcnt 0x0
	s_delay_alu instid0(VALU_DEP_1) | instskip(SKIP_1) | instid1(VALU_DEP_1)
	v_fmac_f64_e32 v[152:153], v[134:135], v[124:125]
	s_wait_dscnt 0x0
	v_fmac_f64_e32 v[152:153], v[136:137], v[118:119]
	s_delay_alu instid0(VALU_DEP_1) | instskip(NEXT) | instid1(VALU_DEP_1)
	v_fmac_f64_e32 v[152:153], v[142:143], v[120:121]
	v_add_f64_e64 v[2:3], v[116:117], -v[152:153]
	scratch_store_b64 off, v[2:3], off offset:136
	s_wait_xcnt 0x0
	v_cmpx_lt_u32_e32 16, v0
	s_cbranch_execz .LBB55_313
; %bb.312:
	scratch_load_b64 v[2:3], off, off offset:128
	v_mov_b64_e32 v[116:117], 0
	scratch_store_b64 off, v[116:117], off offset:128
	s_wait_loadcnt 0x0
	ds_store_b64 v1, v[2:3]
.LBB55_313:
	s_wait_xcnt 0x0
	s_or_b32 exec_lo, exec_lo, s0
	s_wait_storecnt_dscnt 0x0
	s_barrier_signal -1
	s_barrier_wait -1
	s_clause 0x5
	scratch_load_b128 v[116:119], off, off offset:128
	scratch_load_b128 v[120:123], off, off offset:144
	;; [unrolled: 1-line block ×6, first 2 shown]
	v_mov_b32_e32 v2, 0
	ds_load_2addr_b64 v[140:143], v2 offset0:73 offset1:74
	ds_load_2addr_b64 v[144:147], v2 offset0:75 offset1:76
	scratch_load_b128 v[148:151], off, off offset:224
	s_mov_b32 s0, exec_lo
	s_wait_loadcnt_dscnt 0x601
	v_fma_f64 v[152:153], v[118:119], v[140:141], 0
	s_wait_loadcnt 0x5
	s_delay_alu instid0(VALU_DEP_1) | instskip(SKIP_4) | instid1(VALU_DEP_1)
	v_fmac_f64_e32 v[152:153], v[120:121], v[142:143]
	scratch_load_b128 v[118:121], off, off offset:240
	s_wait_dscnt 0x0
	v_fmac_f64_e32 v[152:153], v[122:123], v[144:145]
	s_wait_loadcnt 0x5
	v_fmac_f64_e32 v[152:153], v[124:125], v[146:147]
	ds_load_2addr_b64 v[122:125], v2 offset0:77 offset1:78
	ds_load_2addr_b64 v[140:143], v2 offset0:79 offset1:80
	scratch_load_b128 v[144:147], off, off offset:256
	s_wait_dscnt 0x1
	v_fmac_f64_e32 v[152:153], v[126:127], v[122:123]
	s_wait_loadcnt 0x5
	s_delay_alu instid0(VALU_DEP_1) | instskip(SKIP_4) | instid1(VALU_DEP_1)
	v_fmac_f64_e32 v[152:153], v[128:129], v[124:125]
	scratch_load_b128 v[122:125], off, off offset:272
	s_wait_dscnt 0x0
	v_fmac_f64_e32 v[152:153], v[130:131], v[140:141]
	s_wait_loadcnt 0x5
	v_fmac_f64_e32 v[152:153], v[132:133], v[142:143]
	ds_load_2addr_b64 v[126:129], v2 offset0:81 offset1:82
	ds_load_2addr_b64 v[130:133], v2 offset0:83 offset1:84
	scratch_load_b128 v[140:143], off, off offset:288
	s_wait_dscnt 0x1
	v_fmac_f64_e32 v[152:153], v[134:135], v[126:127]
	s_wait_loadcnt 0x5
	s_delay_alu instid0(VALU_DEP_1) | instskip(SKIP_4) | instid1(VALU_DEP_1)
	v_fmac_f64_e32 v[152:153], v[136:137], v[128:129]
	scratch_load_b128 v[126:129], off, off offset:304
	s_wait_dscnt 0x0
	v_fmac_f64_e32 v[152:153], v[138:139], v[130:131]
	s_wait_loadcnt 0x5
	v_fmac_f64_e32 v[152:153], v[148:149], v[132:133]
	ds_load_2addr_b64 v[130:133], v2 offset0:85 offset1:86
	ds_load_2addr_b64 v[134:137], v2 offset0:87 offset1:88
	s_wait_dscnt 0x1
	v_fmac_f64_e32 v[152:153], v[150:151], v[130:131]
	scratch_load_b128 v[148:151], off, off offset:320
	s_wait_loadcnt 0x5
	v_fmac_f64_e32 v[152:153], v[118:119], v[132:133]
	s_wait_dscnt 0x0
	s_delay_alu instid0(VALU_DEP_1)
	v_fmac_f64_e32 v[152:153], v[120:121], v[134:135]
	scratch_load_b128 v[118:121], off, off offset:336
	s_wait_loadcnt 0x5
	v_fmac_f64_e32 v[152:153], v[144:145], v[136:137]
	ds_load_2addr_b64 v[130:133], v2 offset0:89 offset1:90
	ds_load_2addr_b64 v[134:137], v2 offset0:91 offset1:92
	s_wait_dscnt 0x1
	v_fmac_f64_e32 v[152:153], v[146:147], v[130:131]
	scratch_load_b128 v[144:147], off, off offset:352
	s_wait_loadcnt 0x5
	v_fmac_f64_e32 v[152:153], v[122:123], v[132:133]
	s_wait_dscnt 0x0
	s_delay_alu instid0(VALU_DEP_1)
	v_fmac_f64_e32 v[152:153], v[124:125], v[134:135]
	scratch_load_b128 v[122:125], off, off offset:368
	s_wait_loadcnt 0x5
	v_fmac_f64_e32 v[152:153], v[140:141], v[136:137]
	ds_load_2addr_b64 v[130:133], v2 offset0:93 offset1:94
	ds_load_2addr_b64 v[134:137], v2 offset0:95 offset1:96
	s_wait_dscnt 0x1
	v_fmac_f64_e32 v[152:153], v[142:143], v[130:131]
	s_wait_loadcnt 0x4
	s_delay_alu instid0(VALU_DEP_1)
	v_fmac_f64_e32 v[152:153], v[126:127], v[132:133]
	scratch_load_b128 v[130:133], off, off offset:384
	s_wait_dscnt 0x0
	v_fmac_f64_e32 v[152:153], v[128:129], v[134:135]
	scratch_load_b128 v[126:129], off, off offset:400
	s_wait_loadcnt 0x5
	v_fmac_f64_e32 v[152:153], v[148:149], v[136:137]
	ds_load_2addr_b64 v[134:137], v2 offset0:97 offset1:98
	ds_load_2addr_b64 v[138:141], v2 offset0:99 offset1:100
	s_wait_dscnt 0x1
	v_fmac_f64_e32 v[152:153], v[150:151], v[134:135]
	s_wait_loadcnt 0x4
	s_delay_alu instid0(VALU_DEP_1)
	v_fmac_f64_e32 v[152:153], v[118:119], v[136:137]
	scratch_load_b128 v[134:137], off, off offset:416
	s_wait_dscnt 0x0
	v_fmac_f64_e32 v[152:153], v[120:121], v[138:139]
	scratch_load_b128 v[118:121], off, off offset:432
	s_wait_loadcnt 0x5
	v_fmac_f64_e32 v[152:153], v[144:145], v[140:141]
	ds_load_2addr_b64 v[138:141], v2 offset0:101 offset1:102
	ds_load_2addr_b64 v[142:145], v2 offset0:103 offset1:104
	s_wait_dscnt 0x1
	v_fmac_f64_e32 v[152:153], v[146:147], v[138:139]
	s_wait_loadcnt 0x4
	s_delay_alu instid0(VALU_DEP_1) | instskip(SKIP_1) | instid1(VALU_DEP_1)
	v_fmac_f64_e32 v[152:153], v[122:123], v[140:141]
	s_wait_dscnt 0x0
	v_fmac_f64_e32 v[152:153], v[124:125], v[142:143]
	ds_load_2addr_b64 v[122:125], v2 offset0:105 offset1:106
	ds_load_2addr_b64 v[138:141], v2 offset0:107 offset1:108
	s_wait_loadcnt 0x3
	v_fmac_f64_e32 v[152:153], v[130:131], v[144:145]
	s_wait_dscnt 0x1
	s_delay_alu instid0(VALU_DEP_1) | instskip(SKIP_1) | instid1(VALU_DEP_1)
	v_fmac_f64_e32 v[152:153], v[132:133], v[122:123]
	s_wait_loadcnt 0x2
	v_fmac_f64_e32 v[152:153], v[126:127], v[124:125]
	ds_load_2addr_b64 v[122:125], v2 offset0:109 offset1:110
	ds_load_b64 v[126:127], v2 offset:888
	s_wait_dscnt 0x2
	v_fmac_f64_e32 v[152:153], v[128:129], v[138:139]
	s_wait_loadcnt 0x1
	s_delay_alu instid0(VALU_DEP_1) | instskip(SKIP_1) | instid1(VALU_DEP_1)
	v_fmac_f64_e32 v[152:153], v[134:135], v[140:141]
	s_wait_dscnt 0x1
	v_fmac_f64_e32 v[152:153], v[136:137], v[122:123]
	s_wait_loadcnt 0x0
	s_delay_alu instid0(VALU_DEP_1) | instskip(SKIP_1) | instid1(VALU_DEP_1)
	v_fmac_f64_e32 v[152:153], v[118:119], v[124:125]
	s_wait_dscnt 0x0
	v_fmac_f64_e32 v[152:153], v[120:121], v[126:127]
	s_delay_alu instid0(VALU_DEP_1)
	v_add_f64_e64 v[116:117], v[116:117], -v[152:153]
	scratch_store_b64 off, v[116:117], off offset:128
	s_wait_xcnt 0x0
	v_cmpx_lt_u32_e32 15, v0
	s_cbranch_execz .LBB55_315
; %bb.314:
	scratch_load_b64 v[116:117], off, off offset:120
	v_mov_b64_e32 v[118:119], 0
	scratch_store_b64 off, v[118:119], off offset:120
	s_wait_loadcnt 0x0
	ds_store_b64 v1, v[116:117]
.LBB55_315:
	s_wait_xcnt 0x0
	s_or_b32 exec_lo, exec_lo, s0
	s_wait_storecnt_dscnt 0x0
	s_barrier_signal -1
	s_barrier_wait -1
	s_clause 0x5
	scratch_load_b128 v[116:119], off, off offset:120
	scratch_load_b128 v[120:123], off, off offset:136
	;; [unrolled: 1-line block ×6, first 2 shown]
	ds_load_b128 v[140:143], v2 offset:576
	ds_load_b128 v[144:147], v2 offset:592
	scratch_load_b128 v[148:151], off, off offset:216
	s_mov_b32 s0, exec_lo
	s_wait_loadcnt_dscnt 0x601
	v_fma_f64 v[152:153], v[118:119], v[140:141], 0
	s_wait_loadcnt 0x5
	s_delay_alu instid0(VALU_DEP_1) | instskip(SKIP_4) | instid1(VALU_DEP_1)
	v_fmac_f64_e32 v[152:153], v[120:121], v[142:143]
	scratch_load_b128 v[118:121], off, off offset:232
	s_wait_dscnt 0x0
	v_fmac_f64_e32 v[152:153], v[122:123], v[144:145]
	s_wait_loadcnt 0x5
	v_fmac_f64_e32 v[152:153], v[124:125], v[146:147]
	ds_load_b128 v[122:125], v2 offset:608
	ds_load_b128 v[140:143], v2 offset:624
	scratch_load_b128 v[144:147], off, off offset:248
	s_wait_dscnt 0x1
	v_fmac_f64_e32 v[152:153], v[126:127], v[122:123]
	s_wait_loadcnt 0x5
	s_delay_alu instid0(VALU_DEP_1) | instskip(SKIP_4) | instid1(VALU_DEP_1)
	v_fmac_f64_e32 v[152:153], v[128:129], v[124:125]
	scratch_load_b128 v[122:125], off, off offset:264
	s_wait_dscnt 0x0
	v_fmac_f64_e32 v[152:153], v[130:131], v[140:141]
	s_wait_loadcnt 0x5
	v_fmac_f64_e32 v[152:153], v[132:133], v[142:143]
	ds_load_b128 v[126:129], v2 offset:640
	ds_load_b128 v[130:133], v2 offset:656
	scratch_load_b128 v[140:143], off, off offset:280
	s_wait_dscnt 0x1
	v_fmac_f64_e32 v[152:153], v[134:135], v[126:127]
	s_wait_loadcnt 0x5
	s_delay_alu instid0(VALU_DEP_1) | instskip(SKIP_4) | instid1(VALU_DEP_1)
	v_fmac_f64_e32 v[152:153], v[136:137], v[128:129]
	scratch_load_b128 v[126:129], off, off offset:296
	s_wait_dscnt 0x0
	v_fmac_f64_e32 v[152:153], v[138:139], v[130:131]
	s_wait_loadcnt 0x5
	v_fmac_f64_e32 v[152:153], v[148:149], v[132:133]
	ds_load_b128 v[130:133], v2 offset:672
	ds_load_b128 v[134:137], v2 offset:688
	s_wait_dscnt 0x1
	v_fmac_f64_e32 v[152:153], v[150:151], v[130:131]
	scratch_load_b128 v[148:151], off, off offset:312
	s_wait_loadcnt 0x5
	v_fmac_f64_e32 v[152:153], v[118:119], v[132:133]
	s_wait_dscnt 0x0
	s_delay_alu instid0(VALU_DEP_1)
	v_fmac_f64_e32 v[152:153], v[120:121], v[134:135]
	scratch_load_b128 v[118:121], off, off offset:328
	s_wait_loadcnt 0x5
	v_fmac_f64_e32 v[152:153], v[144:145], v[136:137]
	ds_load_b128 v[130:133], v2 offset:704
	ds_load_b128 v[134:137], v2 offset:720
	s_wait_dscnt 0x1
	v_fmac_f64_e32 v[152:153], v[146:147], v[130:131]
	scratch_load_b128 v[144:147], off, off offset:344
	s_wait_loadcnt 0x5
	v_fmac_f64_e32 v[152:153], v[122:123], v[132:133]
	s_wait_dscnt 0x0
	s_delay_alu instid0(VALU_DEP_1)
	v_fmac_f64_e32 v[152:153], v[124:125], v[134:135]
	scratch_load_b128 v[122:125], off, off offset:360
	s_wait_loadcnt 0x5
	v_fmac_f64_e32 v[152:153], v[140:141], v[136:137]
	ds_load_b128 v[130:133], v2 offset:736
	ds_load_b128 v[134:137], v2 offset:752
	s_wait_dscnt 0x1
	v_fmac_f64_e32 v[152:153], v[142:143], v[130:131]
	s_wait_loadcnt 0x4
	s_delay_alu instid0(VALU_DEP_1)
	v_fmac_f64_e32 v[152:153], v[126:127], v[132:133]
	scratch_load_b128 v[130:133], off, off offset:376
	s_wait_dscnt 0x0
	v_fmac_f64_e32 v[152:153], v[128:129], v[134:135]
	scratch_load_b128 v[126:129], off, off offset:392
	s_wait_loadcnt 0x5
	v_fmac_f64_e32 v[152:153], v[148:149], v[136:137]
	ds_load_b128 v[134:137], v2 offset:768
	ds_load_b128 v[138:141], v2 offset:784
	s_wait_dscnt 0x1
	v_fmac_f64_e32 v[152:153], v[150:151], v[134:135]
	s_wait_loadcnt 0x4
	s_delay_alu instid0(VALU_DEP_1)
	v_fmac_f64_e32 v[152:153], v[118:119], v[136:137]
	scratch_load_b128 v[134:137], off, off offset:408
	s_wait_dscnt 0x0
	v_fmac_f64_e32 v[152:153], v[120:121], v[138:139]
	scratch_load_b128 v[118:121], off, off offset:424
	s_wait_loadcnt 0x5
	v_fmac_f64_e32 v[152:153], v[144:145], v[140:141]
	ds_load_b128 v[138:141], v2 offset:800
	ds_load_b128 v[142:145], v2 offset:816
	s_wait_dscnt 0x1
	v_fmac_f64_e32 v[152:153], v[146:147], v[138:139]
	scratch_load_b64 v[146:147], off, off offset:440
	s_wait_loadcnt 0x5
	v_fmac_f64_e32 v[152:153], v[122:123], v[140:141]
	s_wait_dscnt 0x0
	s_delay_alu instid0(VALU_DEP_1)
	v_fmac_f64_e32 v[152:153], v[124:125], v[142:143]
	ds_load_b128 v[122:125], v2 offset:832
	ds_load_b128 v[138:141], v2 offset:848
	s_wait_loadcnt 0x4
	v_fmac_f64_e32 v[152:153], v[130:131], v[144:145]
	s_wait_dscnt 0x1
	s_delay_alu instid0(VALU_DEP_1) | instskip(SKIP_1) | instid1(VALU_DEP_1)
	v_fmac_f64_e32 v[152:153], v[132:133], v[122:123]
	s_wait_loadcnt 0x3
	v_fmac_f64_e32 v[152:153], v[126:127], v[124:125]
	s_wait_dscnt 0x0
	s_delay_alu instid0(VALU_DEP_1)
	v_fmac_f64_e32 v[152:153], v[128:129], v[138:139]
	ds_load_b128 v[122:125], v2 offset:864
	ds_load_b128 v[126:129], v2 offset:880
	s_wait_loadcnt 0x2
	v_fmac_f64_e32 v[152:153], v[134:135], v[140:141]
	s_wait_dscnt 0x1
	s_delay_alu instid0(VALU_DEP_1) | instskip(SKIP_1) | instid1(VALU_DEP_1)
	v_fmac_f64_e32 v[152:153], v[136:137], v[122:123]
	s_wait_loadcnt 0x1
	v_fmac_f64_e32 v[152:153], v[118:119], v[124:125]
	s_wait_dscnt 0x0
	s_delay_alu instid0(VALU_DEP_1) | instskip(SKIP_1) | instid1(VALU_DEP_1)
	v_fmac_f64_e32 v[152:153], v[120:121], v[126:127]
	s_wait_loadcnt 0x0
	v_fmac_f64_e32 v[152:153], v[146:147], v[128:129]
	s_delay_alu instid0(VALU_DEP_1)
	v_add_f64_e64 v[2:3], v[116:117], -v[152:153]
	scratch_store_b64 off, v[2:3], off offset:120
	s_wait_xcnt 0x0
	v_cmpx_lt_u32_e32 14, v0
	s_cbranch_execz .LBB55_317
; %bb.316:
	scratch_load_b64 v[2:3], off, off offset:112
	v_mov_b64_e32 v[116:117], 0
	scratch_store_b64 off, v[116:117], off offset:112
	s_wait_loadcnt 0x0
	ds_store_b64 v1, v[2:3]
.LBB55_317:
	s_wait_xcnt 0x0
	s_or_b32 exec_lo, exec_lo, s0
	s_wait_storecnt_dscnt 0x0
	s_barrier_signal -1
	s_barrier_wait -1
	s_clause 0x5
	scratch_load_b128 v[116:119], off, off offset:112
	scratch_load_b128 v[120:123], off, off offset:128
	;; [unrolled: 1-line block ×6, first 2 shown]
	v_mov_b32_e32 v2, 0
	ds_load_2addr_b64 v[140:143], v2 offset0:71 offset1:72
	ds_load_2addr_b64 v[144:147], v2 offset0:73 offset1:74
	scratch_load_b128 v[148:151], off, off offset:208
	s_mov_b32 s0, exec_lo
	s_wait_loadcnt_dscnt 0x601
	v_fma_f64 v[152:153], v[118:119], v[140:141], 0
	s_wait_loadcnt 0x5
	s_delay_alu instid0(VALU_DEP_1) | instskip(SKIP_4) | instid1(VALU_DEP_1)
	v_fmac_f64_e32 v[152:153], v[120:121], v[142:143]
	scratch_load_b128 v[118:121], off, off offset:224
	s_wait_dscnt 0x0
	v_fmac_f64_e32 v[152:153], v[122:123], v[144:145]
	s_wait_loadcnt 0x5
	v_fmac_f64_e32 v[152:153], v[124:125], v[146:147]
	ds_load_2addr_b64 v[122:125], v2 offset0:75 offset1:76
	ds_load_2addr_b64 v[140:143], v2 offset0:77 offset1:78
	scratch_load_b128 v[144:147], off, off offset:240
	s_wait_dscnt 0x1
	v_fmac_f64_e32 v[152:153], v[126:127], v[122:123]
	s_wait_loadcnt 0x5
	s_delay_alu instid0(VALU_DEP_1) | instskip(SKIP_4) | instid1(VALU_DEP_1)
	v_fmac_f64_e32 v[152:153], v[128:129], v[124:125]
	scratch_load_b128 v[122:125], off, off offset:256
	s_wait_dscnt 0x0
	v_fmac_f64_e32 v[152:153], v[130:131], v[140:141]
	s_wait_loadcnt 0x5
	v_fmac_f64_e32 v[152:153], v[132:133], v[142:143]
	ds_load_2addr_b64 v[126:129], v2 offset0:79 offset1:80
	ds_load_2addr_b64 v[130:133], v2 offset0:81 offset1:82
	scratch_load_b128 v[140:143], off, off offset:272
	s_wait_dscnt 0x1
	v_fmac_f64_e32 v[152:153], v[134:135], v[126:127]
	s_wait_loadcnt 0x5
	s_delay_alu instid0(VALU_DEP_1) | instskip(SKIP_4) | instid1(VALU_DEP_1)
	v_fmac_f64_e32 v[152:153], v[136:137], v[128:129]
	scratch_load_b128 v[126:129], off, off offset:288
	s_wait_dscnt 0x0
	v_fmac_f64_e32 v[152:153], v[138:139], v[130:131]
	s_wait_loadcnt 0x5
	v_fmac_f64_e32 v[152:153], v[148:149], v[132:133]
	ds_load_2addr_b64 v[130:133], v2 offset0:83 offset1:84
	ds_load_2addr_b64 v[134:137], v2 offset0:85 offset1:86
	s_wait_dscnt 0x1
	v_fmac_f64_e32 v[152:153], v[150:151], v[130:131]
	scratch_load_b128 v[148:151], off, off offset:304
	s_wait_loadcnt 0x5
	v_fmac_f64_e32 v[152:153], v[118:119], v[132:133]
	s_wait_dscnt 0x0
	s_delay_alu instid0(VALU_DEP_1)
	v_fmac_f64_e32 v[152:153], v[120:121], v[134:135]
	scratch_load_b128 v[118:121], off, off offset:320
	s_wait_loadcnt 0x5
	v_fmac_f64_e32 v[152:153], v[144:145], v[136:137]
	ds_load_2addr_b64 v[130:133], v2 offset0:87 offset1:88
	ds_load_2addr_b64 v[134:137], v2 offset0:89 offset1:90
	s_wait_dscnt 0x1
	v_fmac_f64_e32 v[152:153], v[146:147], v[130:131]
	scratch_load_b128 v[144:147], off, off offset:336
	s_wait_loadcnt 0x5
	v_fmac_f64_e32 v[152:153], v[122:123], v[132:133]
	s_wait_dscnt 0x0
	s_delay_alu instid0(VALU_DEP_1)
	v_fmac_f64_e32 v[152:153], v[124:125], v[134:135]
	scratch_load_b128 v[122:125], off, off offset:352
	s_wait_loadcnt 0x5
	v_fmac_f64_e32 v[152:153], v[140:141], v[136:137]
	ds_load_2addr_b64 v[130:133], v2 offset0:91 offset1:92
	ds_load_2addr_b64 v[134:137], v2 offset0:93 offset1:94
	s_wait_dscnt 0x1
	v_fmac_f64_e32 v[152:153], v[142:143], v[130:131]
	s_wait_loadcnt 0x4
	s_delay_alu instid0(VALU_DEP_1)
	v_fmac_f64_e32 v[152:153], v[126:127], v[132:133]
	scratch_load_b128 v[130:133], off, off offset:368
	s_wait_dscnt 0x0
	v_fmac_f64_e32 v[152:153], v[128:129], v[134:135]
	scratch_load_b128 v[126:129], off, off offset:384
	s_wait_loadcnt 0x5
	v_fmac_f64_e32 v[152:153], v[148:149], v[136:137]
	ds_load_2addr_b64 v[134:137], v2 offset0:95 offset1:96
	ds_load_2addr_b64 v[138:141], v2 offset0:97 offset1:98
	s_wait_dscnt 0x1
	v_fmac_f64_e32 v[152:153], v[150:151], v[134:135]
	s_wait_loadcnt 0x4
	s_delay_alu instid0(VALU_DEP_1)
	v_fmac_f64_e32 v[152:153], v[118:119], v[136:137]
	scratch_load_b128 v[134:137], off, off offset:400
	s_wait_dscnt 0x0
	v_fmac_f64_e32 v[152:153], v[120:121], v[138:139]
	scratch_load_b128 v[118:121], off, off offset:416
	s_wait_loadcnt 0x5
	v_fmac_f64_e32 v[152:153], v[144:145], v[140:141]
	ds_load_2addr_b64 v[138:141], v2 offset0:99 offset1:100
	ds_load_2addr_b64 v[142:145], v2 offset0:101 offset1:102
	s_wait_dscnt 0x1
	v_fmac_f64_e32 v[152:153], v[146:147], v[138:139]
	s_wait_loadcnt 0x4
	s_delay_alu instid0(VALU_DEP_1) | instskip(SKIP_4) | instid1(VALU_DEP_1)
	v_fmac_f64_e32 v[152:153], v[122:123], v[140:141]
	scratch_load_b128 v[138:141], off, off offset:432
	s_wait_dscnt 0x0
	v_fmac_f64_e32 v[152:153], v[124:125], v[142:143]
	s_wait_loadcnt 0x4
	v_fmac_f64_e32 v[152:153], v[130:131], v[144:145]
	ds_load_2addr_b64 v[122:125], v2 offset0:103 offset1:104
	ds_load_2addr_b64 v[142:145], v2 offset0:105 offset1:106
	s_wait_dscnt 0x1
	v_fmac_f64_e32 v[152:153], v[132:133], v[122:123]
	s_wait_loadcnt 0x3
	s_delay_alu instid0(VALU_DEP_1) | instskip(SKIP_1) | instid1(VALU_DEP_1)
	v_fmac_f64_e32 v[152:153], v[126:127], v[124:125]
	s_wait_dscnt 0x0
	v_fmac_f64_e32 v[152:153], v[128:129], v[142:143]
	ds_load_2addr_b64 v[122:125], v2 offset0:107 offset1:108
	ds_load_2addr_b64 v[126:129], v2 offset0:109 offset1:110
	s_wait_loadcnt 0x2
	v_fmac_f64_e32 v[152:153], v[134:135], v[144:145]
	s_wait_dscnt 0x1
	s_delay_alu instid0(VALU_DEP_1) | instskip(SKIP_1) | instid1(VALU_DEP_1)
	v_fmac_f64_e32 v[152:153], v[136:137], v[122:123]
	s_wait_loadcnt 0x1
	v_fmac_f64_e32 v[152:153], v[118:119], v[124:125]
	ds_load_b64 v[118:119], v2 offset:888
	s_wait_dscnt 0x1
	v_fmac_f64_e32 v[152:153], v[120:121], v[126:127]
	s_wait_loadcnt 0x0
	s_delay_alu instid0(VALU_DEP_1) | instskip(SKIP_1) | instid1(VALU_DEP_1)
	v_fmac_f64_e32 v[152:153], v[138:139], v[128:129]
	s_wait_dscnt 0x0
	v_fmac_f64_e32 v[152:153], v[140:141], v[118:119]
	s_delay_alu instid0(VALU_DEP_1)
	v_add_f64_e64 v[116:117], v[116:117], -v[152:153]
	scratch_store_b64 off, v[116:117], off offset:112
	s_wait_xcnt 0x0
	v_cmpx_lt_u32_e32 13, v0
	s_cbranch_execz .LBB55_319
; %bb.318:
	scratch_load_b64 v[116:117], off, off offset:104
	v_mov_b64_e32 v[118:119], 0
	scratch_store_b64 off, v[118:119], off offset:104
	s_wait_loadcnt 0x0
	ds_store_b64 v1, v[116:117]
.LBB55_319:
	s_wait_xcnt 0x0
	s_or_b32 exec_lo, exec_lo, s0
	s_wait_storecnt_dscnt 0x0
	s_barrier_signal -1
	s_barrier_wait -1
	s_clause 0x5
	scratch_load_b128 v[116:119], off, off offset:104
	scratch_load_b128 v[120:123], off, off offset:120
	;; [unrolled: 1-line block ×6, first 2 shown]
	ds_load_b128 v[140:143], v2 offset:560
	ds_load_b128 v[144:147], v2 offset:576
	scratch_load_b128 v[148:151], off, off offset:200
	s_mov_b32 s0, exec_lo
	s_wait_loadcnt_dscnt 0x601
	v_fma_f64 v[152:153], v[118:119], v[140:141], 0
	s_wait_loadcnt 0x5
	s_delay_alu instid0(VALU_DEP_1) | instskip(SKIP_4) | instid1(VALU_DEP_1)
	v_fmac_f64_e32 v[152:153], v[120:121], v[142:143]
	scratch_load_b128 v[118:121], off, off offset:216
	s_wait_dscnt 0x0
	v_fmac_f64_e32 v[152:153], v[122:123], v[144:145]
	s_wait_loadcnt 0x5
	v_fmac_f64_e32 v[152:153], v[124:125], v[146:147]
	ds_load_b128 v[122:125], v2 offset:592
	ds_load_b128 v[140:143], v2 offset:608
	scratch_load_b128 v[144:147], off, off offset:232
	s_wait_dscnt 0x1
	v_fmac_f64_e32 v[152:153], v[126:127], v[122:123]
	s_wait_loadcnt 0x5
	s_delay_alu instid0(VALU_DEP_1) | instskip(SKIP_4) | instid1(VALU_DEP_1)
	v_fmac_f64_e32 v[152:153], v[128:129], v[124:125]
	scratch_load_b128 v[122:125], off, off offset:248
	s_wait_dscnt 0x0
	v_fmac_f64_e32 v[152:153], v[130:131], v[140:141]
	s_wait_loadcnt 0x5
	v_fmac_f64_e32 v[152:153], v[132:133], v[142:143]
	ds_load_b128 v[126:129], v2 offset:624
	ds_load_b128 v[130:133], v2 offset:640
	scratch_load_b128 v[140:143], off, off offset:264
	s_wait_dscnt 0x1
	v_fmac_f64_e32 v[152:153], v[134:135], v[126:127]
	s_wait_loadcnt 0x5
	s_delay_alu instid0(VALU_DEP_1) | instskip(SKIP_4) | instid1(VALU_DEP_1)
	v_fmac_f64_e32 v[152:153], v[136:137], v[128:129]
	scratch_load_b128 v[126:129], off, off offset:280
	s_wait_dscnt 0x0
	v_fmac_f64_e32 v[152:153], v[138:139], v[130:131]
	s_wait_loadcnt 0x5
	v_fmac_f64_e32 v[152:153], v[148:149], v[132:133]
	ds_load_b128 v[130:133], v2 offset:656
	ds_load_b128 v[134:137], v2 offset:672
	s_wait_dscnt 0x1
	v_fmac_f64_e32 v[152:153], v[150:151], v[130:131]
	scratch_load_b128 v[148:151], off, off offset:296
	s_wait_loadcnt 0x5
	v_fmac_f64_e32 v[152:153], v[118:119], v[132:133]
	s_wait_dscnt 0x0
	s_delay_alu instid0(VALU_DEP_1)
	v_fmac_f64_e32 v[152:153], v[120:121], v[134:135]
	scratch_load_b128 v[118:121], off, off offset:312
	s_wait_loadcnt 0x5
	v_fmac_f64_e32 v[152:153], v[144:145], v[136:137]
	ds_load_b128 v[130:133], v2 offset:688
	ds_load_b128 v[134:137], v2 offset:704
	s_wait_dscnt 0x1
	v_fmac_f64_e32 v[152:153], v[146:147], v[130:131]
	scratch_load_b128 v[144:147], off, off offset:328
	s_wait_loadcnt 0x5
	v_fmac_f64_e32 v[152:153], v[122:123], v[132:133]
	s_wait_dscnt 0x0
	s_delay_alu instid0(VALU_DEP_1)
	v_fmac_f64_e32 v[152:153], v[124:125], v[134:135]
	scratch_load_b128 v[122:125], off, off offset:344
	s_wait_loadcnt 0x5
	v_fmac_f64_e32 v[152:153], v[140:141], v[136:137]
	ds_load_b128 v[130:133], v2 offset:720
	ds_load_b128 v[134:137], v2 offset:736
	scratch_load_b128 v[138:141], off, off offset:360
	s_wait_dscnt 0x1
	v_fmac_f64_e32 v[152:153], v[142:143], v[130:131]
	s_wait_loadcnt 0x5
	s_delay_alu instid0(VALU_DEP_1) | instskip(SKIP_1) | instid1(VALU_DEP_1)
	v_fmac_f64_e32 v[152:153], v[126:127], v[132:133]
	s_wait_dscnt 0x0
	v_fmac_f64_e32 v[152:153], v[128:129], v[134:135]
	scratch_load_b128 v[126:129], off, off offset:376
	s_wait_loadcnt 0x5
	v_fmac_f64_e32 v[152:153], v[148:149], v[136:137]
	ds_load_b128 v[130:133], v2 offset:752
	ds_load_b128 v[134:137], v2 offset:768
	s_wait_dscnt 0x1
	v_fmac_f64_e32 v[152:153], v[150:151], v[130:131]
	s_wait_loadcnt 0x4
	s_delay_alu instid0(VALU_DEP_1)
	v_fmac_f64_e32 v[152:153], v[118:119], v[132:133]
	scratch_load_b128 v[130:133], off, off offset:392
	s_wait_dscnt 0x0
	v_fmac_f64_e32 v[152:153], v[120:121], v[134:135]
	scratch_load_b128 v[118:121], off, off offset:408
	s_wait_loadcnt 0x5
	v_fmac_f64_e32 v[152:153], v[144:145], v[136:137]
	ds_load_b128 v[134:137], v2 offset:784
	ds_load_b128 v[142:145], v2 offset:800
	s_wait_dscnt 0x1
	v_fmac_f64_e32 v[152:153], v[146:147], v[134:135]
	s_wait_loadcnt 0x4
	s_delay_alu instid0(VALU_DEP_1) | instskip(SKIP_4) | instid1(VALU_DEP_1)
	v_fmac_f64_e32 v[152:153], v[122:123], v[136:137]
	scratch_load_b128 v[134:137], off, off offset:424
	s_wait_dscnt 0x0
	v_fmac_f64_e32 v[152:153], v[124:125], v[142:143]
	s_wait_loadcnt 0x4
	v_fmac_f64_e32 v[152:153], v[138:139], v[144:145]
	scratch_load_b64 v[138:139], off, off offset:440
	ds_load_b128 v[122:125], v2 offset:816
	ds_load_b128 v[142:145], v2 offset:832
	s_wait_dscnt 0x1
	v_fmac_f64_e32 v[152:153], v[140:141], v[122:123]
	s_wait_loadcnt 0x4
	s_delay_alu instid0(VALU_DEP_1) | instskip(SKIP_1) | instid1(VALU_DEP_1)
	v_fmac_f64_e32 v[152:153], v[126:127], v[124:125]
	s_wait_dscnt 0x0
	v_fmac_f64_e32 v[152:153], v[128:129], v[142:143]
	ds_load_b128 v[122:125], v2 offset:848
	ds_load_b128 v[126:129], v2 offset:864
	s_wait_loadcnt 0x3
	v_fmac_f64_e32 v[152:153], v[130:131], v[144:145]
	s_wait_dscnt 0x1
	s_delay_alu instid0(VALU_DEP_1) | instskip(SKIP_1) | instid1(VALU_DEP_1)
	v_fmac_f64_e32 v[152:153], v[132:133], v[122:123]
	s_wait_loadcnt 0x2
	v_fmac_f64_e32 v[152:153], v[118:119], v[124:125]
	s_wait_dscnt 0x0
	s_delay_alu instid0(VALU_DEP_1) | instskip(SKIP_4) | instid1(VALU_DEP_1)
	v_fmac_f64_e32 v[152:153], v[120:121], v[126:127]
	ds_load_b128 v[118:121], v2 offset:880
	s_wait_loadcnt 0x1
	v_fmac_f64_e32 v[152:153], v[134:135], v[128:129]
	s_wait_dscnt 0x0
	v_fmac_f64_e32 v[152:153], v[136:137], v[118:119]
	s_wait_loadcnt 0x0
	s_delay_alu instid0(VALU_DEP_1) | instskip(NEXT) | instid1(VALU_DEP_1)
	v_fmac_f64_e32 v[152:153], v[138:139], v[120:121]
	v_add_f64_e64 v[2:3], v[116:117], -v[152:153]
	scratch_store_b64 off, v[2:3], off offset:104
	s_wait_xcnt 0x0
	v_cmpx_lt_u32_e32 12, v0
	s_cbranch_execz .LBB55_321
; %bb.320:
	scratch_load_b64 v[2:3], off, off offset:96
	v_mov_b64_e32 v[116:117], 0
	scratch_store_b64 off, v[116:117], off offset:96
	s_wait_loadcnt 0x0
	ds_store_b64 v1, v[2:3]
.LBB55_321:
	s_wait_xcnt 0x0
	s_or_b32 exec_lo, exec_lo, s0
	s_wait_storecnt_dscnt 0x0
	s_barrier_signal -1
	s_barrier_wait -1
	s_clause 0x5
	scratch_load_b128 v[116:119], off, off offset:96
	scratch_load_b128 v[120:123], off, off offset:112
	;; [unrolled: 1-line block ×6, first 2 shown]
	v_mov_b32_e32 v2, 0
	ds_load_2addr_b64 v[140:143], v2 offset0:69 offset1:70
	ds_load_2addr_b64 v[144:147], v2 offset0:71 offset1:72
	scratch_load_b128 v[148:151], off, off offset:192
	s_mov_b32 s0, exec_lo
	s_wait_loadcnt_dscnt 0x601
	v_fma_f64 v[152:153], v[118:119], v[140:141], 0
	s_wait_loadcnt 0x5
	s_delay_alu instid0(VALU_DEP_1) | instskip(SKIP_4) | instid1(VALU_DEP_1)
	v_fmac_f64_e32 v[152:153], v[120:121], v[142:143]
	scratch_load_b128 v[118:121], off, off offset:208
	s_wait_dscnt 0x0
	v_fmac_f64_e32 v[152:153], v[122:123], v[144:145]
	s_wait_loadcnt 0x5
	v_fmac_f64_e32 v[152:153], v[124:125], v[146:147]
	ds_load_2addr_b64 v[122:125], v2 offset0:73 offset1:74
	ds_load_2addr_b64 v[140:143], v2 offset0:75 offset1:76
	scratch_load_b128 v[144:147], off, off offset:224
	s_wait_dscnt 0x1
	v_fmac_f64_e32 v[152:153], v[126:127], v[122:123]
	s_wait_loadcnt 0x5
	s_delay_alu instid0(VALU_DEP_1) | instskip(SKIP_4) | instid1(VALU_DEP_1)
	v_fmac_f64_e32 v[152:153], v[128:129], v[124:125]
	scratch_load_b128 v[122:125], off, off offset:240
	s_wait_dscnt 0x0
	v_fmac_f64_e32 v[152:153], v[130:131], v[140:141]
	s_wait_loadcnt 0x5
	v_fmac_f64_e32 v[152:153], v[132:133], v[142:143]
	ds_load_2addr_b64 v[126:129], v2 offset0:77 offset1:78
	ds_load_2addr_b64 v[130:133], v2 offset0:79 offset1:80
	scratch_load_b128 v[140:143], off, off offset:256
	s_wait_dscnt 0x1
	v_fmac_f64_e32 v[152:153], v[134:135], v[126:127]
	s_wait_loadcnt 0x5
	s_delay_alu instid0(VALU_DEP_1) | instskip(SKIP_4) | instid1(VALU_DEP_1)
	v_fmac_f64_e32 v[152:153], v[136:137], v[128:129]
	scratch_load_b128 v[126:129], off, off offset:272
	s_wait_dscnt 0x0
	v_fmac_f64_e32 v[152:153], v[138:139], v[130:131]
	s_wait_loadcnt 0x5
	v_fmac_f64_e32 v[152:153], v[148:149], v[132:133]
	ds_load_2addr_b64 v[130:133], v2 offset0:81 offset1:82
	ds_load_2addr_b64 v[134:137], v2 offset0:83 offset1:84
	s_wait_dscnt 0x1
	v_fmac_f64_e32 v[152:153], v[150:151], v[130:131]
	scratch_load_b128 v[148:151], off, off offset:288
	s_wait_loadcnt 0x5
	v_fmac_f64_e32 v[152:153], v[118:119], v[132:133]
	s_wait_dscnt 0x0
	s_delay_alu instid0(VALU_DEP_1)
	v_fmac_f64_e32 v[152:153], v[120:121], v[134:135]
	scratch_load_b128 v[118:121], off, off offset:304
	s_wait_loadcnt 0x5
	v_fmac_f64_e32 v[152:153], v[144:145], v[136:137]
	ds_load_2addr_b64 v[130:133], v2 offset0:85 offset1:86
	ds_load_2addr_b64 v[134:137], v2 offset0:87 offset1:88
	s_wait_dscnt 0x1
	v_fmac_f64_e32 v[152:153], v[146:147], v[130:131]
	scratch_load_b128 v[144:147], off, off offset:320
	s_wait_loadcnt 0x5
	v_fmac_f64_e32 v[152:153], v[122:123], v[132:133]
	s_wait_dscnt 0x0
	s_delay_alu instid0(VALU_DEP_1)
	v_fmac_f64_e32 v[152:153], v[124:125], v[134:135]
	scratch_load_b128 v[122:125], off, off offset:336
	s_wait_loadcnt 0x5
	v_fmac_f64_e32 v[152:153], v[140:141], v[136:137]
	ds_load_2addr_b64 v[130:133], v2 offset0:89 offset1:90
	ds_load_2addr_b64 v[134:137], v2 offset0:91 offset1:92
	scratch_load_b128 v[138:141], off, off offset:352
	s_wait_dscnt 0x1
	v_fmac_f64_e32 v[152:153], v[142:143], v[130:131]
	s_wait_loadcnt 0x5
	s_delay_alu instid0(VALU_DEP_1) | instskip(SKIP_1) | instid1(VALU_DEP_1)
	v_fmac_f64_e32 v[152:153], v[126:127], v[132:133]
	s_wait_dscnt 0x0
	v_fmac_f64_e32 v[152:153], v[128:129], v[134:135]
	scratch_load_b128 v[126:129], off, off offset:368
	s_wait_loadcnt 0x5
	v_fmac_f64_e32 v[152:153], v[148:149], v[136:137]
	ds_load_2addr_b64 v[130:133], v2 offset0:93 offset1:94
	ds_load_2addr_b64 v[134:137], v2 offset0:95 offset1:96
	s_wait_dscnt 0x1
	v_fmac_f64_e32 v[152:153], v[150:151], v[130:131]
	s_wait_loadcnt 0x4
	s_delay_alu instid0(VALU_DEP_1)
	v_fmac_f64_e32 v[152:153], v[118:119], v[132:133]
	scratch_load_b128 v[130:133], off, off offset:384
	s_wait_dscnt 0x0
	v_fmac_f64_e32 v[152:153], v[120:121], v[134:135]
	scratch_load_b128 v[118:121], off, off offset:400
	s_wait_loadcnt 0x5
	v_fmac_f64_e32 v[152:153], v[144:145], v[136:137]
	ds_load_2addr_b64 v[134:137], v2 offset0:97 offset1:98
	ds_load_2addr_b64 v[142:145], v2 offset0:99 offset1:100
	s_wait_dscnt 0x1
	v_fmac_f64_e32 v[152:153], v[146:147], v[134:135]
	s_wait_loadcnt 0x4
	s_delay_alu instid0(VALU_DEP_1)
	v_fmac_f64_e32 v[152:153], v[122:123], v[136:137]
	scratch_load_b128 v[134:137], off, off offset:416
	s_wait_dscnt 0x0
	v_fmac_f64_e32 v[152:153], v[124:125], v[142:143]
	scratch_load_b128 v[122:125], off, off offset:432
	s_wait_loadcnt 0x5
	v_fmac_f64_e32 v[152:153], v[138:139], v[144:145]
	ds_load_2addr_b64 v[142:145], v2 offset0:101 offset1:102
	ds_load_2addr_b64 v[146:149], v2 offset0:103 offset1:104
	s_wait_dscnt 0x1
	v_fmac_f64_e32 v[152:153], v[140:141], v[142:143]
	s_wait_loadcnt 0x4
	s_delay_alu instid0(VALU_DEP_1) | instskip(SKIP_1) | instid1(VALU_DEP_1)
	v_fmac_f64_e32 v[152:153], v[126:127], v[144:145]
	s_wait_dscnt 0x0
	v_fmac_f64_e32 v[152:153], v[128:129], v[146:147]
	ds_load_2addr_b64 v[126:129], v2 offset0:105 offset1:106
	ds_load_2addr_b64 v[138:141], v2 offset0:107 offset1:108
	s_wait_loadcnt 0x3
	v_fmac_f64_e32 v[152:153], v[130:131], v[148:149]
	s_wait_dscnt 0x1
	s_delay_alu instid0(VALU_DEP_1) | instskip(SKIP_1) | instid1(VALU_DEP_1)
	v_fmac_f64_e32 v[152:153], v[132:133], v[126:127]
	s_wait_loadcnt 0x2
	v_fmac_f64_e32 v[152:153], v[118:119], v[128:129]
	s_wait_dscnt 0x0
	s_delay_alu instid0(VALU_DEP_1)
	v_fmac_f64_e32 v[152:153], v[120:121], v[138:139]
	ds_load_2addr_b64 v[118:121], v2 offset0:109 offset1:110
	ds_load_b64 v[126:127], v2 offset:888
	s_wait_loadcnt 0x1
	v_fmac_f64_e32 v[152:153], v[134:135], v[140:141]
	s_wait_dscnt 0x1
	s_delay_alu instid0(VALU_DEP_1) | instskip(SKIP_1) | instid1(VALU_DEP_1)
	v_fmac_f64_e32 v[152:153], v[136:137], v[118:119]
	s_wait_loadcnt 0x0
	v_fmac_f64_e32 v[152:153], v[122:123], v[120:121]
	s_wait_dscnt 0x0
	s_delay_alu instid0(VALU_DEP_1) | instskip(NEXT) | instid1(VALU_DEP_1)
	v_fmac_f64_e32 v[152:153], v[124:125], v[126:127]
	v_add_f64_e64 v[116:117], v[116:117], -v[152:153]
	scratch_store_b64 off, v[116:117], off offset:96
	s_wait_xcnt 0x0
	v_cmpx_lt_u32_e32 11, v0
	s_cbranch_execz .LBB55_323
; %bb.322:
	scratch_load_b64 v[116:117], off, off offset:88
	v_mov_b64_e32 v[118:119], 0
	scratch_store_b64 off, v[118:119], off offset:88
	s_wait_loadcnt 0x0
	ds_store_b64 v1, v[116:117]
.LBB55_323:
	s_wait_xcnt 0x0
	s_or_b32 exec_lo, exec_lo, s0
	s_wait_storecnt_dscnt 0x0
	s_barrier_signal -1
	s_barrier_wait -1
	s_clause 0x5
	scratch_load_b128 v[116:119], off, off offset:88
	scratch_load_b128 v[120:123], off, off offset:104
	;; [unrolled: 1-line block ×6, first 2 shown]
	ds_load_b128 v[140:143], v2 offset:544
	ds_load_b128 v[144:147], v2 offset:560
	scratch_load_b128 v[148:151], off, off offset:184
	s_mov_b32 s0, exec_lo
	s_wait_loadcnt_dscnt 0x601
	v_fma_f64 v[152:153], v[118:119], v[140:141], 0
	s_wait_loadcnt 0x5
	s_delay_alu instid0(VALU_DEP_1) | instskip(SKIP_4) | instid1(VALU_DEP_1)
	v_fmac_f64_e32 v[152:153], v[120:121], v[142:143]
	scratch_load_b128 v[118:121], off, off offset:200
	s_wait_dscnt 0x0
	v_fmac_f64_e32 v[152:153], v[122:123], v[144:145]
	s_wait_loadcnt 0x5
	v_fmac_f64_e32 v[152:153], v[124:125], v[146:147]
	ds_load_b128 v[122:125], v2 offset:576
	ds_load_b128 v[140:143], v2 offset:592
	scratch_load_b128 v[144:147], off, off offset:216
	s_wait_dscnt 0x1
	v_fmac_f64_e32 v[152:153], v[126:127], v[122:123]
	s_wait_loadcnt 0x5
	s_delay_alu instid0(VALU_DEP_1) | instskip(SKIP_4) | instid1(VALU_DEP_1)
	v_fmac_f64_e32 v[152:153], v[128:129], v[124:125]
	scratch_load_b128 v[122:125], off, off offset:232
	s_wait_dscnt 0x0
	v_fmac_f64_e32 v[152:153], v[130:131], v[140:141]
	s_wait_loadcnt 0x5
	v_fmac_f64_e32 v[152:153], v[132:133], v[142:143]
	ds_load_b128 v[126:129], v2 offset:608
	ds_load_b128 v[130:133], v2 offset:624
	scratch_load_b128 v[140:143], off, off offset:248
	s_wait_dscnt 0x1
	v_fmac_f64_e32 v[152:153], v[134:135], v[126:127]
	s_wait_loadcnt 0x5
	s_delay_alu instid0(VALU_DEP_1) | instskip(SKIP_4) | instid1(VALU_DEP_1)
	v_fmac_f64_e32 v[152:153], v[136:137], v[128:129]
	scratch_load_b128 v[126:129], off, off offset:264
	s_wait_dscnt 0x0
	v_fmac_f64_e32 v[152:153], v[138:139], v[130:131]
	s_wait_loadcnt 0x5
	v_fmac_f64_e32 v[152:153], v[148:149], v[132:133]
	ds_load_b128 v[130:133], v2 offset:640
	ds_load_b128 v[134:137], v2 offset:656
	s_wait_dscnt 0x1
	v_fmac_f64_e32 v[152:153], v[150:151], v[130:131]
	scratch_load_b128 v[148:151], off, off offset:280
	s_wait_loadcnt 0x5
	v_fmac_f64_e32 v[152:153], v[118:119], v[132:133]
	s_wait_dscnt 0x0
	s_delay_alu instid0(VALU_DEP_1)
	v_fmac_f64_e32 v[152:153], v[120:121], v[134:135]
	scratch_load_b128 v[118:121], off, off offset:296
	s_wait_loadcnt 0x5
	v_fmac_f64_e32 v[152:153], v[144:145], v[136:137]
	ds_load_b128 v[130:133], v2 offset:672
	ds_load_b128 v[134:137], v2 offset:688
	s_wait_dscnt 0x1
	v_fmac_f64_e32 v[152:153], v[146:147], v[130:131]
	scratch_load_b128 v[144:147], off, off offset:312
	s_wait_loadcnt 0x5
	v_fmac_f64_e32 v[152:153], v[122:123], v[132:133]
	s_wait_dscnt 0x0
	s_delay_alu instid0(VALU_DEP_1)
	v_fmac_f64_e32 v[152:153], v[124:125], v[134:135]
	scratch_load_b128 v[122:125], off, off offset:328
	s_wait_loadcnt 0x5
	v_fmac_f64_e32 v[152:153], v[140:141], v[136:137]
	ds_load_b128 v[130:133], v2 offset:704
	ds_load_b128 v[134:137], v2 offset:720
	scratch_load_b128 v[138:141], off, off offset:344
	s_wait_dscnt 0x1
	v_fmac_f64_e32 v[152:153], v[142:143], v[130:131]
	s_wait_loadcnt 0x5
	s_delay_alu instid0(VALU_DEP_1) | instskip(SKIP_1) | instid1(VALU_DEP_1)
	v_fmac_f64_e32 v[152:153], v[126:127], v[132:133]
	s_wait_dscnt 0x0
	v_fmac_f64_e32 v[152:153], v[128:129], v[134:135]
	scratch_load_b128 v[126:129], off, off offset:360
	s_wait_loadcnt 0x5
	v_fmac_f64_e32 v[152:153], v[148:149], v[136:137]
	ds_load_b128 v[130:133], v2 offset:736
	ds_load_b128 v[134:137], v2 offset:752
	s_wait_dscnt 0x1
	v_fmac_f64_e32 v[152:153], v[150:151], v[130:131]
	s_wait_loadcnt 0x4
	s_delay_alu instid0(VALU_DEP_1)
	v_fmac_f64_e32 v[152:153], v[118:119], v[132:133]
	scratch_load_b128 v[130:133], off, off offset:376
	s_wait_dscnt 0x0
	v_fmac_f64_e32 v[152:153], v[120:121], v[134:135]
	scratch_load_b128 v[118:121], off, off offset:392
	s_wait_loadcnt 0x5
	v_fmac_f64_e32 v[152:153], v[144:145], v[136:137]
	ds_load_b128 v[134:137], v2 offset:768
	ds_load_b128 v[142:145], v2 offset:784
	s_wait_dscnt 0x1
	v_fmac_f64_e32 v[152:153], v[146:147], v[134:135]
	s_wait_loadcnt 0x4
	s_delay_alu instid0(VALU_DEP_1)
	v_fmac_f64_e32 v[152:153], v[122:123], v[136:137]
	scratch_load_b128 v[134:137], off, off offset:408
	s_wait_dscnt 0x0
	v_fmac_f64_e32 v[152:153], v[124:125], v[142:143]
	scratch_load_b128 v[122:125], off, off offset:424
	s_wait_loadcnt 0x5
	v_fmac_f64_e32 v[152:153], v[138:139], v[144:145]
	ds_load_b128 v[142:145], v2 offset:800
	ds_load_b128 v[146:149], v2 offset:816
	s_wait_dscnt 0x1
	v_fmac_f64_e32 v[152:153], v[140:141], v[142:143]
	scratch_load_b64 v[142:143], off, off offset:440
	s_wait_loadcnt 0x5
	v_fmac_f64_e32 v[152:153], v[126:127], v[144:145]
	s_wait_dscnt 0x0
	s_delay_alu instid0(VALU_DEP_1)
	v_fmac_f64_e32 v[152:153], v[128:129], v[146:147]
	ds_load_b128 v[126:129], v2 offset:832
	ds_load_b128 v[138:141], v2 offset:848
	s_wait_loadcnt 0x4
	v_fmac_f64_e32 v[152:153], v[130:131], v[148:149]
	s_wait_dscnt 0x1
	s_delay_alu instid0(VALU_DEP_1) | instskip(SKIP_1) | instid1(VALU_DEP_1)
	v_fmac_f64_e32 v[152:153], v[132:133], v[126:127]
	s_wait_loadcnt 0x3
	v_fmac_f64_e32 v[152:153], v[118:119], v[128:129]
	s_wait_dscnt 0x0
	s_delay_alu instid0(VALU_DEP_1)
	v_fmac_f64_e32 v[152:153], v[120:121], v[138:139]
	ds_load_b128 v[118:121], v2 offset:864
	ds_load_b128 v[126:129], v2 offset:880
	s_wait_loadcnt 0x2
	v_fmac_f64_e32 v[152:153], v[134:135], v[140:141]
	s_wait_dscnt 0x1
	s_delay_alu instid0(VALU_DEP_1) | instskip(SKIP_1) | instid1(VALU_DEP_1)
	v_fmac_f64_e32 v[152:153], v[136:137], v[118:119]
	s_wait_loadcnt 0x1
	v_fmac_f64_e32 v[152:153], v[122:123], v[120:121]
	s_wait_dscnt 0x0
	s_delay_alu instid0(VALU_DEP_1) | instskip(SKIP_1) | instid1(VALU_DEP_1)
	v_fmac_f64_e32 v[152:153], v[124:125], v[126:127]
	s_wait_loadcnt 0x0
	v_fmac_f64_e32 v[152:153], v[142:143], v[128:129]
	s_delay_alu instid0(VALU_DEP_1)
	v_add_f64_e64 v[2:3], v[116:117], -v[152:153]
	scratch_store_b64 off, v[2:3], off offset:88
	s_wait_xcnt 0x0
	v_cmpx_lt_u32_e32 10, v0
	s_cbranch_execz .LBB55_325
; %bb.324:
	scratch_load_b64 v[2:3], off, off offset:80
	v_mov_b64_e32 v[116:117], 0
	scratch_store_b64 off, v[116:117], off offset:80
	s_wait_loadcnt 0x0
	ds_store_b64 v1, v[2:3]
.LBB55_325:
	s_wait_xcnt 0x0
	s_or_b32 exec_lo, exec_lo, s0
	s_wait_storecnt_dscnt 0x0
	s_barrier_signal -1
	s_barrier_wait -1
	s_clause 0x5
	scratch_load_b128 v[116:119], off, off offset:80
	scratch_load_b128 v[120:123], off, off offset:96
	;; [unrolled: 1-line block ×6, first 2 shown]
	v_mov_b32_e32 v2, 0
	ds_load_2addr_b64 v[140:143], v2 offset0:67 offset1:68
	ds_load_2addr_b64 v[144:147], v2 offset0:69 offset1:70
	scratch_load_b128 v[148:151], off, off offset:176
	s_mov_b32 s0, exec_lo
	s_wait_loadcnt_dscnt 0x601
	v_fma_f64 v[152:153], v[118:119], v[140:141], 0
	s_wait_loadcnt 0x5
	s_delay_alu instid0(VALU_DEP_1) | instskip(SKIP_4) | instid1(VALU_DEP_1)
	v_fmac_f64_e32 v[152:153], v[120:121], v[142:143]
	scratch_load_b128 v[118:121], off, off offset:192
	s_wait_dscnt 0x0
	v_fmac_f64_e32 v[152:153], v[122:123], v[144:145]
	s_wait_loadcnt 0x5
	v_fmac_f64_e32 v[152:153], v[124:125], v[146:147]
	ds_load_2addr_b64 v[122:125], v2 offset0:71 offset1:72
	ds_load_2addr_b64 v[140:143], v2 offset0:73 offset1:74
	scratch_load_b128 v[144:147], off, off offset:208
	s_wait_dscnt 0x1
	v_fmac_f64_e32 v[152:153], v[126:127], v[122:123]
	s_wait_loadcnt 0x5
	s_delay_alu instid0(VALU_DEP_1) | instskip(SKIP_4) | instid1(VALU_DEP_1)
	v_fmac_f64_e32 v[152:153], v[128:129], v[124:125]
	scratch_load_b128 v[122:125], off, off offset:224
	s_wait_dscnt 0x0
	v_fmac_f64_e32 v[152:153], v[130:131], v[140:141]
	s_wait_loadcnt 0x5
	v_fmac_f64_e32 v[152:153], v[132:133], v[142:143]
	ds_load_2addr_b64 v[126:129], v2 offset0:75 offset1:76
	ds_load_2addr_b64 v[130:133], v2 offset0:77 offset1:78
	scratch_load_b128 v[140:143], off, off offset:240
	s_wait_dscnt 0x1
	v_fmac_f64_e32 v[152:153], v[134:135], v[126:127]
	s_wait_loadcnt 0x5
	s_delay_alu instid0(VALU_DEP_1) | instskip(SKIP_4) | instid1(VALU_DEP_1)
	v_fmac_f64_e32 v[152:153], v[136:137], v[128:129]
	scratch_load_b128 v[126:129], off, off offset:256
	s_wait_dscnt 0x0
	v_fmac_f64_e32 v[152:153], v[138:139], v[130:131]
	s_wait_loadcnt 0x5
	v_fmac_f64_e32 v[152:153], v[148:149], v[132:133]
	ds_load_2addr_b64 v[130:133], v2 offset0:79 offset1:80
	ds_load_2addr_b64 v[134:137], v2 offset0:81 offset1:82
	s_wait_dscnt 0x1
	v_fmac_f64_e32 v[152:153], v[150:151], v[130:131]
	scratch_load_b128 v[148:151], off, off offset:272
	s_wait_loadcnt 0x5
	v_fmac_f64_e32 v[152:153], v[118:119], v[132:133]
	s_wait_dscnt 0x0
	s_delay_alu instid0(VALU_DEP_1)
	v_fmac_f64_e32 v[152:153], v[120:121], v[134:135]
	scratch_load_b128 v[118:121], off, off offset:288
	s_wait_loadcnt 0x5
	v_fmac_f64_e32 v[152:153], v[144:145], v[136:137]
	ds_load_2addr_b64 v[130:133], v2 offset0:83 offset1:84
	ds_load_2addr_b64 v[134:137], v2 offset0:85 offset1:86
	s_wait_dscnt 0x1
	v_fmac_f64_e32 v[152:153], v[146:147], v[130:131]
	scratch_load_b128 v[144:147], off, off offset:304
	s_wait_loadcnt 0x5
	v_fmac_f64_e32 v[152:153], v[122:123], v[132:133]
	s_wait_dscnt 0x0
	s_delay_alu instid0(VALU_DEP_1)
	v_fmac_f64_e32 v[152:153], v[124:125], v[134:135]
	scratch_load_b128 v[122:125], off, off offset:320
	s_wait_loadcnt 0x5
	v_fmac_f64_e32 v[152:153], v[140:141], v[136:137]
	ds_load_2addr_b64 v[130:133], v2 offset0:87 offset1:88
	ds_load_2addr_b64 v[134:137], v2 offset0:89 offset1:90
	scratch_load_b128 v[138:141], off, off offset:336
	s_wait_dscnt 0x1
	v_fmac_f64_e32 v[152:153], v[142:143], v[130:131]
	s_wait_loadcnt 0x5
	s_delay_alu instid0(VALU_DEP_1) | instskip(SKIP_1) | instid1(VALU_DEP_1)
	v_fmac_f64_e32 v[152:153], v[126:127], v[132:133]
	s_wait_dscnt 0x0
	v_fmac_f64_e32 v[152:153], v[128:129], v[134:135]
	scratch_load_b128 v[126:129], off, off offset:352
	s_wait_loadcnt 0x5
	v_fmac_f64_e32 v[152:153], v[148:149], v[136:137]
	ds_load_2addr_b64 v[130:133], v2 offset0:91 offset1:92
	ds_load_2addr_b64 v[134:137], v2 offset0:93 offset1:94
	s_wait_dscnt 0x1
	v_fmac_f64_e32 v[152:153], v[150:151], v[130:131]
	s_wait_loadcnt 0x4
	s_delay_alu instid0(VALU_DEP_1)
	v_fmac_f64_e32 v[152:153], v[118:119], v[132:133]
	scratch_load_b128 v[130:133], off, off offset:368
	s_wait_dscnt 0x0
	v_fmac_f64_e32 v[152:153], v[120:121], v[134:135]
	scratch_load_b128 v[118:121], off, off offset:384
	s_wait_loadcnt 0x5
	v_fmac_f64_e32 v[152:153], v[144:145], v[136:137]
	ds_load_2addr_b64 v[134:137], v2 offset0:95 offset1:96
	ds_load_2addr_b64 v[142:145], v2 offset0:97 offset1:98
	s_wait_dscnt 0x1
	v_fmac_f64_e32 v[152:153], v[146:147], v[134:135]
	s_wait_loadcnt 0x4
	s_delay_alu instid0(VALU_DEP_1)
	v_fmac_f64_e32 v[152:153], v[122:123], v[136:137]
	scratch_load_b128 v[134:137], off, off offset:400
	s_wait_dscnt 0x0
	v_fmac_f64_e32 v[152:153], v[124:125], v[142:143]
	scratch_load_b128 v[122:125], off, off offset:416
	s_wait_loadcnt 0x5
	v_fmac_f64_e32 v[152:153], v[138:139], v[144:145]
	ds_load_2addr_b64 v[142:145], v2 offset0:99 offset1:100
	ds_load_2addr_b64 v[146:149], v2 offset0:101 offset1:102
	s_wait_dscnt 0x1
	v_fmac_f64_e32 v[152:153], v[140:141], v[142:143]
	scratch_load_b128 v[138:141], off, off offset:432
	s_wait_loadcnt 0x5
	v_fmac_f64_e32 v[152:153], v[126:127], v[144:145]
	s_wait_dscnt 0x0
	s_delay_alu instid0(VALU_DEP_1)
	v_fmac_f64_e32 v[152:153], v[128:129], v[146:147]
	ds_load_2addr_b64 v[126:129], v2 offset0:103 offset1:104
	ds_load_2addr_b64 v[142:145], v2 offset0:105 offset1:106
	s_wait_loadcnt 0x4
	v_fmac_f64_e32 v[152:153], v[130:131], v[148:149]
	s_wait_dscnt 0x1
	s_delay_alu instid0(VALU_DEP_1) | instskip(SKIP_1) | instid1(VALU_DEP_1)
	v_fmac_f64_e32 v[152:153], v[132:133], v[126:127]
	s_wait_loadcnt 0x3
	v_fmac_f64_e32 v[152:153], v[118:119], v[128:129]
	s_wait_dscnt 0x0
	s_delay_alu instid0(VALU_DEP_1)
	v_fmac_f64_e32 v[152:153], v[120:121], v[142:143]
	ds_load_2addr_b64 v[118:121], v2 offset0:107 offset1:108
	ds_load_2addr_b64 v[126:129], v2 offset0:109 offset1:110
	s_wait_loadcnt 0x2
	v_fmac_f64_e32 v[152:153], v[134:135], v[144:145]
	s_wait_dscnt 0x1
	s_delay_alu instid0(VALU_DEP_1) | instskip(SKIP_4) | instid1(VALU_DEP_1)
	v_fmac_f64_e32 v[152:153], v[136:137], v[118:119]
	ds_load_b64 v[118:119], v2 offset:888
	s_wait_loadcnt 0x1
	v_fmac_f64_e32 v[152:153], v[122:123], v[120:121]
	s_wait_dscnt 0x1
	v_fmac_f64_e32 v[152:153], v[124:125], v[126:127]
	s_wait_loadcnt 0x0
	s_delay_alu instid0(VALU_DEP_1) | instskip(SKIP_1) | instid1(VALU_DEP_1)
	v_fmac_f64_e32 v[152:153], v[138:139], v[128:129]
	s_wait_dscnt 0x0
	v_fmac_f64_e32 v[152:153], v[140:141], v[118:119]
	s_delay_alu instid0(VALU_DEP_1)
	v_add_f64_e64 v[116:117], v[116:117], -v[152:153]
	scratch_store_b64 off, v[116:117], off offset:80
	s_wait_xcnt 0x0
	v_cmpx_lt_u32_e32 9, v0
	s_cbranch_execz .LBB55_327
; %bb.326:
	scratch_load_b64 v[116:117], off, off offset:72
	v_mov_b64_e32 v[118:119], 0
	scratch_store_b64 off, v[118:119], off offset:72
	s_wait_loadcnt 0x0
	ds_store_b64 v1, v[116:117]
.LBB55_327:
	s_wait_xcnt 0x0
	s_or_b32 exec_lo, exec_lo, s0
	s_wait_storecnt_dscnt 0x0
	s_barrier_signal -1
	s_barrier_wait -1
	s_clause 0x5
	scratch_load_b128 v[116:119], off, off offset:72
	scratch_load_b128 v[120:123], off, off offset:88
	;; [unrolled: 1-line block ×6, first 2 shown]
	ds_load_b128 v[140:143], v2 offset:528
	ds_load_b128 v[144:147], v2 offset:544
	scratch_load_b128 v[148:151], off, off offset:168
	s_mov_b32 s0, exec_lo
	s_wait_loadcnt_dscnt 0x601
	v_fma_f64 v[152:153], v[118:119], v[140:141], 0
	s_wait_loadcnt 0x5
	s_delay_alu instid0(VALU_DEP_1) | instskip(SKIP_4) | instid1(VALU_DEP_1)
	v_fmac_f64_e32 v[152:153], v[120:121], v[142:143]
	scratch_load_b128 v[118:121], off, off offset:184
	s_wait_dscnt 0x0
	v_fmac_f64_e32 v[152:153], v[122:123], v[144:145]
	s_wait_loadcnt 0x5
	v_fmac_f64_e32 v[152:153], v[124:125], v[146:147]
	ds_load_b128 v[122:125], v2 offset:560
	ds_load_b128 v[140:143], v2 offset:576
	scratch_load_b128 v[144:147], off, off offset:200
	s_wait_dscnt 0x1
	v_fmac_f64_e32 v[152:153], v[126:127], v[122:123]
	s_wait_loadcnt 0x5
	s_delay_alu instid0(VALU_DEP_1) | instskip(SKIP_4) | instid1(VALU_DEP_1)
	v_fmac_f64_e32 v[152:153], v[128:129], v[124:125]
	scratch_load_b128 v[122:125], off, off offset:216
	s_wait_dscnt 0x0
	v_fmac_f64_e32 v[152:153], v[130:131], v[140:141]
	s_wait_loadcnt 0x5
	v_fmac_f64_e32 v[152:153], v[132:133], v[142:143]
	ds_load_b128 v[126:129], v2 offset:592
	ds_load_b128 v[130:133], v2 offset:608
	scratch_load_b128 v[140:143], off, off offset:232
	s_wait_dscnt 0x1
	v_fmac_f64_e32 v[152:153], v[134:135], v[126:127]
	s_wait_loadcnt 0x5
	s_delay_alu instid0(VALU_DEP_1) | instskip(SKIP_4) | instid1(VALU_DEP_1)
	v_fmac_f64_e32 v[152:153], v[136:137], v[128:129]
	scratch_load_b128 v[126:129], off, off offset:248
	s_wait_dscnt 0x0
	v_fmac_f64_e32 v[152:153], v[138:139], v[130:131]
	s_wait_loadcnt 0x5
	v_fmac_f64_e32 v[152:153], v[148:149], v[132:133]
	ds_load_b128 v[130:133], v2 offset:624
	ds_load_b128 v[134:137], v2 offset:640
	s_wait_dscnt 0x1
	v_fmac_f64_e32 v[152:153], v[150:151], v[130:131]
	scratch_load_b128 v[148:151], off, off offset:264
	s_wait_loadcnt 0x5
	v_fmac_f64_e32 v[152:153], v[118:119], v[132:133]
	s_wait_dscnt 0x0
	s_delay_alu instid0(VALU_DEP_1)
	v_fmac_f64_e32 v[152:153], v[120:121], v[134:135]
	scratch_load_b128 v[118:121], off, off offset:280
	s_wait_loadcnt 0x5
	v_fmac_f64_e32 v[152:153], v[144:145], v[136:137]
	ds_load_b128 v[130:133], v2 offset:656
	ds_load_b128 v[134:137], v2 offset:672
	s_wait_dscnt 0x1
	v_fmac_f64_e32 v[152:153], v[146:147], v[130:131]
	scratch_load_b128 v[144:147], off, off offset:296
	s_wait_loadcnt 0x5
	v_fmac_f64_e32 v[152:153], v[122:123], v[132:133]
	s_wait_dscnt 0x0
	s_delay_alu instid0(VALU_DEP_1)
	v_fmac_f64_e32 v[152:153], v[124:125], v[134:135]
	scratch_load_b128 v[122:125], off, off offset:312
	s_wait_loadcnt 0x5
	v_fmac_f64_e32 v[152:153], v[140:141], v[136:137]
	ds_load_b128 v[130:133], v2 offset:688
	ds_load_b128 v[134:137], v2 offset:704
	scratch_load_b128 v[138:141], off, off offset:328
	s_wait_dscnt 0x1
	v_fmac_f64_e32 v[152:153], v[142:143], v[130:131]
	s_wait_loadcnt 0x5
	s_delay_alu instid0(VALU_DEP_1) | instskip(SKIP_1) | instid1(VALU_DEP_1)
	v_fmac_f64_e32 v[152:153], v[126:127], v[132:133]
	s_wait_dscnt 0x0
	v_fmac_f64_e32 v[152:153], v[128:129], v[134:135]
	scratch_load_b128 v[126:129], off, off offset:344
	s_wait_loadcnt 0x5
	v_fmac_f64_e32 v[152:153], v[148:149], v[136:137]
	ds_load_b128 v[130:133], v2 offset:720
	ds_load_b128 v[134:137], v2 offset:736
	s_wait_dscnt 0x1
	v_fmac_f64_e32 v[152:153], v[150:151], v[130:131]
	scratch_load_b128 v[148:151], off, off offset:360
	s_wait_loadcnt 0x5
	v_fmac_f64_e32 v[152:153], v[118:119], v[132:133]
	s_wait_dscnt 0x0
	s_delay_alu instid0(VALU_DEP_1)
	v_fmac_f64_e32 v[152:153], v[120:121], v[134:135]
	scratch_load_b128 v[118:121], off, off offset:376
	s_wait_loadcnt 0x5
	v_fmac_f64_e32 v[152:153], v[144:145], v[136:137]
	ds_load_b128 v[130:133], v2 offset:752
	ds_load_b128 v[134:137], v2 offset:768
	s_wait_dscnt 0x1
	v_fmac_f64_e32 v[152:153], v[146:147], v[130:131]
	s_wait_loadcnt 0x4
	s_delay_alu instid0(VALU_DEP_1)
	v_fmac_f64_e32 v[152:153], v[122:123], v[132:133]
	scratch_load_b128 v[130:133], off, off offset:392
	s_wait_dscnt 0x0
	v_fmac_f64_e32 v[152:153], v[124:125], v[134:135]
	scratch_load_b128 v[122:125], off, off offset:408
	s_wait_loadcnt 0x5
	v_fmac_f64_e32 v[152:153], v[138:139], v[136:137]
	ds_load_b128 v[134:137], v2 offset:784
	ds_load_b128 v[142:145], v2 offset:800
	s_wait_dscnt 0x1
	v_fmac_f64_e32 v[152:153], v[140:141], v[134:135]
	s_wait_loadcnt 0x4
	s_delay_alu instid0(VALU_DEP_1)
	v_fmac_f64_e32 v[152:153], v[126:127], v[136:137]
	scratch_load_b128 v[134:137], off, off offset:424
	s_wait_dscnt 0x0
	v_fmac_f64_e32 v[152:153], v[128:129], v[142:143]
	scratch_load_b64 v[142:143], off, off offset:440
	ds_load_b128 v[126:129], v2 offset:816
	ds_load_b128 v[138:141], v2 offset:832
	s_wait_loadcnt 0x5
	v_fmac_f64_e32 v[152:153], v[148:149], v[144:145]
	s_wait_dscnt 0x1
	s_delay_alu instid0(VALU_DEP_1) | instskip(SKIP_1) | instid1(VALU_DEP_1)
	v_fmac_f64_e32 v[152:153], v[150:151], v[126:127]
	s_wait_loadcnt 0x4
	v_fmac_f64_e32 v[152:153], v[118:119], v[128:129]
	s_wait_dscnt 0x0
	s_delay_alu instid0(VALU_DEP_1)
	v_fmac_f64_e32 v[152:153], v[120:121], v[138:139]
	ds_load_b128 v[118:121], v2 offset:848
	ds_load_b128 v[126:129], v2 offset:864
	s_wait_loadcnt 0x3
	v_fmac_f64_e32 v[152:153], v[130:131], v[140:141]
	s_wait_dscnt 0x1
	s_delay_alu instid0(VALU_DEP_1) | instskip(SKIP_1) | instid1(VALU_DEP_1)
	v_fmac_f64_e32 v[152:153], v[132:133], v[118:119]
	s_wait_loadcnt 0x2
	v_fmac_f64_e32 v[152:153], v[122:123], v[120:121]
	ds_load_b128 v[118:121], v2 offset:880
	s_wait_dscnt 0x1
	v_fmac_f64_e32 v[152:153], v[124:125], v[126:127]
	s_wait_loadcnt 0x1
	s_delay_alu instid0(VALU_DEP_1) | instskip(SKIP_1) | instid1(VALU_DEP_1)
	v_fmac_f64_e32 v[152:153], v[134:135], v[128:129]
	s_wait_dscnt 0x0
	v_fmac_f64_e32 v[152:153], v[136:137], v[118:119]
	s_wait_loadcnt 0x0
	s_delay_alu instid0(VALU_DEP_1) | instskip(NEXT) | instid1(VALU_DEP_1)
	v_fmac_f64_e32 v[152:153], v[142:143], v[120:121]
	v_add_f64_e64 v[2:3], v[116:117], -v[152:153]
	scratch_store_b64 off, v[2:3], off offset:72
	s_wait_xcnt 0x0
	v_cmpx_lt_u32_e32 8, v0
	s_cbranch_execz .LBB55_329
; %bb.328:
	scratch_load_b64 v[2:3], off, off offset:64
	v_mov_b64_e32 v[116:117], 0
	scratch_store_b64 off, v[116:117], off offset:64
	s_wait_loadcnt 0x0
	ds_store_b64 v1, v[2:3]
.LBB55_329:
	s_wait_xcnt 0x0
	s_or_b32 exec_lo, exec_lo, s0
	s_wait_storecnt_dscnt 0x0
	s_barrier_signal -1
	s_barrier_wait -1
	s_clause 0x5
	scratch_load_b128 v[116:119], off, off offset:64
	scratch_load_b128 v[120:123], off, off offset:80
	;; [unrolled: 1-line block ×6, first 2 shown]
	v_mov_b32_e32 v2, 0
	ds_load_2addr_b64 v[140:143], v2 offset0:65 offset1:66
	ds_load_2addr_b64 v[144:147], v2 offset0:67 offset1:68
	scratch_load_b128 v[148:151], off, off offset:160
	s_mov_b32 s0, exec_lo
	s_wait_loadcnt_dscnt 0x601
	v_fma_f64 v[152:153], v[118:119], v[140:141], 0
	s_wait_loadcnt 0x5
	s_delay_alu instid0(VALU_DEP_1) | instskip(SKIP_4) | instid1(VALU_DEP_1)
	v_fmac_f64_e32 v[152:153], v[120:121], v[142:143]
	scratch_load_b128 v[118:121], off, off offset:176
	s_wait_dscnt 0x0
	v_fmac_f64_e32 v[152:153], v[122:123], v[144:145]
	s_wait_loadcnt 0x5
	v_fmac_f64_e32 v[152:153], v[124:125], v[146:147]
	ds_load_2addr_b64 v[122:125], v2 offset0:69 offset1:70
	ds_load_2addr_b64 v[140:143], v2 offset0:71 offset1:72
	scratch_load_b128 v[144:147], off, off offset:192
	s_wait_dscnt 0x1
	v_fmac_f64_e32 v[152:153], v[126:127], v[122:123]
	s_wait_loadcnt 0x5
	s_delay_alu instid0(VALU_DEP_1) | instskip(SKIP_4) | instid1(VALU_DEP_1)
	v_fmac_f64_e32 v[152:153], v[128:129], v[124:125]
	scratch_load_b128 v[122:125], off, off offset:208
	s_wait_dscnt 0x0
	v_fmac_f64_e32 v[152:153], v[130:131], v[140:141]
	s_wait_loadcnt 0x5
	v_fmac_f64_e32 v[152:153], v[132:133], v[142:143]
	ds_load_2addr_b64 v[126:129], v2 offset0:73 offset1:74
	ds_load_2addr_b64 v[130:133], v2 offset0:75 offset1:76
	scratch_load_b128 v[140:143], off, off offset:224
	s_wait_dscnt 0x1
	v_fmac_f64_e32 v[152:153], v[134:135], v[126:127]
	s_wait_loadcnt 0x5
	s_delay_alu instid0(VALU_DEP_1) | instskip(SKIP_4) | instid1(VALU_DEP_1)
	v_fmac_f64_e32 v[152:153], v[136:137], v[128:129]
	scratch_load_b128 v[126:129], off, off offset:240
	s_wait_dscnt 0x0
	v_fmac_f64_e32 v[152:153], v[138:139], v[130:131]
	s_wait_loadcnt 0x5
	v_fmac_f64_e32 v[152:153], v[148:149], v[132:133]
	ds_load_2addr_b64 v[130:133], v2 offset0:77 offset1:78
	ds_load_2addr_b64 v[134:137], v2 offset0:79 offset1:80
	s_wait_dscnt 0x1
	v_fmac_f64_e32 v[152:153], v[150:151], v[130:131]
	scratch_load_b128 v[148:151], off, off offset:256
	s_wait_loadcnt 0x5
	v_fmac_f64_e32 v[152:153], v[118:119], v[132:133]
	s_wait_dscnt 0x0
	s_delay_alu instid0(VALU_DEP_1)
	v_fmac_f64_e32 v[152:153], v[120:121], v[134:135]
	scratch_load_b128 v[118:121], off, off offset:272
	s_wait_loadcnt 0x5
	v_fmac_f64_e32 v[152:153], v[144:145], v[136:137]
	ds_load_2addr_b64 v[130:133], v2 offset0:81 offset1:82
	ds_load_2addr_b64 v[134:137], v2 offset0:83 offset1:84
	s_wait_dscnt 0x1
	v_fmac_f64_e32 v[152:153], v[146:147], v[130:131]
	scratch_load_b128 v[144:147], off, off offset:288
	s_wait_loadcnt 0x5
	v_fmac_f64_e32 v[152:153], v[122:123], v[132:133]
	s_wait_dscnt 0x0
	s_delay_alu instid0(VALU_DEP_1)
	v_fmac_f64_e32 v[152:153], v[124:125], v[134:135]
	scratch_load_b128 v[122:125], off, off offset:304
	s_wait_loadcnt 0x5
	v_fmac_f64_e32 v[152:153], v[140:141], v[136:137]
	ds_load_2addr_b64 v[130:133], v2 offset0:85 offset1:86
	ds_load_2addr_b64 v[134:137], v2 offset0:87 offset1:88
	scratch_load_b128 v[138:141], off, off offset:320
	s_wait_dscnt 0x1
	v_fmac_f64_e32 v[152:153], v[142:143], v[130:131]
	s_wait_loadcnt 0x5
	s_delay_alu instid0(VALU_DEP_1) | instskip(SKIP_1) | instid1(VALU_DEP_1)
	v_fmac_f64_e32 v[152:153], v[126:127], v[132:133]
	s_wait_dscnt 0x0
	v_fmac_f64_e32 v[152:153], v[128:129], v[134:135]
	scratch_load_b128 v[126:129], off, off offset:336
	s_wait_loadcnt 0x5
	v_fmac_f64_e32 v[152:153], v[148:149], v[136:137]
	ds_load_2addr_b64 v[130:133], v2 offset0:89 offset1:90
	ds_load_2addr_b64 v[134:137], v2 offset0:91 offset1:92
	s_wait_dscnt 0x1
	v_fmac_f64_e32 v[152:153], v[150:151], v[130:131]
	scratch_load_b128 v[148:151], off, off offset:352
	s_wait_loadcnt 0x5
	v_fmac_f64_e32 v[152:153], v[118:119], v[132:133]
	s_wait_dscnt 0x0
	s_delay_alu instid0(VALU_DEP_1)
	v_fmac_f64_e32 v[152:153], v[120:121], v[134:135]
	scratch_load_b128 v[118:121], off, off offset:368
	s_wait_loadcnt 0x5
	v_fmac_f64_e32 v[152:153], v[144:145], v[136:137]
	ds_load_2addr_b64 v[130:133], v2 offset0:93 offset1:94
	ds_load_2addr_b64 v[134:137], v2 offset0:95 offset1:96
	s_wait_dscnt 0x1
	v_fmac_f64_e32 v[152:153], v[146:147], v[130:131]
	s_wait_loadcnt 0x4
	s_delay_alu instid0(VALU_DEP_1)
	v_fmac_f64_e32 v[152:153], v[122:123], v[132:133]
	scratch_load_b128 v[130:133], off, off offset:384
	s_wait_dscnt 0x0
	v_fmac_f64_e32 v[152:153], v[124:125], v[134:135]
	scratch_load_b128 v[122:125], off, off offset:400
	s_wait_loadcnt 0x5
	v_fmac_f64_e32 v[152:153], v[138:139], v[136:137]
	ds_load_2addr_b64 v[134:137], v2 offset0:97 offset1:98
	ds_load_2addr_b64 v[142:145], v2 offset0:99 offset1:100
	s_wait_dscnt 0x1
	v_fmac_f64_e32 v[152:153], v[140:141], v[134:135]
	s_wait_loadcnt 0x4
	s_delay_alu instid0(VALU_DEP_1)
	v_fmac_f64_e32 v[152:153], v[126:127], v[136:137]
	scratch_load_b128 v[134:137], off, off offset:416
	s_wait_dscnt 0x0
	v_fmac_f64_e32 v[152:153], v[128:129], v[142:143]
	scratch_load_b128 v[126:129], off, off offset:432
	s_wait_loadcnt 0x5
	v_fmac_f64_e32 v[152:153], v[148:149], v[144:145]
	ds_load_2addr_b64 v[138:141], v2 offset0:101 offset1:102
	ds_load_2addr_b64 v[142:145], v2 offset0:103 offset1:104
	s_wait_dscnt 0x1
	v_fmac_f64_e32 v[152:153], v[150:151], v[138:139]
	s_wait_loadcnt 0x4
	s_delay_alu instid0(VALU_DEP_1) | instskip(SKIP_1) | instid1(VALU_DEP_1)
	v_fmac_f64_e32 v[152:153], v[118:119], v[140:141]
	s_wait_dscnt 0x0
	v_fmac_f64_e32 v[152:153], v[120:121], v[142:143]
	ds_load_2addr_b64 v[118:121], v2 offset0:105 offset1:106
	ds_load_2addr_b64 v[138:141], v2 offset0:107 offset1:108
	s_wait_loadcnt 0x3
	v_fmac_f64_e32 v[152:153], v[130:131], v[144:145]
	s_wait_dscnt 0x1
	s_delay_alu instid0(VALU_DEP_1) | instskip(SKIP_1) | instid1(VALU_DEP_1)
	v_fmac_f64_e32 v[152:153], v[132:133], v[118:119]
	s_wait_loadcnt 0x2
	v_fmac_f64_e32 v[152:153], v[122:123], v[120:121]
	ds_load_2addr_b64 v[118:121], v2 offset0:109 offset1:110
	ds_load_b64 v[122:123], v2 offset:888
	s_wait_dscnt 0x2
	v_fmac_f64_e32 v[152:153], v[124:125], v[138:139]
	s_wait_loadcnt 0x1
	s_delay_alu instid0(VALU_DEP_1) | instskip(SKIP_1) | instid1(VALU_DEP_1)
	v_fmac_f64_e32 v[152:153], v[134:135], v[140:141]
	s_wait_dscnt 0x1
	v_fmac_f64_e32 v[152:153], v[136:137], v[118:119]
	s_wait_loadcnt 0x0
	s_delay_alu instid0(VALU_DEP_1) | instskip(SKIP_1) | instid1(VALU_DEP_1)
	v_fmac_f64_e32 v[152:153], v[126:127], v[120:121]
	s_wait_dscnt 0x0
	v_fmac_f64_e32 v[152:153], v[128:129], v[122:123]
	s_delay_alu instid0(VALU_DEP_1)
	v_add_f64_e64 v[116:117], v[116:117], -v[152:153]
	scratch_store_b64 off, v[116:117], off offset:64
	s_wait_xcnt 0x0
	v_cmpx_lt_u32_e32 7, v0
	s_cbranch_execz .LBB55_331
; %bb.330:
	scratch_load_b64 v[116:117], off, off offset:56
	v_mov_b64_e32 v[118:119], 0
	scratch_store_b64 off, v[118:119], off offset:56
	s_wait_loadcnt 0x0
	ds_store_b64 v1, v[116:117]
.LBB55_331:
	s_wait_xcnt 0x0
	s_or_b32 exec_lo, exec_lo, s0
	s_wait_storecnt_dscnt 0x0
	s_barrier_signal -1
	s_barrier_wait -1
	s_clause 0x5
	scratch_load_b128 v[116:119], off, off offset:56
	scratch_load_b128 v[120:123], off, off offset:72
	;; [unrolled: 1-line block ×6, first 2 shown]
	ds_load_b128 v[140:143], v2 offset:512
	ds_load_b128 v[144:147], v2 offset:528
	scratch_load_b128 v[148:151], off, off offset:152
	s_mov_b32 s0, exec_lo
	s_wait_loadcnt_dscnt 0x601
	v_fma_f64 v[152:153], v[118:119], v[140:141], 0
	s_wait_loadcnt 0x5
	s_delay_alu instid0(VALU_DEP_1) | instskip(SKIP_4) | instid1(VALU_DEP_1)
	v_fmac_f64_e32 v[152:153], v[120:121], v[142:143]
	scratch_load_b128 v[118:121], off, off offset:168
	s_wait_dscnt 0x0
	v_fmac_f64_e32 v[152:153], v[122:123], v[144:145]
	s_wait_loadcnt 0x5
	v_fmac_f64_e32 v[152:153], v[124:125], v[146:147]
	ds_load_b128 v[122:125], v2 offset:544
	ds_load_b128 v[140:143], v2 offset:560
	scratch_load_b128 v[144:147], off, off offset:184
	s_wait_dscnt 0x1
	v_fmac_f64_e32 v[152:153], v[126:127], v[122:123]
	s_wait_loadcnt 0x5
	s_delay_alu instid0(VALU_DEP_1) | instskip(SKIP_4) | instid1(VALU_DEP_1)
	v_fmac_f64_e32 v[152:153], v[128:129], v[124:125]
	scratch_load_b128 v[122:125], off, off offset:200
	s_wait_dscnt 0x0
	v_fmac_f64_e32 v[152:153], v[130:131], v[140:141]
	s_wait_loadcnt 0x5
	v_fmac_f64_e32 v[152:153], v[132:133], v[142:143]
	ds_load_b128 v[126:129], v2 offset:576
	ds_load_b128 v[130:133], v2 offset:592
	scratch_load_b128 v[140:143], off, off offset:216
	s_wait_dscnt 0x1
	v_fmac_f64_e32 v[152:153], v[134:135], v[126:127]
	s_wait_loadcnt 0x5
	s_delay_alu instid0(VALU_DEP_1) | instskip(SKIP_4) | instid1(VALU_DEP_1)
	v_fmac_f64_e32 v[152:153], v[136:137], v[128:129]
	scratch_load_b128 v[126:129], off, off offset:232
	s_wait_dscnt 0x0
	v_fmac_f64_e32 v[152:153], v[138:139], v[130:131]
	s_wait_loadcnt 0x5
	v_fmac_f64_e32 v[152:153], v[148:149], v[132:133]
	ds_load_b128 v[130:133], v2 offset:608
	ds_load_b128 v[134:137], v2 offset:624
	s_wait_dscnt 0x1
	v_fmac_f64_e32 v[152:153], v[150:151], v[130:131]
	scratch_load_b128 v[148:151], off, off offset:248
	s_wait_loadcnt 0x5
	v_fmac_f64_e32 v[152:153], v[118:119], v[132:133]
	s_wait_dscnt 0x0
	s_delay_alu instid0(VALU_DEP_1)
	v_fmac_f64_e32 v[152:153], v[120:121], v[134:135]
	scratch_load_b128 v[118:121], off, off offset:264
	s_wait_loadcnt 0x5
	v_fmac_f64_e32 v[152:153], v[144:145], v[136:137]
	ds_load_b128 v[130:133], v2 offset:640
	ds_load_b128 v[134:137], v2 offset:656
	s_wait_dscnt 0x1
	v_fmac_f64_e32 v[152:153], v[146:147], v[130:131]
	scratch_load_b128 v[144:147], off, off offset:280
	s_wait_loadcnt 0x5
	v_fmac_f64_e32 v[152:153], v[122:123], v[132:133]
	s_wait_dscnt 0x0
	s_delay_alu instid0(VALU_DEP_1)
	v_fmac_f64_e32 v[152:153], v[124:125], v[134:135]
	scratch_load_b128 v[122:125], off, off offset:296
	s_wait_loadcnt 0x5
	v_fmac_f64_e32 v[152:153], v[140:141], v[136:137]
	ds_load_b128 v[130:133], v2 offset:672
	ds_load_b128 v[134:137], v2 offset:688
	scratch_load_b128 v[138:141], off, off offset:312
	s_wait_dscnt 0x1
	v_fmac_f64_e32 v[152:153], v[142:143], v[130:131]
	s_wait_loadcnt 0x5
	s_delay_alu instid0(VALU_DEP_1) | instskip(SKIP_1) | instid1(VALU_DEP_1)
	v_fmac_f64_e32 v[152:153], v[126:127], v[132:133]
	s_wait_dscnt 0x0
	v_fmac_f64_e32 v[152:153], v[128:129], v[134:135]
	scratch_load_b128 v[126:129], off, off offset:328
	s_wait_loadcnt 0x5
	v_fmac_f64_e32 v[152:153], v[148:149], v[136:137]
	ds_load_b128 v[130:133], v2 offset:704
	ds_load_b128 v[134:137], v2 offset:720
	s_wait_dscnt 0x1
	v_fmac_f64_e32 v[152:153], v[150:151], v[130:131]
	scratch_load_b128 v[148:151], off, off offset:344
	s_wait_loadcnt 0x5
	v_fmac_f64_e32 v[152:153], v[118:119], v[132:133]
	s_wait_dscnt 0x0
	s_delay_alu instid0(VALU_DEP_1)
	v_fmac_f64_e32 v[152:153], v[120:121], v[134:135]
	scratch_load_b128 v[118:121], off, off offset:360
	s_wait_loadcnt 0x5
	v_fmac_f64_e32 v[152:153], v[144:145], v[136:137]
	ds_load_b128 v[130:133], v2 offset:736
	ds_load_b128 v[134:137], v2 offset:752
	s_wait_dscnt 0x1
	v_fmac_f64_e32 v[152:153], v[146:147], v[130:131]
	s_wait_loadcnt 0x4
	s_delay_alu instid0(VALU_DEP_1)
	v_fmac_f64_e32 v[152:153], v[122:123], v[132:133]
	scratch_load_b128 v[130:133], off, off offset:376
	s_wait_dscnt 0x0
	v_fmac_f64_e32 v[152:153], v[124:125], v[134:135]
	scratch_load_b128 v[122:125], off, off offset:392
	s_wait_loadcnt 0x5
	v_fmac_f64_e32 v[152:153], v[138:139], v[136:137]
	ds_load_b128 v[134:137], v2 offset:768
	ds_load_b128 v[142:145], v2 offset:784
	s_wait_dscnt 0x1
	v_fmac_f64_e32 v[152:153], v[140:141], v[134:135]
	s_wait_loadcnt 0x4
	s_delay_alu instid0(VALU_DEP_1)
	v_fmac_f64_e32 v[152:153], v[126:127], v[136:137]
	scratch_load_b128 v[134:137], off, off offset:408
	s_wait_dscnt 0x0
	v_fmac_f64_e32 v[152:153], v[128:129], v[142:143]
	scratch_load_b128 v[126:129], off, off offset:424
	s_wait_loadcnt 0x5
	v_fmac_f64_e32 v[152:153], v[148:149], v[144:145]
	ds_load_b128 v[138:141], v2 offset:800
	ds_load_b128 v[142:145], v2 offset:816
	scratch_load_b64 v[146:147], off, off offset:440
	s_wait_dscnt 0x1
	v_fmac_f64_e32 v[152:153], v[150:151], v[138:139]
	s_wait_loadcnt 0x5
	s_delay_alu instid0(VALU_DEP_1) | instskip(SKIP_1) | instid1(VALU_DEP_1)
	v_fmac_f64_e32 v[152:153], v[118:119], v[140:141]
	s_wait_dscnt 0x0
	v_fmac_f64_e32 v[152:153], v[120:121], v[142:143]
	ds_load_b128 v[118:121], v2 offset:832
	ds_load_b128 v[138:141], v2 offset:848
	s_wait_loadcnt 0x4
	v_fmac_f64_e32 v[152:153], v[130:131], v[144:145]
	s_wait_dscnt 0x1
	s_delay_alu instid0(VALU_DEP_1) | instskip(SKIP_1) | instid1(VALU_DEP_1)
	v_fmac_f64_e32 v[152:153], v[132:133], v[118:119]
	s_wait_loadcnt 0x3
	v_fmac_f64_e32 v[152:153], v[122:123], v[120:121]
	s_wait_dscnt 0x0
	s_delay_alu instid0(VALU_DEP_1)
	v_fmac_f64_e32 v[152:153], v[124:125], v[138:139]
	ds_load_b128 v[118:121], v2 offset:864
	ds_load_b128 v[122:125], v2 offset:880
	s_wait_loadcnt 0x2
	v_fmac_f64_e32 v[152:153], v[134:135], v[140:141]
	s_wait_dscnt 0x1
	s_delay_alu instid0(VALU_DEP_1) | instskip(SKIP_1) | instid1(VALU_DEP_1)
	v_fmac_f64_e32 v[152:153], v[136:137], v[118:119]
	s_wait_loadcnt 0x1
	v_fmac_f64_e32 v[152:153], v[126:127], v[120:121]
	s_wait_dscnt 0x0
	s_delay_alu instid0(VALU_DEP_1) | instskip(SKIP_1) | instid1(VALU_DEP_1)
	v_fmac_f64_e32 v[152:153], v[128:129], v[122:123]
	s_wait_loadcnt 0x0
	v_fmac_f64_e32 v[152:153], v[146:147], v[124:125]
	s_delay_alu instid0(VALU_DEP_1)
	v_add_f64_e64 v[2:3], v[116:117], -v[152:153]
	scratch_store_b64 off, v[2:3], off offset:56
	s_wait_xcnt 0x0
	v_cmpx_lt_u32_e32 6, v0
	s_cbranch_execz .LBB55_333
; %bb.332:
	scratch_load_b64 v[2:3], off, off offset:48
	v_mov_b64_e32 v[116:117], 0
	scratch_store_b64 off, v[116:117], off offset:48
	s_wait_loadcnt 0x0
	ds_store_b64 v1, v[2:3]
.LBB55_333:
	s_wait_xcnt 0x0
	s_or_b32 exec_lo, exec_lo, s0
	s_wait_storecnt_dscnt 0x0
	s_barrier_signal -1
	s_barrier_wait -1
	s_clause 0x5
	scratch_load_b128 v[116:119], off, off offset:48
	scratch_load_b128 v[120:123], off, off offset:64
	;; [unrolled: 1-line block ×6, first 2 shown]
	v_mov_b32_e32 v2, 0
	ds_load_2addr_b64 v[140:143], v2 offset0:63 offset1:64
	ds_load_2addr_b64 v[144:147], v2 offset0:65 offset1:66
	scratch_load_b128 v[148:151], off, off offset:144
	s_mov_b32 s0, exec_lo
	s_wait_loadcnt_dscnt 0x601
	v_fma_f64 v[152:153], v[118:119], v[140:141], 0
	s_wait_loadcnt 0x5
	s_delay_alu instid0(VALU_DEP_1) | instskip(SKIP_4) | instid1(VALU_DEP_1)
	v_fmac_f64_e32 v[152:153], v[120:121], v[142:143]
	scratch_load_b128 v[118:121], off, off offset:160
	s_wait_dscnt 0x0
	v_fmac_f64_e32 v[152:153], v[122:123], v[144:145]
	s_wait_loadcnt 0x5
	v_fmac_f64_e32 v[152:153], v[124:125], v[146:147]
	ds_load_2addr_b64 v[122:125], v2 offset0:67 offset1:68
	ds_load_2addr_b64 v[140:143], v2 offset0:69 offset1:70
	scratch_load_b128 v[144:147], off, off offset:176
	s_wait_dscnt 0x1
	v_fmac_f64_e32 v[152:153], v[126:127], v[122:123]
	s_wait_loadcnt 0x5
	s_delay_alu instid0(VALU_DEP_1) | instskip(SKIP_4) | instid1(VALU_DEP_1)
	v_fmac_f64_e32 v[152:153], v[128:129], v[124:125]
	scratch_load_b128 v[122:125], off, off offset:192
	s_wait_dscnt 0x0
	v_fmac_f64_e32 v[152:153], v[130:131], v[140:141]
	s_wait_loadcnt 0x5
	v_fmac_f64_e32 v[152:153], v[132:133], v[142:143]
	ds_load_2addr_b64 v[126:129], v2 offset0:71 offset1:72
	ds_load_2addr_b64 v[130:133], v2 offset0:73 offset1:74
	scratch_load_b128 v[140:143], off, off offset:208
	s_wait_dscnt 0x1
	v_fmac_f64_e32 v[152:153], v[134:135], v[126:127]
	s_wait_loadcnt 0x5
	s_delay_alu instid0(VALU_DEP_1) | instskip(SKIP_4) | instid1(VALU_DEP_1)
	v_fmac_f64_e32 v[152:153], v[136:137], v[128:129]
	scratch_load_b128 v[126:129], off, off offset:224
	s_wait_dscnt 0x0
	v_fmac_f64_e32 v[152:153], v[138:139], v[130:131]
	s_wait_loadcnt 0x5
	v_fmac_f64_e32 v[152:153], v[148:149], v[132:133]
	ds_load_2addr_b64 v[130:133], v2 offset0:75 offset1:76
	ds_load_2addr_b64 v[134:137], v2 offset0:77 offset1:78
	s_wait_dscnt 0x1
	v_fmac_f64_e32 v[152:153], v[150:151], v[130:131]
	scratch_load_b128 v[148:151], off, off offset:240
	s_wait_loadcnt 0x5
	v_fmac_f64_e32 v[152:153], v[118:119], v[132:133]
	s_wait_dscnt 0x0
	s_delay_alu instid0(VALU_DEP_1)
	v_fmac_f64_e32 v[152:153], v[120:121], v[134:135]
	scratch_load_b128 v[118:121], off, off offset:256
	s_wait_loadcnt 0x5
	v_fmac_f64_e32 v[152:153], v[144:145], v[136:137]
	ds_load_2addr_b64 v[130:133], v2 offset0:79 offset1:80
	ds_load_2addr_b64 v[134:137], v2 offset0:81 offset1:82
	s_wait_dscnt 0x1
	v_fmac_f64_e32 v[152:153], v[146:147], v[130:131]
	scratch_load_b128 v[144:147], off, off offset:272
	s_wait_loadcnt 0x5
	v_fmac_f64_e32 v[152:153], v[122:123], v[132:133]
	s_wait_dscnt 0x0
	s_delay_alu instid0(VALU_DEP_1)
	v_fmac_f64_e32 v[152:153], v[124:125], v[134:135]
	scratch_load_b128 v[122:125], off, off offset:288
	s_wait_loadcnt 0x5
	v_fmac_f64_e32 v[152:153], v[140:141], v[136:137]
	ds_load_2addr_b64 v[130:133], v2 offset0:83 offset1:84
	ds_load_2addr_b64 v[134:137], v2 offset0:85 offset1:86
	scratch_load_b128 v[138:141], off, off offset:304
	s_wait_dscnt 0x1
	v_fmac_f64_e32 v[152:153], v[142:143], v[130:131]
	s_wait_loadcnt 0x5
	s_delay_alu instid0(VALU_DEP_1) | instskip(SKIP_1) | instid1(VALU_DEP_1)
	v_fmac_f64_e32 v[152:153], v[126:127], v[132:133]
	s_wait_dscnt 0x0
	v_fmac_f64_e32 v[152:153], v[128:129], v[134:135]
	scratch_load_b128 v[126:129], off, off offset:320
	s_wait_loadcnt 0x5
	v_fmac_f64_e32 v[152:153], v[148:149], v[136:137]
	ds_load_2addr_b64 v[130:133], v2 offset0:87 offset1:88
	ds_load_2addr_b64 v[134:137], v2 offset0:89 offset1:90
	s_wait_dscnt 0x1
	v_fmac_f64_e32 v[152:153], v[150:151], v[130:131]
	scratch_load_b128 v[148:151], off, off offset:336
	s_wait_loadcnt 0x5
	v_fmac_f64_e32 v[152:153], v[118:119], v[132:133]
	s_wait_dscnt 0x0
	s_delay_alu instid0(VALU_DEP_1)
	v_fmac_f64_e32 v[152:153], v[120:121], v[134:135]
	scratch_load_b128 v[118:121], off, off offset:352
	s_wait_loadcnt 0x5
	v_fmac_f64_e32 v[152:153], v[144:145], v[136:137]
	ds_load_2addr_b64 v[130:133], v2 offset0:91 offset1:92
	ds_load_2addr_b64 v[134:137], v2 offset0:93 offset1:94
	s_wait_dscnt 0x1
	v_fmac_f64_e32 v[152:153], v[146:147], v[130:131]
	s_wait_loadcnt 0x4
	s_delay_alu instid0(VALU_DEP_1)
	v_fmac_f64_e32 v[152:153], v[122:123], v[132:133]
	scratch_load_b128 v[130:133], off, off offset:368
	s_wait_dscnt 0x0
	v_fmac_f64_e32 v[152:153], v[124:125], v[134:135]
	scratch_load_b128 v[122:125], off, off offset:384
	s_wait_loadcnt 0x5
	v_fmac_f64_e32 v[152:153], v[138:139], v[136:137]
	ds_load_2addr_b64 v[134:137], v2 offset0:95 offset1:96
	ds_load_2addr_b64 v[142:145], v2 offset0:97 offset1:98
	s_wait_dscnt 0x1
	v_fmac_f64_e32 v[152:153], v[140:141], v[134:135]
	s_wait_loadcnt 0x4
	s_delay_alu instid0(VALU_DEP_1)
	v_fmac_f64_e32 v[152:153], v[126:127], v[136:137]
	scratch_load_b128 v[134:137], off, off offset:400
	s_wait_dscnt 0x0
	v_fmac_f64_e32 v[152:153], v[128:129], v[142:143]
	scratch_load_b128 v[126:129], off, off offset:416
	s_wait_loadcnt 0x5
	v_fmac_f64_e32 v[152:153], v[148:149], v[144:145]
	ds_load_2addr_b64 v[138:141], v2 offset0:99 offset1:100
	ds_load_2addr_b64 v[142:145], v2 offset0:101 offset1:102
	s_wait_dscnt 0x1
	v_fmac_f64_e32 v[152:153], v[150:151], v[138:139]
	s_wait_loadcnt 0x4
	s_delay_alu instid0(VALU_DEP_1) | instskip(SKIP_4) | instid1(VALU_DEP_1)
	v_fmac_f64_e32 v[152:153], v[118:119], v[140:141]
	scratch_load_b128 v[138:141], off, off offset:432
	s_wait_dscnt 0x0
	v_fmac_f64_e32 v[152:153], v[120:121], v[142:143]
	s_wait_loadcnt 0x4
	v_fmac_f64_e32 v[152:153], v[130:131], v[144:145]
	ds_load_2addr_b64 v[118:121], v2 offset0:103 offset1:104
	ds_load_2addr_b64 v[142:145], v2 offset0:105 offset1:106
	s_wait_dscnt 0x1
	v_fmac_f64_e32 v[152:153], v[132:133], v[118:119]
	s_wait_loadcnt 0x3
	s_delay_alu instid0(VALU_DEP_1) | instskip(SKIP_1) | instid1(VALU_DEP_1)
	v_fmac_f64_e32 v[152:153], v[122:123], v[120:121]
	s_wait_dscnt 0x0
	v_fmac_f64_e32 v[152:153], v[124:125], v[142:143]
	ds_load_2addr_b64 v[118:121], v2 offset0:107 offset1:108
	ds_load_2addr_b64 v[122:125], v2 offset0:109 offset1:110
	s_wait_loadcnt 0x2
	v_fmac_f64_e32 v[152:153], v[134:135], v[144:145]
	s_wait_dscnt 0x1
	s_delay_alu instid0(VALU_DEP_1) | instskip(SKIP_4) | instid1(VALU_DEP_1)
	v_fmac_f64_e32 v[152:153], v[136:137], v[118:119]
	ds_load_b64 v[118:119], v2 offset:888
	s_wait_loadcnt 0x1
	v_fmac_f64_e32 v[152:153], v[126:127], v[120:121]
	s_wait_dscnt 0x1
	v_fmac_f64_e32 v[152:153], v[128:129], v[122:123]
	s_wait_loadcnt 0x0
	s_delay_alu instid0(VALU_DEP_1) | instskip(SKIP_1) | instid1(VALU_DEP_1)
	v_fmac_f64_e32 v[152:153], v[138:139], v[124:125]
	s_wait_dscnt 0x0
	v_fmac_f64_e32 v[152:153], v[140:141], v[118:119]
	s_delay_alu instid0(VALU_DEP_1)
	v_add_f64_e64 v[116:117], v[116:117], -v[152:153]
	scratch_store_b64 off, v[116:117], off offset:48
	s_wait_xcnt 0x0
	v_cmpx_lt_u32_e32 5, v0
	s_cbranch_execz .LBB55_335
; %bb.334:
	scratch_load_b64 v[116:117], off, off offset:40
	v_mov_b64_e32 v[118:119], 0
	scratch_store_b64 off, v[118:119], off offset:40
	s_wait_loadcnt 0x0
	ds_store_b64 v1, v[116:117]
.LBB55_335:
	s_wait_xcnt 0x0
	s_or_b32 exec_lo, exec_lo, s0
	s_wait_storecnt_dscnt 0x0
	s_barrier_signal -1
	s_barrier_wait -1
	s_clause 0x5
	scratch_load_b128 v[116:119], off, off offset:40
	scratch_load_b128 v[120:123], off, off offset:56
	;; [unrolled: 1-line block ×6, first 2 shown]
	ds_load_b128 v[140:143], v2 offset:496
	ds_load_b128 v[144:147], v2 offset:512
	scratch_load_b128 v[148:151], off, off offset:136
	s_mov_b32 s0, exec_lo
	s_wait_loadcnt_dscnt 0x601
	v_fma_f64 v[152:153], v[118:119], v[140:141], 0
	s_wait_loadcnt 0x5
	s_delay_alu instid0(VALU_DEP_1) | instskip(SKIP_4) | instid1(VALU_DEP_1)
	v_fmac_f64_e32 v[152:153], v[120:121], v[142:143]
	scratch_load_b128 v[118:121], off, off offset:152
	s_wait_dscnt 0x0
	v_fmac_f64_e32 v[152:153], v[122:123], v[144:145]
	s_wait_loadcnt 0x5
	v_fmac_f64_e32 v[152:153], v[124:125], v[146:147]
	ds_load_b128 v[122:125], v2 offset:528
	ds_load_b128 v[140:143], v2 offset:544
	scratch_load_b128 v[144:147], off, off offset:168
	s_wait_dscnt 0x1
	v_fmac_f64_e32 v[152:153], v[126:127], v[122:123]
	s_wait_loadcnt 0x5
	s_delay_alu instid0(VALU_DEP_1) | instskip(SKIP_4) | instid1(VALU_DEP_1)
	v_fmac_f64_e32 v[152:153], v[128:129], v[124:125]
	scratch_load_b128 v[122:125], off, off offset:184
	s_wait_dscnt 0x0
	v_fmac_f64_e32 v[152:153], v[130:131], v[140:141]
	s_wait_loadcnt 0x5
	v_fmac_f64_e32 v[152:153], v[132:133], v[142:143]
	ds_load_b128 v[126:129], v2 offset:560
	ds_load_b128 v[130:133], v2 offset:576
	scratch_load_b128 v[140:143], off, off offset:200
	s_wait_dscnt 0x1
	v_fmac_f64_e32 v[152:153], v[134:135], v[126:127]
	s_wait_loadcnt 0x5
	s_delay_alu instid0(VALU_DEP_1) | instskip(SKIP_4) | instid1(VALU_DEP_1)
	v_fmac_f64_e32 v[152:153], v[136:137], v[128:129]
	scratch_load_b128 v[126:129], off, off offset:216
	s_wait_dscnt 0x0
	v_fmac_f64_e32 v[152:153], v[138:139], v[130:131]
	s_wait_loadcnt 0x5
	v_fmac_f64_e32 v[152:153], v[148:149], v[132:133]
	ds_load_b128 v[130:133], v2 offset:592
	ds_load_b128 v[134:137], v2 offset:608
	s_wait_dscnt 0x1
	v_fmac_f64_e32 v[152:153], v[150:151], v[130:131]
	scratch_load_b128 v[148:151], off, off offset:232
	s_wait_loadcnt 0x5
	v_fmac_f64_e32 v[152:153], v[118:119], v[132:133]
	s_wait_dscnt 0x0
	s_delay_alu instid0(VALU_DEP_1)
	v_fmac_f64_e32 v[152:153], v[120:121], v[134:135]
	scratch_load_b128 v[118:121], off, off offset:248
	s_wait_loadcnt 0x5
	v_fmac_f64_e32 v[152:153], v[144:145], v[136:137]
	ds_load_b128 v[130:133], v2 offset:624
	ds_load_b128 v[134:137], v2 offset:640
	s_wait_dscnt 0x1
	v_fmac_f64_e32 v[152:153], v[146:147], v[130:131]
	scratch_load_b128 v[144:147], off, off offset:264
	s_wait_loadcnt 0x5
	v_fmac_f64_e32 v[152:153], v[122:123], v[132:133]
	s_wait_dscnt 0x0
	s_delay_alu instid0(VALU_DEP_1)
	v_fmac_f64_e32 v[152:153], v[124:125], v[134:135]
	scratch_load_b128 v[122:125], off, off offset:280
	s_wait_loadcnt 0x5
	v_fmac_f64_e32 v[152:153], v[140:141], v[136:137]
	ds_load_b128 v[130:133], v2 offset:656
	ds_load_b128 v[134:137], v2 offset:672
	scratch_load_b128 v[138:141], off, off offset:296
	s_wait_dscnt 0x1
	v_fmac_f64_e32 v[152:153], v[142:143], v[130:131]
	s_wait_loadcnt 0x5
	s_delay_alu instid0(VALU_DEP_1) | instskip(SKIP_1) | instid1(VALU_DEP_1)
	v_fmac_f64_e32 v[152:153], v[126:127], v[132:133]
	s_wait_dscnt 0x0
	v_fmac_f64_e32 v[152:153], v[128:129], v[134:135]
	scratch_load_b128 v[126:129], off, off offset:312
	s_wait_loadcnt 0x5
	v_fmac_f64_e32 v[152:153], v[148:149], v[136:137]
	ds_load_b128 v[130:133], v2 offset:688
	ds_load_b128 v[134:137], v2 offset:704
	s_wait_dscnt 0x1
	v_fmac_f64_e32 v[152:153], v[150:151], v[130:131]
	scratch_load_b128 v[148:151], off, off offset:328
	s_wait_loadcnt 0x5
	v_fmac_f64_e32 v[152:153], v[118:119], v[132:133]
	s_wait_dscnt 0x0
	s_delay_alu instid0(VALU_DEP_1)
	v_fmac_f64_e32 v[152:153], v[120:121], v[134:135]
	scratch_load_b128 v[118:121], off, off offset:344
	s_wait_loadcnt 0x5
	v_fmac_f64_e32 v[152:153], v[144:145], v[136:137]
	ds_load_b128 v[130:133], v2 offset:720
	ds_load_b128 v[134:137], v2 offset:736
	scratch_load_b128 v[142:145], off, off offset:360
	s_wait_dscnt 0x1
	v_fmac_f64_e32 v[152:153], v[146:147], v[130:131]
	s_wait_loadcnt 0x5
	s_delay_alu instid0(VALU_DEP_1) | instskip(SKIP_1) | instid1(VALU_DEP_1)
	v_fmac_f64_e32 v[152:153], v[122:123], v[132:133]
	s_wait_dscnt 0x0
	v_fmac_f64_e32 v[152:153], v[124:125], v[134:135]
	scratch_load_b128 v[122:125], off, off offset:376
	s_wait_loadcnt 0x5
	v_fmac_f64_e32 v[152:153], v[138:139], v[136:137]
	ds_load_b128 v[130:133], v2 offset:752
	ds_load_b128 v[134:137], v2 offset:768
	s_wait_dscnt 0x1
	v_fmac_f64_e32 v[152:153], v[140:141], v[130:131]
	s_wait_loadcnt 0x4
	s_delay_alu instid0(VALU_DEP_1)
	v_fmac_f64_e32 v[152:153], v[126:127], v[132:133]
	scratch_load_b128 v[130:133], off, off offset:392
	s_wait_dscnt 0x0
	v_fmac_f64_e32 v[152:153], v[128:129], v[134:135]
	scratch_load_b128 v[126:129], off, off offset:408
	s_wait_loadcnt 0x5
	v_fmac_f64_e32 v[152:153], v[148:149], v[136:137]
	ds_load_b128 v[134:137], v2 offset:784
	ds_load_b128 v[138:141], v2 offset:800
	s_wait_dscnt 0x1
	v_fmac_f64_e32 v[152:153], v[150:151], v[134:135]
	s_wait_loadcnt 0x4
	s_delay_alu instid0(VALU_DEP_1) | instskip(SKIP_4) | instid1(VALU_DEP_1)
	v_fmac_f64_e32 v[152:153], v[118:119], v[136:137]
	scratch_load_b128 v[134:137], off, off offset:424
	s_wait_dscnt 0x0
	v_fmac_f64_e32 v[152:153], v[120:121], v[138:139]
	s_wait_loadcnt 0x4
	v_fmac_f64_e32 v[152:153], v[142:143], v[140:141]
	scratch_load_b64 v[142:143], off, off offset:440
	ds_load_b128 v[118:121], v2 offset:816
	ds_load_b128 v[138:141], v2 offset:832
	s_wait_dscnt 0x1
	v_fmac_f64_e32 v[152:153], v[144:145], v[118:119]
	s_wait_loadcnt 0x4
	s_delay_alu instid0(VALU_DEP_1) | instskip(SKIP_1) | instid1(VALU_DEP_1)
	v_fmac_f64_e32 v[152:153], v[122:123], v[120:121]
	s_wait_dscnt 0x0
	v_fmac_f64_e32 v[152:153], v[124:125], v[138:139]
	ds_load_b128 v[118:121], v2 offset:848
	ds_load_b128 v[122:125], v2 offset:864
	s_wait_loadcnt 0x3
	v_fmac_f64_e32 v[152:153], v[130:131], v[140:141]
	s_wait_dscnt 0x1
	s_delay_alu instid0(VALU_DEP_1) | instskip(SKIP_1) | instid1(VALU_DEP_1)
	v_fmac_f64_e32 v[152:153], v[132:133], v[118:119]
	s_wait_loadcnt 0x2
	v_fmac_f64_e32 v[152:153], v[126:127], v[120:121]
	ds_load_b128 v[118:121], v2 offset:880
	s_wait_dscnt 0x1
	v_fmac_f64_e32 v[152:153], v[128:129], v[122:123]
	s_wait_loadcnt 0x1
	s_delay_alu instid0(VALU_DEP_1) | instskip(SKIP_1) | instid1(VALU_DEP_1)
	v_fmac_f64_e32 v[152:153], v[134:135], v[124:125]
	s_wait_dscnt 0x0
	v_fmac_f64_e32 v[152:153], v[136:137], v[118:119]
	s_wait_loadcnt 0x0
	s_delay_alu instid0(VALU_DEP_1) | instskip(NEXT) | instid1(VALU_DEP_1)
	v_fmac_f64_e32 v[152:153], v[142:143], v[120:121]
	v_add_f64_e64 v[2:3], v[116:117], -v[152:153]
	scratch_store_b64 off, v[2:3], off offset:40
	s_wait_xcnt 0x0
	v_cmpx_lt_u32_e32 4, v0
	s_cbranch_execz .LBB55_337
; %bb.336:
	scratch_load_b64 v[2:3], off, off offset:32
	v_mov_b64_e32 v[116:117], 0
	scratch_store_b64 off, v[116:117], off offset:32
	s_wait_loadcnt 0x0
	ds_store_b64 v1, v[2:3]
.LBB55_337:
	s_wait_xcnt 0x0
	s_or_b32 exec_lo, exec_lo, s0
	s_wait_storecnt_dscnt 0x0
	s_barrier_signal -1
	s_barrier_wait -1
	s_clause 0x5
	scratch_load_b128 v[116:119], off, off offset:32
	scratch_load_b128 v[120:123], off, off offset:48
	;; [unrolled: 1-line block ×6, first 2 shown]
	v_mov_b32_e32 v2, 0
	ds_load_2addr_b64 v[140:143], v2 offset0:61 offset1:62
	ds_load_2addr_b64 v[144:147], v2 offset0:63 offset1:64
	scratch_load_b128 v[148:151], off, off offset:128
	s_mov_b32 s0, exec_lo
	s_wait_loadcnt_dscnt 0x601
	v_fma_f64 v[152:153], v[118:119], v[140:141], 0
	s_wait_loadcnt 0x5
	s_delay_alu instid0(VALU_DEP_1) | instskip(SKIP_4) | instid1(VALU_DEP_1)
	v_fmac_f64_e32 v[152:153], v[120:121], v[142:143]
	scratch_load_b128 v[118:121], off, off offset:144
	s_wait_dscnt 0x0
	v_fmac_f64_e32 v[152:153], v[122:123], v[144:145]
	s_wait_loadcnt 0x5
	v_fmac_f64_e32 v[152:153], v[124:125], v[146:147]
	ds_load_2addr_b64 v[122:125], v2 offset0:65 offset1:66
	ds_load_2addr_b64 v[140:143], v2 offset0:67 offset1:68
	scratch_load_b128 v[144:147], off, off offset:160
	s_wait_dscnt 0x1
	v_fmac_f64_e32 v[152:153], v[126:127], v[122:123]
	s_wait_loadcnt 0x5
	s_delay_alu instid0(VALU_DEP_1) | instskip(SKIP_4) | instid1(VALU_DEP_1)
	v_fmac_f64_e32 v[152:153], v[128:129], v[124:125]
	scratch_load_b128 v[122:125], off, off offset:176
	s_wait_dscnt 0x0
	v_fmac_f64_e32 v[152:153], v[130:131], v[140:141]
	s_wait_loadcnt 0x5
	v_fmac_f64_e32 v[152:153], v[132:133], v[142:143]
	ds_load_2addr_b64 v[126:129], v2 offset0:69 offset1:70
	ds_load_2addr_b64 v[130:133], v2 offset0:71 offset1:72
	scratch_load_b128 v[140:143], off, off offset:192
	s_wait_dscnt 0x1
	v_fmac_f64_e32 v[152:153], v[134:135], v[126:127]
	s_wait_loadcnt 0x5
	s_delay_alu instid0(VALU_DEP_1) | instskip(SKIP_4) | instid1(VALU_DEP_1)
	v_fmac_f64_e32 v[152:153], v[136:137], v[128:129]
	scratch_load_b128 v[126:129], off, off offset:208
	s_wait_dscnt 0x0
	v_fmac_f64_e32 v[152:153], v[138:139], v[130:131]
	s_wait_loadcnt 0x5
	v_fmac_f64_e32 v[152:153], v[148:149], v[132:133]
	ds_load_2addr_b64 v[130:133], v2 offset0:73 offset1:74
	ds_load_2addr_b64 v[134:137], v2 offset0:75 offset1:76
	s_wait_dscnt 0x1
	v_fmac_f64_e32 v[152:153], v[150:151], v[130:131]
	scratch_load_b128 v[148:151], off, off offset:224
	s_wait_loadcnt 0x5
	v_fmac_f64_e32 v[152:153], v[118:119], v[132:133]
	s_wait_dscnt 0x0
	s_delay_alu instid0(VALU_DEP_1)
	v_fmac_f64_e32 v[152:153], v[120:121], v[134:135]
	scratch_load_b128 v[118:121], off, off offset:240
	s_wait_loadcnt 0x5
	v_fmac_f64_e32 v[152:153], v[144:145], v[136:137]
	ds_load_2addr_b64 v[130:133], v2 offset0:77 offset1:78
	ds_load_2addr_b64 v[134:137], v2 offset0:79 offset1:80
	s_wait_dscnt 0x1
	v_fmac_f64_e32 v[152:153], v[146:147], v[130:131]
	scratch_load_b128 v[144:147], off, off offset:256
	s_wait_loadcnt 0x5
	v_fmac_f64_e32 v[152:153], v[122:123], v[132:133]
	s_wait_dscnt 0x0
	s_delay_alu instid0(VALU_DEP_1)
	v_fmac_f64_e32 v[152:153], v[124:125], v[134:135]
	scratch_load_b128 v[122:125], off, off offset:272
	s_wait_loadcnt 0x5
	v_fmac_f64_e32 v[152:153], v[140:141], v[136:137]
	ds_load_2addr_b64 v[130:133], v2 offset0:81 offset1:82
	ds_load_2addr_b64 v[134:137], v2 offset0:83 offset1:84
	scratch_load_b128 v[138:141], off, off offset:288
	s_wait_dscnt 0x1
	v_fmac_f64_e32 v[152:153], v[142:143], v[130:131]
	s_wait_loadcnt 0x5
	s_delay_alu instid0(VALU_DEP_1) | instskip(SKIP_1) | instid1(VALU_DEP_1)
	v_fmac_f64_e32 v[152:153], v[126:127], v[132:133]
	s_wait_dscnt 0x0
	v_fmac_f64_e32 v[152:153], v[128:129], v[134:135]
	scratch_load_b128 v[126:129], off, off offset:304
	s_wait_loadcnt 0x5
	v_fmac_f64_e32 v[152:153], v[148:149], v[136:137]
	ds_load_2addr_b64 v[130:133], v2 offset0:85 offset1:86
	ds_load_2addr_b64 v[134:137], v2 offset0:87 offset1:88
	s_wait_dscnt 0x1
	v_fmac_f64_e32 v[152:153], v[150:151], v[130:131]
	scratch_load_b128 v[148:151], off, off offset:320
	s_wait_loadcnt 0x5
	v_fmac_f64_e32 v[152:153], v[118:119], v[132:133]
	s_wait_dscnt 0x0
	s_delay_alu instid0(VALU_DEP_1)
	v_fmac_f64_e32 v[152:153], v[120:121], v[134:135]
	scratch_load_b128 v[118:121], off, off offset:336
	s_wait_loadcnt 0x5
	v_fmac_f64_e32 v[152:153], v[144:145], v[136:137]
	ds_load_2addr_b64 v[130:133], v2 offset0:89 offset1:90
	ds_load_2addr_b64 v[134:137], v2 offset0:91 offset1:92
	scratch_load_b128 v[142:145], off, off offset:352
	s_wait_dscnt 0x1
	v_fmac_f64_e32 v[152:153], v[146:147], v[130:131]
	s_wait_loadcnt 0x5
	s_delay_alu instid0(VALU_DEP_1) | instskip(SKIP_1) | instid1(VALU_DEP_1)
	v_fmac_f64_e32 v[152:153], v[122:123], v[132:133]
	s_wait_dscnt 0x0
	v_fmac_f64_e32 v[152:153], v[124:125], v[134:135]
	scratch_load_b128 v[122:125], off, off offset:368
	s_wait_loadcnt 0x5
	v_fmac_f64_e32 v[152:153], v[138:139], v[136:137]
	ds_load_2addr_b64 v[130:133], v2 offset0:93 offset1:94
	ds_load_2addr_b64 v[134:137], v2 offset0:95 offset1:96
	s_wait_dscnt 0x1
	v_fmac_f64_e32 v[152:153], v[140:141], v[130:131]
	s_wait_loadcnt 0x4
	s_delay_alu instid0(VALU_DEP_1)
	v_fmac_f64_e32 v[152:153], v[126:127], v[132:133]
	scratch_load_b128 v[130:133], off, off offset:384
	s_wait_dscnt 0x0
	v_fmac_f64_e32 v[152:153], v[128:129], v[134:135]
	scratch_load_b128 v[126:129], off, off offset:400
	s_wait_loadcnt 0x5
	v_fmac_f64_e32 v[152:153], v[148:149], v[136:137]
	ds_load_2addr_b64 v[134:137], v2 offset0:97 offset1:98
	ds_load_2addr_b64 v[138:141], v2 offset0:99 offset1:100
	s_wait_dscnt 0x1
	v_fmac_f64_e32 v[152:153], v[150:151], v[134:135]
	s_wait_loadcnt 0x4
	s_delay_alu instid0(VALU_DEP_1)
	v_fmac_f64_e32 v[152:153], v[118:119], v[136:137]
	scratch_load_b128 v[134:137], off, off offset:416
	s_wait_dscnt 0x0
	v_fmac_f64_e32 v[152:153], v[120:121], v[138:139]
	scratch_load_b128 v[118:121], off, off offset:432
	s_wait_loadcnt 0x5
	v_fmac_f64_e32 v[152:153], v[142:143], v[140:141]
	ds_load_2addr_b64 v[138:141], v2 offset0:101 offset1:102
	ds_load_2addr_b64 v[146:149], v2 offset0:103 offset1:104
	s_wait_dscnt 0x1
	v_fmac_f64_e32 v[152:153], v[144:145], v[138:139]
	s_wait_loadcnt 0x4
	s_delay_alu instid0(VALU_DEP_1) | instskip(SKIP_1) | instid1(VALU_DEP_1)
	v_fmac_f64_e32 v[152:153], v[122:123], v[140:141]
	s_wait_dscnt 0x0
	v_fmac_f64_e32 v[152:153], v[124:125], v[146:147]
	ds_load_2addr_b64 v[122:125], v2 offset0:105 offset1:106
	ds_load_2addr_b64 v[138:141], v2 offset0:107 offset1:108
	s_wait_loadcnt 0x3
	v_fmac_f64_e32 v[152:153], v[130:131], v[148:149]
	s_wait_dscnt 0x1
	s_delay_alu instid0(VALU_DEP_1) | instskip(SKIP_1) | instid1(VALU_DEP_1)
	v_fmac_f64_e32 v[152:153], v[132:133], v[122:123]
	s_wait_loadcnt 0x2
	v_fmac_f64_e32 v[152:153], v[126:127], v[124:125]
	ds_load_2addr_b64 v[122:125], v2 offset0:109 offset1:110
	ds_load_b64 v[126:127], v2 offset:888
	s_wait_dscnt 0x2
	v_fmac_f64_e32 v[152:153], v[128:129], v[138:139]
	s_wait_loadcnt 0x1
	s_delay_alu instid0(VALU_DEP_1) | instskip(SKIP_1) | instid1(VALU_DEP_1)
	v_fmac_f64_e32 v[152:153], v[134:135], v[140:141]
	s_wait_dscnt 0x1
	v_fmac_f64_e32 v[152:153], v[136:137], v[122:123]
	s_wait_loadcnt 0x0
	s_delay_alu instid0(VALU_DEP_1) | instskip(SKIP_1) | instid1(VALU_DEP_1)
	v_fmac_f64_e32 v[152:153], v[118:119], v[124:125]
	s_wait_dscnt 0x0
	v_fmac_f64_e32 v[152:153], v[120:121], v[126:127]
	s_delay_alu instid0(VALU_DEP_1)
	v_add_f64_e64 v[116:117], v[116:117], -v[152:153]
	scratch_store_b64 off, v[116:117], off offset:32
	s_wait_xcnt 0x0
	v_cmpx_lt_u32_e32 3, v0
	s_cbranch_execz .LBB55_339
; %bb.338:
	scratch_load_b64 v[116:117], off, off offset:24
	v_mov_b64_e32 v[118:119], 0
	scratch_store_b64 off, v[118:119], off offset:24
	s_wait_loadcnt 0x0
	ds_store_b64 v1, v[116:117]
.LBB55_339:
	s_wait_xcnt 0x0
	s_or_b32 exec_lo, exec_lo, s0
	s_wait_storecnt_dscnt 0x0
	s_barrier_signal -1
	s_barrier_wait -1
	s_clause 0x5
	scratch_load_b128 v[116:119], off, off offset:24
	scratch_load_b128 v[120:123], off, off offset:40
	;; [unrolled: 1-line block ×6, first 2 shown]
	ds_load_b128 v[140:143], v2 offset:480
	ds_load_b128 v[144:147], v2 offset:496
	scratch_load_b128 v[148:151], off, off offset:120
	s_mov_b32 s0, exec_lo
	s_wait_loadcnt_dscnt 0x601
	v_fma_f64 v[152:153], v[118:119], v[140:141], 0
	s_wait_loadcnt 0x5
	s_delay_alu instid0(VALU_DEP_1) | instskip(SKIP_4) | instid1(VALU_DEP_1)
	v_fmac_f64_e32 v[152:153], v[120:121], v[142:143]
	scratch_load_b128 v[118:121], off, off offset:136
	s_wait_dscnt 0x0
	v_fmac_f64_e32 v[152:153], v[122:123], v[144:145]
	s_wait_loadcnt 0x5
	v_fmac_f64_e32 v[152:153], v[124:125], v[146:147]
	ds_load_b128 v[122:125], v2 offset:512
	ds_load_b128 v[140:143], v2 offset:528
	scratch_load_b128 v[144:147], off, off offset:152
	s_wait_dscnt 0x1
	v_fmac_f64_e32 v[152:153], v[126:127], v[122:123]
	s_wait_loadcnt 0x5
	s_delay_alu instid0(VALU_DEP_1) | instskip(SKIP_4) | instid1(VALU_DEP_1)
	v_fmac_f64_e32 v[152:153], v[128:129], v[124:125]
	scratch_load_b128 v[122:125], off, off offset:168
	s_wait_dscnt 0x0
	v_fmac_f64_e32 v[152:153], v[130:131], v[140:141]
	s_wait_loadcnt 0x5
	v_fmac_f64_e32 v[152:153], v[132:133], v[142:143]
	ds_load_b128 v[126:129], v2 offset:544
	ds_load_b128 v[130:133], v2 offset:560
	scratch_load_b128 v[140:143], off, off offset:184
	s_wait_dscnt 0x1
	v_fmac_f64_e32 v[152:153], v[134:135], v[126:127]
	s_wait_loadcnt 0x5
	s_delay_alu instid0(VALU_DEP_1) | instskip(SKIP_4) | instid1(VALU_DEP_1)
	v_fmac_f64_e32 v[152:153], v[136:137], v[128:129]
	scratch_load_b128 v[126:129], off, off offset:200
	s_wait_dscnt 0x0
	v_fmac_f64_e32 v[152:153], v[138:139], v[130:131]
	s_wait_loadcnt 0x5
	v_fmac_f64_e32 v[152:153], v[148:149], v[132:133]
	ds_load_b128 v[130:133], v2 offset:576
	ds_load_b128 v[134:137], v2 offset:592
	s_wait_dscnt 0x1
	v_fmac_f64_e32 v[152:153], v[150:151], v[130:131]
	scratch_load_b128 v[148:151], off, off offset:216
	s_wait_loadcnt 0x5
	v_fmac_f64_e32 v[152:153], v[118:119], v[132:133]
	s_wait_dscnt 0x0
	s_delay_alu instid0(VALU_DEP_1)
	v_fmac_f64_e32 v[152:153], v[120:121], v[134:135]
	scratch_load_b128 v[118:121], off, off offset:232
	s_wait_loadcnt 0x5
	v_fmac_f64_e32 v[152:153], v[144:145], v[136:137]
	ds_load_b128 v[130:133], v2 offset:608
	ds_load_b128 v[134:137], v2 offset:624
	s_wait_dscnt 0x1
	v_fmac_f64_e32 v[152:153], v[146:147], v[130:131]
	scratch_load_b128 v[144:147], off, off offset:248
	s_wait_loadcnt 0x5
	v_fmac_f64_e32 v[152:153], v[122:123], v[132:133]
	s_wait_dscnt 0x0
	s_delay_alu instid0(VALU_DEP_1)
	v_fmac_f64_e32 v[152:153], v[124:125], v[134:135]
	scratch_load_b128 v[122:125], off, off offset:264
	s_wait_loadcnt 0x5
	v_fmac_f64_e32 v[152:153], v[140:141], v[136:137]
	ds_load_b128 v[130:133], v2 offset:640
	ds_load_b128 v[134:137], v2 offset:656
	scratch_load_b128 v[138:141], off, off offset:280
	s_wait_dscnt 0x1
	v_fmac_f64_e32 v[152:153], v[142:143], v[130:131]
	s_wait_loadcnt 0x5
	s_delay_alu instid0(VALU_DEP_1) | instskip(SKIP_1) | instid1(VALU_DEP_1)
	v_fmac_f64_e32 v[152:153], v[126:127], v[132:133]
	s_wait_dscnt 0x0
	v_fmac_f64_e32 v[152:153], v[128:129], v[134:135]
	scratch_load_b128 v[126:129], off, off offset:296
	s_wait_loadcnt 0x5
	v_fmac_f64_e32 v[152:153], v[148:149], v[136:137]
	ds_load_b128 v[130:133], v2 offset:672
	ds_load_b128 v[134:137], v2 offset:688
	s_wait_dscnt 0x1
	v_fmac_f64_e32 v[152:153], v[150:151], v[130:131]
	scratch_load_b128 v[148:151], off, off offset:312
	s_wait_loadcnt 0x5
	v_fmac_f64_e32 v[152:153], v[118:119], v[132:133]
	s_wait_dscnt 0x0
	s_delay_alu instid0(VALU_DEP_1)
	v_fmac_f64_e32 v[152:153], v[120:121], v[134:135]
	scratch_load_b128 v[118:121], off, off offset:328
	s_wait_loadcnt 0x5
	v_fmac_f64_e32 v[152:153], v[144:145], v[136:137]
	ds_load_b128 v[130:133], v2 offset:704
	ds_load_b128 v[134:137], v2 offset:720
	scratch_load_b128 v[142:145], off, off offset:344
	s_wait_dscnt 0x1
	v_fmac_f64_e32 v[152:153], v[146:147], v[130:131]
	s_wait_loadcnt 0x5
	s_delay_alu instid0(VALU_DEP_1) | instskip(SKIP_1) | instid1(VALU_DEP_1)
	v_fmac_f64_e32 v[152:153], v[122:123], v[132:133]
	s_wait_dscnt 0x0
	v_fmac_f64_e32 v[152:153], v[124:125], v[134:135]
	scratch_load_b128 v[122:125], off, off offset:360
	s_wait_loadcnt 0x5
	v_fmac_f64_e32 v[152:153], v[138:139], v[136:137]
	ds_load_b128 v[130:133], v2 offset:736
	ds_load_b128 v[134:137], v2 offset:752
	s_wait_dscnt 0x1
	v_fmac_f64_e32 v[152:153], v[140:141], v[130:131]
	s_wait_loadcnt 0x4
	s_delay_alu instid0(VALU_DEP_1)
	v_fmac_f64_e32 v[152:153], v[126:127], v[132:133]
	scratch_load_b128 v[130:133], off, off offset:376
	s_wait_dscnt 0x0
	v_fmac_f64_e32 v[152:153], v[128:129], v[134:135]
	scratch_load_b128 v[126:129], off, off offset:392
	s_wait_loadcnt 0x5
	v_fmac_f64_e32 v[152:153], v[148:149], v[136:137]
	ds_load_b128 v[134:137], v2 offset:768
	ds_load_b128 v[138:141], v2 offset:784
	s_wait_dscnt 0x1
	v_fmac_f64_e32 v[152:153], v[150:151], v[134:135]
	s_wait_loadcnt 0x4
	s_delay_alu instid0(VALU_DEP_1)
	v_fmac_f64_e32 v[152:153], v[118:119], v[136:137]
	scratch_load_b128 v[134:137], off, off offset:408
	s_wait_dscnt 0x0
	v_fmac_f64_e32 v[152:153], v[120:121], v[138:139]
	scratch_load_b128 v[118:121], off, off offset:424
	s_wait_loadcnt 0x5
	v_fmac_f64_e32 v[152:153], v[142:143], v[140:141]
	ds_load_b128 v[138:141], v2 offset:800
	ds_load_b128 v[146:149], v2 offset:816
	scratch_load_b64 v[142:143], off, off offset:440
	s_wait_dscnt 0x1
	v_fmac_f64_e32 v[152:153], v[144:145], v[138:139]
	s_wait_loadcnt 0x5
	s_delay_alu instid0(VALU_DEP_1) | instskip(SKIP_1) | instid1(VALU_DEP_1)
	v_fmac_f64_e32 v[152:153], v[122:123], v[140:141]
	s_wait_dscnt 0x0
	v_fmac_f64_e32 v[152:153], v[124:125], v[146:147]
	ds_load_b128 v[122:125], v2 offset:832
	ds_load_b128 v[138:141], v2 offset:848
	s_wait_loadcnt 0x4
	v_fmac_f64_e32 v[152:153], v[130:131], v[148:149]
	s_wait_dscnt 0x1
	s_delay_alu instid0(VALU_DEP_1) | instskip(SKIP_1) | instid1(VALU_DEP_1)
	v_fmac_f64_e32 v[152:153], v[132:133], v[122:123]
	s_wait_loadcnt 0x3
	v_fmac_f64_e32 v[152:153], v[126:127], v[124:125]
	s_wait_dscnt 0x0
	s_delay_alu instid0(VALU_DEP_1)
	v_fmac_f64_e32 v[152:153], v[128:129], v[138:139]
	ds_load_b128 v[122:125], v2 offset:864
	ds_load_b128 v[126:129], v2 offset:880
	s_wait_loadcnt 0x2
	v_fmac_f64_e32 v[152:153], v[134:135], v[140:141]
	s_wait_dscnt 0x1
	s_delay_alu instid0(VALU_DEP_1) | instskip(SKIP_1) | instid1(VALU_DEP_1)
	v_fmac_f64_e32 v[152:153], v[136:137], v[122:123]
	s_wait_loadcnt 0x1
	v_fmac_f64_e32 v[152:153], v[118:119], v[124:125]
	s_wait_dscnt 0x0
	s_delay_alu instid0(VALU_DEP_1) | instskip(SKIP_1) | instid1(VALU_DEP_1)
	v_fmac_f64_e32 v[152:153], v[120:121], v[126:127]
	s_wait_loadcnt 0x0
	v_fmac_f64_e32 v[152:153], v[142:143], v[128:129]
	s_delay_alu instid0(VALU_DEP_1)
	v_add_f64_e64 v[2:3], v[116:117], -v[152:153]
	scratch_store_b64 off, v[2:3], off offset:24
	s_wait_xcnt 0x0
	v_cmpx_lt_u32_e32 2, v0
	s_cbranch_execz .LBB55_341
; %bb.340:
	scratch_load_b64 v[2:3], off, off offset:16
	v_mov_b64_e32 v[116:117], 0
	scratch_store_b64 off, v[116:117], off offset:16
	s_wait_loadcnt 0x0
	ds_store_b64 v1, v[2:3]
.LBB55_341:
	s_wait_xcnt 0x0
	s_or_b32 exec_lo, exec_lo, s0
	s_wait_storecnt_dscnt 0x0
	s_barrier_signal -1
	s_barrier_wait -1
	s_clause 0x5
	scratch_load_b128 v[116:119], off, off offset:16
	scratch_load_b128 v[120:123], off, off offset:32
	;; [unrolled: 1-line block ×6, first 2 shown]
	v_mov_b32_e32 v2, 0
	ds_load_2addr_b64 v[140:143], v2 offset0:59 offset1:60
	ds_load_2addr_b64 v[144:147], v2 offset0:61 offset1:62
	scratch_load_b128 v[148:151], off, off offset:112
	s_mov_b32 s0, exec_lo
	s_wait_loadcnt_dscnt 0x601
	v_fma_f64 v[152:153], v[118:119], v[140:141], 0
	s_wait_loadcnt 0x5
	s_delay_alu instid0(VALU_DEP_1) | instskip(SKIP_4) | instid1(VALU_DEP_1)
	v_fmac_f64_e32 v[152:153], v[120:121], v[142:143]
	scratch_load_b128 v[118:121], off, off offset:128
	s_wait_dscnt 0x0
	v_fmac_f64_e32 v[152:153], v[122:123], v[144:145]
	s_wait_loadcnt 0x5
	v_fmac_f64_e32 v[152:153], v[124:125], v[146:147]
	ds_load_2addr_b64 v[122:125], v2 offset0:63 offset1:64
	ds_load_2addr_b64 v[140:143], v2 offset0:65 offset1:66
	scratch_load_b128 v[144:147], off, off offset:144
	s_wait_dscnt 0x1
	v_fmac_f64_e32 v[152:153], v[126:127], v[122:123]
	s_wait_loadcnt 0x5
	s_delay_alu instid0(VALU_DEP_1) | instskip(SKIP_4) | instid1(VALU_DEP_1)
	v_fmac_f64_e32 v[152:153], v[128:129], v[124:125]
	scratch_load_b128 v[122:125], off, off offset:160
	s_wait_dscnt 0x0
	v_fmac_f64_e32 v[152:153], v[130:131], v[140:141]
	s_wait_loadcnt 0x5
	v_fmac_f64_e32 v[152:153], v[132:133], v[142:143]
	ds_load_2addr_b64 v[126:129], v2 offset0:67 offset1:68
	ds_load_2addr_b64 v[130:133], v2 offset0:69 offset1:70
	scratch_load_b128 v[140:143], off, off offset:176
	s_wait_dscnt 0x1
	v_fmac_f64_e32 v[152:153], v[134:135], v[126:127]
	s_wait_loadcnt 0x5
	s_delay_alu instid0(VALU_DEP_1) | instskip(SKIP_4) | instid1(VALU_DEP_1)
	v_fmac_f64_e32 v[152:153], v[136:137], v[128:129]
	scratch_load_b128 v[126:129], off, off offset:192
	s_wait_dscnt 0x0
	v_fmac_f64_e32 v[152:153], v[138:139], v[130:131]
	s_wait_loadcnt 0x5
	v_fmac_f64_e32 v[152:153], v[148:149], v[132:133]
	ds_load_2addr_b64 v[130:133], v2 offset0:71 offset1:72
	ds_load_2addr_b64 v[134:137], v2 offset0:73 offset1:74
	s_wait_dscnt 0x1
	v_fmac_f64_e32 v[152:153], v[150:151], v[130:131]
	scratch_load_b128 v[148:151], off, off offset:208
	s_wait_loadcnt 0x5
	v_fmac_f64_e32 v[152:153], v[118:119], v[132:133]
	s_wait_dscnt 0x0
	s_delay_alu instid0(VALU_DEP_1)
	v_fmac_f64_e32 v[152:153], v[120:121], v[134:135]
	scratch_load_b128 v[118:121], off, off offset:224
	s_wait_loadcnt 0x5
	v_fmac_f64_e32 v[152:153], v[144:145], v[136:137]
	ds_load_2addr_b64 v[130:133], v2 offset0:75 offset1:76
	ds_load_2addr_b64 v[134:137], v2 offset0:77 offset1:78
	s_wait_dscnt 0x1
	v_fmac_f64_e32 v[152:153], v[146:147], v[130:131]
	scratch_load_b128 v[144:147], off, off offset:240
	s_wait_loadcnt 0x5
	v_fmac_f64_e32 v[152:153], v[122:123], v[132:133]
	s_wait_dscnt 0x0
	s_delay_alu instid0(VALU_DEP_1)
	v_fmac_f64_e32 v[152:153], v[124:125], v[134:135]
	scratch_load_b128 v[122:125], off, off offset:256
	s_wait_loadcnt 0x5
	v_fmac_f64_e32 v[152:153], v[140:141], v[136:137]
	ds_load_2addr_b64 v[130:133], v2 offset0:79 offset1:80
	ds_load_2addr_b64 v[134:137], v2 offset0:81 offset1:82
	scratch_load_b128 v[138:141], off, off offset:272
	s_wait_dscnt 0x1
	v_fmac_f64_e32 v[152:153], v[142:143], v[130:131]
	s_wait_loadcnt 0x5
	s_delay_alu instid0(VALU_DEP_1) | instskip(SKIP_1) | instid1(VALU_DEP_1)
	v_fmac_f64_e32 v[152:153], v[126:127], v[132:133]
	s_wait_dscnt 0x0
	v_fmac_f64_e32 v[152:153], v[128:129], v[134:135]
	scratch_load_b128 v[126:129], off, off offset:288
	s_wait_loadcnt 0x5
	v_fmac_f64_e32 v[152:153], v[148:149], v[136:137]
	ds_load_2addr_b64 v[130:133], v2 offset0:83 offset1:84
	ds_load_2addr_b64 v[134:137], v2 offset0:85 offset1:86
	s_wait_dscnt 0x1
	v_fmac_f64_e32 v[152:153], v[150:151], v[130:131]
	scratch_load_b128 v[148:151], off, off offset:304
	s_wait_loadcnt 0x5
	v_fmac_f64_e32 v[152:153], v[118:119], v[132:133]
	s_wait_dscnt 0x0
	s_delay_alu instid0(VALU_DEP_1)
	v_fmac_f64_e32 v[152:153], v[120:121], v[134:135]
	scratch_load_b128 v[118:121], off, off offset:320
	s_wait_loadcnt 0x5
	v_fmac_f64_e32 v[152:153], v[144:145], v[136:137]
	ds_load_2addr_b64 v[130:133], v2 offset0:87 offset1:88
	ds_load_2addr_b64 v[134:137], v2 offset0:89 offset1:90
	scratch_load_b128 v[142:145], off, off offset:336
	s_wait_dscnt 0x1
	v_fmac_f64_e32 v[152:153], v[146:147], v[130:131]
	s_wait_loadcnt 0x5
	s_delay_alu instid0(VALU_DEP_1) | instskip(SKIP_1) | instid1(VALU_DEP_1)
	v_fmac_f64_e32 v[152:153], v[122:123], v[132:133]
	s_wait_dscnt 0x0
	v_fmac_f64_e32 v[152:153], v[124:125], v[134:135]
	scratch_load_b128 v[122:125], off, off offset:352
	s_wait_loadcnt 0x5
	v_fmac_f64_e32 v[152:153], v[138:139], v[136:137]
	ds_load_2addr_b64 v[130:133], v2 offset0:91 offset1:92
	ds_load_2addr_b64 v[134:137], v2 offset0:93 offset1:94
	s_wait_dscnt 0x1
	v_fmac_f64_e32 v[152:153], v[140:141], v[130:131]
	s_wait_loadcnt 0x4
	s_delay_alu instid0(VALU_DEP_1)
	v_fmac_f64_e32 v[152:153], v[126:127], v[132:133]
	scratch_load_b128 v[130:133], off, off offset:368
	s_wait_dscnt 0x0
	v_fmac_f64_e32 v[152:153], v[128:129], v[134:135]
	scratch_load_b128 v[126:129], off, off offset:384
	s_wait_loadcnt 0x5
	v_fmac_f64_e32 v[152:153], v[148:149], v[136:137]
	ds_load_2addr_b64 v[134:137], v2 offset0:95 offset1:96
	ds_load_2addr_b64 v[138:141], v2 offset0:97 offset1:98
	s_wait_dscnt 0x1
	v_fmac_f64_e32 v[152:153], v[150:151], v[134:135]
	s_wait_loadcnt 0x4
	s_delay_alu instid0(VALU_DEP_1)
	v_fmac_f64_e32 v[152:153], v[118:119], v[136:137]
	scratch_load_b128 v[134:137], off, off offset:400
	;; [unrolled: 13-line block ×3, first 2 shown]
	s_wait_dscnt 0x0
	v_fmac_f64_e32 v[152:153], v[124:125], v[146:147]
	ds_load_2addr_b64 v[122:125], v2 offset0:103 offset1:104
	ds_load_2addr_b64 v[142:145], v2 offset0:105 offset1:106
	s_wait_loadcnt 0x4
	v_fmac_f64_e32 v[152:153], v[130:131], v[148:149]
	s_wait_dscnt 0x1
	s_delay_alu instid0(VALU_DEP_1) | instskip(SKIP_1) | instid1(VALU_DEP_1)
	v_fmac_f64_e32 v[152:153], v[132:133], v[122:123]
	s_wait_loadcnt 0x3
	v_fmac_f64_e32 v[152:153], v[126:127], v[124:125]
	s_wait_dscnt 0x0
	s_delay_alu instid0(VALU_DEP_1)
	v_fmac_f64_e32 v[152:153], v[128:129], v[142:143]
	ds_load_2addr_b64 v[122:125], v2 offset0:107 offset1:108
	ds_load_2addr_b64 v[126:129], v2 offset0:109 offset1:110
	s_wait_loadcnt 0x2
	v_fmac_f64_e32 v[152:153], v[134:135], v[144:145]
	s_wait_dscnt 0x1
	s_delay_alu instid0(VALU_DEP_1) | instskip(SKIP_1) | instid1(VALU_DEP_1)
	v_fmac_f64_e32 v[152:153], v[136:137], v[122:123]
	s_wait_loadcnt 0x1
	v_fmac_f64_e32 v[152:153], v[118:119], v[124:125]
	ds_load_b64 v[118:119], v2 offset:888
	s_wait_dscnt 0x1
	v_fmac_f64_e32 v[152:153], v[120:121], v[126:127]
	s_wait_loadcnt 0x0
	s_delay_alu instid0(VALU_DEP_1) | instskip(SKIP_1) | instid1(VALU_DEP_1)
	v_fmac_f64_e32 v[152:153], v[138:139], v[128:129]
	s_wait_dscnt 0x0
	v_fmac_f64_e32 v[152:153], v[140:141], v[118:119]
	s_delay_alu instid0(VALU_DEP_1)
	v_add_f64_e64 v[116:117], v[116:117], -v[152:153]
	scratch_store_b64 off, v[116:117], off offset:16
	s_wait_xcnt 0x0
	v_cmpx_lt_u32_e32 1, v0
	s_cbranch_execz .LBB55_343
; %bb.342:
	scratch_load_b64 v[116:117], off, off offset:8
	v_mov_b64_e32 v[118:119], 0
	scratch_store_b64 off, v[118:119], off offset:8
	s_wait_loadcnt 0x0
	ds_store_b64 v1, v[116:117]
.LBB55_343:
	s_wait_xcnt 0x0
	s_or_b32 exec_lo, exec_lo, s0
	s_wait_storecnt_dscnt 0x0
	s_barrier_signal -1
	s_barrier_wait -1
	s_clause 0x3
	scratch_load_b128 v[116:119], off, off offset:8
	scratch_load_b128 v[120:123], off, off offset:24
	;; [unrolled: 1-line block ×4, first 2 shown]
	ds_load_b128 v[132:135], v2 offset:464
	ds_load_b128 v[136:139], v2 offset:480
	scratch_load_b128 v[140:143], off, off offset:72
	v_dual_ashrrev_i32 v9, 31, v8 :: v_dual_ashrrev_i32 v11, 31, v10
	v_dual_ashrrev_i32 v13, 31, v12 :: v_dual_ashrrev_i32 v15, 31, v14
	;; [unrolled: 1-line block ×26, first 2 shown]
	v_ashrrev_i32_e32 v113, 31, v112
	s_mov_b32 s0, exec_lo
	v_ashrrev_i32_e32 v67, 31, v66
	s_wait_loadcnt_dscnt 0x401
	v_fma_f64 v[144:145], v[118:119], v[132:133], 0
	s_wait_loadcnt 0x3
	s_delay_alu instid0(VALU_DEP_1) | instskip(SKIP_4) | instid1(VALU_DEP_1)
	v_fmac_f64_e32 v[144:145], v[120:121], v[134:135]
	scratch_load_b128 v[118:121], off, off offset:88
	s_wait_dscnt 0x0
	v_fmac_f64_e32 v[144:145], v[122:123], v[136:137]
	s_wait_loadcnt 0x3
	v_fmac_f64_e32 v[144:145], v[124:125], v[138:139]
	ds_load_b128 v[122:125], v2 offset:496
	ds_load_b128 v[132:135], v2 offset:512
	scratch_load_b128 v[136:139], off, off offset:104
	s_wait_dscnt 0x1
	v_fmac_f64_e32 v[144:145], v[126:127], v[122:123]
	s_wait_loadcnt 0x3
	s_delay_alu instid0(VALU_DEP_1)
	v_fmac_f64_e32 v[144:145], v[128:129], v[124:125]
	scratch_load_b128 v[122:125], off, off offset:120
	s_wait_dscnt 0x0
	v_fmac_f64_e32 v[144:145], v[130:131], v[132:133]
	ds_load_b128 v[126:129], v2 offset:528
	ds_load_b128 v[130:133], v2 offset:544
	s_wait_loadcnt 0x3
	v_fmac_f64_e32 v[144:145], v[140:141], v[134:135]
	s_wait_dscnt 0x1
	s_delay_alu instid0(VALU_DEP_1) | instskip(SKIP_4) | instid1(VALU_DEP_1)
	v_fmac_f64_e32 v[144:145], v[142:143], v[126:127]
	scratch_load_b128 v[140:143], off, off offset:136
	s_wait_loadcnt 0x3
	v_fmac_f64_e32 v[144:145], v[118:119], v[128:129]
	s_wait_dscnt 0x0
	v_fmac_f64_e32 v[144:145], v[120:121], v[130:131]
	scratch_load_b128 v[118:121], off, off offset:152
	s_wait_loadcnt 0x3
	v_fmac_f64_e32 v[144:145], v[136:137], v[132:133]
	ds_load_b128 v[126:129], v2 offset:560
	ds_load_b128 v[130:133], v2 offset:576
	scratch_load_b128 v[134:137], off, off offset:168
	s_wait_dscnt 0x1
	v_fmac_f64_e32 v[144:145], v[138:139], v[126:127]
	s_wait_loadcnt 0x3
	s_delay_alu instid0(VALU_DEP_1) | instskip(SKIP_1) | instid1(VALU_DEP_1)
	v_fmac_f64_e32 v[144:145], v[122:123], v[128:129]
	s_wait_dscnt 0x0
	v_fmac_f64_e32 v[144:145], v[124:125], v[130:131]
	scratch_load_b128 v[122:125], off, off offset:184
	s_wait_loadcnt 0x3
	v_fmac_f64_e32 v[144:145], v[140:141], v[132:133]
	ds_load_b128 v[126:129], v2 offset:592
	ds_load_b128 v[130:133], v2 offset:608
	scratch_load_b128 v[138:141], off, off offset:200
	s_wait_dscnt 0x1
	v_fmac_f64_e32 v[144:145], v[142:143], v[126:127]
	s_wait_loadcnt 0x3
	s_delay_alu instid0(VALU_DEP_1) | instskip(SKIP_1) | instid1(VALU_DEP_1)
	v_fmac_f64_e32 v[144:145], v[118:119], v[128:129]
	s_wait_dscnt 0x0
	v_fmac_f64_e32 v[144:145], v[120:121], v[130:131]
	scratch_load_b128 v[118:121], off, off offset:216
	s_wait_loadcnt 0x3
	v_fmac_f64_e32 v[144:145], v[134:135], v[132:133]
	ds_load_b128 v[126:129], v2 offset:624
	ds_load_b128 v[130:133], v2 offset:640
	s_wait_dscnt 0x1
	v_fmac_f64_e32 v[144:145], v[136:137], v[126:127]
	scratch_load_b128 v[134:137], off, off offset:232
	s_wait_loadcnt 0x3
	v_fmac_f64_e32 v[144:145], v[122:123], v[128:129]
	scratch_load_b128 v[126:129], off, off offset:248
	s_wait_dscnt 0x0
	v_fmac_f64_e32 v[144:145], v[124:125], v[130:131]
	s_wait_loadcnt 0x3
	s_delay_alu instid0(VALU_DEP_1)
	v_fmac_f64_e32 v[144:145], v[138:139], v[132:133]
	ds_load_b128 v[122:125], v2 offset:656
	ds_load_b128 v[130:133], v2 offset:672
	s_wait_dscnt 0x1
	v_fmac_f64_e32 v[144:145], v[140:141], v[122:123]
	scratch_load_b128 v[138:141], off, off offset:264
	s_wait_loadcnt 0x3
	v_fmac_f64_e32 v[144:145], v[118:119], v[124:125]
	s_wait_dscnt 0x0
	s_delay_alu instid0(VALU_DEP_1)
	v_fmac_f64_e32 v[144:145], v[120:121], v[130:131]
	scratch_load_b128 v[118:121], off, off offset:280
	s_wait_loadcnt 0x3
	v_fmac_f64_e32 v[144:145], v[134:135], v[132:133]
	ds_load_b128 v[122:125], v2 offset:688
	ds_load_b128 v[130:133], v2 offset:704
	s_wait_dscnt 0x1
	v_fmac_f64_e32 v[144:145], v[136:137], v[122:123]
	scratch_load_b128 v[134:137], off, off offset:296
	s_wait_loadcnt 0x3
	v_fmac_f64_e32 v[144:145], v[126:127], v[124:125]
	scratch_load_b128 v[122:125], off, off offset:312
	s_wait_dscnt 0x0
	v_fmac_f64_e32 v[144:145], v[128:129], v[130:131]
	s_wait_loadcnt 0x3
	s_delay_alu instid0(VALU_DEP_1)
	v_fmac_f64_e32 v[144:145], v[138:139], v[132:133]
	ds_load_b128 v[126:129], v2 offset:720
	ds_load_b128 v[130:133], v2 offset:736
	s_wait_dscnt 0x1
	v_fmac_f64_e32 v[144:145], v[140:141], v[126:127]
	scratch_load_b128 v[138:141], off, off offset:328
	s_wait_loadcnt 0x3
	v_fmac_f64_e32 v[144:145], v[118:119], v[128:129]
	s_wait_dscnt 0x0
	s_delay_alu instid0(VALU_DEP_1)
	;; [unrolled: 26-line block ×3, first 2 shown]
	v_fmac_f64_e32 v[144:145], v[120:121], v[130:131]
	scratch_load_b128 v[118:121], off, off offset:408
	s_wait_loadcnt 0x3
	v_fmac_f64_e32 v[144:145], v[134:135], v[132:133]
	ds_load_b128 v[122:125], v2 offset:816
	ds_load_b128 v[130:133], v2 offset:832
	scratch_load_b64 v[142:143], off, off offset:440
	s_wait_dscnt 0x1
	v_fmac_f64_e32 v[144:145], v[136:137], v[122:123]
	scratch_load_b128 v[134:137], off, off offset:424
	s_wait_loadcnt 0x4
	v_fmac_f64_e32 v[144:145], v[126:127], v[124:125]
	s_wait_dscnt 0x0
	s_delay_alu instid0(VALU_DEP_1)
	v_fmac_f64_e32 v[144:145], v[128:129], v[130:131]
	ds_load_b128 v[122:125], v2 offset:848
	ds_load_b128 v[126:129], v2 offset:864
	s_wait_loadcnt 0x3
	v_fmac_f64_e32 v[144:145], v[138:139], v[132:133]
	s_wait_dscnt 0x1
	s_delay_alu instid0(VALU_DEP_1) | instskip(SKIP_1) | instid1(VALU_DEP_1)
	v_fmac_f64_e32 v[144:145], v[140:141], v[122:123]
	s_wait_loadcnt 0x2
	v_fmac_f64_e32 v[144:145], v[118:119], v[124:125]
	s_wait_dscnt 0x0
	s_delay_alu instid0(VALU_DEP_1) | instskip(SKIP_4) | instid1(VALU_DEP_1)
	v_fmac_f64_e32 v[144:145], v[120:121], v[126:127]
	ds_load_b128 v[118:121], v2 offset:880
	s_wait_loadcnt 0x0
	v_fmac_f64_e32 v[144:145], v[134:135], v[128:129]
	s_wait_dscnt 0x0
	v_fmac_f64_e32 v[144:145], v[136:137], v[118:119]
	s_delay_alu instid0(VALU_DEP_1) | instskip(NEXT) | instid1(VALU_DEP_1)
	v_fmac_f64_e32 v[144:145], v[142:143], v[120:121]
	v_add_f64_e64 v[2:3], v[116:117], -v[144:145]
	scratch_store_b64 off, v[2:3], off offset:8
	s_wait_xcnt 0x0
	v_cmpx_ne_u32_e32 0, v0
	s_cbranch_execz .LBB55_345
; %bb.344:
	scratch_load_b64 v[2:3], off, off
	v_mov_b64_e32 v[116:117], 0
	scratch_store_b64 off, v[116:117], off
	s_wait_loadcnt 0x0
	ds_store_b64 v1, v[2:3]
.LBB55_345:
	s_wait_xcnt 0x0
	s_or_b32 exec_lo, exec_lo, s0
	s_wait_storecnt_dscnt 0x0
	s_barrier_signal -1
	s_barrier_wait -1
	s_clause 0x5
	scratch_load_b128 v[118:121], off, off
	scratch_load_b128 v[0:3], off, off offset:16
	scratch_load_b128 v[122:125], off, off offset:32
	;; [unrolled: 1-line block ×5, first 2 shown]
	v_mov_b32_e32 v116, 0
	scratch_load_b128 v[142:145], off, off offset:96
	s_and_b32 vcc_lo, exec_lo, s18
	ds_load_2addr_b64 v[138:141], v116 offset0:57 offset1:58
	s_wait_loadcnt_dscnt 0x600
	v_fma_f64 v[148:149], v[120:121], v[138:139], 0
	s_wait_loadcnt 0x5
	s_delay_alu instid0(VALU_DEP_1)
	v_fmac_f64_e32 v[148:149], v[0:1], v[140:141]
	ds_load_2addr_b64 v[138:141], v116 offset0:59 offset1:60
	s_wait_dscnt 0x0
	v_fmac_f64_e32 v[148:149], v[2:3], v[138:139]
	scratch_load_b128 v[0:3], off, off offset:112
	s_wait_loadcnt 0x5
	v_fmac_f64_e32 v[148:149], v[122:123], v[140:141]
	ds_load_2addr_b64 v[120:123], v116 offset0:61 offset1:62
	scratch_load_b128 v[138:141], off, off offset:128
	s_wait_dscnt 0x0
	v_fmac_f64_e32 v[148:149], v[124:125], v[120:121]
	s_wait_loadcnt 0x5
	s_delay_alu instid0(VALU_DEP_1)
	v_fmac_f64_e32 v[148:149], v[126:127], v[122:123]
	ds_load_2addr_b64 v[120:123], v116 offset0:63 offset1:64
	scratch_load_b128 v[124:127], off, off offset:144
	s_wait_dscnt 0x0
	v_fmac_f64_e32 v[148:149], v[128:129], v[120:121]
	s_wait_loadcnt 0x5
	s_delay_alu instid0(VALU_DEP_1)
	;; [unrolled: 7-line block ×4, first 2 shown]
	v_fmac_f64_e32 v[148:149], v[142:143], v[122:123]
	ds_load_2addr_b64 v[120:123], v116 offset0:69 offset1:70
	s_wait_dscnt 0x0
	v_fmac_f64_e32 v[148:149], v[144:145], v[120:121]
	scratch_load_b128 v[142:145], off, off offset:192
	s_wait_loadcnt 0x5
	v_fmac_f64_e32 v[148:149], v[0:1], v[122:123]
	ds_load_2addr_b64 v[120:123], v116 offset0:71 offset1:72
	s_wait_dscnt 0x0
	v_fmac_f64_e32 v[148:149], v[2:3], v[120:121]
	scratch_load_b128 v[0:3], off, off offset:208
	s_wait_loadcnt 0x5
	v_fmac_f64_e32 v[148:149], v[138:139], v[122:123]
	ds_load_2addr_b64 v[120:123], v116 offset0:73 offset1:74
	scratch_load_b128 v[136:139], off, off offset:224
	s_wait_dscnt 0x0
	v_fmac_f64_e32 v[148:149], v[140:141], v[120:121]
	s_wait_loadcnt 0x5
	s_delay_alu instid0(VALU_DEP_1)
	v_fmac_f64_e32 v[148:149], v[124:125], v[122:123]
	ds_load_2addr_b64 v[120:123], v116 offset0:75 offset1:76
	s_wait_dscnt 0x0
	v_fmac_f64_e32 v[148:149], v[126:127], v[120:121]
	scratch_load_b128 v[124:127], off, off offset:240
	s_wait_loadcnt 0x5
	v_fmac_f64_e32 v[148:149], v[128:129], v[122:123]
	ds_load_2addr_b64 v[120:123], v116 offset0:77 offset1:78
	s_wait_dscnt 0x0
	v_fmac_f64_e32 v[148:149], v[130:131], v[120:121]
	scratch_load_b128 v[128:131], off, off offset:256
	s_wait_loadcnt 0x5
	;; [unrolled: 6-line block ×3, first 2 shown]
	v_fmac_f64_e32 v[148:149], v[142:143], v[122:123]
	ds_load_2addr_b64 v[120:123], v116 offset0:81 offset1:82
	scratch_load_b128 v[140:143], off, off offset:288
	s_wait_dscnt 0x0
	v_fmac_f64_e32 v[148:149], v[144:145], v[120:121]
	scratch_load_b128 v[144:147], off, off offset:400
	s_wait_loadcnt 0x6
	v_fmac_f64_e32 v[148:149], v[0:1], v[122:123]
	ds_load_2addr_b64 v[120:123], v116 offset0:83 offset1:84
	s_wait_dscnt 0x0
	v_fmac_f64_e32 v[148:149], v[2:3], v[120:121]
	scratch_load_b128 v[0:3], off, off offset:304
	s_wait_loadcnt 0x6
	v_fmac_f64_e32 v[148:149], v[136:137], v[122:123]
	ds_load_2addr_b64 v[120:123], v116 offset0:85 offset1:86
	;; [unrolled: 6-line block ×7, first 2 shown]
	s_wait_dscnt 0x0
	v_fmac_f64_e32 v[148:149], v[2:3], v[120:121]
	ds_load_2addr_b64 v[0:3], v116 offset0:97 offset1:98
	s_wait_loadcnt 0x4
	v_fmac_f64_e32 v[148:149], v[136:137], v[122:123]
	scratch_load_b128 v[120:123], off, off offset:416
	s_wait_dscnt 0x0
	v_fmac_f64_e32 v[148:149], v[138:139], v[0:1]
	ds_load_2addr_b64 v[136:139], v116 offset0:99 offset1:100
	s_wait_loadcnt 0x4
	v_fmac_f64_e32 v[148:149], v[124:125], v[2:3]
	scratch_load_b128 v[0:3], off, off offset:432
	s_wait_dscnt 0x0
	v_fmac_f64_e32 v[148:149], v[126:127], v[136:137]
	ds_load_2addr_b64 v[124:127], v116 offset0:101 offset1:102
	s_wait_loadcnt 0x4
	v_fmac_f64_e32 v[148:149], v[128:129], v[138:139]
	s_wait_dscnt 0x0
	s_delay_alu instid0(VALU_DEP_1) | instskip(SKIP_1) | instid1(VALU_DEP_1)
	v_fmac_f64_e32 v[148:149], v[130:131], v[124:125]
	s_wait_loadcnt 0x3
	v_fmac_f64_e32 v[148:149], v[132:133], v[126:127]
	ds_load_2addr_b64 v[124:127], v116 offset0:103 offset1:104
	s_wait_dscnt 0x0
	v_fmac_f64_e32 v[148:149], v[134:135], v[124:125]
	s_wait_loadcnt 0x2
	s_delay_alu instid0(VALU_DEP_1) | instskip(SKIP_3) | instid1(VALU_DEP_1)
	v_fmac_f64_e32 v[148:149], v[140:141], v[126:127]
	ds_load_2addr_b64 v[124:127], v116 offset0:105 offset1:106
	s_wait_dscnt 0x0
	v_fmac_f64_e32 v[148:149], v[142:143], v[124:125]
	v_fmac_f64_e32 v[148:149], v[144:145], v[126:127]
	ds_load_2addr_b64 v[124:127], v116 offset0:107 offset1:108
	s_wait_dscnt 0x0
	v_fmac_f64_e32 v[148:149], v[146:147], v[124:125]
	s_wait_loadcnt 0x1
	s_delay_alu instid0(VALU_DEP_1)
	v_fmac_f64_e32 v[148:149], v[120:121], v[126:127]
	ds_load_2addr_b64 v[124:127], v116 offset0:109 offset1:110
	ds_load_b64 v[120:121], v116 offset:888
	s_wait_dscnt 0x1
	v_fmac_f64_e32 v[148:149], v[122:123], v[124:125]
	s_wait_loadcnt 0x0
	s_delay_alu instid0(VALU_DEP_1) | instskip(SKIP_1) | instid1(VALU_DEP_1)
	v_fmac_f64_e32 v[148:149], v[0:1], v[126:127]
	s_wait_dscnt 0x0
	v_fmac_f64_e32 v[148:149], v[2:3], v[120:121]
	s_delay_alu instid0(VALU_DEP_1)
	v_add_f64_e64 v[152:153], v[118:119], -v[148:149]
	scratch_store_b64 off, v[152:153], off
	s_cbranch_vccz .LBB55_456
; %bb.346:
	global_load_b32 v2, v116, s[2:3] offset:216
	s_wait_loadcnt 0x0
	v_cmp_ne_u32_e32 vcc_lo, 55, v2
	s_cbranch_vccz .LBB55_348
; %bb.347:
	v_lshlrev_b32_e32 v2, 3, v2
	s_wait_xcnt 0x0
	s_delay_alu instid0(VALU_DEP_1)
	v_mov_b32_e32 v116, v2
	scratch_load_b64 v[2:3], v116, off offset:-8
	s_wait_loadcnt 0x0
	scratch_store_b64 off, v[2:3], off offset:432
	scratch_store_b64 v116, v[0:1], off offset:-8
.LBB55_348:
	s_wait_xcnt 0x0
	v_mov_b32_e32 v0, 0
	global_load_b32 v1, v0, s[2:3] offset:212
	s_wait_loadcnt 0x0
	v_cmp_eq_u32_e32 vcc_lo, 54, v1
	s_cbranch_vccnz .LBB55_350
; %bb.349:
	v_lshlrev_b32_e32 v1, 3, v1
	scratch_load_b64 v[2:3], v1, off offset:-8
	scratch_load_b64 v[116:117], off, off offset:424
	s_wait_loadcnt 0x1
	scratch_store_b64 off, v[2:3], off offset:424
	s_wait_loadcnt 0x0
	scratch_store_b64 v1, v[116:117], off offset:-8
.LBB55_350:
	global_load_b32 v0, v0, s[2:3] offset:208
	s_wait_loadcnt 0x0
	v_cmp_eq_u32_e32 vcc_lo, 53, v0
	s_cbranch_vccnz .LBB55_352
; %bb.351:
	s_wait_xcnt 0x0
	v_lshlrev_b32_e32 v0, 3, v0
	s_delay_alu instid0(VALU_DEP_1)
	v_mov_b32_e32 v116, v0
	scratch_load_b64 v[0:1], v116, off offset:-8
	scratch_load_b64 v[2:3], off, off offset:416
	s_wait_loadcnt 0x1
	scratch_store_b64 off, v[0:1], off offset:416
	s_wait_loadcnt 0x0
	scratch_store_b64 v116, v[2:3], off offset:-8
.LBB55_352:
	s_wait_xcnt 0x0
	v_mov_b32_e32 v0, 0
	global_load_b32 v1, v0, s[2:3] offset:204
	s_wait_loadcnt 0x0
	v_cmp_eq_u32_e32 vcc_lo, 52, v1
	s_cbranch_vccnz .LBB55_354
; %bb.353:
	v_lshlrev_b32_e32 v1, 3, v1
	scratch_load_b64 v[2:3], v1, off offset:-8
	scratch_load_b64 v[116:117], off, off offset:408
	s_wait_loadcnt 0x1
	scratch_store_b64 off, v[2:3], off offset:408
	s_wait_loadcnt 0x0
	scratch_store_b64 v1, v[116:117], off offset:-8
.LBB55_354:
	global_load_b32 v0, v0, s[2:3] offset:200
	s_wait_loadcnt 0x0
	v_cmp_eq_u32_e32 vcc_lo, 51, v0
	s_cbranch_vccnz .LBB55_356
; %bb.355:
	s_wait_xcnt 0x0
	v_lshlrev_b32_e32 v0, 3, v0
	s_delay_alu instid0(VALU_DEP_1)
	v_mov_b32_e32 v116, v0
	scratch_load_b64 v[0:1], v116, off offset:-8
	scratch_load_b64 v[2:3], off, off offset:400
	s_wait_loadcnt 0x1
	scratch_store_b64 off, v[0:1], off offset:400
	s_wait_loadcnt 0x0
	scratch_store_b64 v116, v[2:3], off offset:-8
.LBB55_356:
	;; [unrolled: 31-line block ×26, first 2 shown]
	s_wait_xcnt 0x0
	v_mov_b32_e32 v0, 0
	global_load_b32 v1, v0, s[2:3] offset:4
	s_wait_loadcnt 0x0
	v_cmp_eq_u32_e32 vcc_lo, 2, v1
	s_cbranch_vccnz .LBB55_454
; %bb.453:
	v_lshlrev_b32_e32 v1, 3, v1
	scratch_load_b64 v[2:3], v1, off offset:-8
	scratch_load_b64 v[116:117], off, off offset:8
	s_wait_loadcnt 0x1
	scratch_store_b64 off, v[2:3], off offset:8
	s_wait_loadcnt 0x0
	scratch_store_b64 v1, v[116:117], off offset:-8
.LBB55_454:
	global_load_b32 v0, v0, s[2:3]
	scratch_load_b64 v[152:153], off, off
	s_wait_loadcnt 0x1
	v_cmp_eq_u32_e32 vcc_lo, 1, v0
	s_cbranch_vccnz .LBB55_456
; %bb.455:
	s_wait_xcnt 0x1
	v_lshlrev_b32_e32 v0, 3, v0
	s_delay_alu instid0(VALU_DEP_1)
	v_mov_b32_e32 v2, v0
	scratch_load_b64 v[0:1], v2, off offset:-8
	s_wait_loadcnt 0x0
	scratch_store_b64 off, v[0:1], off
	scratch_store_b64 v2, v[152:153], off offset:-8
	scratch_load_b64 v[152:153], off, off
.LBB55_456:
	v_lshl_add_u64 v[154:155], v[8:9], 3, s[4:5]
	v_lshl_add_u64 v[150:151], v[10:11], 3, s[4:5]
	;; [unrolled: 1-line block ×10, first 2 shown]
	s_wait_xcnt 0x1
	v_lshl_add_u64 v[0:1], v[46:47], 3, s[4:5]
	v_lshl_add_u64 v[2:3], v[48:49], 3, s[4:5]
	;; [unrolled: 1-line block ×17, first 2 shown]
	s_clause 0x5
	scratch_load_b128 v[74:77], off, off offset:8
	scratch_load_b128 v[78:81], off, off offset:24
	;; [unrolled: 1-line block ×6, first 2 shown]
	v_lshl_add_u64 v[146:147], v[14:15], 3, s[4:5]
	v_lshl_add_u64 v[144:145], v[16:17], 3, s[4:5]
	;; [unrolled: 1-line block ×12, first 2 shown]
	s_wait_loadcnt 0x6
	global_store_b64 v[6:7], v[152:153], off
	scratch_load_b128 v[98:101], off, off offset:104
	v_lshl_add_u64 v[138:139], v[22:23], 3, s[4:5]
	v_lshl_add_u64 v[136:137], v[24:25], 3, s[4:5]
	;; [unrolled: 1-line block ×15, first 2 shown]
	s_clause 0x2
	scratch_load_b128 v[102:105], off, off offset:152
	scratch_load_b128 v[106:109], off, off offset:184
	;; [unrolled: 1-line block ×3, first 2 shown]
	s_wait_loadcnt 0x9
	global_store_b64 v[4:5], v[74:75], off
	scratch_load_b128 v[4:7], off, off offset:120
	global_store_b64 v[154:155], v[76:77], off
	scratch_load_b128 v[74:77], off, off offset:136
	s_wait_loadcnt 0xa
	s_clause 0x1
	global_store_b64 v[150:151], v[78:79], off
	global_store_b64 v[148:149], v[80:81], off
	s_wait_loadcnt 0x9
	s_clause 0x1
	global_store_b64 v[146:147], v[82:83], off
	global_store_b64 v[144:145], v[84:85], off
	s_wait_loadcnt 0x8
	s_clause 0x1
	global_store_b64 v[142:143], v[86:87], off
	global_store_b64 v[140:141], v[88:89], off
	s_wait_loadcnt 0x7
	s_clause 0x1
	global_store_b64 v[138:139], v[90:91], off
	global_store_b64 v[136:137], v[92:93], off
	s_wait_loadcnt 0x6
	s_clause 0x1
	global_store_b64 v[134:135], v[94:95], off
	global_store_b64 v[132:133], v[96:97], off
	s_clause 0x5
	scratch_load_b128 v[78:81], off, off offset:168
	scratch_load_b128 v[82:85], off, off offset:200
	;; [unrolled: 1-line block ×6, first 2 shown]
	s_wait_loadcnt 0xb
	s_clause 0x1
	global_store_b64 v[130:131], v[98:99], off
	global_store_b64 v[128:129], v[100:101], off
	s_clause 0x2
	scratch_load_b128 v[94:97], off, off offset:296
	scratch_load_b128 v[130:133], off, off offset:312
	;; [unrolled: 1-line block ×3, first 2 shown]
	s_wait_loadcnt 0xa
	s_clause 0x1
	global_store_b64 v[126:127], v[4:5], off
	global_store_b64 v[124:125], v[6:7], off
	s_wait_loadcnt 0x9
	s_clause 0x3
	global_store_b64 v[122:123], v[74:75], off
	global_store_b64 v[120:121], v[76:77], off
	;; [unrolled: 1-line block ×4, first 2 shown]
	s_clause 0x6
	scratch_load_b128 v[126:129], off, off offset:344
	scratch_load_b128 v[4:7], off, off offset:360
	;; [unrolled: 1-line block ×6, first 2 shown]
	scratch_load_b64 v[114:115], off, off offset:440
	s_wait_loadcnt 0xf
	s_clause 0x3
	global_store_b64 v[0:1], v[78:79], off
	global_store_b64 v[2:3], v[80:81], off
	;; [unrolled: 1-line block ×4, first 2 shown]
	s_wait_loadcnt 0xe
	s_clause 0x3
	global_store_b64 v[12:13], v[82:83], off
	global_store_b64 v[14:15], v[84:85], off
	;; [unrolled: 1-line block ×4, first 2 shown]
	s_wait_loadcnt 0xd
	s_clause 0x1
	global_store_b64 v[20:21], v[86:87], off
	global_store_b64 v[22:23], v[88:89], off
	s_wait_loadcnt 0xc
	s_clause 0x1
	global_store_b64 v[24:25], v[138:139], off
	global_store_b64 v[26:27], v[140:141], off
	;; [unrolled: 4-line block ×13, first 2 shown]
	s_wait_loadcnt 0x0
	global_store_b64 v[72:73], v[114:115], off
	s_sendmsg sendmsg(MSG_DEALLOC_VGPRS)
	s_endpgm
	.section	.rodata,"a",@progbits
	.p2align	6, 0x0
	.amdhsa_kernel _ZN9rocsolver6v33100L18getri_kernel_smallILi56EdPdEEvT1_iilPiilS4_bb
		.amdhsa_group_segment_fixed_size 904
		.amdhsa_private_segment_fixed_size 464
		.amdhsa_kernarg_size 60
		.amdhsa_user_sgpr_count 2
		.amdhsa_user_sgpr_dispatch_ptr 0
		.amdhsa_user_sgpr_queue_ptr 0
		.amdhsa_user_sgpr_kernarg_segment_ptr 1
		.amdhsa_user_sgpr_dispatch_id 0
		.amdhsa_user_sgpr_kernarg_preload_length 0
		.amdhsa_user_sgpr_kernarg_preload_offset 0
		.amdhsa_user_sgpr_private_segment_size 0
		.amdhsa_wavefront_size32 1
		.amdhsa_uses_dynamic_stack 0
		.amdhsa_enable_private_segment 1
		.amdhsa_system_sgpr_workgroup_id_x 1
		.amdhsa_system_sgpr_workgroup_id_y 0
		.amdhsa_system_sgpr_workgroup_id_z 0
		.amdhsa_system_sgpr_workgroup_info 0
		.amdhsa_system_vgpr_workitem_id 0
		.amdhsa_next_free_vgpr 164
		.amdhsa_next_free_sgpr 19
		.amdhsa_named_barrier_count 0
		.amdhsa_reserve_vcc 1
		.amdhsa_float_round_mode_32 0
		.amdhsa_float_round_mode_16_64 0
		.amdhsa_float_denorm_mode_32 3
		.amdhsa_float_denorm_mode_16_64 3
		.amdhsa_fp16_overflow 0
		.amdhsa_memory_ordered 1
		.amdhsa_forward_progress 1
		.amdhsa_inst_pref_size 255
		.amdhsa_round_robin_scheduling 0
		.amdhsa_exception_fp_ieee_invalid_op 0
		.amdhsa_exception_fp_denorm_src 0
		.amdhsa_exception_fp_ieee_div_zero 0
		.amdhsa_exception_fp_ieee_overflow 0
		.amdhsa_exception_fp_ieee_underflow 0
		.amdhsa_exception_fp_ieee_inexact 0
		.amdhsa_exception_int_div_zero 0
	.end_amdhsa_kernel
	.section	.text._ZN9rocsolver6v33100L18getri_kernel_smallILi56EdPdEEvT1_iilPiilS4_bb,"axG",@progbits,_ZN9rocsolver6v33100L18getri_kernel_smallILi56EdPdEEvT1_iilPiilS4_bb,comdat
.Lfunc_end55:
	.size	_ZN9rocsolver6v33100L18getri_kernel_smallILi56EdPdEEvT1_iilPiilS4_bb, .Lfunc_end55-_ZN9rocsolver6v33100L18getri_kernel_smallILi56EdPdEEvT1_iilPiilS4_bb
                                        ; -- End function
	.set _ZN9rocsolver6v33100L18getri_kernel_smallILi56EdPdEEvT1_iilPiilS4_bb.num_vgpr, 164
	.set _ZN9rocsolver6v33100L18getri_kernel_smallILi56EdPdEEvT1_iilPiilS4_bb.num_agpr, 0
	.set _ZN9rocsolver6v33100L18getri_kernel_smallILi56EdPdEEvT1_iilPiilS4_bb.numbered_sgpr, 19
	.set _ZN9rocsolver6v33100L18getri_kernel_smallILi56EdPdEEvT1_iilPiilS4_bb.num_named_barrier, 0
	.set _ZN9rocsolver6v33100L18getri_kernel_smallILi56EdPdEEvT1_iilPiilS4_bb.private_seg_size, 464
	.set _ZN9rocsolver6v33100L18getri_kernel_smallILi56EdPdEEvT1_iilPiilS4_bb.uses_vcc, 1
	.set _ZN9rocsolver6v33100L18getri_kernel_smallILi56EdPdEEvT1_iilPiilS4_bb.uses_flat_scratch, 1
	.set _ZN9rocsolver6v33100L18getri_kernel_smallILi56EdPdEEvT1_iilPiilS4_bb.has_dyn_sized_stack, 0
	.set _ZN9rocsolver6v33100L18getri_kernel_smallILi56EdPdEEvT1_iilPiilS4_bb.has_recursion, 0
	.set _ZN9rocsolver6v33100L18getri_kernel_smallILi56EdPdEEvT1_iilPiilS4_bb.has_indirect_call, 0
	.section	.AMDGPU.csdata,"",@progbits
; Kernel info:
; codeLenInByte = 56460
; TotalNumSgprs: 21
; NumVgprs: 164
; ScratchSize: 464
; MemoryBound: 0
; FloatMode: 240
; IeeeMode: 1
; LDSByteSize: 904 bytes/workgroup (compile time only)
; SGPRBlocks: 0
; VGPRBlocks: 10
; NumSGPRsForWavesPerEU: 21
; NumVGPRsForWavesPerEU: 164
; NamedBarCnt: 0
; Occupancy: 5
; WaveLimiterHint : 1
; COMPUTE_PGM_RSRC2:SCRATCH_EN: 1
; COMPUTE_PGM_RSRC2:USER_SGPR: 2
; COMPUTE_PGM_RSRC2:TRAP_HANDLER: 0
; COMPUTE_PGM_RSRC2:TGID_X_EN: 1
; COMPUTE_PGM_RSRC2:TGID_Y_EN: 0
; COMPUTE_PGM_RSRC2:TGID_Z_EN: 0
; COMPUTE_PGM_RSRC2:TIDIG_COMP_CNT: 0
	.section	.text._ZN9rocsolver6v33100L18getri_kernel_smallILi57EdPdEEvT1_iilPiilS4_bb,"axG",@progbits,_ZN9rocsolver6v33100L18getri_kernel_smallILi57EdPdEEvT1_iilPiilS4_bb,comdat
	.globl	_ZN9rocsolver6v33100L18getri_kernel_smallILi57EdPdEEvT1_iilPiilS4_bb ; -- Begin function _ZN9rocsolver6v33100L18getri_kernel_smallILi57EdPdEEvT1_iilPiilS4_bb
	.p2align	8
	.type	_ZN9rocsolver6v33100L18getri_kernel_smallILi57EdPdEEvT1_iilPiilS4_bb,@function
_ZN9rocsolver6v33100L18getri_kernel_smallILi57EdPdEEvT1_iilPiilS4_bb: ; @_ZN9rocsolver6v33100L18getri_kernel_smallILi57EdPdEEvT1_iilPiilS4_bb
; %bb.0:
	s_mov_b32 s2, exec_lo
	v_cmpx_gt_u32_e32 57, v0
	s_cbranch_execz .LBB56_238
; %bb.1:
	s_clause 0x2
	s_load_b32 s2, s[0:1], 0x38
	s_load_b128 s[12:15], s[0:1], 0x10
	s_load_b128 s[4:7], s[0:1], 0x28
	s_getreg_b32 s9, hwreg(HW_REG_IB_STS2, 6, 4)
	s_wait_kmcnt 0x0
	s_bitcmp1_b32 s2, 8
	s_cselect_b32 s18, -1, 0
	s_bfe_u32 s3, ttmp6, 0x4000c
	s_and_b32 s8, ttmp6, 15
	s_add_co_i32 s3, s3, 1
	s_delay_alu instid0(SALU_CYCLE_1) | instskip(NEXT) | instid1(SALU_CYCLE_1)
	s_mul_i32 s3, ttmp9, s3
	s_add_co_i32 s8, s8, s3
	s_cmp_eq_u32 s9, 0
	s_cselect_b32 s16, ttmp9, s8
	s_bfe_u32 s2, s2, 0x10008
	s_ashr_i32 s17, s16, 31
	s_cmp_eq_u32 s2, 0
                                        ; implicit-def: $sgpr2_sgpr3
	s_cbranch_scc1 .LBB56_3
; %bb.2:
	s_load_b32 s2, s[0:1], 0x20
	s_mul_u64 s[4:5], s[4:5], s[16:17]
	s_delay_alu instid0(SALU_CYCLE_1) | instskip(NEXT) | instid1(SALU_CYCLE_1)
	s_lshl_b64 s[4:5], s[4:5], 2
	s_add_nc_u64 s[4:5], s[14:15], s[4:5]
	s_wait_kmcnt 0x0
	s_ashr_i32 s3, s2, 31
	s_delay_alu instid0(SALU_CYCLE_1) | instskip(NEXT) | instid1(SALU_CYCLE_1)
	s_lshl_b64 s[2:3], s[2:3], 2
	s_add_nc_u64 s[2:3], s[4:5], s[2:3]
.LBB56_3:
	s_clause 0x1
	s_load_b128 s[8:11], s[0:1], 0x0
	s_load_b32 s14, s[0:1], 0x38
	s_wait_xcnt 0x0
	s_mul_u64 s[0:1], s[12:13], s[16:17]
	v_dual_mov_b32 v3, 0 :: v_dual_lshlrev_b32 v2, 3, v0
	s_lshl_b64 s[0:1], s[0:1], 3
	s_wait_kmcnt 0x0
	v_add3_u32 v8, s11, s11, v0
	s_ashr_i32 s5, s10, 31
	s_mov_b32 s4, s10
	s_add_nc_u64 s[0:1], s[8:9], s[0:1]
	s_lshl_b64 s[4:5], s[4:5], 3
	v_add_nc_u32_e32 v10, s11, v8
	s_add_nc_u64 s[4:5], s[0:1], s[4:5]
	s_ashr_i32 s1, s11, 31
	v_add_nc_u64_e32 v[6:7], s[4:5], v[2:3]
	s_mov_b32 s0, s11
	v_add_nc_u32_e32 v12, s11, v10
	s_bitcmp0_b32 s14, 0
	s_delay_alu instid0(VALU_DEP_2) | instskip(NEXT) | instid1(VALU_DEP_2)
	v_lshl_add_u64 v[4:5], s[0:1], 3, v[6:7]
	v_add_nc_u32_e32 v14, s11, v12
	s_clause 0x1
	global_load_b64 v[80:81], v0, s[4:5] scale_offset
	global_load_b64 v[82:83], v[4:5], off
	s_mov_b32 s1, -1
	v_add_nc_u32_e32 v16, s11, v14
	s_clause 0x1
	global_load_b64 v[84:85], v8, s[4:5] scale_offset
	global_load_b64 v[86:87], v10, s[4:5] scale_offset
	v_add_nc_u32_e32 v18, s11, v16
	s_delay_alu instid0(VALU_DEP_1)
	v_add_nc_u32_e32 v20, s11, v18
	s_clause 0x3
	global_load_b64 v[88:89], v12, s[4:5] scale_offset
	global_load_b64 v[90:91], v14, s[4:5] scale_offset
	;; [unrolled: 1-line block ×4, first 2 shown]
	v_add_nc_u32_e32 v22, s11, v20
	s_delay_alu instid0(VALU_DEP_1) | instskip(NEXT) | instid1(VALU_DEP_1)
	v_add_nc_u32_e32 v24, s11, v22
	v_add_nc_u32_e32 v26, s11, v24
	s_delay_alu instid0(VALU_DEP_1) | instskip(SKIP_4) | instid1(VALU_DEP_1)
	v_add_nc_u32_e32 v28, s11, v26
	s_clause 0x1
	global_load_b64 v[96:97], v20, s[4:5] scale_offset
	global_load_b64 v[98:99], v22, s[4:5] scale_offset
	v_add_nc_u32_e32 v30, s11, v28
	v_add_nc_u32_e32 v32, s11, v30
	s_clause 0x3
	global_load_b64 v[100:101], v24, s[4:5] scale_offset
	global_load_b64 v[102:103], v26, s[4:5] scale_offset
	;; [unrolled: 1-line block ×4, first 2 shown]
	v_add_nc_u32_e32 v34, s11, v32
	s_delay_alu instid0(VALU_DEP_1) | instskip(NEXT) | instid1(VALU_DEP_1)
	v_add_nc_u32_e32 v36, s11, v34
	v_add_nc_u32_e32 v38, s11, v36
	s_delay_alu instid0(VALU_DEP_1) | instskip(NEXT) | instid1(VALU_DEP_1)
	v_add_nc_u32_e32 v40, s11, v38
	v_add_nc_u32_e32 v42, s11, v40
	s_delay_alu instid0(VALU_DEP_1)
	v_add_nc_u32_e32 v44, s11, v42
	s_clause 0x3
	global_load_b64 v[108:109], v32, s[4:5] scale_offset
	global_load_b64 v[110:111], v34, s[4:5] scale_offset
	;; [unrolled: 1-line block ×4, first 2 shown]
	v_add_nc_u32_e32 v46, s11, v44
	s_delay_alu instid0(VALU_DEP_1) | instskip(NEXT) | instid1(VALU_DEP_1)
	v_add_nc_u32_e32 v48, s11, v46
	v_add_nc_u32_e32 v50, s11, v48
	s_delay_alu instid0(VALU_DEP_1)
	v_add_nc_u32_e32 v52, s11, v50
	s_clause 0x3
	global_load_b64 v[116:117], v40, s[4:5] scale_offset
	global_load_b64 v[118:119], v42, s[4:5] scale_offset
	global_load_b64 v[120:121], v44, s[4:5] scale_offset
	global_load_b64 v[122:123], v46, s[4:5] scale_offset
	v_add_nc_u32_e32 v54, s11, v52
	s_delay_alu instid0(VALU_DEP_1)
	v_add_nc_u32_e32 v56, s11, v54
	s_clause 0x3
	global_load_b64 v[124:125], v48, s[4:5] scale_offset
	global_load_b64 v[126:127], v50, s[4:5] scale_offset
	;; [unrolled: 1-line block ×4, first 2 shown]
	v_add_nc_u32_e32 v58, s11, v56
	s_delay_alu instid0(VALU_DEP_1) | instskip(NEXT) | instid1(VALU_DEP_1)
	v_add_nc_u32_e32 v60, s11, v58
	v_add_nc_u32_e32 v62, s11, v60
	s_delay_alu instid0(VALU_DEP_1) | instskip(NEXT) | instid1(VALU_DEP_1)
	v_add_nc_u32_e32 v64, s11, v62
	v_add_nc_u32_e32 v66, s11, v64
	s_delay_alu instid0(VALU_DEP_1)
	v_add_nc_u32_e32 v68, s11, v66
	s_clause 0x3
	global_load_b64 v[132:133], v56, s[4:5] scale_offset
	global_load_b64 v[134:135], v58, s[4:5] scale_offset
	;; [unrolled: 1-line block ×4, first 2 shown]
	v_add_nc_u32_e32 v70, s11, v68
	s_delay_alu instid0(VALU_DEP_1) | instskip(NEXT) | instid1(VALU_DEP_1)
	v_add_nc_u32_e32 v72, s11, v70
	v_add_nc_u32_e32 v74, s11, v72
	s_delay_alu instid0(VALU_DEP_1)
	v_add_nc_u32_e32 v76, s11, v74
	s_clause 0x3
	global_load_b64 v[140:141], v64, s[4:5] scale_offset
	global_load_b64 v[142:143], v66, s[4:5] scale_offset
	;; [unrolled: 1-line block ×4, first 2 shown]
	v_add_nc_u32_e32 v78, s11, v76
	s_clause 0x3
	global_load_b64 v[148:149], v72, s[4:5] scale_offset
	global_load_b64 v[150:151], v74, s[4:5] scale_offset
	;; [unrolled: 1-line block ×4, first 2 shown]
	s_wait_loadcnt 0x24
	scratch_store_b128 off, v[80:83], off
	s_wait_xcnt 0x0
	v_add_nc_u32_e32 v80, s11, v78
	s_wait_loadcnt 0x22
	scratch_store_b128 off, v[84:87], off offset:16
	v_add_nc_u32_e32 v82, s11, v80
	s_wait_xcnt 0x0
	s_delay_alu instid0(VALU_DEP_1)
	v_add_nc_u32_e32 v84, s11, v82
	s_wait_loadcnt 0x20
	scratch_store_b128 off, v[88:91], off offset:32
	s_wait_loadcnt 0x1e
	scratch_store_b128 off, v[92:95], off offset:48
	v_add_nc_u32_e32 v86, s11, v84
	s_wait_xcnt 0x1
	s_delay_alu instid0(VALU_DEP_1) | instskip(NEXT) | instid1(VALU_DEP_1)
	v_add_nc_u32_e32 v88, s11, v86
	v_add_nc_u32_e32 v90, s11, v88
	s_wait_xcnt 0x0
	s_delay_alu instid0(VALU_DEP_1) | instskip(SKIP_4) | instid1(VALU_DEP_1)
	v_add_nc_u32_e32 v92, s11, v90
	s_wait_loadcnt 0x1c
	scratch_store_b128 off, v[96:99], off offset:64
	v_add_nc_u32_e32 v94, s11, v92
	s_wait_xcnt 0x0
	v_add_nc_u32_e32 v96, s11, v94
	s_wait_loadcnt 0x1a
	scratch_store_b128 off, v[100:103], off offset:80
	s_wait_loadcnt 0x18
	scratch_store_b128 off, v[104:107], off offset:96
	v_add_nc_u32_e32 v98, s11, v96
	s_wait_xcnt 0x1
	s_delay_alu instid0(VALU_DEP_1) | instskip(NEXT) | instid1(VALU_DEP_1)
	v_add_nc_u32_e32 v100, s11, v98
	v_add_nc_u32_e32 v102, s11, v100
	s_wait_xcnt 0x0
	s_delay_alu instid0(VALU_DEP_1) | instskip(NEXT) | instid1(VALU_DEP_1)
	v_add_nc_u32_e32 v104, s11, v102
	v_add_nc_u32_e32 v106, s11, v104
	s_wait_loadcnt 0x16
	scratch_store_b128 off, v[108:111], off offset:112
	s_wait_xcnt 0x0
	v_add_nc_u32_e32 v108, s11, v106
	s_wait_loadcnt 0x14
	scratch_store_b128 off, v[112:115], off offset:128
	s_wait_loadcnt 0x12
	scratch_store_b128 off, v[116:119], off offset:144
	v_add_nc_u32_e32 v110, s11, v108
	s_clause 0x3
	global_load_b64 v[156:157], v80, s[4:5] scale_offset
	global_load_b64 v[158:159], v82, s[4:5] scale_offset
	;; [unrolled: 1-line block ×4, first 2 shown]
	s_wait_loadcnt 0x14
	scratch_store_b128 off, v[120:123], off offset:160
	s_wait_loadcnt 0x12
	scratch_store_b128 off, v[124:127], off offset:176
	s_wait_xcnt 0x7
	v_add_nc_u32_e32 v112, s11, v110
	s_clause 0x3
	global_load_b64 v[118:119], v88, s[4:5] scale_offset
	global_load_b64 v[120:121], v90, s[4:5] scale_offset
	global_load_b64 v[122:123], v92, s[4:5] scale_offset
	global_load_b64 v[124:125], v94, s[4:5] scale_offset
	s_wait_loadcnt 0x14
	scratch_store_b128 off, v[128:131], off offset:192
	s_wait_loadcnt 0x12
	scratch_store_b128 off, v[132:135], off offset:208
	;; [unrolled: 2-line block ×3, first 2 shown]
	v_add_nc_u32_e32 v114, s11, v112
	s_clause 0x3
	global_load_b64 v[126:127], v96, s[4:5] scale_offset
	global_load_b64 v[128:129], v98, s[4:5] scale_offset
	;; [unrolled: 1-line block ×4, first 2 shown]
	s_wait_loadcnt 0x12
	scratch_store_b128 off, v[140:143], off offset:240
	s_wait_loadcnt 0x10
	scratch_store_b128 off, v[144:147], off offset:256
	v_add_nc_u32_e32 v116, s11, v114
	s_clause 0x3
	global_load_b64 v[134:135], v104, s[4:5] scale_offset
	global_load_b64 v[136:137], v106, s[4:5] scale_offset
	;; [unrolled: 1-line block ×4, first 2 shown]
	s_wait_loadcnt 0x12
	scratch_store_b128 off, v[148:151], off offset:272
	s_wait_loadcnt 0x10
	scratch_store_b128 off, v[152:155], off offset:288
	s_clause 0x2
	global_load_b64 v[142:143], v112, s[4:5] scale_offset
	global_load_b64 v[144:145], v114, s[4:5] scale_offset
	;; [unrolled: 1-line block ×3, first 2 shown]
	s_wait_loadcnt 0x11
	scratch_store_b128 off, v[156:159], off offset:304
	s_wait_loadcnt 0xf
	scratch_store_b128 off, v[160:163], off offset:320
	;; [unrolled: 2-line block ×9, first 2 shown]
	s_wait_loadcnt 0x0
	scratch_store_b64 off, v[146:147], off offset:448
	s_cbranch_scc1 .LBB56_236
; %bb.4:
	v_cmp_eq_u32_e64 s0, 0, v0
	s_wait_xcnt 0x0
	s_and_saveexec_b32 s1, s0
; %bb.5:
	v_mov_b32_e32 v1, 0
	ds_store_b32 v1, v1 offset:456
; %bb.6:
	s_or_b32 exec_lo, exec_lo, s1
	s_wait_storecnt_dscnt 0x0
	s_barrier_signal -1
	s_barrier_wait -1
	scratch_load_b64 v[118:119], v0, off scale_offset
	s_mov_b32 s8, exec_lo
	s_wait_loadcnt 0x0
	v_cmpx_eq_f64_e32 0, v[118:119]
	s_cbranch_execz .LBB56_10
; %bb.7:
	v_mov_b32_e32 v1, 0
	s_mov_b32 s9, 0
	ds_load_b32 v3, v1 offset:456
	s_wait_dscnt 0x0
	v_readfirstlane_b32 s1, v3
	v_add_nc_u32_e32 v3, 1, v0
	s_cmp_eq_u32 s1, 0
	s_delay_alu instid0(VALU_DEP_1) | instskip(SKIP_1) | instid1(SALU_CYCLE_1)
	v_cmp_gt_i32_e32 vcc_lo, s1, v3
	s_cselect_b32 s10, -1, 0
	s_or_b32 s10, s10, vcc_lo
	s_delay_alu instid0(SALU_CYCLE_1)
	s_and_b32 exec_lo, exec_lo, s10
	s_cbranch_execz .LBB56_10
; %bb.8:
	v_mov_b32_e32 v9, s1
.LBB56_9:                               ; =>This Inner Loop Header: Depth=1
	ds_cmpstore_rtn_b32 v9, v1, v3, v9 offset:456
	s_wait_dscnt 0x0
	v_cmp_ne_u32_e32 vcc_lo, 0, v9
	v_cmp_le_i32_e64 s1, v9, v3
	s_and_b32 s1, vcc_lo, s1
	s_delay_alu instid0(SALU_CYCLE_1) | instskip(NEXT) | instid1(SALU_CYCLE_1)
	s_and_b32 s1, exec_lo, s1
	s_or_b32 s9, s1, s9
	s_delay_alu instid0(SALU_CYCLE_1)
	s_and_not1_b32 exec_lo, exec_lo, s9
	s_cbranch_execnz .LBB56_9
.LBB56_10:
	s_or_b32 exec_lo, exec_lo, s8
	v_mov_b32_e32 v1, 0
	s_barrier_signal -1
	s_barrier_wait -1
	ds_load_b32 v3, v1 offset:456
	s_and_saveexec_b32 s1, s0
	s_cbranch_execz .LBB56_12
; %bb.11:
	s_lshl_b64 s[8:9], s[16:17], 2
	s_delay_alu instid0(SALU_CYCLE_1)
	s_add_nc_u64 s[8:9], s[6:7], s[8:9]
	s_wait_dscnt 0x0
	global_store_b32 v1, v3, s[8:9]
.LBB56_12:
	s_wait_xcnt 0x0
	s_or_b32 exec_lo, exec_lo, s1
	s_wait_dscnt 0x0
	v_cmp_ne_u32_e32 vcc_lo, 0, v3
	s_mov_b32 s1, 0
	s_cbranch_vccnz .LBB56_236
; %bb.13:
	v_lshl_add_u32 v3, v0, 3, 0
	v_add_nc_u32_e32 v1, 0x1d0, v2
	scratch_load_b64 v[118:119], v3, off
	s_wait_loadcnt 0x0
	v_div_scale_f64 v[120:121], null, v[118:119], v[118:119], 1.0
	v_div_scale_f64 v[126:127], vcc_lo, 1.0, v[118:119], 1.0
	s_delay_alu instid0(VALU_DEP_2) | instskip(SKIP_1) | instid1(TRANS32_DEP_1)
	v_rcp_f64_e32 v[122:123], v[120:121]
	v_nop
	v_fma_f64 v[124:125], -v[120:121], v[122:123], 1.0
	s_delay_alu instid0(VALU_DEP_1) | instskip(NEXT) | instid1(VALU_DEP_1)
	v_fmac_f64_e32 v[122:123], v[122:123], v[124:125]
	v_fma_f64 v[124:125], -v[120:121], v[122:123], 1.0
	s_delay_alu instid0(VALU_DEP_1) | instskip(NEXT) | instid1(VALU_DEP_1)
	v_fmac_f64_e32 v[122:123], v[122:123], v[124:125]
	v_mul_f64_e32 v[124:125], v[126:127], v[122:123]
	s_delay_alu instid0(VALU_DEP_1) | instskip(NEXT) | instid1(VALU_DEP_1)
	v_fma_f64 v[120:121], -v[120:121], v[124:125], v[126:127]
	v_div_fmas_f64 v[120:121], v[120:121], v[122:123], v[124:125]
	s_delay_alu instid0(VALU_DEP_1)
	v_div_fixup_f64 v[118:119], v[120:121], v[118:119], 1.0
	scratch_store_b64 v3, v[118:119], off
	scratch_load_b64 v[120:121], off, off offset:8
	s_wait_xcnt 0x1
	v_xor_b32_e32 v119, 0x80000000, v119
	s_wait_loadcnt 0x0
	ds_store_2addr_b64 v2, v[118:119], v[120:121] offset1:58
	s_wait_storecnt_dscnt 0x0
	s_barrier_signal -1
	s_barrier_wait -1
	s_wait_xcnt 0x0
	s_and_saveexec_b32 s1, s0
	s_cbranch_execz .LBB56_15
; %bb.14:
	scratch_load_b64 v[118:119], v3, off
	ds_load_b64 v[120:121], v1
	s_wait_loadcnt_dscnt 0x0
	v_fma_f64 v[118:119], v[118:119], v[120:121], 0
	v_mov_b32_e32 v9, 0
	ds_load_b64 v[122:123], v9 offset:8
	s_wait_dscnt 0x0
	v_mul_f64_e32 v[118:119], v[118:119], v[122:123]
	scratch_store_b64 off, v[118:119], off offset:8
.LBB56_15:
	s_wait_xcnt 0x0
	s_or_b32 exec_lo, exec_lo, s1
	s_wait_storecnt 0x0
	s_barrier_signal -1
	s_barrier_wait -1
	scratch_load_b64 v[118:119], off, off offset:16
	s_mov_b32 s1, exec_lo
	s_wait_loadcnt 0x0
	ds_store_b64 v1, v[118:119]
	s_wait_dscnt 0x0
	s_barrier_signal -1
	s_barrier_wait -1
	v_cmpx_gt_u32_e32 2, v0
	s_cbranch_execz .LBB56_19
; %bb.16:
	scratch_load_b64 v[118:119], v3, off
	ds_load_b64 v[120:121], v1
	s_wait_loadcnt_dscnt 0x0
	v_fma_f64 v[118:119], v[118:119], v[120:121], 0
	s_and_saveexec_b32 s8, s0
	s_cbranch_execz .LBB56_18
; %bb.17:
	scratch_load_b64 v[120:121], off, off offset:8
	v_mov_b32_e32 v3, 0
	ds_load_b64 v[122:123], v3 offset:472
	s_wait_loadcnt_dscnt 0x0
	v_fmac_f64_e32 v[118:119], v[120:121], v[122:123]
.LBB56_18:
	s_or_b32 exec_lo, exec_lo, s8
	v_mov_b32_e32 v3, 0
	ds_load_b64 v[120:121], v3 offset:16
	s_wait_dscnt 0x0
	v_mul_f64_e32 v[118:119], v[118:119], v[120:121]
	scratch_store_b64 off, v[118:119], off offset:16
.LBB56_19:
	s_wait_xcnt 0x0
	s_or_b32 exec_lo, exec_lo, s1
	s_wait_storecnt 0x0
	s_barrier_signal -1
	s_barrier_wait -1
	scratch_load_b64 v[118:119], off, off offset:24
	v_add_nc_u32_e32 v3, -1, v0
	s_mov_b32 s0, exec_lo
	s_wait_loadcnt 0x0
	ds_store_b64 v1, v[118:119]
	s_wait_dscnt 0x0
	s_barrier_signal -1
	s_barrier_wait -1
	v_cmpx_gt_u32_e32 3, v0
	s_cbranch_execz .LBB56_23
; %bb.20:
	v_mov_b64_e32 v[118:119], 0
	v_dual_add_nc_u32 v9, -1, v0 :: v_dual_mov_b32 v13, v2
	v_add_nc_u32_e32 v11, 0x1d0, v2
	s_mov_b32 s1, 0
.LBB56_21:                              ; =>This Inner Loop Header: Depth=1
	scratch_load_b64 v[120:121], v13, off
	ds_load_b64 v[122:123], v11
	v_dual_add_nc_u32 v9, 1, v9 :: v_dual_add_nc_u32 v11, 8, v11
	s_wait_xcnt 0x0
	v_add_nc_u32_e32 v13, 8, v13
	s_delay_alu instid0(VALU_DEP_2)
	v_cmp_lt_u32_e32 vcc_lo, 1, v9
	s_or_b32 s1, vcc_lo, s1
	s_wait_loadcnt_dscnt 0x0
	v_fmac_f64_e32 v[118:119], v[120:121], v[122:123]
	s_and_not1_b32 exec_lo, exec_lo, s1
	s_cbranch_execnz .LBB56_21
; %bb.22:
	s_or_b32 exec_lo, exec_lo, s1
	v_mov_b32_e32 v9, 0
	ds_load_b64 v[120:121], v9 offset:24
	s_wait_dscnt 0x0
	v_mul_f64_e32 v[118:119], v[118:119], v[120:121]
	scratch_store_b64 off, v[118:119], off offset:24
.LBB56_23:
	s_wait_xcnt 0x0
	s_or_b32 exec_lo, exec_lo, s0
	s_wait_storecnt 0x0
	s_barrier_signal -1
	s_barrier_wait -1
	scratch_load_b64 v[118:119], off, off offset:32
	s_mov_b32 s0, exec_lo
	s_wait_loadcnt 0x0
	ds_store_b64 v1, v[118:119]
	s_wait_dscnt 0x0
	s_barrier_signal -1
	s_barrier_wait -1
	v_cmpx_gt_u32_e32 4, v0
	s_cbranch_execz .LBB56_27
; %bb.24:
	v_mov_b64_e32 v[118:119], 0
	v_dual_add_nc_u32 v9, -1, v0 :: v_dual_mov_b32 v13, v2
	v_add_nc_u32_e32 v11, 0x1d0, v2
	s_mov_b32 s1, 0
.LBB56_25:                              ; =>This Inner Loop Header: Depth=1
	scratch_load_b64 v[120:121], v13, off
	ds_load_b64 v[122:123], v11
	v_dual_add_nc_u32 v9, 1, v9 :: v_dual_add_nc_u32 v11, 8, v11
	s_wait_xcnt 0x0
	v_add_nc_u32_e32 v13, 8, v13
	s_delay_alu instid0(VALU_DEP_2)
	v_cmp_lt_u32_e32 vcc_lo, 2, v9
	s_or_b32 s1, vcc_lo, s1
	s_wait_loadcnt_dscnt 0x0
	v_fmac_f64_e32 v[118:119], v[120:121], v[122:123]
	s_and_not1_b32 exec_lo, exec_lo, s1
	s_cbranch_execnz .LBB56_25
; %bb.26:
	s_or_b32 exec_lo, exec_lo, s1
	v_mov_b32_e32 v9, 0
	ds_load_b64 v[120:121], v9 offset:32
	s_wait_dscnt 0x0
	v_mul_f64_e32 v[118:119], v[118:119], v[120:121]
	scratch_store_b64 off, v[118:119], off offset:32
.LBB56_27:
	s_wait_xcnt 0x0
	s_or_b32 exec_lo, exec_lo, s0
	s_wait_storecnt 0x0
	s_barrier_signal -1
	s_barrier_wait -1
	scratch_load_b64 v[118:119], off, off offset:40
	;; [unrolled: 40-line block ×20, first 2 shown]
	s_mov_b32 s0, exec_lo
	s_wait_loadcnt 0x0
	ds_store_b64 v1, v[118:119]
	s_wait_dscnt 0x0
	s_barrier_signal -1
	s_barrier_wait -1
	v_cmpx_gt_u32_e32 23, v0
	s_cbranch_execz .LBB56_103
; %bb.100:
	v_mov_b64_e32 v[118:119], 0
	v_dual_add_nc_u32 v9, -1, v0 :: v_dual_mov_b32 v13, v2
	v_add_nc_u32_e32 v11, 0x1d0, v2
	s_mov_b32 s1, 0
.LBB56_101:                             ; =>This Inner Loop Header: Depth=1
	scratch_load_b64 v[120:121], v13, off
	ds_load_b64 v[122:123], v11
	v_dual_add_nc_u32 v9, 1, v9 :: v_dual_add_nc_u32 v11, 8, v11
	s_wait_xcnt 0x0
	v_add_nc_u32_e32 v13, 8, v13
	s_delay_alu instid0(VALU_DEP_2)
	v_cmp_lt_u32_e32 vcc_lo, 21, v9
	s_or_b32 s1, vcc_lo, s1
	s_wait_loadcnt_dscnt 0x0
	v_fmac_f64_e32 v[118:119], v[120:121], v[122:123]
	s_and_not1_b32 exec_lo, exec_lo, s1
	s_cbranch_execnz .LBB56_101
; %bb.102:
	s_or_b32 exec_lo, exec_lo, s1
	v_mov_b32_e32 v9, 0
	ds_load_b64 v[120:121], v9 offset:184
	s_wait_dscnt 0x0
	v_mul_f64_e32 v[118:119], v[118:119], v[120:121]
	scratch_store_b64 off, v[118:119], off offset:184
.LBB56_103:
	s_wait_xcnt 0x0
	s_or_b32 exec_lo, exec_lo, s0
	s_wait_storecnt 0x0
	s_barrier_signal -1
	s_barrier_wait -1
	scratch_load_b64 v[118:119], off, off offset:192
	s_mov_b32 s0, exec_lo
	s_wait_loadcnt 0x0
	ds_store_b64 v1, v[118:119]
	s_wait_dscnt 0x0
	s_barrier_signal -1
	s_barrier_wait -1
	v_cmpx_gt_u32_e32 24, v0
	s_cbranch_execz .LBB56_107
; %bb.104:
	v_mov_b64_e32 v[118:119], 0
	v_dual_add_nc_u32 v9, -1, v0 :: v_dual_mov_b32 v13, v2
	v_add_nc_u32_e32 v11, 0x1d0, v2
	s_mov_b32 s1, 0
.LBB56_105:                             ; =>This Inner Loop Header: Depth=1
	scratch_load_b64 v[120:121], v13, off
	ds_load_b64 v[122:123], v11
	v_dual_add_nc_u32 v9, 1, v9 :: v_dual_add_nc_u32 v11, 8, v11
	s_wait_xcnt 0x0
	v_add_nc_u32_e32 v13, 8, v13
	s_delay_alu instid0(VALU_DEP_2)
	v_cmp_lt_u32_e32 vcc_lo, 22, v9
	s_or_b32 s1, vcc_lo, s1
	s_wait_loadcnt_dscnt 0x0
	v_fmac_f64_e32 v[118:119], v[120:121], v[122:123]
	s_and_not1_b32 exec_lo, exec_lo, s1
	s_cbranch_execnz .LBB56_105
; %bb.106:
	s_or_b32 exec_lo, exec_lo, s1
	v_mov_b32_e32 v9, 0
	ds_load_b64 v[120:121], v9 offset:192
	s_wait_dscnt 0x0
	v_mul_f64_e32 v[118:119], v[118:119], v[120:121]
	scratch_store_b64 off, v[118:119], off offset:192
.LBB56_107:
	s_wait_xcnt 0x0
	s_or_b32 exec_lo, exec_lo, s0
	s_wait_storecnt 0x0
	s_barrier_signal -1
	s_barrier_wait -1
	scratch_load_b64 v[118:119], off, off offset:200
	;; [unrolled: 40-line block ×33, first 2 shown]
	s_mov_b32 s0, exec_lo
	s_wait_loadcnt 0x0
	ds_store_b64 v1, v[118:119]
	s_wait_dscnt 0x0
	s_barrier_signal -1
	s_barrier_wait -1
	v_cmpx_ne_u32_e32 56, v0
	s_cbranch_execz .LBB56_235
; %bb.232:
	v_mov_b64_e32 v[118:119], 0
	s_mov_b32 s1, 0
.LBB56_233:                             ; =>This Inner Loop Header: Depth=1
	scratch_load_b64 v[120:121], v2, off
	ds_load_b64 v[122:123], v1
	v_dual_add_nc_u32 v3, 1, v3 :: v_dual_add_nc_u32 v1, 8, v1
	s_wait_xcnt 0x0
	v_add_nc_u32_e32 v2, 8, v2
	s_delay_alu instid0(VALU_DEP_2)
	v_cmp_lt_u32_e32 vcc_lo, 54, v3
	s_or_b32 s1, vcc_lo, s1
	s_wait_loadcnt_dscnt 0x0
	v_fmac_f64_e32 v[118:119], v[120:121], v[122:123]
	s_and_not1_b32 exec_lo, exec_lo, s1
	s_cbranch_execnz .LBB56_233
; %bb.234:
	s_or_b32 exec_lo, exec_lo, s1
	v_mov_b32_e32 v1, 0
	ds_load_b64 v[2:3], v1 offset:448
	s_wait_dscnt 0x0
	v_mul_f64_e32 v[2:3], v[118:119], v[2:3]
	scratch_store_b64 off, v[2:3], off offset:448
.LBB56_235:
	s_wait_xcnt 0x0
	s_or_b32 exec_lo, exec_lo, s0
	s_mov_b32 s1, -1
	s_wait_storecnt 0x0
	s_barrier_signal -1
	s_barrier_wait -1
.LBB56_236:
	s_and_b32 vcc_lo, exec_lo, s1
	s_cbranch_vccz .LBB56_238
; %bb.237:
	v_mov_b32_e32 v1, 0
	s_lshl_b64 s[0:1], s[16:17], 2
	s_delay_alu instid0(SALU_CYCLE_1)
	s_add_nc_u64 s[0:1], s[6:7], s[0:1]
	global_load_b32 v1, v1, s[0:1]
	s_wait_loadcnt 0x0
	v_cmp_ne_u32_e32 vcc_lo, 0, v1
	s_cbranch_vccz .LBB56_239
.LBB56_238:
	s_sendmsg sendmsg(MSG_DEALLOC_VGPRS)
	s_endpgm
.LBB56_239:
	s_wait_xcnt 0x0
	v_lshl_add_u32 v1, v0, 3, 0x1d0
	s_mov_b32 s0, exec_lo
	v_cmpx_eq_u32_e32 56, v0
	s_cbranch_execz .LBB56_241
; %bb.240:
	scratch_load_b64 v[2:3], off, off offset:440
	v_mov_b64_e32 v[118:119], 0
	scratch_store_b64 off, v[118:119], off offset:440
	s_wait_loadcnt 0x0
	ds_store_b64 v1, v[2:3]
.LBB56_241:
	s_wait_xcnt 0x0
	s_or_b32 exec_lo, exec_lo, s0
	s_wait_storecnt_dscnt 0x0
	s_barrier_signal -1
	s_barrier_wait -1
	scratch_load_b128 v[118:121], off, off offset:440
	v_mov_b32_e32 v2, 0
	s_mov_b32 s0, exec_lo
	ds_load_b64 v[122:123], v2 offset:912
	s_wait_loadcnt_dscnt 0x0
	v_fma_f64 v[120:121], v[120:121], v[122:123], 0
	s_delay_alu instid0(VALU_DEP_1)
	v_add_f64_e64 v[118:119], v[118:119], -v[120:121]
	scratch_store_b64 off, v[118:119], off offset:440
	s_wait_xcnt 0x0
	v_cmpx_lt_u32_e32 54, v0
	s_cbranch_execz .LBB56_243
; %bb.242:
	scratch_load_b64 v[118:119], off, off offset:432
	v_mov_b64_e32 v[120:121], 0
	scratch_store_b64 off, v[120:121], off offset:432
	s_wait_loadcnt 0x0
	ds_store_b64 v1, v[118:119]
.LBB56_243:
	s_wait_xcnt 0x0
	s_or_b32 exec_lo, exec_lo, s0
	s_wait_storecnt_dscnt 0x0
	s_barrier_signal -1
	s_barrier_wait -1
	s_clause 0x1
	scratch_load_b128 v[118:121], off, off offset:432
	scratch_load_b64 v[126:127], off, off offset:448
	ds_load_2addr_b64 v[122:125], v2 offset0:113 offset1:114
	s_mov_b32 s0, exec_lo
	s_wait_loadcnt_dscnt 0x100
	v_fma_f64 v[2:3], v[120:121], v[122:123], 0
	s_wait_loadcnt 0x0
	s_delay_alu instid0(VALU_DEP_1) | instskip(NEXT) | instid1(VALU_DEP_1)
	v_fmac_f64_e32 v[2:3], v[126:127], v[124:125]
	v_add_f64_e64 v[2:3], v[118:119], -v[2:3]
	scratch_store_b64 off, v[2:3], off offset:432
	s_wait_xcnt 0x0
	v_cmpx_lt_u32_e32 53, v0
	s_cbranch_execz .LBB56_245
; %bb.244:
	scratch_load_b64 v[2:3], off, off offset:424
	v_mov_b64_e32 v[118:119], 0
	scratch_store_b64 off, v[118:119], off offset:424
	s_wait_loadcnt 0x0
	ds_store_b64 v1, v[2:3]
.LBB56_245:
	s_wait_xcnt 0x0
	s_or_b32 exec_lo, exec_lo, s0
	s_wait_storecnt_dscnt 0x0
	s_barrier_signal -1
	s_barrier_wait -1
	s_clause 0x1
	scratch_load_b128 v[118:121], off, off offset:424
	scratch_load_b128 v[122:125], off, off offset:440
	v_mov_b32_e32 v2, 0
	ds_load_b128 v[126:129], v2 offset:896
	ds_load_b64 v[130:131], v2 offset:912
	s_mov_b32 s0, exec_lo
	s_wait_loadcnt_dscnt 0x101
	v_fma_f64 v[120:121], v[120:121], v[126:127], 0
	s_wait_loadcnt 0x0
	s_delay_alu instid0(VALU_DEP_1) | instskip(SKIP_1) | instid1(VALU_DEP_1)
	v_fmac_f64_e32 v[120:121], v[122:123], v[128:129]
	s_wait_dscnt 0x0
	v_fmac_f64_e32 v[120:121], v[124:125], v[130:131]
	s_delay_alu instid0(VALU_DEP_1)
	v_add_f64_e64 v[118:119], v[118:119], -v[120:121]
	scratch_store_b64 off, v[118:119], off offset:424
	s_wait_xcnt 0x0
	v_cmpx_lt_u32_e32 52, v0
	s_cbranch_execz .LBB56_247
; %bb.246:
	scratch_load_b64 v[118:119], off, off offset:416
	v_mov_b64_e32 v[120:121], 0
	scratch_store_b64 off, v[120:121], off offset:416
	s_wait_loadcnt 0x0
	ds_store_b64 v1, v[118:119]
.LBB56_247:
	s_wait_xcnt 0x0
	s_or_b32 exec_lo, exec_lo, s0
	s_wait_storecnt_dscnt 0x0
	s_barrier_signal -1
	s_barrier_wait -1
	s_clause 0x2
	scratch_load_b128 v[118:121], off, off offset:416
	scratch_load_b128 v[122:125], off, off offset:432
	scratch_load_b64 v[134:135], off, off offset:448
	ds_load_2addr_b64 v[126:129], v2 offset0:111 offset1:112
	ds_load_2addr_b64 v[130:133], v2 offset0:113 offset1:114
	s_mov_b32 s0, exec_lo
	s_wait_loadcnt_dscnt 0x201
	v_fma_f64 v[2:3], v[120:121], v[126:127], 0
	s_wait_loadcnt 0x1
	s_delay_alu instid0(VALU_DEP_1) | instskip(SKIP_1) | instid1(VALU_DEP_1)
	v_fmac_f64_e32 v[2:3], v[122:123], v[128:129]
	s_wait_dscnt 0x0
	v_fmac_f64_e32 v[2:3], v[124:125], v[130:131]
	s_wait_loadcnt 0x0
	s_delay_alu instid0(VALU_DEP_1) | instskip(NEXT) | instid1(VALU_DEP_1)
	v_fmac_f64_e32 v[2:3], v[134:135], v[132:133]
	v_add_f64_e64 v[2:3], v[118:119], -v[2:3]
	scratch_store_b64 off, v[2:3], off offset:416
	s_wait_xcnt 0x0
	v_cmpx_lt_u32_e32 51, v0
	s_cbranch_execz .LBB56_249
; %bb.248:
	scratch_load_b64 v[2:3], off, off offset:408
	v_mov_b64_e32 v[118:119], 0
	scratch_store_b64 off, v[118:119], off offset:408
	s_wait_loadcnt 0x0
	ds_store_b64 v1, v[2:3]
.LBB56_249:
	s_wait_xcnt 0x0
	s_or_b32 exec_lo, exec_lo, s0
	s_wait_storecnt_dscnt 0x0
	s_barrier_signal -1
	s_barrier_wait -1
	s_clause 0x2
	scratch_load_b128 v[118:121], off, off offset:408
	scratch_load_b128 v[122:125], off, off offset:424
	;; [unrolled: 1-line block ×3, first 2 shown]
	v_mov_b32_e32 v2, 0
	ds_load_b128 v[130:133], v2 offset:880
	ds_load_b128 v[134:137], v2 offset:896
	s_mov_b32 s0, exec_lo
	s_wait_loadcnt_dscnt 0x201
	v_fma_f64 v[120:121], v[120:121], v[130:131], 0
	s_wait_loadcnt 0x1
	s_delay_alu instid0(VALU_DEP_1) | instskip(SKIP_4) | instid1(VALU_DEP_1)
	v_fmac_f64_e32 v[120:121], v[122:123], v[132:133]
	ds_load_b64 v[122:123], v2 offset:912
	s_wait_dscnt 0x1
	v_fmac_f64_e32 v[120:121], v[124:125], v[134:135]
	s_wait_loadcnt 0x0
	v_fmac_f64_e32 v[120:121], v[126:127], v[136:137]
	s_wait_dscnt 0x0
	s_delay_alu instid0(VALU_DEP_1) | instskip(NEXT) | instid1(VALU_DEP_1)
	v_fmac_f64_e32 v[120:121], v[128:129], v[122:123]
	v_add_f64_e64 v[118:119], v[118:119], -v[120:121]
	scratch_store_b64 off, v[118:119], off offset:408
	s_wait_xcnt 0x0
	v_cmpx_lt_u32_e32 50, v0
	s_cbranch_execz .LBB56_251
; %bb.250:
	scratch_load_b64 v[118:119], off, off offset:400
	v_mov_b64_e32 v[120:121], 0
	scratch_store_b64 off, v[120:121], off offset:400
	s_wait_loadcnt 0x0
	ds_store_b64 v1, v[118:119]
.LBB56_251:
	s_wait_xcnt 0x0
	s_or_b32 exec_lo, exec_lo, s0
	s_wait_storecnt_dscnt 0x0
	s_barrier_signal -1
	s_barrier_wait -1
	s_clause 0x3
	scratch_load_b128 v[118:121], off, off offset:400
	scratch_load_b128 v[122:125], off, off offset:416
	;; [unrolled: 1-line block ×3, first 2 shown]
	scratch_load_b64 v[138:139], off, off offset:448
	ds_load_2addr_b64 v[130:133], v2 offset0:109 offset1:110
	ds_load_2addr_b64 v[134:137], v2 offset0:111 offset1:112
	s_mov_b32 s0, exec_lo
	s_wait_loadcnt_dscnt 0x301
	v_fma_f64 v[130:131], v[120:121], v[130:131], 0
	s_wait_loadcnt 0x2
	s_delay_alu instid0(VALU_DEP_1) | instskip(SKIP_4) | instid1(VALU_DEP_1)
	v_fmac_f64_e32 v[130:131], v[122:123], v[132:133]
	ds_load_2addr_b64 v[120:123], v2 offset0:113 offset1:114
	s_wait_dscnt 0x1
	v_fmac_f64_e32 v[130:131], v[124:125], v[134:135]
	s_wait_loadcnt 0x1
	v_fmac_f64_e32 v[130:131], v[126:127], v[136:137]
	s_wait_dscnt 0x0
	s_delay_alu instid0(VALU_DEP_1) | instskip(SKIP_1) | instid1(VALU_DEP_1)
	v_fmac_f64_e32 v[130:131], v[128:129], v[120:121]
	s_wait_loadcnt 0x0
	v_fmac_f64_e32 v[130:131], v[138:139], v[122:123]
	s_delay_alu instid0(VALU_DEP_1)
	v_add_f64_e64 v[2:3], v[118:119], -v[130:131]
	scratch_store_b64 off, v[2:3], off offset:400
	s_wait_xcnt 0x0
	v_cmpx_lt_u32_e32 49, v0
	s_cbranch_execz .LBB56_253
; %bb.252:
	scratch_load_b64 v[2:3], off, off offset:392
	v_mov_b64_e32 v[118:119], 0
	scratch_store_b64 off, v[118:119], off offset:392
	s_wait_loadcnt 0x0
	ds_store_b64 v1, v[2:3]
.LBB56_253:
	s_wait_xcnt 0x0
	s_or_b32 exec_lo, exec_lo, s0
	s_wait_storecnt_dscnt 0x0
	s_barrier_signal -1
	s_barrier_wait -1
	s_clause 0x3
	scratch_load_b128 v[118:121], off, off offset:392
	scratch_load_b128 v[122:125], off, off offset:408
	;; [unrolled: 1-line block ×4, first 2 shown]
	v_mov_b32_e32 v2, 0
	ds_load_b128 v[134:137], v2 offset:864
	ds_load_b128 v[138:141], v2 offset:880
	s_mov_b32 s0, exec_lo
	s_wait_loadcnt_dscnt 0x301
	v_fma_f64 v[134:135], v[120:121], v[134:135], 0
	s_wait_loadcnt 0x2
	s_delay_alu instid0(VALU_DEP_1) | instskip(SKIP_1) | instid1(VALU_DEP_1)
	v_fmac_f64_e32 v[134:135], v[122:123], v[136:137]
	s_wait_dscnt 0x0
	v_fmac_f64_e32 v[134:135], v[124:125], v[138:139]
	ds_load_b128 v[120:123], v2 offset:896
	ds_load_b64 v[124:125], v2 offset:912
	s_wait_loadcnt 0x1
	v_fmac_f64_e32 v[134:135], v[126:127], v[140:141]
	s_wait_dscnt 0x1
	s_delay_alu instid0(VALU_DEP_1) | instskip(SKIP_1) | instid1(VALU_DEP_1)
	v_fmac_f64_e32 v[134:135], v[128:129], v[120:121]
	s_wait_loadcnt 0x0
	v_fmac_f64_e32 v[134:135], v[130:131], v[122:123]
	s_wait_dscnt 0x0
	s_delay_alu instid0(VALU_DEP_1) | instskip(NEXT) | instid1(VALU_DEP_1)
	v_fmac_f64_e32 v[134:135], v[132:133], v[124:125]
	v_add_f64_e64 v[118:119], v[118:119], -v[134:135]
	scratch_store_b64 off, v[118:119], off offset:392
	s_wait_xcnt 0x0
	v_cmpx_lt_u32_e32 48, v0
	s_cbranch_execz .LBB56_255
; %bb.254:
	scratch_load_b64 v[118:119], off, off offset:384
	v_mov_b64_e32 v[120:121], 0
	scratch_store_b64 off, v[120:121], off offset:384
	s_wait_loadcnt 0x0
	ds_store_b64 v1, v[118:119]
.LBB56_255:
	s_wait_xcnt 0x0
	s_or_b32 exec_lo, exec_lo, s0
	s_wait_storecnt_dscnt 0x0
	s_barrier_signal -1
	s_barrier_wait -1
	s_clause 0x4
	scratch_load_b128 v[118:121], off, off offset:384
	scratch_load_b128 v[122:125], off, off offset:400
	;; [unrolled: 1-line block ×4, first 2 shown]
	scratch_load_b64 v[142:143], off, off offset:448
	ds_load_2addr_b64 v[134:137], v2 offset0:107 offset1:108
	ds_load_2addr_b64 v[138:141], v2 offset0:109 offset1:110
	s_mov_b32 s0, exec_lo
	s_wait_loadcnt_dscnt 0x401
	v_fma_f64 v[134:135], v[120:121], v[134:135], 0
	s_wait_loadcnt 0x3
	s_delay_alu instid0(VALU_DEP_1) | instskip(SKIP_1) | instid1(VALU_DEP_1)
	v_fmac_f64_e32 v[134:135], v[122:123], v[136:137]
	s_wait_dscnt 0x0
	v_fmac_f64_e32 v[134:135], v[124:125], v[138:139]
	s_wait_loadcnt 0x2
	s_delay_alu instid0(VALU_DEP_1)
	v_fmac_f64_e32 v[134:135], v[126:127], v[140:141]
	ds_load_2addr_b64 v[120:123], v2 offset0:111 offset1:112
	ds_load_2addr_b64 v[124:127], v2 offset0:113 offset1:114
	s_wait_dscnt 0x1
	v_fmac_f64_e32 v[134:135], v[128:129], v[120:121]
	s_wait_loadcnt 0x1
	s_delay_alu instid0(VALU_DEP_1) | instskip(SKIP_1) | instid1(VALU_DEP_1)
	v_fmac_f64_e32 v[134:135], v[130:131], v[122:123]
	s_wait_dscnt 0x0
	v_fmac_f64_e32 v[134:135], v[132:133], v[124:125]
	s_wait_loadcnt 0x0
	s_delay_alu instid0(VALU_DEP_1) | instskip(NEXT) | instid1(VALU_DEP_1)
	v_fmac_f64_e32 v[134:135], v[142:143], v[126:127]
	v_add_f64_e64 v[2:3], v[118:119], -v[134:135]
	scratch_store_b64 off, v[2:3], off offset:384
	s_wait_xcnt 0x0
	v_cmpx_lt_u32_e32 47, v0
	s_cbranch_execz .LBB56_257
; %bb.256:
	scratch_load_b64 v[2:3], off, off offset:376
	v_mov_b64_e32 v[118:119], 0
	scratch_store_b64 off, v[118:119], off offset:376
	s_wait_loadcnt 0x0
	ds_store_b64 v1, v[2:3]
.LBB56_257:
	s_wait_xcnt 0x0
	s_or_b32 exec_lo, exec_lo, s0
	s_wait_storecnt_dscnt 0x0
	s_barrier_signal -1
	s_barrier_wait -1
	s_clause 0x4
	scratch_load_b128 v[118:121], off, off offset:376
	scratch_load_b128 v[122:125], off, off offset:392
	;; [unrolled: 1-line block ×5, first 2 shown]
	v_mov_b32_e32 v2, 0
	ds_load_b128 v[138:141], v2 offset:848
	ds_load_b128 v[142:145], v2 offset:864
	s_mov_b32 s0, exec_lo
	s_wait_loadcnt_dscnt 0x401
	v_fma_f64 v[138:139], v[120:121], v[138:139], 0
	s_wait_loadcnt 0x3
	s_delay_alu instid0(VALU_DEP_1) | instskip(SKIP_1) | instid1(VALU_DEP_1)
	v_fmac_f64_e32 v[138:139], v[122:123], v[140:141]
	s_wait_dscnt 0x0
	v_fmac_f64_e32 v[138:139], v[124:125], v[142:143]
	s_wait_loadcnt 0x2
	s_delay_alu instid0(VALU_DEP_1)
	v_fmac_f64_e32 v[138:139], v[126:127], v[144:145]
	ds_load_b128 v[120:123], v2 offset:880
	ds_load_b128 v[124:127], v2 offset:896
	s_wait_dscnt 0x1
	v_fmac_f64_e32 v[138:139], v[128:129], v[120:121]
	ds_load_b64 v[120:121], v2 offset:912
	s_wait_loadcnt 0x1
	v_fmac_f64_e32 v[138:139], v[130:131], v[122:123]
	s_wait_dscnt 0x1
	s_delay_alu instid0(VALU_DEP_1) | instskip(SKIP_1) | instid1(VALU_DEP_1)
	v_fmac_f64_e32 v[138:139], v[132:133], v[124:125]
	s_wait_loadcnt 0x0
	v_fmac_f64_e32 v[138:139], v[134:135], v[126:127]
	s_wait_dscnt 0x0
	s_delay_alu instid0(VALU_DEP_1) | instskip(NEXT) | instid1(VALU_DEP_1)
	v_fmac_f64_e32 v[138:139], v[136:137], v[120:121]
	v_add_f64_e64 v[118:119], v[118:119], -v[138:139]
	scratch_store_b64 off, v[118:119], off offset:376
	s_wait_xcnt 0x0
	v_cmpx_lt_u32_e32 46, v0
	s_cbranch_execz .LBB56_259
; %bb.258:
	scratch_load_b64 v[118:119], off, off offset:368
	v_mov_b64_e32 v[120:121], 0
	scratch_store_b64 off, v[120:121], off offset:368
	s_wait_loadcnt 0x0
	ds_store_b64 v1, v[118:119]
.LBB56_259:
	s_wait_xcnt 0x0
	s_or_b32 exec_lo, exec_lo, s0
	s_wait_storecnt_dscnt 0x0
	s_barrier_signal -1
	s_barrier_wait -1
	s_clause 0x5
	scratch_load_b128 v[118:121], off, off offset:368
	scratch_load_b128 v[122:125], off, off offset:384
	;; [unrolled: 1-line block ×5, first 2 shown]
	scratch_load_b64 v[146:147], off, off offset:448
	ds_load_2addr_b64 v[138:141], v2 offset0:105 offset1:106
	ds_load_2addr_b64 v[142:145], v2 offset0:107 offset1:108
	s_mov_b32 s0, exec_lo
	s_wait_loadcnt_dscnt 0x501
	v_fma_f64 v[138:139], v[120:121], v[138:139], 0
	s_wait_loadcnt 0x4
	s_delay_alu instid0(VALU_DEP_1) | instskip(SKIP_1) | instid1(VALU_DEP_1)
	v_fmac_f64_e32 v[138:139], v[122:123], v[140:141]
	s_wait_dscnt 0x0
	v_fmac_f64_e32 v[138:139], v[124:125], v[142:143]
	s_wait_loadcnt 0x3
	s_delay_alu instid0(VALU_DEP_1)
	v_fmac_f64_e32 v[138:139], v[126:127], v[144:145]
	ds_load_2addr_b64 v[120:123], v2 offset0:109 offset1:110
	ds_load_2addr_b64 v[124:127], v2 offset0:111 offset1:112
	s_wait_dscnt 0x1
	v_fmac_f64_e32 v[138:139], v[128:129], v[120:121]
	s_wait_loadcnt 0x2
	s_delay_alu instid0(VALU_DEP_1) | instskip(SKIP_4) | instid1(VALU_DEP_1)
	v_fmac_f64_e32 v[138:139], v[130:131], v[122:123]
	ds_load_2addr_b64 v[120:123], v2 offset0:113 offset1:114
	s_wait_dscnt 0x1
	v_fmac_f64_e32 v[138:139], v[132:133], v[124:125]
	s_wait_loadcnt 0x1
	v_fmac_f64_e32 v[138:139], v[134:135], v[126:127]
	s_wait_dscnt 0x0
	s_delay_alu instid0(VALU_DEP_1) | instskip(SKIP_1) | instid1(VALU_DEP_1)
	v_fmac_f64_e32 v[138:139], v[136:137], v[120:121]
	s_wait_loadcnt 0x0
	v_fmac_f64_e32 v[138:139], v[146:147], v[122:123]
	s_delay_alu instid0(VALU_DEP_1)
	v_add_f64_e64 v[2:3], v[118:119], -v[138:139]
	scratch_store_b64 off, v[2:3], off offset:368
	s_wait_xcnt 0x0
	v_cmpx_lt_u32_e32 45, v0
	s_cbranch_execz .LBB56_261
; %bb.260:
	scratch_load_b64 v[2:3], off, off offset:360
	v_mov_b64_e32 v[118:119], 0
	scratch_store_b64 off, v[118:119], off offset:360
	s_wait_loadcnt 0x0
	ds_store_b64 v1, v[2:3]
.LBB56_261:
	s_wait_xcnt 0x0
	s_or_b32 exec_lo, exec_lo, s0
	s_wait_storecnt_dscnt 0x0
	s_barrier_signal -1
	s_barrier_wait -1
	s_clause 0x5
	scratch_load_b128 v[118:121], off, off offset:360
	scratch_load_b128 v[122:125], off, off offset:376
	;; [unrolled: 1-line block ×6, first 2 shown]
	v_mov_b32_e32 v2, 0
	ds_load_b128 v[142:145], v2 offset:832
	ds_load_b128 v[146:149], v2 offset:848
	s_mov_b32 s0, exec_lo
	s_wait_loadcnt_dscnt 0x501
	v_fma_f64 v[142:143], v[120:121], v[142:143], 0
	s_wait_loadcnt 0x4
	s_delay_alu instid0(VALU_DEP_1) | instskip(SKIP_1) | instid1(VALU_DEP_1)
	v_fmac_f64_e32 v[142:143], v[122:123], v[144:145]
	s_wait_dscnt 0x0
	v_fmac_f64_e32 v[142:143], v[124:125], v[146:147]
	s_wait_loadcnt 0x3
	s_delay_alu instid0(VALU_DEP_1)
	v_fmac_f64_e32 v[142:143], v[126:127], v[148:149]
	ds_load_b128 v[120:123], v2 offset:864
	ds_load_b128 v[124:127], v2 offset:880
	s_wait_dscnt 0x1
	v_fmac_f64_e32 v[142:143], v[128:129], v[120:121]
	s_wait_loadcnt 0x2
	s_delay_alu instid0(VALU_DEP_1) | instskip(SKIP_1) | instid1(VALU_DEP_1)
	v_fmac_f64_e32 v[142:143], v[130:131], v[122:123]
	s_wait_dscnt 0x0
	v_fmac_f64_e32 v[142:143], v[132:133], v[124:125]
	ds_load_b128 v[120:123], v2 offset:896
	ds_load_b64 v[124:125], v2 offset:912
	s_wait_loadcnt 0x1
	v_fmac_f64_e32 v[142:143], v[134:135], v[126:127]
	s_wait_dscnt 0x1
	s_delay_alu instid0(VALU_DEP_1) | instskip(SKIP_1) | instid1(VALU_DEP_1)
	v_fmac_f64_e32 v[142:143], v[136:137], v[120:121]
	s_wait_loadcnt 0x0
	v_fmac_f64_e32 v[142:143], v[138:139], v[122:123]
	s_wait_dscnt 0x0
	s_delay_alu instid0(VALU_DEP_1) | instskip(NEXT) | instid1(VALU_DEP_1)
	v_fmac_f64_e32 v[142:143], v[140:141], v[124:125]
	v_add_f64_e64 v[118:119], v[118:119], -v[142:143]
	scratch_store_b64 off, v[118:119], off offset:360
	s_wait_xcnt 0x0
	v_cmpx_lt_u32_e32 44, v0
	s_cbranch_execz .LBB56_263
; %bb.262:
	scratch_load_b64 v[118:119], off, off offset:352
	v_mov_b64_e32 v[120:121], 0
	scratch_store_b64 off, v[120:121], off offset:352
	s_wait_loadcnt 0x0
	ds_store_b64 v1, v[118:119]
.LBB56_263:
	s_wait_xcnt 0x0
	s_or_b32 exec_lo, exec_lo, s0
	s_wait_storecnt_dscnt 0x0
	s_barrier_signal -1
	s_barrier_wait -1
	s_clause 0x5
	scratch_load_b128 v[118:121], off, off offset:352
	scratch_load_b128 v[122:125], off, off offset:368
	;; [unrolled: 1-line block ×6, first 2 shown]
	ds_load_2addr_b64 v[142:145], v2 offset0:103 offset1:104
	ds_load_2addr_b64 v[146:149], v2 offset0:105 offset1:106
	s_mov_b32 s0, exec_lo
	s_wait_loadcnt_dscnt 0x501
	v_fma_f64 v[142:143], v[120:121], v[142:143], 0
	s_wait_loadcnt 0x4
	s_delay_alu instid0(VALU_DEP_1) | instskip(SKIP_4) | instid1(VALU_DEP_1)
	v_fmac_f64_e32 v[142:143], v[122:123], v[144:145]
	scratch_load_b64 v[144:145], off, off offset:448
	s_wait_dscnt 0x0
	v_fmac_f64_e32 v[142:143], v[124:125], v[146:147]
	s_wait_loadcnt 0x4
	v_fmac_f64_e32 v[142:143], v[126:127], v[148:149]
	ds_load_2addr_b64 v[120:123], v2 offset0:107 offset1:108
	ds_load_2addr_b64 v[124:127], v2 offset0:109 offset1:110
	s_wait_dscnt 0x1
	v_fmac_f64_e32 v[142:143], v[128:129], v[120:121]
	s_wait_loadcnt 0x3
	s_delay_alu instid0(VALU_DEP_1) | instskip(SKIP_1) | instid1(VALU_DEP_1)
	v_fmac_f64_e32 v[142:143], v[130:131], v[122:123]
	s_wait_dscnt 0x0
	v_fmac_f64_e32 v[142:143], v[132:133], v[124:125]
	s_wait_loadcnt 0x2
	s_delay_alu instid0(VALU_DEP_1)
	v_fmac_f64_e32 v[142:143], v[134:135], v[126:127]
	ds_load_2addr_b64 v[120:123], v2 offset0:111 offset1:112
	ds_load_2addr_b64 v[124:127], v2 offset0:113 offset1:114
	s_wait_dscnt 0x1
	v_fmac_f64_e32 v[142:143], v[136:137], v[120:121]
	s_wait_loadcnt 0x1
	s_delay_alu instid0(VALU_DEP_1) | instskip(SKIP_1) | instid1(VALU_DEP_1)
	v_fmac_f64_e32 v[142:143], v[138:139], v[122:123]
	s_wait_dscnt 0x0
	v_fmac_f64_e32 v[142:143], v[140:141], v[124:125]
	s_wait_loadcnt 0x0
	s_delay_alu instid0(VALU_DEP_1) | instskip(NEXT) | instid1(VALU_DEP_1)
	v_fmac_f64_e32 v[142:143], v[144:145], v[126:127]
	v_add_f64_e64 v[2:3], v[118:119], -v[142:143]
	scratch_store_b64 off, v[2:3], off offset:352
	s_wait_xcnt 0x0
	v_cmpx_lt_u32_e32 43, v0
	s_cbranch_execz .LBB56_265
; %bb.264:
	scratch_load_b64 v[2:3], off, off offset:344
	v_mov_b64_e32 v[118:119], 0
	scratch_store_b64 off, v[118:119], off offset:344
	s_wait_loadcnt 0x0
	ds_store_b64 v1, v[2:3]
.LBB56_265:
	s_wait_xcnt 0x0
	s_or_b32 exec_lo, exec_lo, s0
	s_wait_storecnt_dscnt 0x0
	s_barrier_signal -1
	s_barrier_wait -1
	s_clause 0x5
	scratch_load_b128 v[118:121], off, off offset:344
	scratch_load_b128 v[122:125], off, off offset:360
	;; [unrolled: 1-line block ×6, first 2 shown]
	v_mov_b32_e32 v2, 0
	ds_load_b128 v[142:145], v2 offset:816
	ds_load_b128 v[146:149], v2 offset:832
	s_mov_b32 s0, exec_lo
	s_wait_loadcnt_dscnt 0x501
	v_fma_f64 v[150:151], v[120:121], v[142:143], 0
	s_wait_loadcnt 0x4
	s_delay_alu instid0(VALU_DEP_1) | instskip(SKIP_4) | instid1(VALU_DEP_1)
	v_fmac_f64_e32 v[150:151], v[122:123], v[144:145]
	scratch_load_b128 v[120:123], off, off offset:440
	s_wait_dscnt 0x0
	v_fmac_f64_e32 v[150:151], v[124:125], v[146:147]
	s_wait_loadcnt 0x4
	v_fmac_f64_e32 v[150:151], v[126:127], v[148:149]
	ds_load_b128 v[124:127], v2 offset:848
	ds_load_b128 v[142:145], v2 offset:864
	s_wait_dscnt 0x1
	v_fmac_f64_e32 v[150:151], v[128:129], v[124:125]
	s_wait_loadcnt 0x3
	s_delay_alu instid0(VALU_DEP_1)
	v_fmac_f64_e32 v[150:151], v[130:131], v[126:127]
	ds_load_b128 v[124:127], v2 offset:880
	ds_load_b128 v[128:131], v2 offset:896
	s_wait_dscnt 0x2
	v_fmac_f64_e32 v[150:151], v[132:133], v[142:143]
	s_wait_loadcnt 0x2
	s_delay_alu instid0(VALU_DEP_1) | instskip(SKIP_1) | instid1(VALU_DEP_1)
	v_fmac_f64_e32 v[150:151], v[134:135], v[144:145]
	s_wait_dscnt 0x1
	v_fmac_f64_e32 v[150:151], v[136:137], v[124:125]
	s_wait_loadcnt 0x1
	s_delay_alu instid0(VALU_DEP_1) | instskip(SKIP_1) | instid1(VALU_DEP_1)
	v_fmac_f64_e32 v[150:151], v[138:139], v[126:127]
	s_wait_dscnt 0x0
	v_fmac_f64_e32 v[150:151], v[140:141], v[128:129]
	s_wait_loadcnt 0x0
	s_delay_alu instid0(VALU_DEP_1) | instskip(SKIP_3) | instid1(VALU_DEP_1)
	v_fmac_f64_e32 v[150:151], v[120:121], v[130:131]
	ds_load_b64 v[120:121], v2 offset:912
	s_wait_dscnt 0x0
	v_fmac_f64_e32 v[150:151], v[122:123], v[120:121]
	v_add_f64_e64 v[118:119], v[118:119], -v[150:151]
	scratch_store_b64 off, v[118:119], off offset:344
	s_wait_xcnt 0x0
	v_cmpx_lt_u32_e32 42, v0
	s_cbranch_execz .LBB56_267
; %bb.266:
	scratch_load_b64 v[118:119], off, off offset:336
	v_mov_b64_e32 v[120:121], 0
	scratch_store_b64 off, v[120:121], off offset:336
	s_wait_loadcnt 0x0
	ds_store_b64 v1, v[118:119]
.LBB56_267:
	s_wait_xcnt 0x0
	s_or_b32 exec_lo, exec_lo, s0
	s_wait_storecnt_dscnt 0x0
	s_barrier_signal -1
	s_barrier_wait -1
	s_clause 0x5
	scratch_load_b128 v[118:121], off, off offset:336
	scratch_load_b128 v[122:125], off, off offset:352
	;; [unrolled: 1-line block ×6, first 2 shown]
	ds_load_2addr_b64 v[142:145], v2 offset0:101 offset1:102
	ds_load_2addr_b64 v[146:149], v2 offset0:103 offset1:104
	s_mov_b32 s0, exec_lo
	s_wait_loadcnt_dscnt 0x501
	v_fma_f64 v[150:151], v[120:121], v[142:143], 0
	s_wait_loadcnt 0x4
	s_delay_alu instid0(VALU_DEP_1)
	v_fmac_f64_e32 v[150:151], v[122:123], v[144:145]
	scratch_load_b128 v[120:123], off, off offset:432
	s_wait_dscnt 0x0
	v_fmac_f64_e32 v[150:151], v[124:125], v[146:147]
	scratch_load_b64 v[146:147], off, off offset:448
	s_wait_loadcnt 0x5
	v_fmac_f64_e32 v[150:151], v[126:127], v[148:149]
	ds_load_2addr_b64 v[124:127], v2 offset0:105 offset1:106
	ds_load_2addr_b64 v[142:145], v2 offset0:107 offset1:108
	s_wait_dscnt 0x1
	v_fmac_f64_e32 v[150:151], v[128:129], v[124:125]
	s_wait_loadcnt 0x4
	s_delay_alu instid0(VALU_DEP_1)
	v_fmac_f64_e32 v[150:151], v[130:131], v[126:127]
	ds_load_2addr_b64 v[124:127], v2 offset0:109 offset1:110
	ds_load_2addr_b64 v[128:131], v2 offset0:111 offset1:112
	s_wait_dscnt 0x2
	v_fmac_f64_e32 v[150:151], v[132:133], v[142:143]
	s_wait_loadcnt 0x3
	s_delay_alu instid0(VALU_DEP_1) | instskip(SKIP_1) | instid1(VALU_DEP_1)
	v_fmac_f64_e32 v[150:151], v[134:135], v[144:145]
	s_wait_dscnt 0x1
	v_fmac_f64_e32 v[150:151], v[136:137], v[124:125]
	s_wait_loadcnt 0x2
	s_delay_alu instid0(VALU_DEP_1) | instskip(SKIP_4) | instid1(VALU_DEP_1)
	v_fmac_f64_e32 v[150:151], v[138:139], v[126:127]
	ds_load_2addr_b64 v[124:127], v2 offset0:113 offset1:114
	s_wait_dscnt 0x1
	v_fmac_f64_e32 v[150:151], v[140:141], v[128:129]
	s_wait_loadcnt 0x1
	v_fmac_f64_e32 v[150:151], v[120:121], v[130:131]
	s_wait_dscnt 0x0
	s_delay_alu instid0(VALU_DEP_1) | instskip(SKIP_1) | instid1(VALU_DEP_1)
	v_fmac_f64_e32 v[150:151], v[122:123], v[124:125]
	s_wait_loadcnt 0x0
	v_fmac_f64_e32 v[150:151], v[146:147], v[126:127]
	s_delay_alu instid0(VALU_DEP_1)
	v_add_f64_e64 v[2:3], v[118:119], -v[150:151]
	scratch_store_b64 off, v[2:3], off offset:336
	s_wait_xcnt 0x0
	v_cmpx_lt_u32_e32 41, v0
	s_cbranch_execz .LBB56_269
; %bb.268:
	scratch_load_b64 v[2:3], off, off offset:328
	v_mov_b64_e32 v[118:119], 0
	scratch_store_b64 off, v[118:119], off offset:328
	s_wait_loadcnt 0x0
	ds_store_b64 v1, v[2:3]
.LBB56_269:
	s_wait_xcnt 0x0
	s_or_b32 exec_lo, exec_lo, s0
	s_wait_storecnt_dscnt 0x0
	s_barrier_signal -1
	s_barrier_wait -1
	s_clause 0x5
	scratch_load_b128 v[118:121], off, off offset:328
	scratch_load_b128 v[122:125], off, off offset:344
	;; [unrolled: 1-line block ×6, first 2 shown]
	v_mov_b32_e32 v2, 0
	ds_load_b128 v[142:145], v2 offset:800
	ds_load_b128 v[146:149], v2 offset:816
	s_mov_b32 s0, exec_lo
	s_wait_loadcnt_dscnt 0x501
	v_fma_f64 v[150:151], v[120:121], v[142:143], 0
	s_wait_loadcnt 0x4
	s_delay_alu instid0(VALU_DEP_1) | instskip(SKIP_4) | instid1(VALU_DEP_1)
	v_fmac_f64_e32 v[150:151], v[122:123], v[144:145]
	scratch_load_b128 v[120:123], off, off offset:424
	s_wait_dscnt 0x0
	v_fmac_f64_e32 v[150:151], v[124:125], v[146:147]
	s_wait_loadcnt 0x4
	v_fmac_f64_e32 v[150:151], v[126:127], v[148:149]
	scratch_load_b128 v[124:127], off, off offset:440
	ds_load_b128 v[142:145], v2 offset:832
	ds_load_b128 v[146:149], v2 offset:848
	s_wait_dscnt 0x1
	v_fmac_f64_e32 v[150:151], v[128:129], v[142:143]
	s_wait_loadcnt 0x4
	s_delay_alu instid0(VALU_DEP_1) | instskip(SKIP_1) | instid1(VALU_DEP_1)
	v_fmac_f64_e32 v[150:151], v[130:131], v[144:145]
	s_wait_dscnt 0x0
	v_fmac_f64_e32 v[150:151], v[132:133], v[146:147]
	s_wait_loadcnt 0x3
	s_delay_alu instid0(VALU_DEP_1)
	v_fmac_f64_e32 v[150:151], v[134:135], v[148:149]
	ds_load_b128 v[128:131], v2 offset:864
	ds_load_b128 v[132:135], v2 offset:880
	s_wait_dscnt 0x1
	v_fmac_f64_e32 v[150:151], v[136:137], v[128:129]
	s_wait_loadcnt 0x2
	s_delay_alu instid0(VALU_DEP_1) | instskip(SKIP_1) | instid1(VALU_DEP_1)
	v_fmac_f64_e32 v[150:151], v[138:139], v[130:131]
	s_wait_dscnt 0x0
	v_fmac_f64_e32 v[150:151], v[140:141], v[132:133]
	s_wait_loadcnt 0x1
	s_delay_alu instid0(VALU_DEP_1)
	v_fmac_f64_e32 v[150:151], v[120:121], v[134:135]
	ds_load_b128 v[128:131], v2 offset:896
	ds_load_b64 v[120:121], v2 offset:912
	s_wait_dscnt 0x1
	v_fmac_f64_e32 v[150:151], v[122:123], v[128:129]
	s_wait_loadcnt 0x0
	s_delay_alu instid0(VALU_DEP_1) | instskip(SKIP_1) | instid1(VALU_DEP_1)
	v_fmac_f64_e32 v[150:151], v[124:125], v[130:131]
	s_wait_dscnt 0x0
	v_fmac_f64_e32 v[150:151], v[126:127], v[120:121]
	s_delay_alu instid0(VALU_DEP_1)
	v_add_f64_e64 v[118:119], v[118:119], -v[150:151]
	scratch_store_b64 off, v[118:119], off offset:328
	s_wait_xcnt 0x0
	v_cmpx_lt_u32_e32 40, v0
	s_cbranch_execz .LBB56_271
; %bb.270:
	scratch_load_b64 v[118:119], off, off offset:320
	v_mov_b64_e32 v[120:121], 0
	scratch_store_b64 off, v[120:121], off offset:320
	s_wait_loadcnt 0x0
	ds_store_b64 v1, v[118:119]
.LBB56_271:
	s_wait_xcnt 0x0
	s_or_b32 exec_lo, exec_lo, s0
	s_wait_storecnt_dscnt 0x0
	s_barrier_signal -1
	s_barrier_wait -1
	s_clause 0x5
	scratch_load_b128 v[118:121], off, off offset:320
	scratch_load_b128 v[122:125], off, off offset:336
	;; [unrolled: 1-line block ×6, first 2 shown]
	ds_load_2addr_b64 v[142:145], v2 offset0:99 offset1:100
	ds_load_2addr_b64 v[146:149], v2 offset0:101 offset1:102
	s_mov_b32 s0, exec_lo
	s_wait_loadcnt_dscnt 0x501
	v_fma_f64 v[150:151], v[120:121], v[142:143], 0
	s_wait_loadcnt 0x4
	s_delay_alu instid0(VALU_DEP_1) | instskip(SKIP_4) | instid1(VALU_DEP_1)
	v_fmac_f64_e32 v[150:151], v[122:123], v[144:145]
	scratch_load_b128 v[120:123], off, off offset:416
	s_wait_dscnt 0x0
	v_fmac_f64_e32 v[150:151], v[124:125], v[146:147]
	s_wait_loadcnt 0x4
	v_fmac_f64_e32 v[150:151], v[126:127], v[148:149]
	scratch_load_b128 v[124:127], off, off offset:432
	ds_load_2addr_b64 v[142:145], v2 offset0:103 offset1:104
	ds_load_2addr_b64 v[146:149], v2 offset0:105 offset1:106
	s_wait_dscnt 0x1
	v_fmac_f64_e32 v[150:151], v[128:129], v[142:143]
	scratch_load_b64 v[142:143], off, off offset:448
	s_wait_loadcnt 0x5
	v_fmac_f64_e32 v[150:151], v[130:131], v[144:145]
	s_wait_dscnt 0x0
	s_delay_alu instid0(VALU_DEP_1) | instskip(SKIP_1) | instid1(VALU_DEP_1)
	v_fmac_f64_e32 v[150:151], v[132:133], v[146:147]
	s_wait_loadcnt 0x4
	v_fmac_f64_e32 v[150:151], v[134:135], v[148:149]
	ds_load_2addr_b64 v[128:131], v2 offset0:107 offset1:108
	ds_load_2addr_b64 v[132:135], v2 offset0:109 offset1:110
	s_wait_dscnt 0x1
	v_fmac_f64_e32 v[150:151], v[136:137], v[128:129]
	s_wait_loadcnt 0x3
	s_delay_alu instid0(VALU_DEP_1) | instskip(SKIP_1) | instid1(VALU_DEP_1)
	v_fmac_f64_e32 v[150:151], v[138:139], v[130:131]
	s_wait_dscnt 0x0
	v_fmac_f64_e32 v[150:151], v[140:141], v[132:133]
	s_wait_loadcnt 0x2
	s_delay_alu instid0(VALU_DEP_1)
	v_fmac_f64_e32 v[150:151], v[120:121], v[134:135]
	ds_load_2addr_b64 v[128:131], v2 offset0:111 offset1:112
	ds_load_2addr_b64 v[132:135], v2 offset0:113 offset1:114
	s_wait_dscnt 0x1
	v_fmac_f64_e32 v[150:151], v[122:123], v[128:129]
	s_wait_loadcnt 0x1
	s_delay_alu instid0(VALU_DEP_1) | instskip(SKIP_1) | instid1(VALU_DEP_1)
	v_fmac_f64_e32 v[150:151], v[124:125], v[130:131]
	s_wait_dscnt 0x0
	v_fmac_f64_e32 v[150:151], v[126:127], v[132:133]
	s_wait_loadcnt 0x0
	s_delay_alu instid0(VALU_DEP_1) | instskip(NEXT) | instid1(VALU_DEP_1)
	v_fmac_f64_e32 v[150:151], v[142:143], v[134:135]
	v_add_f64_e64 v[2:3], v[118:119], -v[150:151]
	scratch_store_b64 off, v[2:3], off offset:320
	s_wait_xcnt 0x0
	v_cmpx_lt_u32_e32 39, v0
	s_cbranch_execz .LBB56_273
; %bb.272:
	scratch_load_b64 v[2:3], off, off offset:312
	v_mov_b64_e32 v[118:119], 0
	scratch_store_b64 off, v[118:119], off offset:312
	s_wait_loadcnt 0x0
	ds_store_b64 v1, v[2:3]
.LBB56_273:
	s_wait_xcnt 0x0
	s_or_b32 exec_lo, exec_lo, s0
	s_wait_storecnt_dscnt 0x0
	s_barrier_signal -1
	s_barrier_wait -1
	s_clause 0x5
	scratch_load_b128 v[118:121], off, off offset:312
	scratch_load_b128 v[122:125], off, off offset:328
	;; [unrolled: 1-line block ×6, first 2 shown]
	v_mov_b32_e32 v2, 0
	ds_load_b128 v[142:145], v2 offset:784
	ds_load_b128 v[146:149], v2 offset:800
	s_mov_b32 s0, exec_lo
	s_wait_loadcnt_dscnt 0x501
	v_fma_f64 v[150:151], v[120:121], v[142:143], 0
	s_wait_loadcnt 0x4
	s_delay_alu instid0(VALU_DEP_1) | instskip(SKIP_4) | instid1(VALU_DEP_1)
	v_fmac_f64_e32 v[150:151], v[122:123], v[144:145]
	scratch_load_b128 v[120:123], off, off offset:408
	s_wait_dscnt 0x0
	v_fmac_f64_e32 v[150:151], v[124:125], v[146:147]
	s_wait_loadcnt 0x4
	v_fmac_f64_e32 v[150:151], v[126:127], v[148:149]
	scratch_load_b128 v[124:127], off, off offset:424
	ds_load_b128 v[142:145], v2 offset:816
	ds_load_b128 v[146:149], v2 offset:832
	s_wait_dscnt 0x1
	v_fmac_f64_e32 v[150:151], v[128:129], v[142:143]
	s_wait_loadcnt 0x4
	s_delay_alu instid0(VALU_DEP_1) | instskip(SKIP_4) | instid1(VALU_DEP_1)
	v_fmac_f64_e32 v[150:151], v[130:131], v[144:145]
	scratch_load_b128 v[128:131], off, off offset:440
	s_wait_dscnt 0x0
	v_fmac_f64_e32 v[150:151], v[132:133], v[146:147]
	s_wait_loadcnt 0x4
	v_fmac_f64_e32 v[150:151], v[134:135], v[148:149]
	ds_load_b128 v[132:135], v2 offset:848
	ds_load_b128 v[142:145], v2 offset:864
	s_wait_dscnt 0x1
	v_fmac_f64_e32 v[150:151], v[136:137], v[132:133]
	s_wait_loadcnt 0x3
	s_delay_alu instid0(VALU_DEP_1)
	v_fmac_f64_e32 v[150:151], v[138:139], v[134:135]
	ds_load_b128 v[132:135], v2 offset:880
	ds_load_b128 v[136:139], v2 offset:896
	s_wait_dscnt 0x2
	v_fmac_f64_e32 v[150:151], v[140:141], v[142:143]
	s_wait_loadcnt 0x2
	s_delay_alu instid0(VALU_DEP_1) | instskip(SKIP_4) | instid1(VALU_DEP_1)
	v_fmac_f64_e32 v[150:151], v[120:121], v[144:145]
	ds_load_b64 v[120:121], v2 offset:912
	s_wait_dscnt 0x2
	v_fmac_f64_e32 v[150:151], v[122:123], v[132:133]
	s_wait_loadcnt 0x1
	v_fmac_f64_e32 v[150:151], v[124:125], v[134:135]
	s_wait_dscnt 0x1
	s_delay_alu instid0(VALU_DEP_1) | instskip(SKIP_1) | instid1(VALU_DEP_1)
	v_fmac_f64_e32 v[150:151], v[126:127], v[136:137]
	s_wait_loadcnt 0x0
	v_fmac_f64_e32 v[150:151], v[128:129], v[138:139]
	s_wait_dscnt 0x0
	s_delay_alu instid0(VALU_DEP_1) | instskip(NEXT) | instid1(VALU_DEP_1)
	v_fmac_f64_e32 v[150:151], v[130:131], v[120:121]
	v_add_f64_e64 v[118:119], v[118:119], -v[150:151]
	scratch_store_b64 off, v[118:119], off offset:312
	s_wait_xcnt 0x0
	v_cmpx_lt_u32_e32 38, v0
	s_cbranch_execz .LBB56_275
; %bb.274:
	scratch_load_b64 v[118:119], off, off offset:304
	v_mov_b64_e32 v[120:121], 0
	scratch_store_b64 off, v[120:121], off offset:304
	s_wait_loadcnt 0x0
	ds_store_b64 v1, v[118:119]
.LBB56_275:
	s_wait_xcnt 0x0
	s_or_b32 exec_lo, exec_lo, s0
	s_wait_storecnt_dscnt 0x0
	s_barrier_signal -1
	s_barrier_wait -1
	s_clause 0x5
	scratch_load_b128 v[118:121], off, off offset:304
	scratch_load_b128 v[122:125], off, off offset:320
	;; [unrolled: 1-line block ×6, first 2 shown]
	ds_load_2addr_b64 v[142:145], v2 offset0:97 offset1:98
	ds_load_2addr_b64 v[146:149], v2 offset0:99 offset1:100
	s_mov_b32 s0, exec_lo
	s_wait_loadcnt_dscnt 0x501
	v_fma_f64 v[150:151], v[120:121], v[142:143], 0
	s_wait_loadcnt 0x4
	s_delay_alu instid0(VALU_DEP_1) | instskip(SKIP_4) | instid1(VALU_DEP_1)
	v_fmac_f64_e32 v[150:151], v[122:123], v[144:145]
	scratch_load_b128 v[120:123], off, off offset:400
	s_wait_dscnt 0x0
	v_fmac_f64_e32 v[150:151], v[124:125], v[146:147]
	s_wait_loadcnt 0x4
	v_fmac_f64_e32 v[150:151], v[126:127], v[148:149]
	scratch_load_b128 v[124:127], off, off offset:416
	ds_load_2addr_b64 v[142:145], v2 offset0:101 offset1:102
	ds_load_2addr_b64 v[146:149], v2 offset0:103 offset1:104
	s_wait_dscnt 0x1
	v_fmac_f64_e32 v[150:151], v[128:129], v[142:143]
	s_wait_loadcnt 0x4
	s_delay_alu instid0(VALU_DEP_1)
	v_fmac_f64_e32 v[150:151], v[130:131], v[144:145]
	scratch_load_b128 v[128:131], off, off offset:432
	s_wait_dscnt 0x0
	v_fmac_f64_e32 v[150:151], v[132:133], v[146:147]
	scratch_load_b64 v[146:147], off, off offset:448
	s_wait_loadcnt 0x5
	v_fmac_f64_e32 v[150:151], v[134:135], v[148:149]
	ds_load_2addr_b64 v[132:135], v2 offset0:105 offset1:106
	ds_load_2addr_b64 v[142:145], v2 offset0:107 offset1:108
	s_wait_dscnt 0x1
	v_fmac_f64_e32 v[150:151], v[136:137], v[132:133]
	s_wait_loadcnt 0x4
	s_delay_alu instid0(VALU_DEP_1)
	v_fmac_f64_e32 v[150:151], v[138:139], v[134:135]
	ds_load_2addr_b64 v[132:135], v2 offset0:109 offset1:110
	ds_load_2addr_b64 v[136:139], v2 offset0:111 offset1:112
	s_wait_dscnt 0x2
	v_fmac_f64_e32 v[150:151], v[140:141], v[142:143]
	s_wait_loadcnt 0x3
	s_delay_alu instid0(VALU_DEP_1) | instskip(SKIP_1) | instid1(VALU_DEP_1)
	v_fmac_f64_e32 v[150:151], v[120:121], v[144:145]
	s_wait_dscnt 0x1
	v_fmac_f64_e32 v[150:151], v[122:123], v[132:133]
	ds_load_2addr_b64 v[120:123], v2 offset0:113 offset1:114
	s_wait_loadcnt 0x2
	v_fmac_f64_e32 v[150:151], v[124:125], v[134:135]
	s_wait_dscnt 0x1
	s_delay_alu instid0(VALU_DEP_1) | instskip(SKIP_1) | instid1(VALU_DEP_1)
	v_fmac_f64_e32 v[150:151], v[126:127], v[136:137]
	s_wait_loadcnt 0x1
	v_fmac_f64_e32 v[150:151], v[128:129], v[138:139]
	s_wait_dscnt 0x0
	s_delay_alu instid0(VALU_DEP_1) | instskip(SKIP_1) | instid1(VALU_DEP_1)
	v_fmac_f64_e32 v[150:151], v[130:131], v[120:121]
	s_wait_loadcnt 0x0
	v_fmac_f64_e32 v[150:151], v[146:147], v[122:123]
	s_delay_alu instid0(VALU_DEP_1)
	v_add_f64_e64 v[2:3], v[118:119], -v[150:151]
	scratch_store_b64 off, v[2:3], off offset:304
	s_wait_xcnt 0x0
	v_cmpx_lt_u32_e32 37, v0
	s_cbranch_execz .LBB56_277
; %bb.276:
	scratch_load_b64 v[2:3], off, off offset:296
	v_mov_b64_e32 v[118:119], 0
	scratch_store_b64 off, v[118:119], off offset:296
	s_wait_loadcnt 0x0
	ds_store_b64 v1, v[2:3]
.LBB56_277:
	s_wait_xcnt 0x0
	s_or_b32 exec_lo, exec_lo, s0
	s_wait_storecnt_dscnt 0x0
	s_barrier_signal -1
	s_barrier_wait -1
	s_clause 0x5
	scratch_load_b128 v[118:121], off, off offset:296
	scratch_load_b128 v[122:125], off, off offset:312
	;; [unrolled: 1-line block ×6, first 2 shown]
	v_mov_b32_e32 v2, 0
	ds_load_b128 v[142:145], v2 offset:768
	ds_load_b128 v[146:149], v2 offset:784
	s_mov_b32 s0, exec_lo
	s_wait_loadcnt_dscnt 0x501
	v_fma_f64 v[150:151], v[120:121], v[142:143], 0
	s_wait_loadcnt 0x4
	s_delay_alu instid0(VALU_DEP_1) | instskip(SKIP_4) | instid1(VALU_DEP_1)
	v_fmac_f64_e32 v[150:151], v[122:123], v[144:145]
	scratch_load_b128 v[120:123], off, off offset:392
	s_wait_dscnt 0x0
	v_fmac_f64_e32 v[150:151], v[124:125], v[146:147]
	s_wait_loadcnt 0x4
	v_fmac_f64_e32 v[150:151], v[126:127], v[148:149]
	scratch_load_b128 v[124:127], off, off offset:408
	ds_load_b128 v[142:145], v2 offset:800
	ds_load_b128 v[146:149], v2 offset:816
	s_wait_dscnt 0x1
	v_fmac_f64_e32 v[150:151], v[128:129], v[142:143]
	s_wait_loadcnt 0x4
	s_delay_alu instid0(VALU_DEP_1) | instskip(SKIP_4) | instid1(VALU_DEP_1)
	v_fmac_f64_e32 v[150:151], v[130:131], v[144:145]
	scratch_load_b128 v[128:131], off, off offset:424
	s_wait_dscnt 0x0
	v_fmac_f64_e32 v[150:151], v[132:133], v[146:147]
	s_wait_loadcnt 0x4
	v_fmac_f64_e32 v[150:151], v[134:135], v[148:149]
	scratch_load_b128 v[132:135], off, off offset:440
	ds_load_b128 v[142:145], v2 offset:832
	ds_load_b128 v[146:149], v2 offset:848
	s_wait_dscnt 0x1
	v_fmac_f64_e32 v[150:151], v[136:137], v[142:143]
	s_wait_loadcnt 0x4
	s_delay_alu instid0(VALU_DEP_1) | instskip(SKIP_1) | instid1(VALU_DEP_1)
	v_fmac_f64_e32 v[150:151], v[138:139], v[144:145]
	s_wait_dscnt 0x0
	v_fmac_f64_e32 v[150:151], v[140:141], v[146:147]
	ds_load_b128 v[136:139], v2 offset:864
	ds_load_b128 v[140:143], v2 offset:880
	s_wait_loadcnt 0x3
	v_fmac_f64_e32 v[150:151], v[120:121], v[148:149]
	s_wait_dscnt 0x1
	s_delay_alu instid0(VALU_DEP_1) | instskip(SKIP_1) | instid1(VALU_DEP_1)
	v_fmac_f64_e32 v[150:151], v[122:123], v[136:137]
	s_wait_loadcnt 0x2
	v_fmac_f64_e32 v[150:151], v[124:125], v[138:139]
	ds_load_b128 v[120:123], v2 offset:896
	ds_load_b64 v[124:125], v2 offset:912
	s_wait_dscnt 0x2
	v_fmac_f64_e32 v[150:151], v[126:127], v[140:141]
	s_wait_loadcnt 0x1
	s_delay_alu instid0(VALU_DEP_1) | instskip(SKIP_1) | instid1(VALU_DEP_1)
	v_fmac_f64_e32 v[150:151], v[128:129], v[142:143]
	s_wait_dscnt 0x1
	v_fmac_f64_e32 v[150:151], v[130:131], v[120:121]
	s_wait_loadcnt 0x0
	s_delay_alu instid0(VALU_DEP_1) | instskip(SKIP_1) | instid1(VALU_DEP_1)
	v_fmac_f64_e32 v[150:151], v[132:133], v[122:123]
	s_wait_dscnt 0x0
	v_fmac_f64_e32 v[150:151], v[134:135], v[124:125]
	s_delay_alu instid0(VALU_DEP_1)
	v_add_f64_e64 v[118:119], v[118:119], -v[150:151]
	scratch_store_b64 off, v[118:119], off offset:296
	s_wait_xcnt 0x0
	v_cmpx_lt_u32_e32 36, v0
	s_cbranch_execz .LBB56_279
; %bb.278:
	scratch_load_b64 v[118:119], off, off offset:288
	v_mov_b64_e32 v[120:121], 0
	scratch_store_b64 off, v[120:121], off offset:288
	s_wait_loadcnt 0x0
	ds_store_b64 v1, v[118:119]
.LBB56_279:
	s_wait_xcnt 0x0
	s_or_b32 exec_lo, exec_lo, s0
	s_wait_storecnt_dscnt 0x0
	s_barrier_signal -1
	s_barrier_wait -1
	s_clause 0x5
	scratch_load_b128 v[118:121], off, off offset:288
	scratch_load_b128 v[122:125], off, off offset:304
	;; [unrolled: 1-line block ×6, first 2 shown]
	ds_load_2addr_b64 v[142:145], v2 offset0:95 offset1:96
	ds_load_2addr_b64 v[146:149], v2 offset0:97 offset1:98
	s_mov_b32 s0, exec_lo
	s_wait_loadcnt_dscnt 0x501
	v_fma_f64 v[150:151], v[120:121], v[142:143], 0
	s_wait_loadcnt 0x4
	s_delay_alu instid0(VALU_DEP_1) | instskip(SKIP_4) | instid1(VALU_DEP_1)
	v_fmac_f64_e32 v[150:151], v[122:123], v[144:145]
	scratch_load_b128 v[120:123], off, off offset:384
	s_wait_dscnt 0x0
	v_fmac_f64_e32 v[150:151], v[124:125], v[146:147]
	s_wait_loadcnt 0x4
	v_fmac_f64_e32 v[150:151], v[126:127], v[148:149]
	scratch_load_b128 v[124:127], off, off offset:400
	ds_load_2addr_b64 v[142:145], v2 offset0:99 offset1:100
	ds_load_2addr_b64 v[146:149], v2 offset0:101 offset1:102
	s_wait_dscnt 0x1
	v_fmac_f64_e32 v[150:151], v[128:129], v[142:143]
	s_wait_loadcnt 0x4
	s_delay_alu instid0(VALU_DEP_1) | instskip(SKIP_4) | instid1(VALU_DEP_1)
	v_fmac_f64_e32 v[150:151], v[130:131], v[144:145]
	scratch_load_b128 v[128:131], off, off offset:416
	s_wait_dscnt 0x0
	v_fmac_f64_e32 v[150:151], v[132:133], v[146:147]
	s_wait_loadcnt 0x4
	v_fmac_f64_e32 v[150:151], v[134:135], v[148:149]
	scratch_load_b128 v[132:135], off, off offset:432
	ds_load_2addr_b64 v[142:145], v2 offset0:103 offset1:104
	ds_load_2addr_b64 v[146:149], v2 offset0:105 offset1:106
	s_wait_dscnt 0x1
	v_fmac_f64_e32 v[150:151], v[136:137], v[142:143]
	s_wait_loadcnt 0x4
	s_delay_alu instid0(VALU_DEP_1)
	v_fmac_f64_e32 v[150:151], v[138:139], v[144:145]
	scratch_load_b64 v[144:145], off, off offset:448
	s_wait_dscnt 0x0
	v_fmac_f64_e32 v[150:151], v[140:141], v[146:147]
	ds_load_2addr_b64 v[136:139], v2 offset0:107 offset1:108
	ds_load_2addr_b64 v[140:143], v2 offset0:109 offset1:110
	s_wait_loadcnt 0x4
	v_fmac_f64_e32 v[150:151], v[120:121], v[148:149]
	s_wait_dscnt 0x1
	s_delay_alu instid0(VALU_DEP_1) | instskip(SKIP_1) | instid1(VALU_DEP_1)
	v_fmac_f64_e32 v[150:151], v[122:123], v[136:137]
	s_wait_loadcnt 0x3
	v_fmac_f64_e32 v[150:151], v[124:125], v[138:139]
	s_wait_dscnt 0x0
	s_delay_alu instid0(VALU_DEP_1)
	v_fmac_f64_e32 v[150:151], v[126:127], v[140:141]
	ds_load_2addr_b64 v[120:123], v2 offset0:111 offset1:112
	ds_load_2addr_b64 v[124:127], v2 offset0:113 offset1:114
	s_wait_loadcnt 0x2
	v_fmac_f64_e32 v[150:151], v[128:129], v[142:143]
	s_wait_dscnt 0x1
	s_delay_alu instid0(VALU_DEP_1) | instskip(SKIP_1) | instid1(VALU_DEP_1)
	v_fmac_f64_e32 v[150:151], v[130:131], v[120:121]
	s_wait_loadcnt 0x1
	v_fmac_f64_e32 v[150:151], v[132:133], v[122:123]
	s_wait_dscnt 0x0
	s_delay_alu instid0(VALU_DEP_1) | instskip(SKIP_1) | instid1(VALU_DEP_1)
	v_fmac_f64_e32 v[150:151], v[134:135], v[124:125]
	s_wait_loadcnt 0x0
	v_fmac_f64_e32 v[150:151], v[144:145], v[126:127]
	s_delay_alu instid0(VALU_DEP_1)
	v_add_f64_e64 v[2:3], v[118:119], -v[150:151]
	scratch_store_b64 off, v[2:3], off offset:288
	s_wait_xcnt 0x0
	v_cmpx_lt_u32_e32 35, v0
	s_cbranch_execz .LBB56_281
; %bb.280:
	scratch_load_b64 v[2:3], off, off offset:280
	v_mov_b64_e32 v[118:119], 0
	scratch_store_b64 off, v[118:119], off offset:280
	s_wait_loadcnt 0x0
	ds_store_b64 v1, v[2:3]
.LBB56_281:
	s_wait_xcnt 0x0
	s_or_b32 exec_lo, exec_lo, s0
	s_wait_storecnt_dscnt 0x0
	s_barrier_signal -1
	s_barrier_wait -1
	s_clause 0x5
	scratch_load_b128 v[118:121], off, off offset:280
	scratch_load_b128 v[122:125], off, off offset:296
	;; [unrolled: 1-line block ×6, first 2 shown]
	v_mov_b32_e32 v2, 0
	ds_load_b128 v[142:145], v2 offset:752
	ds_load_b128 v[146:149], v2 offset:768
	s_mov_b32 s0, exec_lo
	s_wait_loadcnt_dscnt 0x501
	v_fma_f64 v[150:151], v[120:121], v[142:143], 0
	s_wait_loadcnt 0x4
	s_delay_alu instid0(VALU_DEP_1) | instskip(SKIP_4) | instid1(VALU_DEP_1)
	v_fmac_f64_e32 v[150:151], v[122:123], v[144:145]
	scratch_load_b128 v[120:123], off, off offset:376
	s_wait_dscnt 0x0
	v_fmac_f64_e32 v[150:151], v[124:125], v[146:147]
	s_wait_loadcnt 0x4
	v_fmac_f64_e32 v[150:151], v[126:127], v[148:149]
	scratch_load_b128 v[124:127], off, off offset:392
	ds_load_b128 v[142:145], v2 offset:784
	ds_load_b128 v[146:149], v2 offset:800
	s_wait_dscnt 0x1
	v_fmac_f64_e32 v[150:151], v[128:129], v[142:143]
	s_wait_loadcnt 0x4
	s_delay_alu instid0(VALU_DEP_1) | instskip(SKIP_4) | instid1(VALU_DEP_1)
	v_fmac_f64_e32 v[150:151], v[130:131], v[144:145]
	scratch_load_b128 v[128:131], off, off offset:408
	s_wait_dscnt 0x0
	v_fmac_f64_e32 v[150:151], v[132:133], v[146:147]
	s_wait_loadcnt 0x4
	v_fmac_f64_e32 v[150:151], v[134:135], v[148:149]
	scratch_load_b128 v[132:135], off, off offset:424
	ds_load_b128 v[142:145], v2 offset:816
	ds_load_b128 v[146:149], v2 offset:832
	s_wait_dscnt 0x1
	v_fmac_f64_e32 v[150:151], v[136:137], v[142:143]
	s_wait_loadcnt 0x4
	s_delay_alu instid0(VALU_DEP_1)
	v_fmac_f64_e32 v[150:151], v[138:139], v[144:145]
	scratch_load_b128 v[136:139], off, off offset:440
	s_wait_dscnt 0x0
	v_fmac_f64_e32 v[150:151], v[140:141], v[146:147]
	ds_load_b128 v[140:143], v2 offset:848
	ds_load_b128 v[144:147], v2 offset:864
	s_wait_loadcnt 0x4
	v_fmac_f64_e32 v[150:151], v[120:121], v[148:149]
	s_wait_dscnt 0x1
	s_delay_alu instid0(VALU_DEP_1) | instskip(SKIP_1) | instid1(VALU_DEP_1)
	v_fmac_f64_e32 v[150:151], v[122:123], v[140:141]
	s_wait_loadcnt 0x3
	v_fmac_f64_e32 v[150:151], v[124:125], v[142:143]
	s_wait_dscnt 0x0
	s_delay_alu instid0(VALU_DEP_1)
	v_fmac_f64_e32 v[150:151], v[126:127], v[144:145]
	ds_load_b128 v[120:123], v2 offset:880
	ds_load_b128 v[124:127], v2 offset:896
	s_wait_loadcnt 0x2
	v_fmac_f64_e32 v[150:151], v[128:129], v[146:147]
	s_wait_dscnt 0x1
	s_delay_alu instid0(VALU_DEP_1) | instskip(SKIP_4) | instid1(VALU_DEP_1)
	v_fmac_f64_e32 v[150:151], v[130:131], v[120:121]
	ds_load_b64 v[120:121], v2 offset:912
	s_wait_loadcnt 0x1
	v_fmac_f64_e32 v[150:151], v[132:133], v[122:123]
	s_wait_dscnt 0x1
	v_fmac_f64_e32 v[150:151], v[134:135], v[124:125]
	s_wait_loadcnt 0x0
	s_delay_alu instid0(VALU_DEP_1) | instskip(SKIP_1) | instid1(VALU_DEP_1)
	v_fmac_f64_e32 v[150:151], v[136:137], v[126:127]
	s_wait_dscnt 0x0
	v_fmac_f64_e32 v[150:151], v[138:139], v[120:121]
	s_delay_alu instid0(VALU_DEP_1)
	v_add_f64_e64 v[118:119], v[118:119], -v[150:151]
	scratch_store_b64 off, v[118:119], off offset:280
	s_wait_xcnt 0x0
	v_cmpx_lt_u32_e32 34, v0
	s_cbranch_execz .LBB56_283
; %bb.282:
	scratch_load_b64 v[118:119], off, off offset:272
	v_mov_b64_e32 v[120:121], 0
	scratch_store_b64 off, v[120:121], off offset:272
	s_wait_loadcnt 0x0
	ds_store_b64 v1, v[118:119]
.LBB56_283:
	s_wait_xcnt 0x0
	s_or_b32 exec_lo, exec_lo, s0
	s_wait_storecnt_dscnt 0x0
	s_barrier_signal -1
	s_barrier_wait -1
	s_clause 0x5
	scratch_load_b128 v[118:121], off, off offset:272
	scratch_load_b128 v[122:125], off, off offset:288
	;; [unrolled: 1-line block ×6, first 2 shown]
	ds_load_2addr_b64 v[142:145], v2 offset0:93 offset1:94
	ds_load_2addr_b64 v[146:149], v2 offset0:95 offset1:96
	scratch_load_b128 v[150:153], off, off offset:368
	s_mov_b32 s0, exec_lo
	s_wait_loadcnt_dscnt 0x601
	v_fma_f64 v[154:155], v[120:121], v[142:143], 0
	s_wait_loadcnt 0x5
	s_delay_alu instid0(VALU_DEP_1) | instskip(SKIP_4) | instid1(VALU_DEP_1)
	v_fmac_f64_e32 v[154:155], v[122:123], v[144:145]
	scratch_load_b128 v[120:123], off, off offset:384
	s_wait_dscnt 0x0
	v_fmac_f64_e32 v[154:155], v[124:125], v[146:147]
	s_wait_loadcnt 0x5
	v_fmac_f64_e32 v[154:155], v[126:127], v[148:149]
	ds_load_2addr_b64 v[124:127], v2 offset0:97 offset1:98
	ds_load_2addr_b64 v[142:145], v2 offset0:99 offset1:100
	s_wait_dscnt 0x1
	v_fmac_f64_e32 v[154:155], v[128:129], v[124:125]
	s_wait_loadcnt 0x4
	s_delay_alu instid0(VALU_DEP_1)
	v_fmac_f64_e32 v[154:155], v[130:131], v[126:127]
	s_clause 0x1
	scratch_load_b128 v[124:127], off, off offset:400
	scratch_load_b128 v[128:131], off, off offset:416
	s_wait_dscnt 0x0
	v_fmac_f64_e32 v[154:155], v[132:133], v[142:143]
	s_wait_loadcnt 0x5
	s_delay_alu instid0(VALU_DEP_1)
	v_fmac_f64_e32 v[154:155], v[134:135], v[144:145]
	ds_load_2addr_b64 v[132:135], v2 offset0:101 offset1:102
	ds_load_2addr_b64 v[142:145], v2 offset0:103 offset1:104
	s_wait_dscnt 0x1
	v_fmac_f64_e32 v[154:155], v[136:137], v[132:133]
	s_wait_loadcnt 0x4
	s_delay_alu instid0(VALU_DEP_1) | instskip(SKIP_4) | instid1(VALU_DEP_1)
	v_fmac_f64_e32 v[154:155], v[138:139], v[134:135]
	scratch_load_b128 v[132:135], off, off offset:432
	s_wait_dscnt 0x0
	v_fmac_f64_e32 v[154:155], v[140:141], v[142:143]
	s_wait_loadcnt 0x4
	v_fmac_f64_e32 v[154:155], v[150:151], v[144:145]
	scratch_load_b64 v[144:145], off, off offset:448
	ds_load_2addr_b64 v[136:139], v2 offset0:105 offset1:106
	ds_load_2addr_b64 v[140:143], v2 offset0:107 offset1:108
	s_wait_dscnt 0x1
	v_fmac_f64_e32 v[154:155], v[152:153], v[136:137]
	s_wait_loadcnt 0x4
	s_delay_alu instid0(VALU_DEP_1) | instskip(SKIP_1) | instid1(VALU_DEP_1)
	v_fmac_f64_e32 v[154:155], v[120:121], v[138:139]
	s_wait_dscnt 0x0
	v_fmac_f64_e32 v[154:155], v[122:123], v[140:141]
	ds_load_2addr_b64 v[120:123], v2 offset0:109 offset1:110
	ds_load_2addr_b64 v[136:139], v2 offset0:111 offset1:112
	s_wait_loadcnt 0x3
	v_fmac_f64_e32 v[154:155], v[124:125], v[142:143]
	s_wait_dscnt 0x1
	s_delay_alu instid0(VALU_DEP_1) | instskip(SKIP_1) | instid1(VALU_DEP_1)
	v_fmac_f64_e32 v[154:155], v[126:127], v[120:121]
	s_wait_loadcnt 0x2
	v_fmac_f64_e32 v[154:155], v[128:129], v[122:123]
	ds_load_2addr_b64 v[120:123], v2 offset0:113 offset1:114
	s_wait_dscnt 0x1
	v_fmac_f64_e32 v[154:155], v[130:131], v[136:137]
	s_wait_loadcnt 0x1
	s_delay_alu instid0(VALU_DEP_1) | instskip(SKIP_1) | instid1(VALU_DEP_1)
	v_fmac_f64_e32 v[154:155], v[132:133], v[138:139]
	s_wait_dscnt 0x0
	v_fmac_f64_e32 v[154:155], v[134:135], v[120:121]
	s_wait_loadcnt 0x0
	s_delay_alu instid0(VALU_DEP_1) | instskip(NEXT) | instid1(VALU_DEP_1)
	v_fmac_f64_e32 v[154:155], v[144:145], v[122:123]
	v_add_f64_e64 v[2:3], v[118:119], -v[154:155]
	scratch_store_b64 off, v[2:3], off offset:272
	s_wait_xcnt 0x0
	v_cmpx_lt_u32_e32 33, v0
	s_cbranch_execz .LBB56_285
; %bb.284:
	scratch_load_b64 v[2:3], off, off offset:264
	v_mov_b64_e32 v[118:119], 0
	scratch_store_b64 off, v[118:119], off offset:264
	s_wait_loadcnt 0x0
	ds_store_b64 v1, v[2:3]
.LBB56_285:
	s_wait_xcnt 0x0
	s_or_b32 exec_lo, exec_lo, s0
	s_wait_storecnt_dscnt 0x0
	s_barrier_signal -1
	s_barrier_wait -1
	s_clause 0x5
	scratch_load_b128 v[118:121], off, off offset:264
	scratch_load_b128 v[122:125], off, off offset:280
	scratch_load_b128 v[126:129], off, off offset:296
	scratch_load_b128 v[130:133], off, off offset:312
	scratch_load_b128 v[134:137], off, off offset:328
	scratch_load_b128 v[138:141], off, off offset:344
	v_mov_b32_e32 v2, 0
	ds_load_b128 v[142:145], v2 offset:736
	ds_load_b128 v[146:149], v2 offset:752
	scratch_load_b128 v[150:153], off, off offset:360
	s_mov_b32 s0, exec_lo
	s_wait_loadcnt_dscnt 0x601
	v_fma_f64 v[154:155], v[120:121], v[142:143], 0
	s_wait_loadcnt 0x5
	s_delay_alu instid0(VALU_DEP_1) | instskip(SKIP_4) | instid1(VALU_DEP_1)
	v_fmac_f64_e32 v[154:155], v[122:123], v[144:145]
	scratch_load_b128 v[120:123], off, off offset:376
	s_wait_dscnt 0x0
	v_fmac_f64_e32 v[154:155], v[124:125], v[146:147]
	s_wait_loadcnt 0x5
	v_fmac_f64_e32 v[154:155], v[126:127], v[148:149]
	ds_load_b128 v[124:127], v2 offset:768
	ds_load_b128 v[142:145], v2 offset:784
	s_wait_dscnt 0x1
	v_fmac_f64_e32 v[154:155], v[128:129], v[124:125]
	s_wait_loadcnt 0x4
	s_delay_alu instid0(VALU_DEP_1)
	v_fmac_f64_e32 v[154:155], v[130:131], v[126:127]
	s_clause 0x1
	scratch_load_b128 v[124:127], off, off offset:392
	scratch_load_b128 v[128:131], off, off offset:408
	s_wait_dscnt 0x0
	v_fmac_f64_e32 v[154:155], v[132:133], v[142:143]
	s_wait_loadcnt 0x5
	s_delay_alu instid0(VALU_DEP_1)
	v_fmac_f64_e32 v[154:155], v[134:135], v[144:145]
	ds_load_b128 v[132:135], v2 offset:800
	ds_load_b128 v[142:145], v2 offset:816
	s_wait_dscnt 0x1
	v_fmac_f64_e32 v[154:155], v[136:137], v[132:133]
	s_wait_loadcnt 0x4
	s_delay_alu instid0(VALU_DEP_1)
	v_fmac_f64_e32 v[154:155], v[138:139], v[134:135]
	s_clause 0x1
	scratch_load_b128 v[132:135], off, off offset:424
	scratch_load_b128 v[136:139], off, off offset:440
	s_wait_dscnt 0x0
	v_fmac_f64_e32 v[154:155], v[140:141], v[142:143]
	s_wait_loadcnt 0x5
	s_delay_alu instid0(VALU_DEP_1)
	v_fmac_f64_e32 v[154:155], v[150:151], v[144:145]
	ds_load_b128 v[140:143], v2 offset:832
	ds_load_b128 v[144:147], v2 offset:848
	s_wait_dscnt 0x1
	v_fmac_f64_e32 v[154:155], v[152:153], v[140:141]
	s_wait_loadcnt 0x4
	s_delay_alu instid0(VALU_DEP_1) | instskip(SKIP_1) | instid1(VALU_DEP_1)
	v_fmac_f64_e32 v[154:155], v[120:121], v[142:143]
	s_wait_dscnt 0x0
	v_fmac_f64_e32 v[154:155], v[122:123], v[144:145]
	ds_load_b128 v[120:123], v2 offset:864
	ds_load_b128 v[140:143], v2 offset:880
	s_wait_loadcnt 0x3
	v_fmac_f64_e32 v[154:155], v[124:125], v[146:147]
	s_wait_dscnt 0x1
	s_delay_alu instid0(VALU_DEP_1) | instskip(SKIP_1) | instid1(VALU_DEP_1)
	v_fmac_f64_e32 v[154:155], v[126:127], v[120:121]
	s_wait_loadcnt 0x2
	v_fmac_f64_e32 v[154:155], v[128:129], v[122:123]
	ds_load_b128 v[120:123], v2 offset:896
	ds_load_b64 v[124:125], v2 offset:912
	s_wait_dscnt 0x2
	v_fmac_f64_e32 v[154:155], v[130:131], v[140:141]
	s_wait_loadcnt 0x1
	s_delay_alu instid0(VALU_DEP_1) | instskip(SKIP_1) | instid1(VALU_DEP_1)
	v_fmac_f64_e32 v[154:155], v[132:133], v[142:143]
	s_wait_dscnt 0x1
	v_fmac_f64_e32 v[154:155], v[134:135], v[120:121]
	s_wait_loadcnt 0x0
	s_delay_alu instid0(VALU_DEP_1) | instskip(SKIP_1) | instid1(VALU_DEP_1)
	v_fmac_f64_e32 v[154:155], v[136:137], v[122:123]
	s_wait_dscnt 0x0
	v_fmac_f64_e32 v[154:155], v[138:139], v[124:125]
	s_delay_alu instid0(VALU_DEP_1)
	v_add_f64_e64 v[118:119], v[118:119], -v[154:155]
	scratch_store_b64 off, v[118:119], off offset:264
	s_wait_xcnt 0x0
	v_cmpx_lt_u32_e32 32, v0
	s_cbranch_execz .LBB56_287
; %bb.286:
	scratch_load_b64 v[118:119], off, off offset:256
	v_mov_b64_e32 v[120:121], 0
	scratch_store_b64 off, v[120:121], off offset:256
	s_wait_loadcnt 0x0
	ds_store_b64 v1, v[118:119]
.LBB56_287:
	s_wait_xcnt 0x0
	s_or_b32 exec_lo, exec_lo, s0
	s_wait_storecnt_dscnt 0x0
	s_barrier_signal -1
	s_barrier_wait -1
	s_clause 0x5
	scratch_load_b128 v[118:121], off, off offset:256
	scratch_load_b128 v[122:125], off, off offset:272
	;; [unrolled: 1-line block ×6, first 2 shown]
	ds_load_2addr_b64 v[142:145], v2 offset0:91 offset1:92
	ds_load_2addr_b64 v[146:149], v2 offset0:93 offset1:94
	scratch_load_b128 v[150:153], off, off offset:352
	s_mov_b32 s0, exec_lo
	s_wait_loadcnt_dscnt 0x601
	v_fma_f64 v[154:155], v[120:121], v[142:143], 0
	s_wait_loadcnt 0x5
	s_delay_alu instid0(VALU_DEP_1) | instskip(SKIP_4) | instid1(VALU_DEP_1)
	v_fmac_f64_e32 v[154:155], v[122:123], v[144:145]
	scratch_load_b128 v[120:123], off, off offset:368
	s_wait_dscnt 0x0
	v_fmac_f64_e32 v[154:155], v[124:125], v[146:147]
	s_wait_loadcnt 0x5
	v_fmac_f64_e32 v[154:155], v[126:127], v[148:149]
	ds_load_2addr_b64 v[124:127], v2 offset0:95 offset1:96
	ds_load_2addr_b64 v[142:145], v2 offset0:97 offset1:98
	s_wait_dscnt 0x1
	v_fmac_f64_e32 v[154:155], v[128:129], v[124:125]
	s_wait_loadcnt 0x4
	s_delay_alu instid0(VALU_DEP_1)
	v_fmac_f64_e32 v[154:155], v[130:131], v[126:127]
	s_clause 0x1
	scratch_load_b128 v[124:127], off, off offset:384
	scratch_load_b128 v[128:131], off, off offset:400
	s_wait_dscnt 0x0
	v_fmac_f64_e32 v[154:155], v[132:133], v[142:143]
	s_wait_loadcnt 0x5
	s_delay_alu instid0(VALU_DEP_1)
	v_fmac_f64_e32 v[154:155], v[134:135], v[144:145]
	ds_load_2addr_b64 v[132:135], v2 offset0:99 offset1:100
	ds_load_2addr_b64 v[142:145], v2 offset0:101 offset1:102
	s_wait_dscnt 0x1
	v_fmac_f64_e32 v[154:155], v[136:137], v[132:133]
	s_wait_loadcnt 0x4
	s_delay_alu instid0(VALU_DEP_1)
	v_fmac_f64_e32 v[154:155], v[138:139], v[134:135]
	s_clause 0x1
	scratch_load_b128 v[132:135], off, off offset:416
	scratch_load_b128 v[136:139], off, off offset:432
	s_wait_dscnt 0x0
	v_fmac_f64_e32 v[154:155], v[140:141], v[142:143]
	s_wait_loadcnt 0x5
	s_delay_alu instid0(VALU_DEP_1)
	v_fmac_f64_e32 v[154:155], v[150:151], v[144:145]
	ds_load_2addr_b64 v[140:143], v2 offset0:103 offset1:104
	ds_load_2addr_b64 v[144:147], v2 offset0:105 offset1:106
	scratch_load_b64 v[148:149], off, off offset:448
	s_wait_dscnt 0x1
	v_fmac_f64_e32 v[154:155], v[152:153], v[140:141]
	s_wait_loadcnt 0x5
	s_delay_alu instid0(VALU_DEP_1) | instskip(SKIP_1) | instid1(VALU_DEP_1)
	v_fmac_f64_e32 v[154:155], v[120:121], v[142:143]
	s_wait_dscnt 0x0
	v_fmac_f64_e32 v[154:155], v[122:123], v[144:145]
	ds_load_2addr_b64 v[120:123], v2 offset0:107 offset1:108
	ds_load_2addr_b64 v[140:143], v2 offset0:109 offset1:110
	s_wait_loadcnt 0x4
	v_fmac_f64_e32 v[154:155], v[124:125], v[146:147]
	s_wait_dscnt 0x1
	s_delay_alu instid0(VALU_DEP_1) | instskip(SKIP_1) | instid1(VALU_DEP_1)
	v_fmac_f64_e32 v[154:155], v[126:127], v[120:121]
	s_wait_loadcnt 0x3
	v_fmac_f64_e32 v[154:155], v[128:129], v[122:123]
	ds_load_2addr_b64 v[120:123], v2 offset0:111 offset1:112
	ds_load_2addr_b64 v[124:127], v2 offset0:113 offset1:114
	s_wait_dscnt 0x2
	v_fmac_f64_e32 v[154:155], v[130:131], v[140:141]
	s_wait_loadcnt 0x2
	s_delay_alu instid0(VALU_DEP_1) | instskip(SKIP_1) | instid1(VALU_DEP_1)
	v_fmac_f64_e32 v[154:155], v[132:133], v[142:143]
	s_wait_dscnt 0x1
	v_fmac_f64_e32 v[154:155], v[134:135], v[120:121]
	s_wait_loadcnt 0x1
	s_delay_alu instid0(VALU_DEP_1) | instskip(SKIP_1) | instid1(VALU_DEP_1)
	v_fmac_f64_e32 v[154:155], v[136:137], v[122:123]
	s_wait_dscnt 0x0
	v_fmac_f64_e32 v[154:155], v[138:139], v[124:125]
	s_wait_loadcnt 0x0
	s_delay_alu instid0(VALU_DEP_1) | instskip(NEXT) | instid1(VALU_DEP_1)
	v_fmac_f64_e32 v[154:155], v[148:149], v[126:127]
	v_add_f64_e64 v[2:3], v[118:119], -v[154:155]
	scratch_store_b64 off, v[2:3], off offset:256
	s_wait_xcnt 0x0
	v_cmpx_lt_u32_e32 31, v0
	s_cbranch_execz .LBB56_289
; %bb.288:
	scratch_load_b64 v[2:3], off, off offset:248
	v_mov_b64_e32 v[118:119], 0
	scratch_store_b64 off, v[118:119], off offset:248
	s_wait_loadcnt 0x0
	ds_store_b64 v1, v[2:3]
.LBB56_289:
	s_wait_xcnt 0x0
	s_or_b32 exec_lo, exec_lo, s0
	s_wait_storecnt_dscnt 0x0
	s_barrier_signal -1
	s_barrier_wait -1
	s_clause 0x5
	scratch_load_b128 v[118:121], off, off offset:248
	scratch_load_b128 v[122:125], off, off offset:264
	;; [unrolled: 1-line block ×6, first 2 shown]
	v_mov_b32_e32 v2, 0
	ds_load_b128 v[142:145], v2 offset:720
	ds_load_b128 v[146:149], v2 offset:736
	scratch_load_b128 v[150:153], off, off offset:344
	s_mov_b32 s0, exec_lo
	s_wait_loadcnt_dscnt 0x601
	v_fma_f64 v[154:155], v[120:121], v[142:143], 0
	s_wait_loadcnt 0x5
	s_delay_alu instid0(VALU_DEP_1) | instskip(SKIP_4) | instid1(VALU_DEP_1)
	v_fmac_f64_e32 v[154:155], v[122:123], v[144:145]
	scratch_load_b128 v[120:123], off, off offset:360
	s_wait_dscnt 0x0
	v_fmac_f64_e32 v[154:155], v[124:125], v[146:147]
	s_wait_loadcnt 0x5
	v_fmac_f64_e32 v[154:155], v[126:127], v[148:149]
	ds_load_b128 v[124:127], v2 offset:752
	ds_load_b128 v[142:145], v2 offset:768
	s_wait_dscnt 0x1
	v_fmac_f64_e32 v[154:155], v[128:129], v[124:125]
	s_wait_loadcnt 0x4
	s_delay_alu instid0(VALU_DEP_1)
	v_fmac_f64_e32 v[154:155], v[130:131], v[126:127]
	s_clause 0x1
	scratch_load_b128 v[124:127], off, off offset:376
	scratch_load_b128 v[128:131], off, off offset:392
	s_wait_dscnt 0x0
	v_fmac_f64_e32 v[154:155], v[132:133], v[142:143]
	s_wait_loadcnt 0x5
	s_delay_alu instid0(VALU_DEP_1)
	v_fmac_f64_e32 v[154:155], v[134:135], v[144:145]
	ds_load_b128 v[132:135], v2 offset:784
	ds_load_b128 v[142:145], v2 offset:800
	s_wait_dscnt 0x1
	v_fmac_f64_e32 v[154:155], v[136:137], v[132:133]
	s_wait_loadcnt 0x4
	s_delay_alu instid0(VALU_DEP_1)
	v_fmac_f64_e32 v[154:155], v[138:139], v[134:135]
	s_clause 0x1
	scratch_load_b128 v[132:135], off, off offset:408
	scratch_load_b128 v[136:139], off, off offset:424
	s_wait_dscnt 0x0
	v_fmac_f64_e32 v[154:155], v[140:141], v[142:143]
	s_wait_loadcnt 0x5
	s_delay_alu instid0(VALU_DEP_1)
	v_fmac_f64_e32 v[154:155], v[150:151], v[144:145]
	ds_load_b128 v[140:143], v2 offset:816
	ds_load_b128 v[144:147], v2 offset:832
	s_wait_dscnt 0x1
	v_fmac_f64_e32 v[154:155], v[152:153], v[140:141]
	s_wait_loadcnt 0x4
	s_delay_alu instid0(VALU_DEP_1) | instskip(SKIP_4) | instid1(VALU_DEP_1)
	v_fmac_f64_e32 v[154:155], v[120:121], v[142:143]
	scratch_load_b128 v[140:143], off, off offset:440
	s_wait_dscnt 0x0
	v_fmac_f64_e32 v[154:155], v[122:123], v[144:145]
	s_wait_loadcnt 0x4
	v_fmac_f64_e32 v[154:155], v[124:125], v[146:147]
	ds_load_b128 v[120:123], v2 offset:848
	ds_load_b128 v[144:147], v2 offset:864
	s_wait_dscnt 0x1
	v_fmac_f64_e32 v[154:155], v[126:127], v[120:121]
	s_wait_loadcnt 0x3
	s_delay_alu instid0(VALU_DEP_1)
	v_fmac_f64_e32 v[154:155], v[128:129], v[122:123]
	ds_load_b128 v[120:123], v2 offset:880
	ds_load_b128 v[124:127], v2 offset:896
	s_wait_dscnt 0x2
	v_fmac_f64_e32 v[154:155], v[130:131], v[144:145]
	s_wait_loadcnt 0x2
	s_delay_alu instid0(VALU_DEP_1) | instskip(SKIP_1) | instid1(VALU_DEP_1)
	v_fmac_f64_e32 v[154:155], v[132:133], v[146:147]
	s_wait_dscnt 0x1
	v_fmac_f64_e32 v[154:155], v[134:135], v[120:121]
	ds_load_b64 v[120:121], v2 offset:912
	s_wait_loadcnt 0x1
	v_fmac_f64_e32 v[154:155], v[136:137], v[122:123]
	s_wait_dscnt 0x1
	s_delay_alu instid0(VALU_DEP_1) | instskip(SKIP_1) | instid1(VALU_DEP_1)
	v_fmac_f64_e32 v[154:155], v[138:139], v[124:125]
	s_wait_loadcnt 0x0
	v_fmac_f64_e32 v[154:155], v[140:141], v[126:127]
	s_wait_dscnt 0x0
	s_delay_alu instid0(VALU_DEP_1) | instskip(NEXT) | instid1(VALU_DEP_1)
	v_fmac_f64_e32 v[154:155], v[142:143], v[120:121]
	v_add_f64_e64 v[118:119], v[118:119], -v[154:155]
	scratch_store_b64 off, v[118:119], off offset:248
	s_wait_xcnt 0x0
	v_cmpx_lt_u32_e32 30, v0
	s_cbranch_execz .LBB56_291
; %bb.290:
	scratch_load_b64 v[118:119], off, off offset:240
	v_mov_b64_e32 v[120:121], 0
	scratch_store_b64 off, v[120:121], off offset:240
	s_wait_loadcnt 0x0
	ds_store_b64 v1, v[118:119]
.LBB56_291:
	s_wait_xcnt 0x0
	s_or_b32 exec_lo, exec_lo, s0
	s_wait_storecnt_dscnt 0x0
	s_barrier_signal -1
	s_barrier_wait -1
	s_clause 0x5
	scratch_load_b128 v[118:121], off, off offset:240
	scratch_load_b128 v[122:125], off, off offset:256
	;; [unrolled: 1-line block ×6, first 2 shown]
	ds_load_2addr_b64 v[142:145], v2 offset0:89 offset1:90
	ds_load_2addr_b64 v[146:149], v2 offset0:91 offset1:92
	scratch_load_b128 v[150:153], off, off offset:336
	s_mov_b32 s0, exec_lo
	s_wait_loadcnt_dscnt 0x601
	v_fma_f64 v[154:155], v[120:121], v[142:143], 0
	s_wait_loadcnt 0x5
	s_delay_alu instid0(VALU_DEP_1) | instskip(SKIP_4) | instid1(VALU_DEP_1)
	v_fmac_f64_e32 v[154:155], v[122:123], v[144:145]
	scratch_load_b128 v[120:123], off, off offset:352
	s_wait_dscnt 0x0
	v_fmac_f64_e32 v[154:155], v[124:125], v[146:147]
	s_wait_loadcnt 0x5
	v_fmac_f64_e32 v[154:155], v[126:127], v[148:149]
	ds_load_2addr_b64 v[124:127], v2 offset0:93 offset1:94
	ds_load_2addr_b64 v[142:145], v2 offset0:95 offset1:96
	scratch_load_b128 v[146:149], off, off offset:368
	s_wait_dscnt 0x1
	v_fmac_f64_e32 v[154:155], v[128:129], v[124:125]
	s_wait_loadcnt 0x5
	s_delay_alu instid0(VALU_DEP_1) | instskip(SKIP_4) | instid1(VALU_DEP_1)
	v_fmac_f64_e32 v[154:155], v[130:131], v[126:127]
	scratch_load_b128 v[124:127], off, off offset:384
	s_wait_dscnt 0x0
	v_fmac_f64_e32 v[154:155], v[132:133], v[142:143]
	s_wait_loadcnt 0x5
	v_fmac_f64_e32 v[154:155], v[134:135], v[144:145]
	ds_load_2addr_b64 v[128:131], v2 offset0:97 offset1:98
	ds_load_2addr_b64 v[132:135], v2 offset0:99 offset1:100
	s_wait_dscnt 0x1
	v_fmac_f64_e32 v[154:155], v[136:137], v[128:129]
	s_wait_loadcnt 0x4
	s_delay_alu instid0(VALU_DEP_1) | instskip(SKIP_4) | instid1(VALU_DEP_1)
	v_fmac_f64_e32 v[154:155], v[138:139], v[130:131]
	scratch_load_b128 v[128:131], off, off offset:400
	s_wait_dscnt 0x0
	v_fmac_f64_e32 v[154:155], v[140:141], v[132:133]
	s_wait_loadcnt 0x4
	v_fmac_f64_e32 v[154:155], v[150:151], v[134:135]
	scratch_load_b128 v[132:135], off, off offset:416
	ds_load_2addr_b64 v[136:139], v2 offset0:101 offset1:102
	ds_load_2addr_b64 v[140:143], v2 offset0:103 offset1:104
	scratch_load_b64 v[144:145], off, off offset:448
	s_wait_dscnt 0x1
	v_fmac_f64_e32 v[154:155], v[152:153], v[136:137]
	s_wait_loadcnt 0x5
	s_delay_alu instid0(VALU_DEP_1) | instskip(SKIP_4) | instid1(VALU_DEP_1)
	v_fmac_f64_e32 v[154:155], v[120:121], v[138:139]
	scratch_load_b128 v[136:139], off, off offset:432
	s_wait_dscnt 0x0
	v_fmac_f64_e32 v[154:155], v[122:123], v[140:141]
	s_wait_loadcnt 0x5
	v_fmac_f64_e32 v[154:155], v[146:147], v[142:143]
	ds_load_2addr_b64 v[120:123], v2 offset0:105 offset1:106
	ds_load_2addr_b64 v[140:143], v2 offset0:107 offset1:108
	s_wait_dscnt 0x1
	v_fmac_f64_e32 v[154:155], v[148:149], v[120:121]
	s_wait_loadcnt 0x4
	s_delay_alu instid0(VALU_DEP_1) | instskip(SKIP_1) | instid1(VALU_DEP_1)
	v_fmac_f64_e32 v[154:155], v[124:125], v[122:123]
	s_wait_dscnt 0x0
	v_fmac_f64_e32 v[154:155], v[126:127], v[140:141]
	ds_load_2addr_b64 v[120:123], v2 offset0:109 offset1:110
	ds_load_2addr_b64 v[124:127], v2 offset0:111 offset1:112
	s_wait_loadcnt 0x3
	v_fmac_f64_e32 v[154:155], v[128:129], v[142:143]
	s_wait_dscnt 0x1
	s_delay_alu instid0(VALU_DEP_1) | instskip(SKIP_1) | instid1(VALU_DEP_1)
	v_fmac_f64_e32 v[154:155], v[130:131], v[120:121]
	s_wait_loadcnt 0x2
	v_fmac_f64_e32 v[154:155], v[132:133], v[122:123]
	ds_load_2addr_b64 v[120:123], v2 offset0:113 offset1:114
	s_wait_dscnt 0x1
	v_fmac_f64_e32 v[154:155], v[134:135], v[124:125]
	s_wait_loadcnt 0x0
	s_delay_alu instid0(VALU_DEP_1) | instskip(SKIP_1) | instid1(VALU_DEP_1)
	v_fmac_f64_e32 v[154:155], v[136:137], v[126:127]
	s_wait_dscnt 0x0
	v_fmac_f64_e32 v[154:155], v[138:139], v[120:121]
	s_delay_alu instid0(VALU_DEP_1) | instskip(NEXT) | instid1(VALU_DEP_1)
	v_fmac_f64_e32 v[154:155], v[144:145], v[122:123]
	v_add_f64_e64 v[2:3], v[118:119], -v[154:155]
	scratch_store_b64 off, v[2:3], off offset:240
	s_wait_xcnt 0x0
	v_cmpx_lt_u32_e32 29, v0
	s_cbranch_execz .LBB56_293
; %bb.292:
	scratch_load_b64 v[2:3], off, off offset:232
	v_mov_b64_e32 v[118:119], 0
	scratch_store_b64 off, v[118:119], off offset:232
	s_wait_loadcnt 0x0
	ds_store_b64 v1, v[2:3]
.LBB56_293:
	s_wait_xcnt 0x0
	s_or_b32 exec_lo, exec_lo, s0
	s_wait_storecnt_dscnt 0x0
	s_barrier_signal -1
	s_barrier_wait -1
	s_clause 0x5
	scratch_load_b128 v[118:121], off, off offset:232
	scratch_load_b128 v[122:125], off, off offset:248
	;; [unrolled: 1-line block ×6, first 2 shown]
	v_mov_b32_e32 v2, 0
	ds_load_b128 v[142:145], v2 offset:704
	ds_load_b128 v[146:149], v2 offset:720
	scratch_load_b128 v[150:153], off, off offset:328
	s_mov_b32 s0, exec_lo
	s_wait_loadcnt_dscnt 0x601
	v_fma_f64 v[154:155], v[120:121], v[142:143], 0
	s_wait_loadcnt 0x5
	s_delay_alu instid0(VALU_DEP_1) | instskip(SKIP_4) | instid1(VALU_DEP_1)
	v_fmac_f64_e32 v[154:155], v[122:123], v[144:145]
	scratch_load_b128 v[120:123], off, off offset:344
	s_wait_dscnt 0x0
	v_fmac_f64_e32 v[154:155], v[124:125], v[146:147]
	s_wait_loadcnt 0x5
	v_fmac_f64_e32 v[154:155], v[126:127], v[148:149]
	ds_load_b128 v[124:127], v2 offset:736
	ds_load_b128 v[142:145], v2 offset:752
	scratch_load_b128 v[146:149], off, off offset:360
	s_wait_dscnt 0x1
	v_fmac_f64_e32 v[154:155], v[128:129], v[124:125]
	s_wait_loadcnt 0x5
	s_delay_alu instid0(VALU_DEP_1) | instskip(SKIP_4) | instid1(VALU_DEP_1)
	v_fmac_f64_e32 v[154:155], v[130:131], v[126:127]
	scratch_load_b128 v[124:127], off, off offset:376
	s_wait_dscnt 0x0
	v_fmac_f64_e32 v[154:155], v[132:133], v[142:143]
	s_wait_loadcnt 0x5
	v_fmac_f64_e32 v[154:155], v[134:135], v[144:145]
	ds_load_b128 v[128:131], v2 offset:768
	ds_load_b128 v[132:135], v2 offset:784
	s_wait_dscnt 0x1
	v_fmac_f64_e32 v[154:155], v[136:137], v[128:129]
	s_wait_loadcnt 0x4
	s_delay_alu instid0(VALU_DEP_1) | instskip(SKIP_4) | instid1(VALU_DEP_1)
	v_fmac_f64_e32 v[154:155], v[138:139], v[130:131]
	scratch_load_b128 v[128:131], off, off offset:392
	s_wait_dscnt 0x0
	v_fmac_f64_e32 v[154:155], v[140:141], v[132:133]
	s_wait_loadcnt 0x4
	v_fmac_f64_e32 v[154:155], v[150:151], v[134:135]
	scratch_load_b128 v[132:135], off, off offset:408
	ds_load_b128 v[136:139], v2 offset:800
	ds_load_b128 v[140:143], v2 offset:816
	s_wait_dscnt 0x1
	v_fmac_f64_e32 v[154:155], v[152:153], v[136:137]
	s_wait_loadcnt 0x4
	s_delay_alu instid0(VALU_DEP_1)
	v_fmac_f64_e32 v[154:155], v[120:121], v[138:139]
	scratch_load_b128 v[136:139], off, off offset:424
	s_wait_dscnt 0x0
	v_fmac_f64_e32 v[154:155], v[122:123], v[140:141]
	scratch_load_b128 v[120:123], off, off offset:440
	s_wait_loadcnt 0x5
	v_fmac_f64_e32 v[154:155], v[146:147], v[142:143]
	ds_load_b128 v[140:143], v2 offset:832
	ds_load_b128 v[144:147], v2 offset:848
	s_wait_dscnt 0x1
	v_fmac_f64_e32 v[154:155], v[148:149], v[140:141]
	s_wait_loadcnt 0x4
	s_delay_alu instid0(VALU_DEP_1) | instskip(SKIP_1) | instid1(VALU_DEP_1)
	v_fmac_f64_e32 v[154:155], v[124:125], v[142:143]
	s_wait_dscnt 0x0
	v_fmac_f64_e32 v[154:155], v[126:127], v[144:145]
	ds_load_b128 v[124:127], v2 offset:864
	ds_load_b128 v[140:143], v2 offset:880
	s_wait_loadcnt 0x3
	v_fmac_f64_e32 v[154:155], v[128:129], v[146:147]
	s_wait_dscnt 0x1
	s_delay_alu instid0(VALU_DEP_1) | instskip(SKIP_1) | instid1(VALU_DEP_1)
	v_fmac_f64_e32 v[154:155], v[130:131], v[124:125]
	s_wait_loadcnt 0x2
	v_fmac_f64_e32 v[154:155], v[132:133], v[126:127]
	ds_load_b128 v[124:127], v2 offset:896
	ds_load_b64 v[128:129], v2 offset:912
	s_wait_dscnt 0x2
	v_fmac_f64_e32 v[154:155], v[134:135], v[140:141]
	s_wait_loadcnt 0x1
	s_delay_alu instid0(VALU_DEP_1) | instskip(SKIP_1) | instid1(VALU_DEP_1)
	v_fmac_f64_e32 v[154:155], v[136:137], v[142:143]
	s_wait_dscnt 0x1
	v_fmac_f64_e32 v[154:155], v[138:139], v[124:125]
	s_wait_loadcnt 0x0
	s_delay_alu instid0(VALU_DEP_1) | instskip(SKIP_1) | instid1(VALU_DEP_1)
	v_fmac_f64_e32 v[154:155], v[120:121], v[126:127]
	s_wait_dscnt 0x0
	v_fmac_f64_e32 v[154:155], v[122:123], v[128:129]
	s_delay_alu instid0(VALU_DEP_1)
	v_add_f64_e64 v[118:119], v[118:119], -v[154:155]
	scratch_store_b64 off, v[118:119], off offset:232
	s_wait_xcnt 0x0
	v_cmpx_lt_u32_e32 28, v0
	s_cbranch_execz .LBB56_295
; %bb.294:
	scratch_load_b64 v[118:119], off, off offset:224
	v_mov_b64_e32 v[120:121], 0
	scratch_store_b64 off, v[120:121], off offset:224
	s_wait_loadcnt 0x0
	ds_store_b64 v1, v[118:119]
.LBB56_295:
	s_wait_xcnt 0x0
	s_or_b32 exec_lo, exec_lo, s0
	s_wait_storecnt_dscnt 0x0
	s_barrier_signal -1
	s_barrier_wait -1
	s_clause 0x5
	scratch_load_b128 v[118:121], off, off offset:224
	scratch_load_b128 v[122:125], off, off offset:240
	;; [unrolled: 1-line block ×6, first 2 shown]
	ds_load_2addr_b64 v[142:145], v2 offset0:87 offset1:88
	ds_load_2addr_b64 v[146:149], v2 offset0:89 offset1:90
	scratch_load_b128 v[150:153], off, off offset:320
	s_mov_b32 s0, exec_lo
	s_wait_loadcnt_dscnt 0x601
	v_fma_f64 v[154:155], v[120:121], v[142:143], 0
	s_wait_loadcnt 0x5
	s_delay_alu instid0(VALU_DEP_1) | instskip(SKIP_4) | instid1(VALU_DEP_1)
	v_fmac_f64_e32 v[154:155], v[122:123], v[144:145]
	scratch_load_b128 v[120:123], off, off offset:336
	s_wait_dscnt 0x0
	v_fmac_f64_e32 v[154:155], v[124:125], v[146:147]
	s_wait_loadcnt 0x5
	v_fmac_f64_e32 v[154:155], v[126:127], v[148:149]
	ds_load_2addr_b64 v[124:127], v2 offset0:91 offset1:92
	ds_load_2addr_b64 v[142:145], v2 offset0:93 offset1:94
	scratch_load_b128 v[146:149], off, off offset:352
	s_wait_dscnt 0x1
	v_fmac_f64_e32 v[154:155], v[128:129], v[124:125]
	s_wait_loadcnt 0x5
	s_delay_alu instid0(VALU_DEP_1) | instskip(SKIP_4) | instid1(VALU_DEP_1)
	v_fmac_f64_e32 v[154:155], v[130:131], v[126:127]
	scratch_load_b128 v[124:127], off, off offset:368
	s_wait_dscnt 0x0
	v_fmac_f64_e32 v[154:155], v[132:133], v[142:143]
	s_wait_loadcnt 0x5
	v_fmac_f64_e32 v[154:155], v[134:135], v[144:145]
	ds_load_2addr_b64 v[128:131], v2 offset0:95 offset1:96
	ds_load_2addr_b64 v[132:135], v2 offset0:97 offset1:98
	s_wait_dscnt 0x1
	v_fmac_f64_e32 v[154:155], v[136:137], v[128:129]
	s_wait_loadcnt 0x4
	s_delay_alu instid0(VALU_DEP_1) | instskip(SKIP_4) | instid1(VALU_DEP_1)
	v_fmac_f64_e32 v[154:155], v[138:139], v[130:131]
	scratch_load_b128 v[128:131], off, off offset:384
	s_wait_dscnt 0x0
	v_fmac_f64_e32 v[154:155], v[140:141], v[132:133]
	s_wait_loadcnt 0x4
	v_fmac_f64_e32 v[154:155], v[150:151], v[134:135]
	scratch_load_b128 v[132:135], off, off offset:400
	ds_load_2addr_b64 v[136:139], v2 offset0:99 offset1:100
	ds_load_2addr_b64 v[140:143], v2 offset0:101 offset1:102
	s_wait_dscnt 0x1
	v_fmac_f64_e32 v[154:155], v[152:153], v[136:137]
	s_wait_loadcnt 0x4
	s_delay_alu instid0(VALU_DEP_1)
	v_fmac_f64_e32 v[154:155], v[120:121], v[138:139]
	scratch_load_b128 v[136:139], off, off offset:416
	s_wait_dscnt 0x0
	v_fmac_f64_e32 v[154:155], v[122:123], v[140:141]
	scratch_load_b128 v[120:123], off, off offset:432
	s_wait_loadcnt 0x5
	v_fmac_f64_e32 v[154:155], v[146:147], v[142:143]
	ds_load_2addr_b64 v[140:143], v2 offset0:103 offset1:104
	ds_load_2addr_b64 v[144:147], v2 offset0:105 offset1:106
	s_wait_dscnt 0x1
	v_fmac_f64_e32 v[154:155], v[148:149], v[140:141]
	scratch_load_b64 v[148:149], off, off offset:448
	s_wait_loadcnt 0x5
	v_fmac_f64_e32 v[154:155], v[124:125], v[142:143]
	s_wait_dscnt 0x0
	s_delay_alu instid0(VALU_DEP_1)
	v_fmac_f64_e32 v[154:155], v[126:127], v[144:145]
	ds_load_2addr_b64 v[124:127], v2 offset0:107 offset1:108
	ds_load_2addr_b64 v[140:143], v2 offset0:109 offset1:110
	s_wait_loadcnt 0x4
	v_fmac_f64_e32 v[154:155], v[128:129], v[146:147]
	s_wait_dscnt 0x1
	s_delay_alu instid0(VALU_DEP_1) | instskip(SKIP_1) | instid1(VALU_DEP_1)
	v_fmac_f64_e32 v[154:155], v[130:131], v[124:125]
	s_wait_loadcnt 0x3
	v_fmac_f64_e32 v[154:155], v[132:133], v[126:127]
	ds_load_2addr_b64 v[124:127], v2 offset0:111 offset1:112
	ds_load_2addr_b64 v[128:131], v2 offset0:113 offset1:114
	s_wait_dscnt 0x2
	v_fmac_f64_e32 v[154:155], v[134:135], v[140:141]
	s_wait_loadcnt 0x2
	s_delay_alu instid0(VALU_DEP_1) | instskip(SKIP_1) | instid1(VALU_DEP_1)
	v_fmac_f64_e32 v[154:155], v[136:137], v[142:143]
	s_wait_dscnt 0x1
	v_fmac_f64_e32 v[154:155], v[138:139], v[124:125]
	s_wait_loadcnt 0x1
	s_delay_alu instid0(VALU_DEP_1) | instskip(SKIP_1) | instid1(VALU_DEP_1)
	v_fmac_f64_e32 v[154:155], v[120:121], v[126:127]
	s_wait_dscnt 0x0
	v_fmac_f64_e32 v[154:155], v[122:123], v[128:129]
	s_wait_loadcnt 0x0
	s_delay_alu instid0(VALU_DEP_1) | instskip(NEXT) | instid1(VALU_DEP_1)
	v_fmac_f64_e32 v[154:155], v[148:149], v[130:131]
	v_add_f64_e64 v[2:3], v[118:119], -v[154:155]
	scratch_store_b64 off, v[2:3], off offset:224
	s_wait_xcnt 0x0
	v_cmpx_lt_u32_e32 27, v0
	s_cbranch_execz .LBB56_297
; %bb.296:
	scratch_load_b64 v[2:3], off, off offset:216
	v_mov_b64_e32 v[118:119], 0
	scratch_store_b64 off, v[118:119], off offset:216
	s_wait_loadcnt 0x0
	ds_store_b64 v1, v[2:3]
.LBB56_297:
	s_wait_xcnt 0x0
	s_or_b32 exec_lo, exec_lo, s0
	s_wait_storecnt_dscnt 0x0
	s_barrier_signal -1
	s_barrier_wait -1
	s_clause 0x5
	scratch_load_b128 v[118:121], off, off offset:216
	scratch_load_b128 v[122:125], off, off offset:232
	;; [unrolled: 1-line block ×6, first 2 shown]
	v_mov_b32_e32 v2, 0
	ds_load_b128 v[142:145], v2 offset:688
	ds_load_b128 v[146:149], v2 offset:704
	scratch_load_b128 v[150:153], off, off offset:312
	s_mov_b32 s0, exec_lo
	s_wait_loadcnt_dscnt 0x601
	v_fma_f64 v[154:155], v[120:121], v[142:143], 0
	s_wait_loadcnt 0x5
	s_delay_alu instid0(VALU_DEP_1) | instskip(SKIP_4) | instid1(VALU_DEP_1)
	v_fmac_f64_e32 v[154:155], v[122:123], v[144:145]
	scratch_load_b128 v[120:123], off, off offset:328
	s_wait_dscnt 0x0
	v_fmac_f64_e32 v[154:155], v[124:125], v[146:147]
	s_wait_loadcnt 0x5
	v_fmac_f64_e32 v[154:155], v[126:127], v[148:149]
	ds_load_b128 v[124:127], v2 offset:720
	ds_load_b128 v[142:145], v2 offset:736
	scratch_load_b128 v[146:149], off, off offset:344
	s_wait_dscnt 0x1
	v_fmac_f64_e32 v[154:155], v[128:129], v[124:125]
	s_wait_loadcnt 0x5
	s_delay_alu instid0(VALU_DEP_1) | instskip(SKIP_4) | instid1(VALU_DEP_1)
	v_fmac_f64_e32 v[154:155], v[130:131], v[126:127]
	scratch_load_b128 v[124:127], off, off offset:360
	s_wait_dscnt 0x0
	v_fmac_f64_e32 v[154:155], v[132:133], v[142:143]
	s_wait_loadcnt 0x5
	v_fmac_f64_e32 v[154:155], v[134:135], v[144:145]
	ds_load_b128 v[128:131], v2 offset:752
	ds_load_b128 v[132:135], v2 offset:768
	s_wait_dscnt 0x1
	v_fmac_f64_e32 v[154:155], v[136:137], v[128:129]
	s_wait_loadcnt 0x4
	s_delay_alu instid0(VALU_DEP_1) | instskip(SKIP_4) | instid1(VALU_DEP_1)
	v_fmac_f64_e32 v[154:155], v[138:139], v[130:131]
	scratch_load_b128 v[128:131], off, off offset:376
	s_wait_dscnt 0x0
	v_fmac_f64_e32 v[154:155], v[140:141], v[132:133]
	s_wait_loadcnt 0x4
	v_fmac_f64_e32 v[154:155], v[150:151], v[134:135]
	scratch_load_b128 v[132:135], off, off offset:392
	ds_load_b128 v[136:139], v2 offset:784
	ds_load_b128 v[140:143], v2 offset:800
	s_wait_dscnt 0x1
	v_fmac_f64_e32 v[154:155], v[152:153], v[136:137]
	s_wait_loadcnt 0x4
	s_delay_alu instid0(VALU_DEP_1)
	v_fmac_f64_e32 v[154:155], v[120:121], v[138:139]
	scratch_load_b128 v[136:139], off, off offset:408
	s_wait_dscnt 0x0
	v_fmac_f64_e32 v[154:155], v[122:123], v[140:141]
	scratch_load_b128 v[120:123], off, off offset:424
	s_wait_loadcnt 0x5
	v_fmac_f64_e32 v[154:155], v[146:147], v[142:143]
	ds_load_b128 v[140:143], v2 offset:816
	ds_load_b128 v[144:147], v2 offset:832
	s_wait_dscnt 0x1
	v_fmac_f64_e32 v[154:155], v[148:149], v[140:141]
	s_wait_loadcnt 0x4
	s_delay_alu instid0(VALU_DEP_1) | instskip(SKIP_4) | instid1(VALU_DEP_1)
	v_fmac_f64_e32 v[154:155], v[124:125], v[142:143]
	scratch_load_b128 v[140:143], off, off offset:440
	s_wait_dscnt 0x0
	v_fmac_f64_e32 v[154:155], v[126:127], v[144:145]
	s_wait_loadcnt 0x4
	v_fmac_f64_e32 v[154:155], v[128:129], v[146:147]
	ds_load_b128 v[124:127], v2 offset:848
	ds_load_b128 v[144:147], v2 offset:864
	s_wait_dscnt 0x1
	v_fmac_f64_e32 v[154:155], v[130:131], v[124:125]
	s_wait_loadcnt 0x3
	s_delay_alu instid0(VALU_DEP_1)
	v_fmac_f64_e32 v[154:155], v[132:133], v[126:127]
	ds_load_b128 v[124:127], v2 offset:880
	ds_load_b128 v[128:131], v2 offset:896
	s_wait_dscnt 0x2
	v_fmac_f64_e32 v[154:155], v[134:135], v[144:145]
	s_wait_loadcnt 0x2
	s_delay_alu instid0(VALU_DEP_1) | instskip(SKIP_1) | instid1(VALU_DEP_1)
	v_fmac_f64_e32 v[154:155], v[136:137], v[146:147]
	s_wait_dscnt 0x1
	v_fmac_f64_e32 v[154:155], v[138:139], v[124:125]
	s_wait_loadcnt 0x1
	s_delay_alu instid0(VALU_DEP_1) | instskip(SKIP_4) | instid1(VALU_DEP_1)
	v_fmac_f64_e32 v[154:155], v[120:121], v[126:127]
	ds_load_b64 v[120:121], v2 offset:912
	s_wait_dscnt 0x1
	v_fmac_f64_e32 v[154:155], v[122:123], v[128:129]
	s_wait_loadcnt 0x0
	v_fmac_f64_e32 v[154:155], v[140:141], v[130:131]
	s_wait_dscnt 0x0
	s_delay_alu instid0(VALU_DEP_1) | instskip(NEXT) | instid1(VALU_DEP_1)
	v_fmac_f64_e32 v[154:155], v[142:143], v[120:121]
	v_add_f64_e64 v[118:119], v[118:119], -v[154:155]
	scratch_store_b64 off, v[118:119], off offset:216
	s_wait_xcnt 0x0
	v_cmpx_lt_u32_e32 26, v0
	s_cbranch_execz .LBB56_299
; %bb.298:
	scratch_load_b64 v[118:119], off, off offset:208
	v_mov_b64_e32 v[120:121], 0
	scratch_store_b64 off, v[120:121], off offset:208
	s_wait_loadcnt 0x0
	ds_store_b64 v1, v[118:119]
.LBB56_299:
	s_wait_xcnt 0x0
	s_or_b32 exec_lo, exec_lo, s0
	s_wait_storecnt_dscnt 0x0
	s_barrier_signal -1
	s_barrier_wait -1
	s_clause 0x5
	scratch_load_b128 v[118:121], off, off offset:208
	scratch_load_b128 v[122:125], off, off offset:224
	;; [unrolled: 1-line block ×6, first 2 shown]
	ds_load_2addr_b64 v[142:145], v2 offset0:85 offset1:86
	ds_load_2addr_b64 v[146:149], v2 offset0:87 offset1:88
	scratch_load_b128 v[150:153], off, off offset:304
	s_mov_b32 s0, exec_lo
	s_wait_loadcnt_dscnt 0x601
	v_fma_f64 v[154:155], v[120:121], v[142:143], 0
	s_wait_loadcnt 0x5
	s_delay_alu instid0(VALU_DEP_1) | instskip(SKIP_4) | instid1(VALU_DEP_1)
	v_fmac_f64_e32 v[154:155], v[122:123], v[144:145]
	scratch_load_b128 v[120:123], off, off offset:320
	s_wait_dscnt 0x0
	v_fmac_f64_e32 v[154:155], v[124:125], v[146:147]
	s_wait_loadcnt 0x5
	v_fmac_f64_e32 v[154:155], v[126:127], v[148:149]
	ds_load_2addr_b64 v[124:127], v2 offset0:89 offset1:90
	ds_load_2addr_b64 v[142:145], v2 offset0:91 offset1:92
	scratch_load_b128 v[146:149], off, off offset:336
	s_wait_dscnt 0x1
	v_fmac_f64_e32 v[154:155], v[128:129], v[124:125]
	s_wait_loadcnt 0x5
	s_delay_alu instid0(VALU_DEP_1) | instskip(SKIP_4) | instid1(VALU_DEP_1)
	v_fmac_f64_e32 v[154:155], v[130:131], v[126:127]
	scratch_load_b128 v[124:127], off, off offset:352
	s_wait_dscnt 0x0
	v_fmac_f64_e32 v[154:155], v[132:133], v[142:143]
	s_wait_loadcnt 0x5
	v_fmac_f64_e32 v[154:155], v[134:135], v[144:145]
	ds_load_2addr_b64 v[128:131], v2 offset0:93 offset1:94
	ds_load_2addr_b64 v[132:135], v2 offset0:95 offset1:96
	scratch_load_b128 v[142:145], off, off offset:368
	s_wait_dscnt 0x1
	v_fmac_f64_e32 v[154:155], v[136:137], v[128:129]
	s_wait_loadcnt 0x5
	s_delay_alu instid0(VALU_DEP_1) | instskip(SKIP_4) | instid1(VALU_DEP_1)
	v_fmac_f64_e32 v[154:155], v[138:139], v[130:131]
	scratch_load_b128 v[128:131], off, off offset:384
	s_wait_dscnt 0x0
	v_fmac_f64_e32 v[154:155], v[140:141], v[132:133]
	s_wait_loadcnt 0x5
	v_fmac_f64_e32 v[154:155], v[150:151], v[134:135]
	ds_load_2addr_b64 v[132:135], v2 offset0:97 offset1:98
	ds_load_2addr_b64 v[136:139], v2 offset0:99 offset1:100
	s_wait_dscnt 0x1
	v_fmac_f64_e32 v[154:155], v[152:153], v[132:133]
	s_wait_loadcnt 0x4
	s_delay_alu instid0(VALU_DEP_1)
	v_fmac_f64_e32 v[154:155], v[120:121], v[134:135]
	scratch_load_b128 v[132:135], off, off offset:400
	s_wait_dscnt 0x0
	v_fmac_f64_e32 v[154:155], v[122:123], v[136:137]
	scratch_load_b128 v[120:123], off, off offset:416
	s_wait_loadcnt 0x5
	v_fmac_f64_e32 v[154:155], v[146:147], v[138:139]
	ds_load_2addr_b64 v[136:139], v2 offset0:101 offset1:102
	ds_load_2addr_b64 v[150:153], v2 offset0:103 offset1:104
	scratch_load_b64 v[146:147], off, off offset:448
	s_wait_dscnt 0x1
	v_fmac_f64_e32 v[154:155], v[148:149], v[136:137]
	s_wait_loadcnt 0x5
	s_delay_alu instid0(VALU_DEP_1) | instskip(SKIP_4) | instid1(VALU_DEP_1)
	v_fmac_f64_e32 v[154:155], v[124:125], v[138:139]
	scratch_load_b128 v[136:139], off, off offset:432
	s_wait_dscnt 0x0
	v_fmac_f64_e32 v[154:155], v[126:127], v[150:151]
	s_wait_loadcnt 0x5
	v_fmac_f64_e32 v[154:155], v[142:143], v[152:153]
	ds_load_2addr_b64 v[124:127], v2 offset0:105 offset1:106
	ds_load_2addr_b64 v[140:143], v2 offset0:107 offset1:108
	s_wait_dscnt 0x1
	v_fmac_f64_e32 v[154:155], v[144:145], v[124:125]
	s_wait_loadcnt 0x4
	s_delay_alu instid0(VALU_DEP_1) | instskip(SKIP_1) | instid1(VALU_DEP_1)
	v_fmac_f64_e32 v[154:155], v[128:129], v[126:127]
	s_wait_dscnt 0x0
	v_fmac_f64_e32 v[154:155], v[130:131], v[140:141]
	ds_load_2addr_b64 v[124:127], v2 offset0:109 offset1:110
	ds_load_2addr_b64 v[128:131], v2 offset0:111 offset1:112
	s_wait_loadcnt 0x3
	v_fmac_f64_e32 v[154:155], v[132:133], v[142:143]
	s_wait_dscnt 0x1
	s_delay_alu instid0(VALU_DEP_1) | instskip(SKIP_1) | instid1(VALU_DEP_1)
	v_fmac_f64_e32 v[154:155], v[134:135], v[124:125]
	s_wait_loadcnt 0x2
	v_fmac_f64_e32 v[154:155], v[120:121], v[126:127]
	s_wait_dscnt 0x0
	s_delay_alu instid0(VALU_DEP_1) | instskip(SKIP_4) | instid1(VALU_DEP_1)
	v_fmac_f64_e32 v[154:155], v[122:123], v[128:129]
	ds_load_2addr_b64 v[120:123], v2 offset0:113 offset1:114
	s_wait_loadcnt 0x0
	v_fmac_f64_e32 v[154:155], v[136:137], v[130:131]
	s_wait_dscnt 0x0
	v_fmac_f64_e32 v[154:155], v[138:139], v[120:121]
	s_delay_alu instid0(VALU_DEP_1) | instskip(NEXT) | instid1(VALU_DEP_1)
	v_fmac_f64_e32 v[154:155], v[146:147], v[122:123]
	v_add_f64_e64 v[2:3], v[118:119], -v[154:155]
	scratch_store_b64 off, v[2:3], off offset:208
	s_wait_xcnt 0x0
	v_cmpx_lt_u32_e32 25, v0
	s_cbranch_execz .LBB56_301
; %bb.300:
	scratch_load_b64 v[2:3], off, off offset:200
	v_mov_b64_e32 v[118:119], 0
	scratch_store_b64 off, v[118:119], off offset:200
	s_wait_loadcnt 0x0
	ds_store_b64 v1, v[2:3]
.LBB56_301:
	s_wait_xcnt 0x0
	s_or_b32 exec_lo, exec_lo, s0
	s_wait_storecnt_dscnt 0x0
	s_barrier_signal -1
	s_barrier_wait -1
	s_clause 0x5
	scratch_load_b128 v[118:121], off, off offset:200
	scratch_load_b128 v[122:125], off, off offset:216
	;; [unrolled: 1-line block ×6, first 2 shown]
	v_mov_b32_e32 v2, 0
	ds_load_b128 v[142:145], v2 offset:672
	ds_load_b128 v[146:149], v2 offset:688
	scratch_load_b128 v[150:153], off, off offset:296
	s_mov_b32 s0, exec_lo
	s_wait_loadcnt_dscnt 0x601
	v_fma_f64 v[154:155], v[120:121], v[142:143], 0
	s_wait_loadcnt 0x5
	s_delay_alu instid0(VALU_DEP_1) | instskip(SKIP_4) | instid1(VALU_DEP_1)
	v_fmac_f64_e32 v[154:155], v[122:123], v[144:145]
	scratch_load_b128 v[120:123], off, off offset:312
	s_wait_dscnt 0x0
	v_fmac_f64_e32 v[154:155], v[124:125], v[146:147]
	s_wait_loadcnt 0x5
	v_fmac_f64_e32 v[154:155], v[126:127], v[148:149]
	ds_load_b128 v[124:127], v2 offset:704
	ds_load_b128 v[142:145], v2 offset:720
	scratch_load_b128 v[146:149], off, off offset:328
	s_wait_dscnt 0x1
	v_fmac_f64_e32 v[154:155], v[128:129], v[124:125]
	s_wait_loadcnt 0x5
	s_delay_alu instid0(VALU_DEP_1) | instskip(SKIP_4) | instid1(VALU_DEP_1)
	v_fmac_f64_e32 v[154:155], v[130:131], v[126:127]
	scratch_load_b128 v[124:127], off, off offset:344
	s_wait_dscnt 0x0
	v_fmac_f64_e32 v[154:155], v[132:133], v[142:143]
	s_wait_loadcnt 0x5
	v_fmac_f64_e32 v[154:155], v[134:135], v[144:145]
	ds_load_b128 v[128:131], v2 offset:736
	ds_load_b128 v[132:135], v2 offset:752
	scratch_load_b128 v[142:145], off, off offset:360
	s_wait_dscnt 0x1
	v_fmac_f64_e32 v[154:155], v[136:137], v[128:129]
	s_wait_loadcnt 0x5
	s_delay_alu instid0(VALU_DEP_1) | instskip(SKIP_4) | instid1(VALU_DEP_1)
	v_fmac_f64_e32 v[154:155], v[138:139], v[130:131]
	scratch_load_b128 v[128:131], off, off offset:376
	s_wait_dscnt 0x0
	v_fmac_f64_e32 v[154:155], v[140:141], v[132:133]
	s_wait_loadcnt 0x5
	v_fmac_f64_e32 v[154:155], v[150:151], v[134:135]
	ds_load_b128 v[132:135], v2 offset:768
	ds_load_b128 v[136:139], v2 offset:784
	s_wait_dscnt 0x1
	v_fmac_f64_e32 v[154:155], v[152:153], v[132:133]
	s_wait_loadcnt 0x4
	s_delay_alu instid0(VALU_DEP_1)
	v_fmac_f64_e32 v[154:155], v[120:121], v[134:135]
	scratch_load_b128 v[132:135], off, off offset:392
	s_wait_dscnt 0x0
	v_fmac_f64_e32 v[154:155], v[122:123], v[136:137]
	scratch_load_b128 v[120:123], off, off offset:408
	s_wait_loadcnt 0x5
	v_fmac_f64_e32 v[154:155], v[146:147], v[138:139]
	ds_load_b128 v[136:139], v2 offset:800
	ds_load_b128 v[150:153], v2 offset:816
	s_wait_dscnt 0x1
	v_fmac_f64_e32 v[154:155], v[148:149], v[136:137]
	s_wait_loadcnt 0x4
	s_delay_alu instid0(VALU_DEP_1)
	v_fmac_f64_e32 v[154:155], v[124:125], v[138:139]
	scratch_load_b128 v[136:139], off, off offset:424
	s_wait_dscnt 0x0
	v_fmac_f64_e32 v[154:155], v[126:127], v[150:151]
	scratch_load_b128 v[124:127], off, off offset:440
	s_wait_loadcnt 0x5
	v_fmac_f64_e32 v[154:155], v[142:143], v[152:153]
	ds_load_b128 v[140:143], v2 offset:832
	ds_load_b128 v[146:149], v2 offset:848
	s_wait_dscnt 0x1
	v_fmac_f64_e32 v[154:155], v[144:145], v[140:141]
	s_wait_loadcnt 0x4
	s_delay_alu instid0(VALU_DEP_1) | instskip(SKIP_1) | instid1(VALU_DEP_1)
	v_fmac_f64_e32 v[154:155], v[128:129], v[142:143]
	s_wait_dscnt 0x0
	v_fmac_f64_e32 v[154:155], v[130:131], v[146:147]
	ds_load_b128 v[128:131], v2 offset:864
	ds_load_b128 v[140:143], v2 offset:880
	s_wait_loadcnt 0x3
	v_fmac_f64_e32 v[154:155], v[132:133], v[148:149]
	s_wait_dscnt 0x1
	s_delay_alu instid0(VALU_DEP_1) | instskip(SKIP_1) | instid1(VALU_DEP_1)
	v_fmac_f64_e32 v[154:155], v[134:135], v[128:129]
	s_wait_loadcnt 0x2
	v_fmac_f64_e32 v[154:155], v[120:121], v[130:131]
	s_wait_dscnt 0x0
	s_delay_alu instid0(VALU_DEP_1)
	v_fmac_f64_e32 v[154:155], v[122:123], v[140:141]
	ds_load_b128 v[120:123], v2 offset:896
	ds_load_b64 v[128:129], v2 offset:912
	s_wait_loadcnt 0x1
	v_fmac_f64_e32 v[154:155], v[136:137], v[142:143]
	s_wait_dscnt 0x1
	s_delay_alu instid0(VALU_DEP_1) | instskip(SKIP_1) | instid1(VALU_DEP_1)
	v_fmac_f64_e32 v[154:155], v[138:139], v[120:121]
	s_wait_loadcnt 0x0
	v_fmac_f64_e32 v[154:155], v[124:125], v[122:123]
	s_wait_dscnt 0x0
	s_delay_alu instid0(VALU_DEP_1) | instskip(NEXT) | instid1(VALU_DEP_1)
	v_fmac_f64_e32 v[154:155], v[126:127], v[128:129]
	v_add_f64_e64 v[118:119], v[118:119], -v[154:155]
	scratch_store_b64 off, v[118:119], off offset:200
	s_wait_xcnt 0x0
	v_cmpx_lt_u32_e32 24, v0
	s_cbranch_execz .LBB56_303
; %bb.302:
	scratch_load_b64 v[118:119], off, off offset:192
	v_mov_b64_e32 v[120:121], 0
	scratch_store_b64 off, v[120:121], off offset:192
	s_wait_loadcnt 0x0
	ds_store_b64 v1, v[118:119]
.LBB56_303:
	s_wait_xcnt 0x0
	s_or_b32 exec_lo, exec_lo, s0
	s_wait_storecnt_dscnt 0x0
	s_barrier_signal -1
	s_barrier_wait -1
	s_clause 0x5
	scratch_load_b128 v[118:121], off, off offset:192
	scratch_load_b128 v[122:125], off, off offset:208
	;; [unrolled: 1-line block ×6, first 2 shown]
	ds_load_2addr_b64 v[142:145], v2 offset0:83 offset1:84
	ds_load_2addr_b64 v[146:149], v2 offset0:85 offset1:86
	scratch_load_b128 v[150:153], off, off offset:288
	s_mov_b32 s0, exec_lo
	s_wait_loadcnt_dscnt 0x601
	v_fma_f64 v[154:155], v[120:121], v[142:143], 0
	s_wait_loadcnt 0x5
	s_delay_alu instid0(VALU_DEP_1) | instskip(SKIP_4) | instid1(VALU_DEP_1)
	v_fmac_f64_e32 v[154:155], v[122:123], v[144:145]
	scratch_load_b128 v[120:123], off, off offset:304
	s_wait_dscnt 0x0
	v_fmac_f64_e32 v[154:155], v[124:125], v[146:147]
	s_wait_loadcnt 0x5
	v_fmac_f64_e32 v[154:155], v[126:127], v[148:149]
	ds_load_2addr_b64 v[124:127], v2 offset0:87 offset1:88
	ds_load_2addr_b64 v[142:145], v2 offset0:89 offset1:90
	scratch_load_b128 v[146:149], off, off offset:320
	s_wait_dscnt 0x1
	v_fmac_f64_e32 v[154:155], v[128:129], v[124:125]
	s_wait_loadcnt 0x5
	s_delay_alu instid0(VALU_DEP_1) | instskip(SKIP_4) | instid1(VALU_DEP_1)
	v_fmac_f64_e32 v[154:155], v[130:131], v[126:127]
	scratch_load_b128 v[124:127], off, off offset:336
	s_wait_dscnt 0x0
	v_fmac_f64_e32 v[154:155], v[132:133], v[142:143]
	s_wait_loadcnt 0x5
	v_fmac_f64_e32 v[154:155], v[134:135], v[144:145]
	ds_load_2addr_b64 v[128:131], v2 offset0:91 offset1:92
	ds_load_2addr_b64 v[132:135], v2 offset0:93 offset1:94
	scratch_load_b128 v[142:145], off, off offset:352
	s_wait_dscnt 0x1
	v_fmac_f64_e32 v[154:155], v[136:137], v[128:129]
	s_wait_loadcnt 0x5
	s_delay_alu instid0(VALU_DEP_1) | instskip(SKIP_4) | instid1(VALU_DEP_1)
	v_fmac_f64_e32 v[154:155], v[138:139], v[130:131]
	scratch_load_b128 v[128:131], off, off offset:368
	s_wait_dscnt 0x0
	v_fmac_f64_e32 v[154:155], v[140:141], v[132:133]
	s_wait_loadcnt 0x5
	v_fmac_f64_e32 v[154:155], v[150:151], v[134:135]
	ds_load_2addr_b64 v[132:135], v2 offset0:95 offset1:96
	ds_load_2addr_b64 v[136:139], v2 offset0:97 offset1:98
	s_wait_dscnt 0x1
	v_fmac_f64_e32 v[154:155], v[152:153], v[132:133]
	s_wait_loadcnt 0x4
	s_delay_alu instid0(VALU_DEP_1)
	v_fmac_f64_e32 v[154:155], v[120:121], v[134:135]
	scratch_load_b128 v[132:135], off, off offset:384
	s_wait_dscnt 0x0
	v_fmac_f64_e32 v[154:155], v[122:123], v[136:137]
	scratch_load_b128 v[120:123], off, off offset:400
	s_wait_loadcnt 0x5
	v_fmac_f64_e32 v[154:155], v[146:147], v[138:139]
	ds_load_2addr_b64 v[136:139], v2 offset0:99 offset1:100
	ds_load_2addr_b64 v[150:153], v2 offset0:101 offset1:102
	s_wait_dscnt 0x1
	v_fmac_f64_e32 v[154:155], v[148:149], v[136:137]
	s_wait_loadcnt 0x4
	s_delay_alu instid0(VALU_DEP_1)
	v_fmac_f64_e32 v[154:155], v[124:125], v[138:139]
	scratch_load_b128 v[136:139], off, off offset:416
	s_wait_dscnt 0x0
	v_fmac_f64_e32 v[154:155], v[126:127], v[150:151]
	scratch_load_b128 v[124:127], off, off offset:432
	s_wait_loadcnt 0x5
	v_fmac_f64_e32 v[154:155], v[142:143], v[152:153]
	ds_load_2addr_b64 v[140:143], v2 offset0:103 offset1:104
	ds_load_2addr_b64 v[146:149], v2 offset0:105 offset1:106
	s_wait_dscnt 0x1
	v_fmac_f64_e32 v[154:155], v[144:145], v[140:141]
	scratch_load_b64 v[144:145], off, off offset:448
	s_wait_loadcnt 0x5
	v_fmac_f64_e32 v[154:155], v[128:129], v[142:143]
	s_wait_dscnt 0x0
	s_delay_alu instid0(VALU_DEP_1)
	v_fmac_f64_e32 v[154:155], v[130:131], v[146:147]
	ds_load_2addr_b64 v[128:131], v2 offset0:107 offset1:108
	ds_load_2addr_b64 v[140:143], v2 offset0:109 offset1:110
	s_wait_loadcnt 0x4
	v_fmac_f64_e32 v[154:155], v[132:133], v[148:149]
	s_wait_dscnt 0x1
	s_delay_alu instid0(VALU_DEP_1) | instskip(SKIP_1) | instid1(VALU_DEP_1)
	v_fmac_f64_e32 v[154:155], v[134:135], v[128:129]
	s_wait_loadcnt 0x3
	v_fmac_f64_e32 v[154:155], v[120:121], v[130:131]
	s_wait_dscnt 0x0
	s_delay_alu instid0(VALU_DEP_1)
	v_fmac_f64_e32 v[154:155], v[122:123], v[140:141]
	ds_load_2addr_b64 v[120:123], v2 offset0:111 offset1:112
	ds_load_2addr_b64 v[128:131], v2 offset0:113 offset1:114
	s_wait_loadcnt 0x2
	v_fmac_f64_e32 v[154:155], v[136:137], v[142:143]
	s_wait_dscnt 0x1
	s_delay_alu instid0(VALU_DEP_1) | instskip(SKIP_1) | instid1(VALU_DEP_1)
	v_fmac_f64_e32 v[154:155], v[138:139], v[120:121]
	s_wait_loadcnt 0x1
	v_fmac_f64_e32 v[154:155], v[124:125], v[122:123]
	s_wait_dscnt 0x0
	s_delay_alu instid0(VALU_DEP_1) | instskip(SKIP_1) | instid1(VALU_DEP_1)
	v_fmac_f64_e32 v[154:155], v[126:127], v[128:129]
	s_wait_loadcnt 0x0
	v_fmac_f64_e32 v[154:155], v[144:145], v[130:131]
	s_delay_alu instid0(VALU_DEP_1)
	v_add_f64_e64 v[2:3], v[118:119], -v[154:155]
	scratch_store_b64 off, v[2:3], off offset:192
	s_wait_xcnt 0x0
	v_cmpx_lt_u32_e32 23, v0
	s_cbranch_execz .LBB56_305
; %bb.304:
	scratch_load_b64 v[2:3], off, off offset:184
	v_mov_b64_e32 v[118:119], 0
	scratch_store_b64 off, v[118:119], off offset:184
	s_wait_loadcnt 0x0
	ds_store_b64 v1, v[2:3]
.LBB56_305:
	s_wait_xcnt 0x0
	s_or_b32 exec_lo, exec_lo, s0
	s_wait_storecnt_dscnt 0x0
	s_barrier_signal -1
	s_barrier_wait -1
	s_clause 0x5
	scratch_load_b128 v[118:121], off, off offset:184
	scratch_load_b128 v[122:125], off, off offset:200
	;; [unrolled: 1-line block ×6, first 2 shown]
	v_mov_b32_e32 v2, 0
	ds_load_b128 v[142:145], v2 offset:656
	ds_load_b128 v[146:149], v2 offset:672
	scratch_load_b128 v[150:153], off, off offset:280
	s_mov_b32 s0, exec_lo
	s_wait_loadcnt_dscnt 0x601
	v_fma_f64 v[154:155], v[120:121], v[142:143], 0
	s_wait_loadcnt 0x5
	s_delay_alu instid0(VALU_DEP_1) | instskip(SKIP_4) | instid1(VALU_DEP_1)
	v_fmac_f64_e32 v[154:155], v[122:123], v[144:145]
	scratch_load_b128 v[120:123], off, off offset:296
	s_wait_dscnt 0x0
	v_fmac_f64_e32 v[154:155], v[124:125], v[146:147]
	s_wait_loadcnt 0x5
	v_fmac_f64_e32 v[154:155], v[126:127], v[148:149]
	ds_load_b128 v[124:127], v2 offset:688
	ds_load_b128 v[142:145], v2 offset:704
	scratch_load_b128 v[146:149], off, off offset:312
	s_wait_dscnt 0x1
	v_fmac_f64_e32 v[154:155], v[128:129], v[124:125]
	s_wait_loadcnt 0x5
	s_delay_alu instid0(VALU_DEP_1) | instskip(SKIP_4) | instid1(VALU_DEP_1)
	v_fmac_f64_e32 v[154:155], v[130:131], v[126:127]
	scratch_load_b128 v[124:127], off, off offset:328
	s_wait_dscnt 0x0
	v_fmac_f64_e32 v[154:155], v[132:133], v[142:143]
	s_wait_loadcnt 0x5
	v_fmac_f64_e32 v[154:155], v[134:135], v[144:145]
	ds_load_b128 v[128:131], v2 offset:720
	ds_load_b128 v[132:135], v2 offset:736
	scratch_load_b128 v[142:145], off, off offset:344
	s_wait_dscnt 0x1
	v_fmac_f64_e32 v[154:155], v[136:137], v[128:129]
	s_wait_loadcnt 0x5
	s_delay_alu instid0(VALU_DEP_1) | instskip(SKIP_4) | instid1(VALU_DEP_1)
	v_fmac_f64_e32 v[154:155], v[138:139], v[130:131]
	scratch_load_b128 v[128:131], off, off offset:360
	s_wait_dscnt 0x0
	v_fmac_f64_e32 v[154:155], v[140:141], v[132:133]
	s_wait_loadcnt 0x5
	v_fmac_f64_e32 v[154:155], v[150:151], v[134:135]
	ds_load_b128 v[132:135], v2 offset:752
	ds_load_b128 v[136:139], v2 offset:768
	s_wait_dscnt 0x1
	v_fmac_f64_e32 v[154:155], v[152:153], v[132:133]
	s_wait_loadcnt 0x4
	s_delay_alu instid0(VALU_DEP_1)
	v_fmac_f64_e32 v[154:155], v[120:121], v[134:135]
	scratch_load_b128 v[132:135], off, off offset:376
	s_wait_dscnt 0x0
	v_fmac_f64_e32 v[154:155], v[122:123], v[136:137]
	scratch_load_b128 v[120:123], off, off offset:392
	s_wait_loadcnt 0x5
	v_fmac_f64_e32 v[154:155], v[146:147], v[138:139]
	ds_load_b128 v[136:139], v2 offset:784
	ds_load_b128 v[150:153], v2 offset:800
	s_wait_dscnt 0x1
	v_fmac_f64_e32 v[154:155], v[148:149], v[136:137]
	s_wait_loadcnt 0x4
	s_delay_alu instid0(VALU_DEP_1)
	v_fmac_f64_e32 v[154:155], v[124:125], v[138:139]
	scratch_load_b128 v[136:139], off, off offset:408
	s_wait_dscnt 0x0
	v_fmac_f64_e32 v[154:155], v[126:127], v[150:151]
	scratch_load_b128 v[124:127], off, off offset:424
	s_wait_loadcnt 0x5
	v_fmac_f64_e32 v[154:155], v[142:143], v[152:153]
	ds_load_b128 v[140:143], v2 offset:816
	ds_load_b128 v[146:149], v2 offset:832
	s_wait_dscnt 0x1
	v_fmac_f64_e32 v[154:155], v[144:145], v[140:141]
	s_wait_loadcnt 0x4
	s_delay_alu instid0(VALU_DEP_1)
	v_fmac_f64_e32 v[154:155], v[128:129], v[142:143]
	scratch_load_b128 v[140:143], off, off offset:440
	s_wait_dscnt 0x0
	v_fmac_f64_e32 v[154:155], v[130:131], v[146:147]
	ds_load_b128 v[128:131], v2 offset:848
	ds_load_b128 v[144:147], v2 offset:864
	s_wait_loadcnt 0x4
	v_fmac_f64_e32 v[154:155], v[132:133], v[148:149]
	s_wait_dscnt 0x1
	s_delay_alu instid0(VALU_DEP_1) | instskip(SKIP_1) | instid1(VALU_DEP_1)
	v_fmac_f64_e32 v[154:155], v[134:135], v[128:129]
	s_wait_loadcnt 0x3
	v_fmac_f64_e32 v[154:155], v[120:121], v[130:131]
	s_wait_dscnt 0x0
	s_delay_alu instid0(VALU_DEP_1)
	v_fmac_f64_e32 v[154:155], v[122:123], v[144:145]
	ds_load_b128 v[120:123], v2 offset:880
	ds_load_b128 v[128:131], v2 offset:896
	s_wait_loadcnt 0x2
	v_fmac_f64_e32 v[154:155], v[136:137], v[146:147]
	s_wait_dscnt 0x1
	s_delay_alu instid0(VALU_DEP_1) | instskip(SKIP_4) | instid1(VALU_DEP_1)
	v_fmac_f64_e32 v[154:155], v[138:139], v[120:121]
	ds_load_b64 v[120:121], v2 offset:912
	s_wait_loadcnt 0x1
	v_fmac_f64_e32 v[154:155], v[124:125], v[122:123]
	s_wait_dscnt 0x1
	v_fmac_f64_e32 v[154:155], v[126:127], v[128:129]
	s_wait_loadcnt 0x0
	s_delay_alu instid0(VALU_DEP_1) | instskip(SKIP_1) | instid1(VALU_DEP_1)
	v_fmac_f64_e32 v[154:155], v[140:141], v[130:131]
	s_wait_dscnt 0x0
	v_fmac_f64_e32 v[154:155], v[142:143], v[120:121]
	s_delay_alu instid0(VALU_DEP_1)
	v_add_f64_e64 v[118:119], v[118:119], -v[154:155]
	scratch_store_b64 off, v[118:119], off offset:184
	s_wait_xcnt 0x0
	v_cmpx_lt_u32_e32 22, v0
	s_cbranch_execz .LBB56_307
; %bb.306:
	scratch_load_b64 v[118:119], off, off offset:176
	v_mov_b64_e32 v[120:121], 0
	scratch_store_b64 off, v[120:121], off offset:176
	s_wait_loadcnt 0x0
	ds_store_b64 v1, v[118:119]
.LBB56_307:
	s_wait_xcnt 0x0
	s_or_b32 exec_lo, exec_lo, s0
	s_wait_storecnt_dscnt 0x0
	s_barrier_signal -1
	s_barrier_wait -1
	s_clause 0x5
	scratch_load_b128 v[118:121], off, off offset:176
	scratch_load_b128 v[122:125], off, off offset:192
	;; [unrolled: 1-line block ×6, first 2 shown]
	ds_load_2addr_b64 v[142:145], v2 offset0:81 offset1:82
	ds_load_2addr_b64 v[146:149], v2 offset0:83 offset1:84
	scratch_load_b128 v[150:153], off, off offset:272
	s_mov_b32 s0, exec_lo
	s_wait_loadcnt_dscnt 0x601
	v_fma_f64 v[154:155], v[120:121], v[142:143], 0
	s_wait_loadcnt 0x5
	s_delay_alu instid0(VALU_DEP_1) | instskip(SKIP_4) | instid1(VALU_DEP_1)
	v_fmac_f64_e32 v[154:155], v[122:123], v[144:145]
	scratch_load_b128 v[120:123], off, off offset:288
	s_wait_dscnt 0x0
	v_fmac_f64_e32 v[154:155], v[124:125], v[146:147]
	s_wait_loadcnt 0x5
	v_fmac_f64_e32 v[154:155], v[126:127], v[148:149]
	ds_load_2addr_b64 v[124:127], v2 offset0:85 offset1:86
	ds_load_2addr_b64 v[142:145], v2 offset0:87 offset1:88
	scratch_load_b128 v[146:149], off, off offset:304
	s_wait_dscnt 0x1
	v_fmac_f64_e32 v[154:155], v[128:129], v[124:125]
	s_wait_loadcnt 0x5
	s_delay_alu instid0(VALU_DEP_1) | instskip(SKIP_4) | instid1(VALU_DEP_1)
	v_fmac_f64_e32 v[154:155], v[130:131], v[126:127]
	scratch_load_b128 v[124:127], off, off offset:320
	s_wait_dscnt 0x0
	v_fmac_f64_e32 v[154:155], v[132:133], v[142:143]
	s_wait_loadcnt 0x5
	v_fmac_f64_e32 v[154:155], v[134:135], v[144:145]
	ds_load_2addr_b64 v[128:131], v2 offset0:89 offset1:90
	ds_load_2addr_b64 v[132:135], v2 offset0:91 offset1:92
	scratch_load_b128 v[142:145], off, off offset:336
	s_wait_dscnt 0x1
	v_fmac_f64_e32 v[154:155], v[136:137], v[128:129]
	s_wait_loadcnt 0x5
	s_delay_alu instid0(VALU_DEP_1) | instskip(SKIP_4) | instid1(VALU_DEP_1)
	v_fmac_f64_e32 v[154:155], v[138:139], v[130:131]
	scratch_load_b128 v[128:131], off, off offset:352
	s_wait_dscnt 0x0
	v_fmac_f64_e32 v[154:155], v[140:141], v[132:133]
	s_wait_loadcnt 0x5
	v_fmac_f64_e32 v[154:155], v[150:151], v[134:135]
	ds_load_2addr_b64 v[132:135], v2 offset0:93 offset1:94
	ds_load_2addr_b64 v[136:139], v2 offset0:95 offset1:96
	s_wait_dscnt 0x1
	v_fmac_f64_e32 v[154:155], v[152:153], v[132:133]
	scratch_load_b128 v[150:153], off, off offset:368
	s_wait_loadcnt 0x5
	v_fmac_f64_e32 v[154:155], v[120:121], v[134:135]
	s_wait_dscnt 0x0
	s_delay_alu instid0(VALU_DEP_1)
	v_fmac_f64_e32 v[154:155], v[122:123], v[136:137]
	scratch_load_b128 v[120:123], off, off offset:384
	s_wait_loadcnt 0x5
	v_fmac_f64_e32 v[154:155], v[146:147], v[138:139]
	ds_load_2addr_b64 v[132:135], v2 offset0:97 offset1:98
	ds_load_2addr_b64 v[136:139], v2 offset0:99 offset1:100
	s_wait_dscnt 0x1
	v_fmac_f64_e32 v[154:155], v[148:149], v[132:133]
	s_wait_loadcnt 0x4
	s_delay_alu instid0(VALU_DEP_1)
	v_fmac_f64_e32 v[154:155], v[124:125], v[134:135]
	scratch_load_b128 v[132:135], off, off offset:400
	s_wait_dscnt 0x0
	v_fmac_f64_e32 v[154:155], v[126:127], v[136:137]
	scratch_load_b128 v[124:127], off, off offset:416
	s_wait_loadcnt 0x5
	v_fmac_f64_e32 v[154:155], v[142:143], v[138:139]
	ds_load_2addr_b64 v[136:139], v2 offset0:101 offset1:102
	ds_load_2addr_b64 v[140:143], v2 offset0:103 offset1:104
	s_wait_dscnt 0x1
	v_fmac_f64_e32 v[154:155], v[144:145], v[136:137]
	scratch_load_b64 v[144:145], off, off offset:448
	s_wait_loadcnt 0x5
	v_fmac_f64_e32 v[154:155], v[128:129], v[138:139]
	scratch_load_b128 v[136:139], off, off offset:432
	s_wait_dscnt 0x0
	v_fmac_f64_e32 v[154:155], v[130:131], v[140:141]
	s_wait_loadcnt 0x5
	s_delay_alu instid0(VALU_DEP_1)
	v_fmac_f64_e32 v[154:155], v[150:151], v[142:143]
	ds_load_2addr_b64 v[128:131], v2 offset0:105 offset1:106
	ds_load_2addr_b64 v[140:143], v2 offset0:107 offset1:108
	s_wait_dscnt 0x1
	v_fmac_f64_e32 v[154:155], v[152:153], v[128:129]
	s_wait_loadcnt 0x4
	s_delay_alu instid0(VALU_DEP_1) | instskip(SKIP_1) | instid1(VALU_DEP_1)
	v_fmac_f64_e32 v[154:155], v[120:121], v[130:131]
	s_wait_dscnt 0x0
	v_fmac_f64_e32 v[154:155], v[122:123], v[140:141]
	ds_load_2addr_b64 v[120:123], v2 offset0:109 offset1:110
	ds_load_2addr_b64 v[128:131], v2 offset0:111 offset1:112
	s_wait_loadcnt 0x3
	v_fmac_f64_e32 v[154:155], v[132:133], v[142:143]
	s_wait_dscnt 0x1
	s_delay_alu instid0(VALU_DEP_1) | instskip(SKIP_1) | instid1(VALU_DEP_1)
	v_fmac_f64_e32 v[154:155], v[134:135], v[120:121]
	s_wait_loadcnt 0x2
	v_fmac_f64_e32 v[154:155], v[124:125], v[122:123]
	ds_load_2addr_b64 v[120:123], v2 offset0:113 offset1:114
	s_wait_dscnt 0x1
	v_fmac_f64_e32 v[154:155], v[126:127], v[128:129]
	s_wait_loadcnt 0x0
	s_delay_alu instid0(VALU_DEP_1) | instskip(SKIP_1) | instid1(VALU_DEP_1)
	v_fmac_f64_e32 v[154:155], v[136:137], v[130:131]
	s_wait_dscnt 0x0
	v_fmac_f64_e32 v[154:155], v[138:139], v[120:121]
	s_delay_alu instid0(VALU_DEP_1) | instskip(NEXT) | instid1(VALU_DEP_1)
	v_fmac_f64_e32 v[154:155], v[144:145], v[122:123]
	v_add_f64_e64 v[2:3], v[118:119], -v[154:155]
	scratch_store_b64 off, v[2:3], off offset:176
	s_wait_xcnt 0x0
	v_cmpx_lt_u32_e32 21, v0
	s_cbranch_execz .LBB56_309
; %bb.308:
	scratch_load_b64 v[2:3], off, off offset:168
	v_mov_b64_e32 v[118:119], 0
	scratch_store_b64 off, v[118:119], off offset:168
	s_wait_loadcnt 0x0
	ds_store_b64 v1, v[2:3]
.LBB56_309:
	s_wait_xcnt 0x0
	s_or_b32 exec_lo, exec_lo, s0
	s_wait_storecnt_dscnt 0x0
	s_barrier_signal -1
	s_barrier_wait -1
	s_clause 0x5
	scratch_load_b128 v[118:121], off, off offset:168
	scratch_load_b128 v[122:125], off, off offset:184
	;; [unrolled: 1-line block ×6, first 2 shown]
	v_mov_b32_e32 v2, 0
	ds_load_b128 v[142:145], v2 offset:640
	ds_load_b128 v[146:149], v2 offset:656
	scratch_load_b128 v[150:153], off, off offset:264
	s_mov_b32 s0, exec_lo
	s_wait_loadcnt_dscnt 0x601
	v_fma_f64 v[154:155], v[120:121], v[142:143], 0
	s_wait_loadcnt 0x5
	s_delay_alu instid0(VALU_DEP_1) | instskip(SKIP_4) | instid1(VALU_DEP_1)
	v_fmac_f64_e32 v[154:155], v[122:123], v[144:145]
	scratch_load_b128 v[120:123], off, off offset:280
	s_wait_dscnt 0x0
	v_fmac_f64_e32 v[154:155], v[124:125], v[146:147]
	s_wait_loadcnt 0x5
	v_fmac_f64_e32 v[154:155], v[126:127], v[148:149]
	ds_load_b128 v[124:127], v2 offset:672
	ds_load_b128 v[142:145], v2 offset:688
	scratch_load_b128 v[146:149], off, off offset:296
	s_wait_dscnt 0x1
	v_fmac_f64_e32 v[154:155], v[128:129], v[124:125]
	s_wait_loadcnt 0x5
	s_delay_alu instid0(VALU_DEP_1) | instskip(SKIP_4) | instid1(VALU_DEP_1)
	v_fmac_f64_e32 v[154:155], v[130:131], v[126:127]
	scratch_load_b128 v[124:127], off, off offset:312
	s_wait_dscnt 0x0
	v_fmac_f64_e32 v[154:155], v[132:133], v[142:143]
	s_wait_loadcnt 0x5
	v_fmac_f64_e32 v[154:155], v[134:135], v[144:145]
	ds_load_b128 v[128:131], v2 offset:704
	ds_load_b128 v[132:135], v2 offset:720
	scratch_load_b128 v[142:145], off, off offset:328
	s_wait_dscnt 0x1
	v_fmac_f64_e32 v[154:155], v[136:137], v[128:129]
	s_wait_loadcnt 0x5
	s_delay_alu instid0(VALU_DEP_1) | instskip(SKIP_4) | instid1(VALU_DEP_1)
	v_fmac_f64_e32 v[154:155], v[138:139], v[130:131]
	scratch_load_b128 v[128:131], off, off offset:344
	s_wait_dscnt 0x0
	v_fmac_f64_e32 v[154:155], v[140:141], v[132:133]
	s_wait_loadcnt 0x5
	v_fmac_f64_e32 v[154:155], v[150:151], v[134:135]
	ds_load_b128 v[132:135], v2 offset:736
	ds_load_b128 v[136:139], v2 offset:752
	s_wait_dscnt 0x1
	v_fmac_f64_e32 v[154:155], v[152:153], v[132:133]
	scratch_load_b128 v[150:153], off, off offset:360
	s_wait_loadcnt 0x5
	v_fmac_f64_e32 v[154:155], v[120:121], v[134:135]
	s_wait_dscnt 0x0
	s_delay_alu instid0(VALU_DEP_1)
	v_fmac_f64_e32 v[154:155], v[122:123], v[136:137]
	scratch_load_b128 v[120:123], off, off offset:376
	s_wait_loadcnt 0x5
	v_fmac_f64_e32 v[154:155], v[146:147], v[138:139]
	ds_load_b128 v[132:135], v2 offset:768
	ds_load_b128 v[136:139], v2 offset:784
	s_wait_dscnt 0x1
	v_fmac_f64_e32 v[154:155], v[148:149], v[132:133]
	s_wait_loadcnt 0x4
	s_delay_alu instid0(VALU_DEP_1)
	v_fmac_f64_e32 v[154:155], v[124:125], v[134:135]
	scratch_load_b128 v[132:135], off, off offset:392
	s_wait_dscnt 0x0
	v_fmac_f64_e32 v[154:155], v[126:127], v[136:137]
	scratch_load_b128 v[124:127], off, off offset:408
	s_wait_loadcnt 0x5
	v_fmac_f64_e32 v[154:155], v[142:143], v[138:139]
	ds_load_b128 v[136:139], v2 offset:800
	ds_load_b128 v[140:143], v2 offset:816
	s_wait_dscnt 0x1
	v_fmac_f64_e32 v[154:155], v[144:145], v[136:137]
	s_wait_loadcnt 0x4
	s_delay_alu instid0(VALU_DEP_1)
	v_fmac_f64_e32 v[154:155], v[128:129], v[138:139]
	scratch_load_b128 v[136:139], off, off offset:424
	s_wait_dscnt 0x0
	v_fmac_f64_e32 v[154:155], v[130:131], v[140:141]
	scratch_load_b128 v[128:131], off, off offset:440
	s_wait_loadcnt 0x5
	v_fmac_f64_e32 v[154:155], v[150:151], v[142:143]
	ds_load_b128 v[140:143], v2 offset:832
	ds_load_b128 v[144:147], v2 offset:848
	s_wait_dscnt 0x1
	v_fmac_f64_e32 v[154:155], v[152:153], v[140:141]
	s_wait_loadcnt 0x4
	s_delay_alu instid0(VALU_DEP_1) | instskip(SKIP_1) | instid1(VALU_DEP_1)
	v_fmac_f64_e32 v[154:155], v[120:121], v[142:143]
	s_wait_dscnt 0x0
	v_fmac_f64_e32 v[154:155], v[122:123], v[144:145]
	ds_load_b128 v[120:123], v2 offset:864
	ds_load_b128 v[140:143], v2 offset:880
	s_wait_loadcnt 0x3
	v_fmac_f64_e32 v[154:155], v[132:133], v[146:147]
	s_wait_dscnt 0x1
	s_delay_alu instid0(VALU_DEP_1) | instskip(SKIP_1) | instid1(VALU_DEP_1)
	v_fmac_f64_e32 v[154:155], v[134:135], v[120:121]
	s_wait_loadcnt 0x2
	v_fmac_f64_e32 v[154:155], v[124:125], v[122:123]
	ds_load_b128 v[120:123], v2 offset:896
	ds_load_b64 v[124:125], v2 offset:912
	s_wait_dscnt 0x2
	v_fmac_f64_e32 v[154:155], v[126:127], v[140:141]
	s_wait_loadcnt 0x1
	s_delay_alu instid0(VALU_DEP_1) | instskip(SKIP_1) | instid1(VALU_DEP_1)
	v_fmac_f64_e32 v[154:155], v[136:137], v[142:143]
	s_wait_dscnt 0x1
	v_fmac_f64_e32 v[154:155], v[138:139], v[120:121]
	s_wait_loadcnt 0x0
	s_delay_alu instid0(VALU_DEP_1) | instskip(SKIP_1) | instid1(VALU_DEP_1)
	v_fmac_f64_e32 v[154:155], v[128:129], v[122:123]
	s_wait_dscnt 0x0
	v_fmac_f64_e32 v[154:155], v[130:131], v[124:125]
	s_delay_alu instid0(VALU_DEP_1)
	v_add_f64_e64 v[118:119], v[118:119], -v[154:155]
	scratch_store_b64 off, v[118:119], off offset:168
	s_wait_xcnt 0x0
	v_cmpx_lt_u32_e32 20, v0
	s_cbranch_execz .LBB56_311
; %bb.310:
	scratch_load_b64 v[118:119], off, off offset:160
	v_mov_b64_e32 v[120:121], 0
	scratch_store_b64 off, v[120:121], off offset:160
	s_wait_loadcnt 0x0
	ds_store_b64 v1, v[118:119]
.LBB56_311:
	s_wait_xcnt 0x0
	s_or_b32 exec_lo, exec_lo, s0
	s_wait_storecnt_dscnt 0x0
	s_barrier_signal -1
	s_barrier_wait -1
	s_clause 0x5
	scratch_load_b128 v[118:121], off, off offset:160
	scratch_load_b128 v[122:125], off, off offset:176
	;; [unrolled: 1-line block ×6, first 2 shown]
	ds_load_2addr_b64 v[142:145], v2 offset0:79 offset1:80
	ds_load_2addr_b64 v[146:149], v2 offset0:81 offset1:82
	scratch_load_b128 v[150:153], off, off offset:256
	s_mov_b32 s0, exec_lo
	s_wait_loadcnt_dscnt 0x601
	v_fma_f64 v[154:155], v[120:121], v[142:143], 0
	s_wait_loadcnt 0x5
	s_delay_alu instid0(VALU_DEP_1) | instskip(SKIP_4) | instid1(VALU_DEP_1)
	v_fmac_f64_e32 v[154:155], v[122:123], v[144:145]
	scratch_load_b128 v[120:123], off, off offset:272
	s_wait_dscnt 0x0
	v_fmac_f64_e32 v[154:155], v[124:125], v[146:147]
	s_wait_loadcnt 0x5
	v_fmac_f64_e32 v[154:155], v[126:127], v[148:149]
	ds_load_2addr_b64 v[124:127], v2 offset0:83 offset1:84
	ds_load_2addr_b64 v[142:145], v2 offset0:85 offset1:86
	scratch_load_b128 v[146:149], off, off offset:288
	s_wait_dscnt 0x1
	v_fmac_f64_e32 v[154:155], v[128:129], v[124:125]
	s_wait_loadcnt 0x5
	s_delay_alu instid0(VALU_DEP_1) | instskip(SKIP_4) | instid1(VALU_DEP_1)
	v_fmac_f64_e32 v[154:155], v[130:131], v[126:127]
	scratch_load_b128 v[124:127], off, off offset:304
	s_wait_dscnt 0x0
	v_fmac_f64_e32 v[154:155], v[132:133], v[142:143]
	s_wait_loadcnt 0x5
	v_fmac_f64_e32 v[154:155], v[134:135], v[144:145]
	ds_load_2addr_b64 v[128:131], v2 offset0:87 offset1:88
	ds_load_2addr_b64 v[132:135], v2 offset0:89 offset1:90
	scratch_load_b128 v[142:145], off, off offset:320
	s_wait_dscnt 0x1
	v_fmac_f64_e32 v[154:155], v[136:137], v[128:129]
	s_wait_loadcnt 0x5
	s_delay_alu instid0(VALU_DEP_1) | instskip(SKIP_4) | instid1(VALU_DEP_1)
	v_fmac_f64_e32 v[154:155], v[138:139], v[130:131]
	scratch_load_b128 v[128:131], off, off offset:336
	s_wait_dscnt 0x0
	v_fmac_f64_e32 v[154:155], v[140:141], v[132:133]
	s_wait_loadcnt 0x5
	v_fmac_f64_e32 v[154:155], v[150:151], v[134:135]
	ds_load_2addr_b64 v[132:135], v2 offset0:91 offset1:92
	ds_load_2addr_b64 v[136:139], v2 offset0:93 offset1:94
	s_wait_dscnt 0x1
	v_fmac_f64_e32 v[154:155], v[152:153], v[132:133]
	scratch_load_b128 v[150:153], off, off offset:352
	s_wait_loadcnt 0x5
	v_fmac_f64_e32 v[154:155], v[120:121], v[134:135]
	s_wait_dscnt 0x0
	s_delay_alu instid0(VALU_DEP_1)
	v_fmac_f64_e32 v[154:155], v[122:123], v[136:137]
	scratch_load_b128 v[120:123], off, off offset:368
	s_wait_loadcnt 0x5
	v_fmac_f64_e32 v[154:155], v[146:147], v[138:139]
	ds_load_2addr_b64 v[132:135], v2 offset0:95 offset1:96
	ds_load_2addr_b64 v[136:139], v2 offset0:97 offset1:98
	s_wait_dscnt 0x1
	v_fmac_f64_e32 v[154:155], v[148:149], v[132:133]
	s_wait_loadcnt 0x4
	s_delay_alu instid0(VALU_DEP_1)
	v_fmac_f64_e32 v[154:155], v[124:125], v[134:135]
	scratch_load_b128 v[132:135], off, off offset:384
	s_wait_dscnt 0x0
	v_fmac_f64_e32 v[154:155], v[126:127], v[136:137]
	scratch_load_b128 v[124:127], off, off offset:400
	s_wait_loadcnt 0x5
	v_fmac_f64_e32 v[154:155], v[142:143], v[138:139]
	ds_load_2addr_b64 v[136:139], v2 offset0:99 offset1:100
	ds_load_2addr_b64 v[140:143], v2 offset0:101 offset1:102
	s_wait_dscnt 0x1
	v_fmac_f64_e32 v[154:155], v[144:145], v[136:137]
	s_wait_loadcnt 0x4
	s_delay_alu instid0(VALU_DEP_1)
	v_fmac_f64_e32 v[154:155], v[128:129], v[138:139]
	scratch_load_b128 v[136:139], off, off offset:416
	s_wait_dscnt 0x0
	v_fmac_f64_e32 v[154:155], v[130:131], v[140:141]
	scratch_load_b128 v[128:131], off, off offset:432
	s_wait_loadcnt 0x5
	v_fmac_f64_e32 v[154:155], v[150:151], v[142:143]
	ds_load_2addr_b64 v[140:143], v2 offset0:103 offset1:104
	ds_load_2addr_b64 v[144:147], v2 offset0:105 offset1:106
	scratch_load_b64 v[148:149], off, off offset:448
	s_wait_dscnt 0x1
	v_fmac_f64_e32 v[154:155], v[152:153], v[140:141]
	s_wait_loadcnt 0x5
	s_delay_alu instid0(VALU_DEP_1) | instskip(SKIP_1) | instid1(VALU_DEP_1)
	v_fmac_f64_e32 v[154:155], v[120:121], v[142:143]
	s_wait_dscnt 0x0
	v_fmac_f64_e32 v[154:155], v[122:123], v[144:145]
	ds_load_2addr_b64 v[120:123], v2 offset0:107 offset1:108
	ds_load_2addr_b64 v[140:143], v2 offset0:109 offset1:110
	s_wait_loadcnt 0x4
	v_fmac_f64_e32 v[154:155], v[132:133], v[146:147]
	s_wait_dscnt 0x1
	s_delay_alu instid0(VALU_DEP_1) | instskip(SKIP_1) | instid1(VALU_DEP_1)
	v_fmac_f64_e32 v[154:155], v[134:135], v[120:121]
	s_wait_loadcnt 0x3
	v_fmac_f64_e32 v[154:155], v[124:125], v[122:123]
	s_wait_dscnt 0x0
	s_delay_alu instid0(VALU_DEP_1)
	v_fmac_f64_e32 v[154:155], v[126:127], v[140:141]
	ds_load_2addr_b64 v[120:123], v2 offset0:111 offset1:112
	ds_load_2addr_b64 v[124:127], v2 offset0:113 offset1:114
	s_wait_loadcnt 0x2
	v_fmac_f64_e32 v[154:155], v[136:137], v[142:143]
	s_wait_dscnt 0x1
	s_delay_alu instid0(VALU_DEP_1) | instskip(SKIP_1) | instid1(VALU_DEP_1)
	v_fmac_f64_e32 v[154:155], v[138:139], v[120:121]
	s_wait_loadcnt 0x1
	v_fmac_f64_e32 v[154:155], v[128:129], v[122:123]
	s_wait_dscnt 0x0
	s_delay_alu instid0(VALU_DEP_1) | instskip(SKIP_1) | instid1(VALU_DEP_1)
	v_fmac_f64_e32 v[154:155], v[130:131], v[124:125]
	s_wait_loadcnt 0x0
	v_fmac_f64_e32 v[154:155], v[148:149], v[126:127]
	s_delay_alu instid0(VALU_DEP_1)
	v_add_f64_e64 v[2:3], v[118:119], -v[154:155]
	scratch_store_b64 off, v[2:3], off offset:160
	s_wait_xcnt 0x0
	v_cmpx_lt_u32_e32 19, v0
	s_cbranch_execz .LBB56_313
; %bb.312:
	scratch_load_b64 v[2:3], off, off offset:152
	v_mov_b64_e32 v[118:119], 0
	scratch_store_b64 off, v[118:119], off offset:152
	s_wait_loadcnt 0x0
	ds_store_b64 v1, v[2:3]
.LBB56_313:
	s_wait_xcnt 0x0
	s_or_b32 exec_lo, exec_lo, s0
	s_wait_storecnt_dscnt 0x0
	s_barrier_signal -1
	s_barrier_wait -1
	s_clause 0x5
	scratch_load_b128 v[118:121], off, off offset:152
	scratch_load_b128 v[122:125], off, off offset:168
	;; [unrolled: 1-line block ×6, first 2 shown]
	v_mov_b32_e32 v2, 0
	ds_load_b128 v[142:145], v2 offset:624
	ds_load_b128 v[146:149], v2 offset:640
	scratch_load_b128 v[150:153], off, off offset:248
	s_mov_b32 s0, exec_lo
	s_wait_loadcnt_dscnt 0x601
	v_fma_f64 v[154:155], v[120:121], v[142:143], 0
	s_wait_loadcnt 0x5
	s_delay_alu instid0(VALU_DEP_1) | instskip(SKIP_4) | instid1(VALU_DEP_1)
	v_fmac_f64_e32 v[154:155], v[122:123], v[144:145]
	scratch_load_b128 v[120:123], off, off offset:264
	s_wait_dscnt 0x0
	v_fmac_f64_e32 v[154:155], v[124:125], v[146:147]
	s_wait_loadcnt 0x5
	v_fmac_f64_e32 v[154:155], v[126:127], v[148:149]
	ds_load_b128 v[124:127], v2 offset:656
	ds_load_b128 v[142:145], v2 offset:672
	scratch_load_b128 v[146:149], off, off offset:280
	s_wait_dscnt 0x1
	v_fmac_f64_e32 v[154:155], v[128:129], v[124:125]
	s_wait_loadcnt 0x5
	s_delay_alu instid0(VALU_DEP_1) | instskip(SKIP_4) | instid1(VALU_DEP_1)
	v_fmac_f64_e32 v[154:155], v[130:131], v[126:127]
	scratch_load_b128 v[124:127], off, off offset:296
	s_wait_dscnt 0x0
	v_fmac_f64_e32 v[154:155], v[132:133], v[142:143]
	s_wait_loadcnt 0x5
	v_fmac_f64_e32 v[154:155], v[134:135], v[144:145]
	ds_load_b128 v[128:131], v2 offset:688
	ds_load_b128 v[132:135], v2 offset:704
	scratch_load_b128 v[142:145], off, off offset:312
	s_wait_dscnt 0x1
	v_fmac_f64_e32 v[154:155], v[136:137], v[128:129]
	s_wait_loadcnt 0x5
	s_delay_alu instid0(VALU_DEP_1) | instskip(SKIP_4) | instid1(VALU_DEP_1)
	v_fmac_f64_e32 v[154:155], v[138:139], v[130:131]
	scratch_load_b128 v[128:131], off, off offset:328
	s_wait_dscnt 0x0
	v_fmac_f64_e32 v[154:155], v[140:141], v[132:133]
	s_wait_loadcnt 0x5
	v_fmac_f64_e32 v[154:155], v[150:151], v[134:135]
	ds_load_b128 v[132:135], v2 offset:720
	ds_load_b128 v[136:139], v2 offset:736
	s_wait_dscnt 0x1
	v_fmac_f64_e32 v[154:155], v[152:153], v[132:133]
	scratch_load_b128 v[150:153], off, off offset:344
	s_wait_loadcnt 0x5
	v_fmac_f64_e32 v[154:155], v[120:121], v[134:135]
	s_wait_dscnt 0x0
	s_delay_alu instid0(VALU_DEP_1)
	v_fmac_f64_e32 v[154:155], v[122:123], v[136:137]
	scratch_load_b128 v[120:123], off, off offset:360
	s_wait_loadcnt 0x5
	v_fmac_f64_e32 v[154:155], v[146:147], v[138:139]
	ds_load_b128 v[132:135], v2 offset:752
	ds_load_b128 v[136:139], v2 offset:768
	s_wait_dscnt 0x1
	v_fmac_f64_e32 v[154:155], v[148:149], v[132:133]
	s_wait_loadcnt 0x4
	s_delay_alu instid0(VALU_DEP_1)
	v_fmac_f64_e32 v[154:155], v[124:125], v[134:135]
	scratch_load_b128 v[132:135], off, off offset:376
	s_wait_dscnt 0x0
	v_fmac_f64_e32 v[154:155], v[126:127], v[136:137]
	scratch_load_b128 v[124:127], off, off offset:392
	s_wait_loadcnt 0x5
	v_fmac_f64_e32 v[154:155], v[142:143], v[138:139]
	ds_load_b128 v[136:139], v2 offset:784
	ds_load_b128 v[140:143], v2 offset:800
	s_wait_dscnt 0x1
	v_fmac_f64_e32 v[154:155], v[144:145], v[136:137]
	s_wait_loadcnt 0x4
	s_delay_alu instid0(VALU_DEP_1)
	v_fmac_f64_e32 v[154:155], v[128:129], v[138:139]
	scratch_load_b128 v[136:139], off, off offset:408
	s_wait_dscnt 0x0
	v_fmac_f64_e32 v[154:155], v[130:131], v[140:141]
	scratch_load_b128 v[128:131], off, off offset:424
	s_wait_loadcnt 0x5
	v_fmac_f64_e32 v[154:155], v[150:151], v[142:143]
	ds_load_b128 v[140:143], v2 offset:816
	ds_load_b128 v[144:147], v2 offset:832
	s_wait_dscnt 0x1
	v_fmac_f64_e32 v[154:155], v[152:153], v[140:141]
	s_wait_loadcnt 0x4
	s_delay_alu instid0(VALU_DEP_1) | instskip(SKIP_4) | instid1(VALU_DEP_1)
	v_fmac_f64_e32 v[154:155], v[120:121], v[142:143]
	scratch_load_b128 v[140:143], off, off offset:440
	s_wait_dscnt 0x0
	v_fmac_f64_e32 v[154:155], v[122:123], v[144:145]
	s_wait_loadcnt 0x4
	v_fmac_f64_e32 v[154:155], v[132:133], v[146:147]
	ds_load_b128 v[120:123], v2 offset:848
	ds_load_b128 v[144:147], v2 offset:864
	s_wait_dscnt 0x1
	v_fmac_f64_e32 v[154:155], v[134:135], v[120:121]
	s_wait_loadcnt 0x3
	s_delay_alu instid0(VALU_DEP_1) | instskip(SKIP_1) | instid1(VALU_DEP_1)
	v_fmac_f64_e32 v[154:155], v[124:125], v[122:123]
	s_wait_dscnt 0x0
	v_fmac_f64_e32 v[154:155], v[126:127], v[144:145]
	ds_load_b128 v[120:123], v2 offset:880
	ds_load_b128 v[124:127], v2 offset:896
	s_wait_loadcnt 0x2
	v_fmac_f64_e32 v[154:155], v[136:137], v[146:147]
	s_wait_dscnt 0x1
	s_delay_alu instid0(VALU_DEP_1) | instskip(SKIP_4) | instid1(VALU_DEP_1)
	v_fmac_f64_e32 v[154:155], v[138:139], v[120:121]
	ds_load_b64 v[120:121], v2 offset:912
	s_wait_loadcnt 0x1
	v_fmac_f64_e32 v[154:155], v[128:129], v[122:123]
	s_wait_dscnt 0x1
	v_fmac_f64_e32 v[154:155], v[130:131], v[124:125]
	s_wait_loadcnt 0x0
	s_delay_alu instid0(VALU_DEP_1) | instskip(SKIP_1) | instid1(VALU_DEP_1)
	v_fmac_f64_e32 v[154:155], v[140:141], v[126:127]
	s_wait_dscnt 0x0
	v_fmac_f64_e32 v[154:155], v[142:143], v[120:121]
	s_delay_alu instid0(VALU_DEP_1)
	v_add_f64_e64 v[118:119], v[118:119], -v[154:155]
	scratch_store_b64 off, v[118:119], off offset:152
	s_wait_xcnt 0x0
	v_cmpx_lt_u32_e32 18, v0
	s_cbranch_execz .LBB56_315
; %bb.314:
	scratch_load_b64 v[118:119], off, off offset:144
	v_mov_b64_e32 v[120:121], 0
	scratch_store_b64 off, v[120:121], off offset:144
	s_wait_loadcnt 0x0
	ds_store_b64 v1, v[118:119]
.LBB56_315:
	s_wait_xcnt 0x0
	s_or_b32 exec_lo, exec_lo, s0
	s_wait_storecnt_dscnt 0x0
	s_barrier_signal -1
	s_barrier_wait -1
	s_clause 0x5
	scratch_load_b128 v[118:121], off, off offset:144
	scratch_load_b128 v[122:125], off, off offset:160
	;; [unrolled: 1-line block ×6, first 2 shown]
	ds_load_2addr_b64 v[142:145], v2 offset0:77 offset1:78
	ds_load_2addr_b64 v[146:149], v2 offset0:79 offset1:80
	scratch_load_b128 v[150:153], off, off offset:240
	s_mov_b32 s0, exec_lo
	s_wait_loadcnt_dscnt 0x601
	v_fma_f64 v[154:155], v[120:121], v[142:143], 0
	s_wait_loadcnt 0x5
	s_delay_alu instid0(VALU_DEP_1) | instskip(SKIP_4) | instid1(VALU_DEP_1)
	v_fmac_f64_e32 v[154:155], v[122:123], v[144:145]
	scratch_load_b128 v[120:123], off, off offset:256
	s_wait_dscnt 0x0
	v_fmac_f64_e32 v[154:155], v[124:125], v[146:147]
	s_wait_loadcnt 0x5
	v_fmac_f64_e32 v[154:155], v[126:127], v[148:149]
	ds_load_2addr_b64 v[124:127], v2 offset0:81 offset1:82
	ds_load_2addr_b64 v[142:145], v2 offset0:83 offset1:84
	scratch_load_b128 v[146:149], off, off offset:272
	s_wait_dscnt 0x1
	v_fmac_f64_e32 v[154:155], v[128:129], v[124:125]
	s_wait_loadcnt 0x5
	s_delay_alu instid0(VALU_DEP_1) | instskip(SKIP_4) | instid1(VALU_DEP_1)
	v_fmac_f64_e32 v[154:155], v[130:131], v[126:127]
	scratch_load_b128 v[124:127], off, off offset:288
	s_wait_dscnt 0x0
	v_fmac_f64_e32 v[154:155], v[132:133], v[142:143]
	s_wait_loadcnt 0x5
	v_fmac_f64_e32 v[154:155], v[134:135], v[144:145]
	ds_load_2addr_b64 v[128:131], v2 offset0:85 offset1:86
	ds_load_2addr_b64 v[132:135], v2 offset0:87 offset1:88
	scratch_load_b128 v[142:145], off, off offset:304
	s_wait_dscnt 0x1
	v_fmac_f64_e32 v[154:155], v[136:137], v[128:129]
	s_wait_loadcnt 0x5
	s_delay_alu instid0(VALU_DEP_1) | instskip(SKIP_4) | instid1(VALU_DEP_1)
	v_fmac_f64_e32 v[154:155], v[138:139], v[130:131]
	scratch_load_b128 v[128:131], off, off offset:320
	s_wait_dscnt 0x0
	v_fmac_f64_e32 v[154:155], v[140:141], v[132:133]
	s_wait_loadcnt 0x5
	v_fmac_f64_e32 v[154:155], v[150:151], v[134:135]
	ds_load_2addr_b64 v[132:135], v2 offset0:89 offset1:90
	ds_load_2addr_b64 v[136:139], v2 offset0:91 offset1:92
	s_wait_dscnt 0x1
	v_fmac_f64_e32 v[154:155], v[152:153], v[132:133]
	scratch_load_b128 v[150:153], off, off offset:336
	s_wait_loadcnt 0x5
	v_fmac_f64_e32 v[154:155], v[120:121], v[134:135]
	s_wait_dscnt 0x0
	s_delay_alu instid0(VALU_DEP_1)
	v_fmac_f64_e32 v[154:155], v[122:123], v[136:137]
	scratch_load_b128 v[120:123], off, off offset:352
	s_wait_loadcnt 0x5
	v_fmac_f64_e32 v[154:155], v[146:147], v[138:139]
	ds_load_2addr_b64 v[132:135], v2 offset0:93 offset1:94
	ds_load_2addr_b64 v[136:139], v2 offset0:95 offset1:96
	s_wait_dscnt 0x1
	v_fmac_f64_e32 v[154:155], v[148:149], v[132:133]
	scratch_load_b128 v[146:149], off, off offset:368
	s_wait_loadcnt 0x5
	v_fmac_f64_e32 v[154:155], v[124:125], v[134:135]
	s_wait_dscnt 0x0
	s_delay_alu instid0(VALU_DEP_1)
	v_fmac_f64_e32 v[154:155], v[126:127], v[136:137]
	scratch_load_b128 v[124:127], off, off offset:384
	s_wait_loadcnt 0x5
	v_fmac_f64_e32 v[154:155], v[142:143], v[138:139]
	ds_load_2addr_b64 v[132:135], v2 offset0:97 offset1:98
	ds_load_2addr_b64 v[136:139], v2 offset0:99 offset1:100
	s_wait_dscnt 0x1
	v_fmac_f64_e32 v[154:155], v[144:145], v[132:133]
	s_wait_loadcnt 0x4
	s_delay_alu instid0(VALU_DEP_1)
	v_fmac_f64_e32 v[154:155], v[128:129], v[134:135]
	scratch_load_b128 v[132:135], off, off offset:400
	s_wait_dscnt 0x0
	v_fmac_f64_e32 v[154:155], v[130:131], v[136:137]
	scratch_load_b128 v[128:131], off, off offset:416
	s_wait_loadcnt 0x5
	v_fmac_f64_e32 v[154:155], v[150:151], v[138:139]
	ds_load_2addr_b64 v[136:139], v2 offset0:101 offset1:102
	ds_load_2addr_b64 v[140:143], v2 offset0:103 offset1:104
	scratch_load_b64 v[144:145], off, off offset:448
	s_wait_dscnt 0x1
	v_fmac_f64_e32 v[154:155], v[152:153], v[136:137]
	s_wait_loadcnt 0x5
	s_delay_alu instid0(VALU_DEP_1) | instskip(SKIP_4) | instid1(VALU_DEP_1)
	v_fmac_f64_e32 v[154:155], v[120:121], v[138:139]
	scratch_load_b128 v[136:139], off, off offset:432
	s_wait_dscnt 0x0
	v_fmac_f64_e32 v[154:155], v[122:123], v[140:141]
	s_wait_loadcnt 0x5
	v_fmac_f64_e32 v[154:155], v[146:147], v[142:143]
	ds_load_2addr_b64 v[120:123], v2 offset0:105 offset1:106
	ds_load_2addr_b64 v[140:143], v2 offset0:107 offset1:108
	s_wait_dscnt 0x1
	v_fmac_f64_e32 v[154:155], v[148:149], v[120:121]
	s_wait_loadcnt 0x4
	s_delay_alu instid0(VALU_DEP_1) | instskip(SKIP_1) | instid1(VALU_DEP_1)
	v_fmac_f64_e32 v[154:155], v[124:125], v[122:123]
	s_wait_dscnt 0x0
	v_fmac_f64_e32 v[154:155], v[126:127], v[140:141]
	ds_load_2addr_b64 v[120:123], v2 offset0:109 offset1:110
	ds_load_2addr_b64 v[124:127], v2 offset0:111 offset1:112
	s_wait_loadcnt 0x3
	v_fmac_f64_e32 v[154:155], v[132:133], v[142:143]
	s_wait_dscnt 0x1
	s_delay_alu instid0(VALU_DEP_1) | instskip(SKIP_1) | instid1(VALU_DEP_1)
	v_fmac_f64_e32 v[154:155], v[134:135], v[120:121]
	s_wait_loadcnt 0x2
	v_fmac_f64_e32 v[154:155], v[128:129], v[122:123]
	ds_load_2addr_b64 v[120:123], v2 offset0:113 offset1:114
	s_wait_dscnt 0x1
	v_fmac_f64_e32 v[154:155], v[130:131], v[124:125]
	s_wait_loadcnt 0x0
	s_delay_alu instid0(VALU_DEP_1) | instskip(SKIP_1) | instid1(VALU_DEP_1)
	v_fmac_f64_e32 v[154:155], v[136:137], v[126:127]
	s_wait_dscnt 0x0
	v_fmac_f64_e32 v[154:155], v[138:139], v[120:121]
	s_delay_alu instid0(VALU_DEP_1) | instskip(NEXT) | instid1(VALU_DEP_1)
	v_fmac_f64_e32 v[154:155], v[144:145], v[122:123]
	v_add_f64_e64 v[2:3], v[118:119], -v[154:155]
	scratch_store_b64 off, v[2:3], off offset:144
	s_wait_xcnt 0x0
	v_cmpx_lt_u32_e32 17, v0
	s_cbranch_execz .LBB56_317
; %bb.316:
	scratch_load_b64 v[2:3], off, off offset:136
	v_mov_b64_e32 v[118:119], 0
	scratch_store_b64 off, v[118:119], off offset:136
	s_wait_loadcnt 0x0
	ds_store_b64 v1, v[2:3]
.LBB56_317:
	s_wait_xcnt 0x0
	s_or_b32 exec_lo, exec_lo, s0
	s_wait_storecnt_dscnt 0x0
	s_barrier_signal -1
	s_barrier_wait -1
	s_clause 0x5
	scratch_load_b128 v[118:121], off, off offset:136
	scratch_load_b128 v[122:125], off, off offset:152
	;; [unrolled: 1-line block ×6, first 2 shown]
	v_mov_b32_e32 v2, 0
	ds_load_b128 v[142:145], v2 offset:608
	ds_load_b128 v[146:149], v2 offset:624
	scratch_load_b128 v[150:153], off, off offset:232
	s_mov_b32 s0, exec_lo
	s_wait_loadcnt_dscnt 0x601
	v_fma_f64 v[154:155], v[120:121], v[142:143], 0
	s_wait_loadcnt 0x5
	s_delay_alu instid0(VALU_DEP_1) | instskip(SKIP_4) | instid1(VALU_DEP_1)
	v_fmac_f64_e32 v[154:155], v[122:123], v[144:145]
	scratch_load_b128 v[120:123], off, off offset:248
	s_wait_dscnt 0x0
	v_fmac_f64_e32 v[154:155], v[124:125], v[146:147]
	s_wait_loadcnt 0x5
	v_fmac_f64_e32 v[154:155], v[126:127], v[148:149]
	ds_load_b128 v[124:127], v2 offset:640
	ds_load_b128 v[142:145], v2 offset:656
	scratch_load_b128 v[146:149], off, off offset:264
	s_wait_dscnt 0x1
	v_fmac_f64_e32 v[154:155], v[128:129], v[124:125]
	s_wait_loadcnt 0x5
	s_delay_alu instid0(VALU_DEP_1) | instskip(SKIP_4) | instid1(VALU_DEP_1)
	v_fmac_f64_e32 v[154:155], v[130:131], v[126:127]
	scratch_load_b128 v[124:127], off, off offset:280
	s_wait_dscnt 0x0
	v_fmac_f64_e32 v[154:155], v[132:133], v[142:143]
	s_wait_loadcnt 0x5
	v_fmac_f64_e32 v[154:155], v[134:135], v[144:145]
	ds_load_b128 v[128:131], v2 offset:672
	ds_load_b128 v[132:135], v2 offset:688
	scratch_load_b128 v[142:145], off, off offset:296
	s_wait_dscnt 0x1
	v_fmac_f64_e32 v[154:155], v[136:137], v[128:129]
	s_wait_loadcnt 0x5
	s_delay_alu instid0(VALU_DEP_1) | instskip(SKIP_4) | instid1(VALU_DEP_1)
	v_fmac_f64_e32 v[154:155], v[138:139], v[130:131]
	scratch_load_b128 v[128:131], off, off offset:312
	s_wait_dscnt 0x0
	v_fmac_f64_e32 v[154:155], v[140:141], v[132:133]
	s_wait_loadcnt 0x5
	v_fmac_f64_e32 v[154:155], v[150:151], v[134:135]
	ds_load_b128 v[132:135], v2 offset:704
	ds_load_b128 v[136:139], v2 offset:720
	s_wait_dscnt 0x1
	v_fmac_f64_e32 v[154:155], v[152:153], v[132:133]
	scratch_load_b128 v[150:153], off, off offset:328
	s_wait_loadcnt 0x5
	v_fmac_f64_e32 v[154:155], v[120:121], v[134:135]
	s_wait_dscnt 0x0
	s_delay_alu instid0(VALU_DEP_1)
	v_fmac_f64_e32 v[154:155], v[122:123], v[136:137]
	scratch_load_b128 v[120:123], off, off offset:344
	s_wait_loadcnt 0x5
	v_fmac_f64_e32 v[154:155], v[146:147], v[138:139]
	ds_load_b128 v[132:135], v2 offset:736
	ds_load_b128 v[136:139], v2 offset:752
	s_wait_dscnt 0x1
	v_fmac_f64_e32 v[154:155], v[148:149], v[132:133]
	scratch_load_b128 v[146:149], off, off offset:360
	s_wait_loadcnt 0x5
	v_fmac_f64_e32 v[154:155], v[124:125], v[134:135]
	s_wait_dscnt 0x0
	s_delay_alu instid0(VALU_DEP_1)
	v_fmac_f64_e32 v[154:155], v[126:127], v[136:137]
	scratch_load_b128 v[124:127], off, off offset:376
	s_wait_loadcnt 0x5
	v_fmac_f64_e32 v[154:155], v[142:143], v[138:139]
	ds_load_b128 v[132:135], v2 offset:768
	ds_load_b128 v[136:139], v2 offset:784
	s_wait_dscnt 0x1
	v_fmac_f64_e32 v[154:155], v[144:145], v[132:133]
	s_wait_loadcnt 0x4
	s_delay_alu instid0(VALU_DEP_1)
	v_fmac_f64_e32 v[154:155], v[128:129], v[134:135]
	scratch_load_b128 v[132:135], off, off offset:392
	s_wait_dscnt 0x0
	v_fmac_f64_e32 v[154:155], v[130:131], v[136:137]
	scratch_load_b128 v[128:131], off, off offset:408
	s_wait_loadcnt 0x5
	v_fmac_f64_e32 v[154:155], v[150:151], v[138:139]
	ds_load_b128 v[136:139], v2 offset:800
	ds_load_b128 v[140:143], v2 offset:816
	s_wait_dscnt 0x1
	v_fmac_f64_e32 v[154:155], v[152:153], v[136:137]
	s_wait_loadcnt 0x4
	s_delay_alu instid0(VALU_DEP_1)
	v_fmac_f64_e32 v[154:155], v[120:121], v[138:139]
	scratch_load_b128 v[136:139], off, off offset:424
	s_wait_dscnt 0x0
	v_fmac_f64_e32 v[154:155], v[122:123], v[140:141]
	scratch_load_b128 v[120:123], off, off offset:440
	s_wait_loadcnt 0x5
	v_fmac_f64_e32 v[154:155], v[146:147], v[142:143]
	ds_load_b128 v[140:143], v2 offset:832
	ds_load_b128 v[144:147], v2 offset:848
	s_wait_dscnt 0x1
	v_fmac_f64_e32 v[154:155], v[148:149], v[140:141]
	s_wait_loadcnt 0x4
	s_delay_alu instid0(VALU_DEP_1) | instskip(SKIP_1) | instid1(VALU_DEP_1)
	v_fmac_f64_e32 v[154:155], v[124:125], v[142:143]
	s_wait_dscnt 0x0
	v_fmac_f64_e32 v[154:155], v[126:127], v[144:145]
	ds_load_b128 v[124:127], v2 offset:864
	ds_load_b128 v[140:143], v2 offset:880
	s_wait_loadcnt 0x3
	v_fmac_f64_e32 v[154:155], v[132:133], v[146:147]
	s_wait_dscnt 0x1
	s_delay_alu instid0(VALU_DEP_1) | instskip(SKIP_1) | instid1(VALU_DEP_1)
	v_fmac_f64_e32 v[154:155], v[134:135], v[124:125]
	s_wait_loadcnt 0x2
	v_fmac_f64_e32 v[154:155], v[128:129], v[126:127]
	ds_load_b128 v[124:127], v2 offset:896
	ds_load_b64 v[128:129], v2 offset:912
	s_wait_dscnt 0x2
	v_fmac_f64_e32 v[154:155], v[130:131], v[140:141]
	s_wait_loadcnt 0x1
	s_delay_alu instid0(VALU_DEP_1) | instskip(SKIP_1) | instid1(VALU_DEP_1)
	v_fmac_f64_e32 v[154:155], v[136:137], v[142:143]
	s_wait_dscnt 0x1
	v_fmac_f64_e32 v[154:155], v[138:139], v[124:125]
	s_wait_loadcnt 0x0
	s_delay_alu instid0(VALU_DEP_1) | instskip(SKIP_1) | instid1(VALU_DEP_1)
	v_fmac_f64_e32 v[154:155], v[120:121], v[126:127]
	s_wait_dscnt 0x0
	v_fmac_f64_e32 v[154:155], v[122:123], v[128:129]
	s_delay_alu instid0(VALU_DEP_1)
	v_add_f64_e64 v[118:119], v[118:119], -v[154:155]
	scratch_store_b64 off, v[118:119], off offset:136
	s_wait_xcnt 0x0
	v_cmpx_lt_u32_e32 16, v0
	s_cbranch_execz .LBB56_319
; %bb.318:
	scratch_load_b64 v[118:119], off, off offset:128
	v_mov_b64_e32 v[120:121], 0
	scratch_store_b64 off, v[120:121], off offset:128
	s_wait_loadcnt 0x0
	ds_store_b64 v1, v[118:119]
.LBB56_319:
	s_wait_xcnt 0x0
	s_or_b32 exec_lo, exec_lo, s0
	s_wait_storecnt_dscnt 0x0
	s_barrier_signal -1
	s_barrier_wait -1
	s_clause 0x5
	scratch_load_b128 v[118:121], off, off offset:128
	scratch_load_b128 v[122:125], off, off offset:144
	;; [unrolled: 1-line block ×6, first 2 shown]
	ds_load_2addr_b64 v[142:145], v2 offset0:75 offset1:76
	ds_load_2addr_b64 v[146:149], v2 offset0:77 offset1:78
	scratch_load_b128 v[150:153], off, off offset:224
	s_mov_b32 s0, exec_lo
	s_wait_loadcnt_dscnt 0x601
	v_fma_f64 v[154:155], v[120:121], v[142:143], 0
	s_wait_loadcnt 0x5
	s_delay_alu instid0(VALU_DEP_1) | instskip(SKIP_4) | instid1(VALU_DEP_1)
	v_fmac_f64_e32 v[154:155], v[122:123], v[144:145]
	scratch_load_b128 v[120:123], off, off offset:240
	s_wait_dscnt 0x0
	v_fmac_f64_e32 v[154:155], v[124:125], v[146:147]
	s_wait_loadcnt 0x5
	v_fmac_f64_e32 v[154:155], v[126:127], v[148:149]
	ds_load_2addr_b64 v[124:127], v2 offset0:79 offset1:80
	ds_load_2addr_b64 v[142:145], v2 offset0:81 offset1:82
	scratch_load_b128 v[146:149], off, off offset:256
	s_wait_dscnt 0x1
	v_fmac_f64_e32 v[154:155], v[128:129], v[124:125]
	s_wait_loadcnt 0x5
	s_delay_alu instid0(VALU_DEP_1) | instskip(SKIP_4) | instid1(VALU_DEP_1)
	v_fmac_f64_e32 v[154:155], v[130:131], v[126:127]
	scratch_load_b128 v[124:127], off, off offset:272
	s_wait_dscnt 0x0
	v_fmac_f64_e32 v[154:155], v[132:133], v[142:143]
	s_wait_loadcnt 0x5
	v_fmac_f64_e32 v[154:155], v[134:135], v[144:145]
	ds_load_2addr_b64 v[128:131], v2 offset0:83 offset1:84
	ds_load_2addr_b64 v[132:135], v2 offset0:85 offset1:86
	scratch_load_b128 v[142:145], off, off offset:288
	s_wait_dscnt 0x1
	v_fmac_f64_e32 v[154:155], v[136:137], v[128:129]
	s_wait_loadcnt 0x5
	s_delay_alu instid0(VALU_DEP_1) | instskip(SKIP_4) | instid1(VALU_DEP_1)
	v_fmac_f64_e32 v[154:155], v[138:139], v[130:131]
	scratch_load_b128 v[128:131], off, off offset:304
	s_wait_dscnt 0x0
	v_fmac_f64_e32 v[154:155], v[140:141], v[132:133]
	s_wait_loadcnt 0x5
	v_fmac_f64_e32 v[154:155], v[150:151], v[134:135]
	ds_load_2addr_b64 v[132:135], v2 offset0:87 offset1:88
	ds_load_2addr_b64 v[136:139], v2 offset0:89 offset1:90
	s_wait_dscnt 0x1
	v_fmac_f64_e32 v[154:155], v[152:153], v[132:133]
	scratch_load_b128 v[150:153], off, off offset:320
	s_wait_loadcnt 0x5
	v_fmac_f64_e32 v[154:155], v[120:121], v[134:135]
	s_wait_dscnt 0x0
	s_delay_alu instid0(VALU_DEP_1)
	v_fmac_f64_e32 v[154:155], v[122:123], v[136:137]
	scratch_load_b128 v[120:123], off, off offset:336
	s_wait_loadcnt 0x5
	v_fmac_f64_e32 v[154:155], v[146:147], v[138:139]
	ds_load_2addr_b64 v[132:135], v2 offset0:91 offset1:92
	ds_load_2addr_b64 v[136:139], v2 offset0:93 offset1:94
	s_wait_dscnt 0x1
	v_fmac_f64_e32 v[154:155], v[148:149], v[132:133]
	scratch_load_b128 v[146:149], off, off offset:352
	s_wait_loadcnt 0x5
	v_fmac_f64_e32 v[154:155], v[124:125], v[134:135]
	s_wait_dscnt 0x0
	s_delay_alu instid0(VALU_DEP_1)
	v_fmac_f64_e32 v[154:155], v[126:127], v[136:137]
	scratch_load_b128 v[124:127], off, off offset:368
	s_wait_loadcnt 0x5
	v_fmac_f64_e32 v[154:155], v[142:143], v[138:139]
	ds_load_2addr_b64 v[132:135], v2 offset0:95 offset1:96
	ds_load_2addr_b64 v[136:139], v2 offset0:97 offset1:98
	s_wait_dscnt 0x1
	v_fmac_f64_e32 v[154:155], v[144:145], v[132:133]
	s_wait_loadcnt 0x4
	s_delay_alu instid0(VALU_DEP_1)
	v_fmac_f64_e32 v[154:155], v[128:129], v[134:135]
	scratch_load_b128 v[132:135], off, off offset:384
	s_wait_dscnt 0x0
	v_fmac_f64_e32 v[154:155], v[130:131], v[136:137]
	scratch_load_b128 v[128:131], off, off offset:400
	s_wait_loadcnt 0x5
	v_fmac_f64_e32 v[154:155], v[150:151], v[138:139]
	ds_load_2addr_b64 v[136:139], v2 offset0:99 offset1:100
	ds_load_2addr_b64 v[140:143], v2 offset0:101 offset1:102
	s_wait_dscnt 0x1
	v_fmac_f64_e32 v[154:155], v[152:153], v[136:137]
	s_wait_loadcnt 0x4
	s_delay_alu instid0(VALU_DEP_1)
	v_fmac_f64_e32 v[154:155], v[120:121], v[138:139]
	scratch_load_b128 v[136:139], off, off offset:416
	s_wait_dscnt 0x0
	v_fmac_f64_e32 v[154:155], v[122:123], v[140:141]
	scratch_load_b128 v[120:123], off, off offset:432
	s_wait_loadcnt 0x5
	v_fmac_f64_e32 v[154:155], v[146:147], v[142:143]
	ds_load_2addr_b64 v[140:143], v2 offset0:103 offset1:104
	ds_load_2addr_b64 v[144:147], v2 offset0:105 offset1:106
	s_wait_dscnt 0x1
	v_fmac_f64_e32 v[154:155], v[148:149], v[140:141]
	scratch_load_b64 v[148:149], off, off offset:448
	s_wait_loadcnt 0x5
	v_fmac_f64_e32 v[154:155], v[124:125], v[142:143]
	s_wait_dscnt 0x0
	s_delay_alu instid0(VALU_DEP_1)
	v_fmac_f64_e32 v[154:155], v[126:127], v[144:145]
	ds_load_2addr_b64 v[124:127], v2 offset0:107 offset1:108
	ds_load_2addr_b64 v[140:143], v2 offset0:109 offset1:110
	s_wait_loadcnt 0x4
	v_fmac_f64_e32 v[154:155], v[132:133], v[146:147]
	s_wait_dscnt 0x1
	s_delay_alu instid0(VALU_DEP_1) | instskip(SKIP_1) | instid1(VALU_DEP_1)
	v_fmac_f64_e32 v[154:155], v[134:135], v[124:125]
	s_wait_loadcnt 0x3
	v_fmac_f64_e32 v[154:155], v[128:129], v[126:127]
	s_wait_dscnt 0x0
	s_delay_alu instid0(VALU_DEP_1)
	v_fmac_f64_e32 v[154:155], v[130:131], v[140:141]
	ds_load_2addr_b64 v[124:127], v2 offset0:111 offset1:112
	ds_load_2addr_b64 v[128:131], v2 offset0:113 offset1:114
	s_wait_loadcnt 0x2
	v_fmac_f64_e32 v[154:155], v[136:137], v[142:143]
	s_wait_dscnt 0x1
	s_delay_alu instid0(VALU_DEP_1) | instskip(SKIP_1) | instid1(VALU_DEP_1)
	v_fmac_f64_e32 v[154:155], v[138:139], v[124:125]
	s_wait_loadcnt 0x1
	v_fmac_f64_e32 v[154:155], v[120:121], v[126:127]
	s_wait_dscnt 0x0
	s_delay_alu instid0(VALU_DEP_1) | instskip(SKIP_1) | instid1(VALU_DEP_1)
	v_fmac_f64_e32 v[154:155], v[122:123], v[128:129]
	s_wait_loadcnt 0x0
	v_fmac_f64_e32 v[154:155], v[148:149], v[130:131]
	s_delay_alu instid0(VALU_DEP_1)
	v_add_f64_e64 v[2:3], v[118:119], -v[154:155]
	scratch_store_b64 off, v[2:3], off offset:128
	s_wait_xcnt 0x0
	v_cmpx_lt_u32_e32 15, v0
	s_cbranch_execz .LBB56_321
; %bb.320:
	scratch_load_b64 v[2:3], off, off offset:120
	v_mov_b64_e32 v[118:119], 0
	scratch_store_b64 off, v[118:119], off offset:120
	s_wait_loadcnt 0x0
	ds_store_b64 v1, v[2:3]
.LBB56_321:
	s_wait_xcnt 0x0
	s_or_b32 exec_lo, exec_lo, s0
	s_wait_storecnt_dscnt 0x0
	s_barrier_signal -1
	s_barrier_wait -1
	s_clause 0x5
	scratch_load_b128 v[118:121], off, off offset:120
	scratch_load_b128 v[122:125], off, off offset:136
	;; [unrolled: 1-line block ×6, first 2 shown]
	v_mov_b32_e32 v2, 0
	ds_load_b128 v[142:145], v2 offset:592
	ds_load_b128 v[146:149], v2 offset:608
	scratch_load_b128 v[150:153], off, off offset:216
	s_mov_b32 s0, exec_lo
	s_wait_loadcnt_dscnt 0x601
	v_fma_f64 v[154:155], v[120:121], v[142:143], 0
	s_wait_loadcnt 0x5
	s_delay_alu instid0(VALU_DEP_1) | instskip(SKIP_4) | instid1(VALU_DEP_1)
	v_fmac_f64_e32 v[154:155], v[122:123], v[144:145]
	scratch_load_b128 v[120:123], off, off offset:232
	s_wait_dscnt 0x0
	v_fmac_f64_e32 v[154:155], v[124:125], v[146:147]
	s_wait_loadcnt 0x5
	v_fmac_f64_e32 v[154:155], v[126:127], v[148:149]
	ds_load_b128 v[124:127], v2 offset:624
	ds_load_b128 v[142:145], v2 offset:640
	scratch_load_b128 v[146:149], off, off offset:248
	s_wait_dscnt 0x1
	v_fmac_f64_e32 v[154:155], v[128:129], v[124:125]
	s_wait_loadcnt 0x5
	s_delay_alu instid0(VALU_DEP_1) | instskip(SKIP_4) | instid1(VALU_DEP_1)
	v_fmac_f64_e32 v[154:155], v[130:131], v[126:127]
	scratch_load_b128 v[124:127], off, off offset:264
	s_wait_dscnt 0x0
	v_fmac_f64_e32 v[154:155], v[132:133], v[142:143]
	s_wait_loadcnt 0x5
	v_fmac_f64_e32 v[154:155], v[134:135], v[144:145]
	ds_load_b128 v[128:131], v2 offset:656
	ds_load_b128 v[132:135], v2 offset:672
	scratch_load_b128 v[142:145], off, off offset:280
	s_wait_dscnt 0x1
	v_fmac_f64_e32 v[154:155], v[136:137], v[128:129]
	s_wait_loadcnt 0x5
	s_delay_alu instid0(VALU_DEP_1) | instskip(SKIP_4) | instid1(VALU_DEP_1)
	v_fmac_f64_e32 v[154:155], v[138:139], v[130:131]
	scratch_load_b128 v[128:131], off, off offset:296
	s_wait_dscnt 0x0
	v_fmac_f64_e32 v[154:155], v[140:141], v[132:133]
	s_wait_loadcnt 0x5
	v_fmac_f64_e32 v[154:155], v[150:151], v[134:135]
	ds_load_b128 v[132:135], v2 offset:688
	ds_load_b128 v[136:139], v2 offset:704
	s_wait_dscnt 0x1
	v_fmac_f64_e32 v[154:155], v[152:153], v[132:133]
	scratch_load_b128 v[150:153], off, off offset:312
	s_wait_loadcnt 0x5
	v_fmac_f64_e32 v[154:155], v[120:121], v[134:135]
	s_wait_dscnt 0x0
	s_delay_alu instid0(VALU_DEP_1)
	v_fmac_f64_e32 v[154:155], v[122:123], v[136:137]
	scratch_load_b128 v[120:123], off, off offset:328
	s_wait_loadcnt 0x5
	v_fmac_f64_e32 v[154:155], v[146:147], v[138:139]
	ds_load_b128 v[132:135], v2 offset:720
	ds_load_b128 v[136:139], v2 offset:736
	s_wait_dscnt 0x1
	v_fmac_f64_e32 v[154:155], v[148:149], v[132:133]
	scratch_load_b128 v[146:149], off, off offset:344
	s_wait_loadcnt 0x5
	v_fmac_f64_e32 v[154:155], v[124:125], v[134:135]
	s_wait_dscnt 0x0
	s_delay_alu instid0(VALU_DEP_1)
	v_fmac_f64_e32 v[154:155], v[126:127], v[136:137]
	scratch_load_b128 v[124:127], off, off offset:360
	s_wait_loadcnt 0x5
	v_fmac_f64_e32 v[154:155], v[142:143], v[138:139]
	ds_load_b128 v[132:135], v2 offset:752
	ds_load_b128 v[136:139], v2 offset:768
	s_wait_dscnt 0x1
	v_fmac_f64_e32 v[154:155], v[144:145], v[132:133]
	s_wait_loadcnt 0x4
	s_delay_alu instid0(VALU_DEP_1)
	v_fmac_f64_e32 v[154:155], v[128:129], v[134:135]
	scratch_load_b128 v[132:135], off, off offset:376
	s_wait_dscnt 0x0
	v_fmac_f64_e32 v[154:155], v[130:131], v[136:137]
	scratch_load_b128 v[128:131], off, off offset:392
	s_wait_loadcnt 0x5
	v_fmac_f64_e32 v[154:155], v[150:151], v[138:139]
	ds_load_b128 v[136:139], v2 offset:784
	ds_load_b128 v[140:143], v2 offset:800
	s_wait_dscnt 0x1
	v_fmac_f64_e32 v[154:155], v[152:153], v[136:137]
	s_wait_loadcnt 0x4
	s_delay_alu instid0(VALU_DEP_1)
	v_fmac_f64_e32 v[154:155], v[120:121], v[138:139]
	scratch_load_b128 v[136:139], off, off offset:408
	s_wait_dscnt 0x0
	v_fmac_f64_e32 v[154:155], v[122:123], v[140:141]
	scratch_load_b128 v[120:123], off, off offset:424
	s_wait_loadcnt 0x5
	v_fmac_f64_e32 v[154:155], v[146:147], v[142:143]
	ds_load_b128 v[140:143], v2 offset:816
	ds_load_b128 v[144:147], v2 offset:832
	s_wait_dscnt 0x1
	v_fmac_f64_e32 v[154:155], v[148:149], v[140:141]
	s_wait_loadcnt 0x4
	s_delay_alu instid0(VALU_DEP_1) | instskip(SKIP_4) | instid1(VALU_DEP_1)
	v_fmac_f64_e32 v[154:155], v[124:125], v[142:143]
	scratch_load_b128 v[140:143], off, off offset:440
	s_wait_dscnt 0x0
	v_fmac_f64_e32 v[154:155], v[126:127], v[144:145]
	s_wait_loadcnt 0x4
	v_fmac_f64_e32 v[154:155], v[132:133], v[146:147]
	ds_load_b128 v[124:127], v2 offset:848
	ds_load_b128 v[144:147], v2 offset:864
	s_wait_dscnt 0x1
	v_fmac_f64_e32 v[154:155], v[134:135], v[124:125]
	s_wait_loadcnt 0x3
	s_delay_alu instid0(VALU_DEP_1) | instskip(SKIP_1) | instid1(VALU_DEP_1)
	v_fmac_f64_e32 v[154:155], v[128:129], v[126:127]
	s_wait_dscnt 0x0
	v_fmac_f64_e32 v[154:155], v[130:131], v[144:145]
	ds_load_b128 v[124:127], v2 offset:880
	ds_load_b128 v[128:131], v2 offset:896
	s_wait_loadcnt 0x2
	v_fmac_f64_e32 v[154:155], v[136:137], v[146:147]
	s_wait_dscnt 0x1
	s_delay_alu instid0(VALU_DEP_1) | instskip(SKIP_1) | instid1(VALU_DEP_1)
	v_fmac_f64_e32 v[154:155], v[138:139], v[124:125]
	s_wait_loadcnt 0x1
	v_fmac_f64_e32 v[154:155], v[120:121], v[126:127]
	ds_load_b64 v[120:121], v2 offset:912
	s_wait_dscnt 0x1
	v_fmac_f64_e32 v[154:155], v[122:123], v[128:129]
	s_wait_loadcnt 0x0
	s_delay_alu instid0(VALU_DEP_1) | instskip(SKIP_1) | instid1(VALU_DEP_1)
	v_fmac_f64_e32 v[154:155], v[140:141], v[130:131]
	s_wait_dscnt 0x0
	v_fmac_f64_e32 v[154:155], v[142:143], v[120:121]
	s_delay_alu instid0(VALU_DEP_1)
	v_add_f64_e64 v[118:119], v[118:119], -v[154:155]
	scratch_store_b64 off, v[118:119], off offset:120
	s_wait_xcnt 0x0
	v_cmpx_lt_u32_e32 14, v0
	s_cbranch_execz .LBB56_323
; %bb.322:
	scratch_load_b64 v[118:119], off, off offset:112
	v_mov_b64_e32 v[120:121], 0
	scratch_store_b64 off, v[120:121], off offset:112
	s_wait_loadcnt 0x0
	ds_store_b64 v1, v[118:119]
.LBB56_323:
	s_wait_xcnt 0x0
	s_or_b32 exec_lo, exec_lo, s0
	s_wait_storecnt_dscnt 0x0
	s_barrier_signal -1
	s_barrier_wait -1
	s_clause 0x5
	scratch_load_b128 v[118:121], off, off offset:112
	scratch_load_b128 v[122:125], off, off offset:128
	;; [unrolled: 1-line block ×6, first 2 shown]
	ds_load_2addr_b64 v[142:145], v2 offset0:73 offset1:74
	ds_load_2addr_b64 v[146:149], v2 offset0:75 offset1:76
	scratch_load_b128 v[150:153], off, off offset:208
	s_mov_b32 s0, exec_lo
	s_wait_loadcnt_dscnt 0x601
	v_fma_f64 v[154:155], v[120:121], v[142:143], 0
	s_wait_loadcnt 0x5
	s_delay_alu instid0(VALU_DEP_1) | instskip(SKIP_4) | instid1(VALU_DEP_1)
	v_fmac_f64_e32 v[154:155], v[122:123], v[144:145]
	scratch_load_b128 v[120:123], off, off offset:224
	s_wait_dscnt 0x0
	v_fmac_f64_e32 v[154:155], v[124:125], v[146:147]
	s_wait_loadcnt 0x5
	v_fmac_f64_e32 v[154:155], v[126:127], v[148:149]
	ds_load_2addr_b64 v[124:127], v2 offset0:77 offset1:78
	ds_load_2addr_b64 v[142:145], v2 offset0:79 offset1:80
	scratch_load_b128 v[146:149], off, off offset:240
	s_wait_dscnt 0x1
	v_fmac_f64_e32 v[154:155], v[128:129], v[124:125]
	s_wait_loadcnt 0x5
	s_delay_alu instid0(VALU_DEP_1) | instskip(SKIP_4) | instid1(VALU_DEP_1)
	v_fmac_f64_e32 v[154:155], v[130:131], v[126:127]
	scratch_load_b128 v[124:127], off, off offset:256
	s_wait_dscnt 0x0
	v_fmac_f64_e32 v[154:155], v[132:133], v[142:143]
	s_wait_loadcnt 0x5
	v_fmac_f64_e32 v[154:155], v[134:135], v[144:145]
	ds_load_2addr_b64 v[128:131], v2 offset0:81 offset1:82
	ds_load_2addr_b64 v[132:135], v2 offset0:83 offset1:84
	scratch_load_b128 v[142:145], off, off offset:272
	s_wait_dscnt 0x1
	v_fmac_f64_e32 v[154:155], v[136:137], v[128:129]
	s_wait_loadcnt 0x5
	s_delay_alu instid0(VALU_DEP_1) | instskip(SKIP_4) | instid1(VALU_DEP_1)
	v_fmac_f64_e32 v[154:155], v[138:139], v[130:131]
	scratch_load_b128 v[128:131], off, off offset:288
	s_wait_dscnt 0x0
	v_fmac_f64_e32 v[154:155], v[140:141], v[132:133]
	s_wait_loadcnt 0x5
	v_fmac_f64_e32 v[154:155], v[150:151], v[134:135]
	ds_load_2addr_b64 v[132:135], v2 offset0:85 offset1:86
	ds_load_2addr_b64 v[136:139], v2 offset0:87 offset1:88
	s_wait_dscnt 0x1
	v_fmac_f64_e32 v[154:155], v[152:153], v[132:133]
	scratch_load_b128 v[150:153], off, off offset:304
	s_wait_loadcnt 0x5
	v_fmac_f64_e32 v[154:155], v[120:121], v[134:135]
	s_wait_dscnt 0x0
	s_delay_alu instid0(VALU_DEP_1)
	v_fmac_f64_e32 v[154:155], v[122:123], v[136:137]
	scratch_load_b128 v[120:123], off, off offset:320
	s_wait_loadcnt 0x5
	v_fmac_f64_e32 v[154:155], v[146:147], v[138:139]
	ds_load_2addr_b64 v[132:135], v2 offset0:89 offset1:90
	ds_load_2addr_b64 v[136:139], v2 offset0:91 offset1:92
	s_wait_dscnt 0x1
	v_fmac_f64_e32 v[154:155], v[148:149], v[132:133]
	scratch_load_b128 v[146:149], off, off offset:336
	s_wait_loadcnt 0x5
	v_fmac_f64_e32 v[154:155], v[124:125], v[134:135]
	s_wait_dscnt 0x0
	s_delay_alu instid0(VALU_DEP_1)
	v_fmac_f64_e32 v[154:155], v[126:127], v[136:137]
	scratch_load_b128 v[124:127], off, off offset:352
	s_wait_loadcnt 0x5
	v_fmac_f64_e32 v[154:155], v[142:143], v[138:139]
	ds_load_2addr_b64 v[132:135], v2 offset0:93 offset1:94
	ds_load_2addr_b64 v[136:139], v2 offset0:95 offset1:96
	scratch_load_b128 v[140:143], off, off offset:368
	s_wait_dscnt 0x1
	v_fmac_f64_e32 v[154:155], v[144:145], v[132:133]
	s_wait_loadcnt 0x5
	s_delay_alu instid0(VALU_DEP_1) | instskip(SKIP_1) | instid1(VALU_DEP_1)
	v_fmac_f64_e32 v[154:155], v[128:129], v[134:135]
	s_wait_dscnt 0x0
	v_fmac_f64_e32 v[154:155], v[130:131], v[136:137]
	scratch_load_b128 v[128:131], off, off offset:384
	s_wait_loadcnt 0x5
	v_fmac_f64_e32 v[154:155], v[150:151], v[138:139]
	ds_load_2addr_b64 v[132:135], v2 offset0:97 offset1:98
	ds_load_2addr_b64 v[136:139], v2 offset0:99 offset1:100
	s_wait_dscnt 0x1
	v_fmac_f64_e32 v[154:155], v[152:153], v[132:133]
	s_wait_loadcnt 0x4
	s_delay_alu instid0(VALU_DEP_1)
	v_fmac_f64_e32 v[154:155], v[120:121], v[134:135]
	scratch_load_b128 v[132:135], off, off offset:400
	s_wait_dscnt 0x0
	v_fmac_f64_e32 v[154:155], v[122:123], v[136:137]
	scratch_load_b128 v[120:123], off, off offset:416
	s_wait_loadcnt 0x5
	v_fmac_f64_e32 v[154:155], v[146:147], v[138:139]
	ds_load_2addr_b64 v[136:139], v2 offset0:101 offset1:102
	ds_load_2addr_b64 v[144:147], v2 offset0:103 offset1:104
	s_wait_dscnt 0x1
	v_fmac_f64_e32 v[154:155], v[148:149], v[136:137]
	s_wait_loadcnt 0x4
	s_delay_alu instid0(VALU_DEP_1) | instskip(SKIP_4) | instid1(VALU_DEP_1)
	v_fmac_f64_e32 v[154:155], v[124:125], v[138:139]
	scratch_load_b128 v[136:139], off, off offset:432
	s_wait_dscnt 0x0
	v_fmac_f64_e32 v[154:155], v[126:127], v[144:145]
	s_wait_loadcnt 0x4
	v_fmac_f64_e32 v[154:155], v[140:141], v[146:147]
	scratch_load_b64 v[140:141], off, off offset:448
	ds_load_2addr_b64 v[124:127], v2 offset0:105 offset1:106
	ds_load_2addr_b64 v[144:147], v2 offset0:107 offset1:108
	s_wait_dscnt 0x1
	v_fmac_f64_e32 v[154:155], v[142:143], v[124:125]
	s_wait_loadcnt 0x4
	s_delay_alu instid0(VALU_DEP_1) | instskip(SKIP_1) | instid1(VALU_DEP_1)
	v_fmac_f64_e32 v[154:155], v[128:129], v[126:127]
	s_wait_dscnt 0x0
	v_fmac_f64_e32 v[154:155], v[130:131], v[144:145]
	ds_load_2addr_b64 v[124:127], v2 offset0:109 offset1:110
	ds_load_2addr_b64 v[128:131], v2 offset0:111 offset1:112
	s_wait_loadcnt 0x3
	v_fmac_f64_e32 v[154:155], v[132:133], v[146:147]
	s_wait_dscnt 0x1
	s_delay_alu instid0(VALU_DEP_1) | instskip(SKIP_1) | instid1(VALU_DEP_1)
	v_fmac_f64_e32 v[154:155], v[134:135], v[124:125]
	s_wait_loadcnt 0x2
	v_fmac_f64_e32 v[154:155], v[120:121], v[126:127]
	s_wait_dscnt 0x0
	s_delay_alu instid0(VALU_DEP_1) | instskip(SKIP_4) | instid1(VALU_DEP_1)
	v_fmac_f64_e32 v[154:155], v[122:123], v[128:129]
	ds_load_2addr_b64 v[120:123], v2 offset0:113 offset1:114
	s_wait_loadcnt 0x1
	v_fmac_f64_e32 v[154:155], v[136:137], v[130:131]
	s_wait_dscnt 0x0
	v_fmac_f64_e32 v[154:155], v[138:139], v[120:121]
	s_wait_loadcnt 0x0
	s_delay_alu instid0(VALU_DEP_1) | instskip(NEXT) | instid1(VALU_DEP_1)
	v_fmac_f64_e32 v[154:155], v[140:141], v[122:123]
	v_add_f64_e64 v[2:3], v[118:119], -v[154:155]
	scratch_store_b64 off, v[2:3], off offset:112
	s_wait_xcnt 0x0
	v_cmpx_lt_u32_e32 13, v0
	s_cbranch_execz .LBB56_325
; %bb.324:
	scratch_load_b64 v[2:3], off, off offset:104
	v_mov_b64_e32 v[118:119], 0
	scratch_store_b64 off, v[118:119], off offset:104
	s_wait_loadcnt 0x0
	ds_store_b64 v1, v[2:3]
.LBB56_325:
	s_wait_xcnt 0x0
	s_or_b32 exec_lo, exec_lo, s0
	s_wait_storecnt_dscnt 0x0
	s_barrier_signal -1
	s_barrier_wait -1
	s_clause 0x5
	scratch_load_b128 v[118:121], off, off offset:104
	scratch_load_b128 v[122:125], off, off offset:120
	;; [unrolled: 1-line block ×6, first 2 shown]
	v_mov_b32_e32 v2, 0
	ds_load_b128 v[142:145], v2 offset:576
	ds_load_b128 v[146:149], v2 offset:592
	scratch_load_b128 v[150:153], off, off offset:200
	s_mov_b32 s0, exec_lo
	s_wait_loadcnt_dscnt 0x601
	v_fma_f64 v[154:155], v[120:121], v[142:143], 0
	s_wait_loadcnt 0x5
	s_delay_alu instid0(VALU_DEP_1) | instskip(SKIP_4) | instid1(VALU_DEP_1)
	v_fmac_f64_e32 v[154:155], v[122:123], v[144:145]
	scratch_load_b128 v[120:123], off, off offset:216
	s_wait_dscnt 0x0
	v_fmac_f64_e32 v[154:155], v[124:125], v[146:147]
	s_wait_loadcnt 0x5
	v_fmac_f64_e32 v[154:155], v[126:127], v[148:149]
	ds_load_b128 v[124:127], v2 offset:608
	ds_load_b128 v[142:145], v2 offset:624
	scratch_load_b128 v[146:149], off, off offset:232
	s_wait_dscnt 0x1
	v_fmac_f64_e32 v[154:155], v[128:129], v[124:125]
	s_wait_loadcnt 0x5
	s_delay_alu instid0(VALU_DEP_1) | instskip(SKIP_4) | instid1(VALU_DEP_1)
	v_fmac_f64_e32 v[154:155], v[130:131], v[126:127]
	scratch_load_b128 v[124:127], off, off offset:248
	s_wait_dscnt 0x0
	v_fmac_f64_e32 v[154:155], v[132:133], v[142:143]
	s_wait_loadcnt 0x5
	v_fmac_f64_e32 v[154:155], v[134:135], v[144:145]
	ds_load_b128 v[128:131], v2 offset:640
	ds_load_b128 v[132:135], v2 offset:656
	scratch_load_b128 v[142:145], off, off offset:264
	s_wait_dscnt 0x1
	v_fmac_f64_e32 v[154:155], v[136:137], v[128:129]
	s_wait_loadcnt 0x5
	s_delay_alu instid0(VALU_DEP_1) | instskip(SKIP_4) | instid1(VALU_DEP_1)
	v_fmac_f64_e32 v[154:155], v[138:139], v[130:131]
	scratch_load_b128 v[128:131], off, off offset:280
	s_wait_dscnt 0x0
	v_fmac_f64_e32 v[154:155], v[140:141], v[132:133]
	s_wait_loadcnt 0x5
	v_fmac_f64_e32 v[154:155], v[150:151], v[134:135]
	ds_load_b128 v[132:135], v2 offset:672
	ds_load_b128 v[136:139], v2 offset:688
	s_wait_dscnt 0x1
	v_fmac_f64_e32 v[154:155], v[152:153], v[132:133]
	scratch_load_b128 v[150:153], off, off offset:296
	s_wait_loadcnt 0x5
	v_fmac_f64_e32 v[154:155], v[120:121], v[134:135]
	s_wait_dscnt 0x0
	s_delay_alu instid0(VALU_DEP_1)
	v_fmac_f64_e32 v[154:155], v[122:123], v[136:137]
	scratch_load_b128 v[120:123], off, off offset:312
	s_wait_loadcnt 0x5
	v_fmac_f64_e32 v[154:155], v[146:147], v[138:139]
	ds_load_b128 v[132:135], v2 offset:704
	ds_load_b128 v[136:139], v2 offset:720
	s_wait_dscnt 0x1
	v_fmac_f64_e32 v[154:155], v[148:149], v[132:133]
	scratch_load_b128 v[146:149], off, off offset:328
	s_wait_loadcnt 0x5
	v_fmac_f64_e32 v[154:155], v[124:125], v[134:135]
	s_wait_dscnt 0x0
	s_delay_alu instid0(VALU_DEP_1)
	v_fmac_f64_e32 v[154:155], v[126:127], v[136:137]
	scratch_load_b128 v[124:127], off, off offset:344
	s_wait_loadcnt 0x5
	v_fmac_f64_e32 v[154:155], v[142:143], v[138:139]
	ds_load_b128 v[132:135], v2 offset:736
	ds_load_b128 v[136:139], v2 offset:752
	scratch_load_b128 v[140:143], off, off offset:360
	s_wait_dscnt 0x1
	v_fmac_f64_e32 v[154:155], v[144:145], v[132:133]
	s_wait_loadcnt 0x5
	s_delay_alu instid0(VALU_DEP_1) | instskip(SKIP_1) | instid1(VALU_DEP_1)
	v_fmac_f64_e32 v[154:155], v[128:129], v[134:135]
	s_wait_dscnt 0x0
	v_fmac_f64_e32 v[154:155], v[130:131], v[136:137]
	scratch_load_b128 v[128:131], off, off offset:376
	s_wait_loadcnt 0x5
	v_fmac_f64_e32 v[154:155], v[150:151], v[138:139]
	ds_load_b128 v[132:135], v2 offset:768
	ds_load_b128 v[136:139], v2 offset:784
	s_wait_dscnt 0x1
	v_fmac_f64_e32 v[154:155], v[152:153], v[132:133]
	s_wait_loadcnt 0x4
	s_delay_alu instid0(VALU_DEP_1)
	v_fmac_f64_e32 v[154:155], v[120:121], v[134:135]
	scratch_load_b128 v[132:135], off, off offset:392
	s_wait_dscnt 0x0
	v_fmac_f64_e32 v[154:155], v[122:123], v[136:137]
	scratch_load_b128 v[120:123], off, off offset:408
	s_wait_loadcnt 0x5
	v_fmac_f64_e32 v[154:155], v[146:147], v[138:139]
	ds_load_b128 v[136:139], v2 offset:800
	ds_load_b128 v[144:147], v2 offset:816
	s_wait_dscnt 0x1
	v_fmac_f64_e32 v[154:155], v[148:149], v[136:137]
	s_wait_loadcnt 0x4
	s_delay_alu instid0(VALU_DEP_1)
	v_fmac_f64_e32 v[154:155], v[124:125], v[138:139]
	scratch_load_b128 v[136:139], off, off offset:424
	s_wait_dscnt 0x0
	v_fmac_f64_e32 v[154:155], v[126:127], v[144:145]
	scratch_load_b128 v[124:127], off, off offset:440
	s_wait_loadcnt 0x5
	v_fmac_f64_e32 v[154:155], v[140:141], v[146:147]
	ds_load_b128 v[144:147], v2 offset:832
	ds_load_b128 v[148:151], v2 offset:848
	s_wait_dscnt 0x1
	v_fmac_f64_e32 v[154:155], v[142:143], v[144:145]
	s_wait_loadcnt 0x4
	s_delay_alu instid0(VALU_DEP_1) | instskip(SKIP_1) | instid1(VALU_DEP_1)
	v_fmac_f64_e32 v[154:155], v[128:129], v[146:147]
	s_wait_dscnt 0x0
	v_fmac_f64_e32 v[154:155], v[130:131], v[148:149]
	ds_load_b128 v[128:131], v2 offset:864
	ds_load_b128 v[140:143], v2 offset:880
	s_wait_loadcnt 0x3
	v_fmac_f64_e32 v[154:155], v[132:133], v[150:151]
	s_wait_dscnt 0x1
	s_delay_alu instid0(VALU_DEP_1) | instskip(SKIP_1) | instid1(VALU_DEP_1)
	v_fmac_f64_e32 v[154:155], v[134:135], v[128:129]
	s_wait_loadcnt 0x2
	v_fmac_f64_e32 v[154:155], v[120:121], v[130:131]
	s_wait_dscnt 0x0
	s_delay_alu instid0(VALU_DEP_1)
	v_fmac_f64_e32 v[154:155], v[122:123], v[140:141]
	ds_load_b128 v[120:123], v2 offset:896
	ds_load_b64 v[128:129], v2 offset:912
	s_wait_loadcnt 0x1
	v_fmac_f64_e32 v[154:155], v[136:137], v[142:143]
	s_wait_dscnt 0x1
	s_delay_alu instid0(VALU_DEP_1) | instskip(SKIP_1) | instid1(VALU_DEP_1)
	v_fmac_f64_e32 v[154:155], v[138:139], v[120:121]
	s_wait_loadcnt 0x0
	v_fmac_f64_e32 v[154:155], v[124:125], v[122:123]
	s_wait_dscnt 0x0
	s_delay_alu instid0(VALU_DEP_1) | instskip(NEXT) | instid1(VALU_DEP_1)
	v_fmac_f64_e32 v[154:155], v[126:127], v[128:129]
	v_add_f64_e64 v[118:119], v[118:119], -v[154:155]
	scratch_store_b64 off, v[118:119], off offset:104
	s_wait_xcnt 0x0
	v_cmpx_lt_u32_e32 12, v0
	s_cbranch_execz .LBB56_327
; %bb.326:
	scratch_load_b64 v[118:119], off, off offset:96
	v_mov_b64_e32 v[120:121], 0
	scratch_store_b64 off, v[120:121], off offset:96
	s_wait_loadcnt 0x0
	ds_store_b64 v1, v[118:119]
.LBB56_327:
	s_wait_xcnt 0x0
	s_or_b32 exec_lo, exec_lo, s0
	s_wait_storecnt_dscnt 0x0
	s_barrier_signal -1
	s_barrier_wait -1
	s_clause 0x5
	scratch_load_b128 v[118:121], off, off offset:96
	scratch_load_b128 v[122:125], off, off offset:112
	;; [unrolled: 1-line block ×6, first 2 shown]
	ds_load_2addr_b64 v[142:145], v2 offset0:71 offset1:72
	ds_load_2addr_b64 v[146:149], v2 offset0:73 offset1:74
	scratch_load_b128 v[150:153], off, off offset:192
	s_mov_b32 s0, exec_lo
	s_wait_loadcnt_dscnt 0x601
	v_fma_f64 v[154:155], v[120:121], v[142:143], 0
	s_wait_loadcnt 0x5
	s_delay_alu instid0(VALU_DEP_1) | instskip(SKIP_4) | instid1(VALU_DEP_1)
	v_fmac_f64_e32 v[154:155], v[122:123], v[144:145]
	scratch_load_b128 v[120:123], off, off offset:208
	s_wait_dscnt 0x0
	v_fmac_f64_e32 v[154:155], v[124:125], v[146:147]
	s_wait_loadcnt 0x5
	v_fmac_f64_e32 v[154:155], v[126:127], v[148:149]
	ds_load_2addr_b64 v[124:127], v2 offset0:75 offset1:76
	ds_load_2addr_b64 v[142:145], v2 offset0:77 offset1:78
	scratch_load_b128 v[146:149], off, off offset:224
	s_wait_dscnt 0x1
	v_fmac_f64_e32 v[154:155], v[128:129], v[124:125]
	s_wait_loadcnt 0x5
	s_delay_alu instid0(VALU_DEP_1) | instskip(SKIP_4) | instid1(VALU_DEP_1)
	v_fmac_f64_e32 v[154:155], v[130:131], v[126:127]
	scratch_load_b128 v[124:127], off, off offset:240
	s_wait_dscnt 0x0
	v_fmac_f64_e32 v[154:155], v[132:133], v[142:143]
	s_wait_loadcnt 0x5
	v_fmac_f64_e32 v[154:155], v[134:135], v[144:145]
	ds_load_2addr_b64 v[128:131], v2 offset0:79 offset1:80
	ds_load_2addr_b64 v[132:135], v2 offset0:81 offset1:82
	scratch_load_b128 v[142:145], off, off offset:256
	s_wait_dscnt 0x1
	v_fmac_f64_e32 v[154:155], v[136:137], v[128:129]
	s_wait_loadcnt 0x5
	s_delay_alu instid0(VALU_DEP_1) | instskip(SKIP_4) | instid1(VALU_DEP_1)
	v_fmac_f64_e32 v[154:155], v[138:139], v[130:131]
	scratch_load_b128 v[128:131], off, off offset:272
	s_wait_dscnt 0x0
	v_fmac_f64_e32 v[154:155], v[140:141], v[132:133]
	s_wait_loadcnt 0x5
	v_fmac_f64_e32 v[154:155], v[150:151], v[134:135]
	ds_load_2addr_b64 v[132:135], v2 offset0:83 offset1:84
	ds_load_2addr_b64 v[136:139], v2 offset0:85 offset1:86
	s_wait_dscnt 0x1
	v_fmac_f64_e32 v[154:155], v[152:153], v[132:133]
	scratch_load_b128 v[150:153], off, off offset:288
	s_wait_loadcnt 0x5
	v_fmac_f64_e32 v[154:155], v[120:121], v[134:135]
	s_wait_dscnt 0x0
	s_delay_alu instid0(VALU_DEP_1)
	v_fmac_f64_e32 v[154:155], v[122:123], v[136:137]
	scratch_load_b128 v[120:123], off, off offset:304
	s_wait_loadcnt 0x5
	v_fmac_f64_e32 v[154:155], v[146:147], v[138:139]
	ds_load_2addr_b64 v[132:135], v2 offset0:87 offset1:88
	ds_load_2addr_b64 v[136:139], v2 offset0:89 offset1:90
	s_wait_dscnt 0x1
	v_fmac_f64_e32 v[154:155], v[148:149], v[132:133]
	scratch_load_b128 v[146:149], off, off offset:320
	s_wait_loadcnt 0x5
	v_fmac_f64_e32 v[154:155], v[124:125], v[134:135]
	s_wait_dscnt 0x0
	s_delay_alu instid0(VALU_DEP_1)
	v_fmac_f64_e32 v[154:155], v[126:127], v[136:137]
	scratch_load_b128 v[124:127], off, off offset:336
	s_wait_loadcnt 0x5
	v_fmac_f64_e32 v[154:155], v[142:143], v[138:139]
	ds_load_2addr_b64 v[132:135], v2 offset0:91 offset1:92
	ds_load_2addr_b64 v[136:139], v2 offset0:93 offset1:94
	scratch_load_b128 v[140:143], off, off offset:352
	s_wait_dscnt 0x1
	v_fmac_f64_e32 v[154:155], v[144:145], v[132:133]
	s_wait_loadcnt 0x5
	s_delay_alu instid0(VALU_DEP_1) | instskip(SKIP_1) | instid1(VALU_DEP_1)
	v_fmac_f64_e32 v[154:155], v[128:129], v[134:135]
	s_wait_dscnt 0x0
	v_fmac_f64_e32 v[154:155], v[130:131], v[136:137]
	scratch_load_b128 v[128:131], off, off offset:368
	s_wait_loadcnt 0x5
	v_fmac_f64_e32 v[154:155], v[150:151], v[138:139]
	ds_load_2addr_b64 v[132:135], v2 offset0:95 offset1:96
	ds_load_2addr_b64 v[136:139], v2 offset0:97 offset1:98
	s_wait_dscnt 0x1
	v_fmac_f64_e32 v[154:155], v[152:153], v[132:133]
	s_wait_loadcnt 0x4
	s_delay_alu instid0(VALU_DEP_1)
	v_fmac_f64_e32 v[154:155], v[120:121], v[134:135]
	scratch_load_b128 v[132:135], off, off offset:384
	s_wait_dscnt 0x0
	v_fmac_f64_e32 v[154:155], v[122:123], v[136:137]
	scratch_load_b128 v[120:123], off, off offset:400
	s_wait_loadcnt 0x5
	v_fmac_f64_e32 v[154:155], v[146:147], v[138:139]
	ds_load_2addr_b64 v[136:139], v2 offset0:99 offset1:100
	ds_load_2addr_b64 v[144:147], v2 offset0:101 offset1:102
	s_wait_dscnt 0x1
	v_fmac_f64_e32 v[154:155], v[148:149], v[136:137]
	s_wait_loadcnt 0x4
	s_delay_alu instid0(VALU_DEP_1)
	v_fmac_f64_e32 v[154:155], v[124:125], v[138:139]
	scratch_load_b128 v[136:139], off, off offset:416
	s_wait_dscnt 0x0
	v_fmac_f64_e32 v[154:155], v[126:127], v[144:145]
	scratch_load_b128 v[124:127], off, off offset:432
	s_wait_loadcnt 0x5
	v_fmac_f64_e32 v[154:155], v[140:141], v[146:147]
	ds_load_2addr_b64 v[144:147], v2 offset0:103 offset1:104
	ds_load_2addr_b64 v[148:151], v2 offset0:105 offset1:106
	s_wait_dscnt 0x1
	v_fmac_f64_e32 v[154:155], v[142:143], v[144:145]
	scratch_load_b64 v[144:145], off, off offset:448
	s_wait_loadcnt 0x5
	v_fmac_f64_e32 v[154:155], v[128:129], v[146:147]
	s_wait_dscnt 0x0
	s_delay_alu instid0(VALU_DEP_1)
	v_fmac_f64_e32 v[154:155], v[130:131], v[148:149]
	ds_load_2addr_b64 v[128:131], v2 offset0:107 offset1:108
	ds_load_2addr_b64 v[140:143], v2 offset0:109 offset1:110
	s_wait_loadcnt 0x4
	v_fmac_f64_e32 v[154:155], v[132:133], v[150:151]
	s_wait_dscnt 0x1
	s_delay_alu instid0(VALU_DEP_1) | instskip(SKIP_1) | instid1(VALU_DEP_1)
	v_fmac_f64_e32 v[154:155], v[134:135], v[128:129]
	s_wait_loadcnt 0x3
	v_fmac_f64_e32 v[154:155], v[120:121], v[130:131]
	s_wait_dscnt 0x0
	s_delay_alu instid0(VALU_DEP_1)
	v_fmac_f64_e32 v[154:155], v[122:123], v[140:141]
	ds_load_2addr_b64 v[120:123], v2 offset0:111 offset1:112
	ds_load_2addr_b64 v[128:131], v2 offset0:113 offset1:114
	s_wait_loadcnt 0x2
	v_fmac_f64_e32 v[154:155], v[136:137], v[142:143]
	s_wait_dscnt 0x1
	s_delay_alu instid0(VALU_DEP_1) | instskip(SKIP_1) | instid1(VALU_DEP_1)
	v_fmac_f64_e32 v[154:155], v[138:139], v[120:121]
	s_wait_loadcnt 0x1
	v_fmac_f64_e32 v[154:155], v[124:125], v[122:123]
	s_wait_dscnt 0x0
	s_delay_alu instid0(VALU_DEP_1) | instskip(SKIP_1) | instid1(VALU_DEP_1)
	v_fmac_f64_e32 v[154:155], v[126:127], v[128:129]
	s_wait_loadcnt 0x0
	v_fmac_f64_e32 v[154:155], v[144:145], v[130:131]
	s_delay_alu instid0(VALU_DEP_1)
	v_add_f64_e64 v[2:3], v[118:119], -v[154:155]
	scratch_store_b64 off, v[2:3], off offset:96
	s_wait_xcnt 0x0
	v_cmpx_lt_u32_e32 11, v0
	s_cbranch_execz .LBB56_329
; %bb.328:
	scratch_load_b64 v[2:3], off, off offset:88
	v_mov_b64_e32 v[118:119], 0
	scratch_store_b64 off, v[118:119], off offset:88
	s_wait_loadcnt 0x0
	ds_store_b64 v1, v[2:3]
.LBB56_329:
	s_wait_xcnt 0x0
	s_or_b32 exec_lo, exec_lo, s0
	s_wait_storecnt_dscnt 0x0
	s_barrier_signal -1
	s_barrier_wait -1
	s_clause 0x5
	scratch_load_b128 v[118:121], off, off offset:88
	scratch_load_b128 v[122:125], off, off offset:104
	;; [unrolled: 1-line block ×6, first 2 shown]
	v_mov_b32_e32 v2, 0
	ds_load_b128 v[142:145], v2 offset:560
	ds_load_b128 v[146:149], v2 offset:576
	scratch_load_b128 v[150:153], off, off offset:184
	s_mov_b32 s0, exec_lo
	s_wait_loadcnt_dscnt 0x601
	v_fma_f64 v[154:155], v[120:121], v[142:143], 0
	s_wait_loadcnt 0x5
	s_delay_alu instid0(VALU_DEP_1) | instskip(SKIP_4) | instid1(VALU_DEP_1)
	v_fmac_f64_e32 v[154:155], v[122:123], v[144:145]
	scratch_load_b128 v[120:123], off, off offset:200
	s_wait_dscnt 0x0
	v_fmac_f64_e32 v[154:155], v[124:125], v[146:147]
	s_wait_loadcnt 0x5
	v_fmac_f64_e32 v[154:155], v[126:127], v[148:149]
	ds_load_b128 v[124:127], v2 offset:592
	ds_load_b128 v[142:145], v2 offset:608
	scratch_load_b128 v[146:149], off, off offset:216
	s_wait_dscnt 0x1
	v_fmac_f64_e32 v[154:155], v[128:129], v[124:125]
	s_wait_loadcnt 0x5
	s_delay_alu instid0(VALU_DEP_1) | instskip(SKIP_4) | instid1(VALU_DEP_1)
	v_fmac_f64_e32 v[154:155], v[130:131], v[126:127]
	scratch_load_b128 v[124:127], off, off offset:232
	s_wait_dscnt 0x0
	v_fmac_f64_e32 v[154:155], v[132:133], v[142:143]
	s_wait_loadcnt 0x5
	v_fmac_f64_e32 v[154:155], v[134:135], v[144:145]
	ds_load_b128 v[128:131], v2 offset:624
	ds_load_b128 v[132:135], v2 offset:640
	scratch_load_b128 v[142:145], off, off offset:248
	s_wait_dscnt 0x1
	v_fmac_f64_e32 v[154:155], v[136:137], v[128:129]
	s_wait_loadcnt 0x5
	s_delay_alu instid0(VALU_DEP_1) | instskip(SKIP_4) | instid1(VALU_DEP_1)
	v_fmac_f64_e32 v[154:155], v[138:139], v[130:131]
	scratch_load_b128 v[128:131], off, off offset:264
	s_wait_dscnt 0x0
	v_fmac_f64_e32 v[154:155], v[140:141], v[132:133]
	s_wait_loadcnt 0x5
	v_fmac_f64_e32 v[154:155], v[150:151], v[134:135]
	ds_load_b128 v[132:135], v2 offset:656
	ds_load_b128 v[136:139], v2 offset:672
	s_wait_dscnt 0x1
	v_fmac_f64_e32 v[154:155], v[152:153], v[132:133]
	scratch_load_b128 v[150:153], off, off offset:280
	s_wait_loadcnt 0x5
	v_fmac_f64_e32 v[154:155], v[120:121], v[134:135]
	s_wait_dscnt 0x0
	s_delay_alu instid0(VALU_DEP_1)
	v_fmac_f64_e32 v[154:155], v[122:123], v[136:137]
	scratch_load_b128 v[120:123], off, off offset:296
	s_wait_loadcnt 0x5
	v_fmac_f64_e32 v[154:155], v[146:147], v[138:139]
	ds_load_b128 v[132:135], v2 offset:688
	ds_load_b128 v[136:139], v2 offset:704
	s_wait_dscnt 0x1
	v_fmac_f64_e32 v[154:155], v[148:149], v[132:133]
	scratch_load_b128 v[146:149], off, off offset:312
	s_wait_loadcnt 0x5
	v_fmac_f64_e32 v[154:155], v[124:125], v[134:135]
	s_wait_dscnt 0x0
	s_delay_alu instid0(VALU_DEP_1)
	v_fmac_f64_e32 v[154:155], v[126:127], v[136:137]
	scratch_load_b128 v[124:127], off, off offset:328
	s_wait_loadcnt 0x5
	v_fmac_f64_e32 v[154:155], v[142:143], v[138:139]
	ds_load_b128 v[132:135], v2 offset:720
	ds_load_b128 v[136:139], v2 offset:736
	scratch_load_b128 v[140:143], off, off offset:344
	s_wait_dscnt 0x1
	v_fmac_f64_e32 v[154:155], v[144:145], v[132:133]
	s_wait_loadcnt 0x5
	s_delay_alu instid0(VALU_DEP_1) | instskip(SKIP_1) | instid1(VALU_DEP_1)
	v_fmac_f64_e32 v[154:155], v[128:129], v[134:135]
	s_wait_dscnt 0x0
	v_fmac_f64_e32 v[154:155], v[130:131], v[136:137]
	scratch_load_b128 v[128:131], off, off offset:360
	s_wait_loadcnt 0x5
	v_fmac_f64_e32 v[154:155], v[150:151], v[138:139]
	ds_load_b128 v[132:135], v2 offset:752
	ds_load_b128 v[136:139], v2 offset:768
	s_wait_dscnt 0x1
	v_fmac_f64_e32 v[154:155], v[152:153], v[132:133]
	s_wait_loadcnt 0x4
	s_delay_alu instid0(VALU_DEP_1)
	v_fmac_f64_e32 v[154:155], v[120:121], v[134:135]
	scratch_load_b128 v[132:135], off, off offset:376
	s_wait_dscnt 0x0
	v_fmac_f64_e32 v[154:155], v[122:123], v[136:137]
	scratch_load_b128 v[120:123], off, off offset:392
	s_wait_loadcnt 0x5
	v_fmac_f64_e32 v[154:155], v[146:147], v[138:139]
	ds_load_b128 v[136:139], v2 offset:784
	ds_load_b128 v[144:147], v2 offset:800
	s_wait_dscnt 0x1
	v_fmac_f64_e32 v[154:155], v[148:149], v[136:137]
	s_wait_loadcnt 0x4
	s_delay_alu instid0(VALU_DEP_1)
	v_fmac_f64_e32 v[154:155], v[124:125], v[138:139]
	scratch_load_b128 v[136:139], off, off offset:408
	s_wait_dscnt 0x0
	v_fmac_f64_e32 v[154:155], v[126:127], v[144:145]
	scratch_load_b128 v[124:127], off, off offset:424
	s_wait_loadcnt 0x5
	v_fmac_f64_e32 v[154:155], v[140:141], v[146:147]
	ds_load_b128 v[144:147], v2 offset:816
	ds_load_b128 v[148:151], v2 offset:832
	s_wait_dscnt 0x1
	v_fmac_f64_e32 v[154:155], v[142:143], v[144:145]
	scratch_load_b128 v[140:143], off, off offset:440
	s_wait_loadcnt 0x5
	v_fmac_f64_e32 v[154:155], v[128:129], v[146:147]
	s_wait_dscnt 0x0
	s_delay_alu instid0(VALU_DEP_1)
	v_fmac_f64_e32 v[154:155], v[130:131], v[148:149]
	ds_load_b128 v[128:131], v2 offset:848
	ds_load_b128 v[144:147], v2 offset:864
	s_wait_loadcnt 0x4
	v_fmac_f64_e32 v[154:155], v[132:133], v[150:151]
	s_wait_dscnt 0x1
	s_delay_alu instid0(VALU_DEP_1) | instskip(SKIP_1) | instid1(VALU_DEP_1)
	v_fmac_f64_e32 v[154:155], v[134:135], v[128:129]
	s_wait_loadcnt 0x3
	v_fmac_f64_e32 v[154:155], v[120:121], v[130:131]
	s_wait_dscnt 0x0
	s_delay_alu instid0(VALU_DEP_1)
	v_fmac_f64_e32 v[154:155], v[122:123], v[144:145]
	ds_load_b128 v[120:123], v2 offset:880
	ds_load_b128 v[128:131], v2 offset:896
	s_wait_loadcnt 0x2
	v_fmac_f64_e32 v[154:155], v[136:137], v[146:147]
	s_wait_dscnt 0x1
	s_delay_alu instid0(VALU_DEP_1) | instskip(SKIP_4) | instid1(VALU_DEP_1)
	v_fmac_f64_e32 v[154:155], v[138:139], v[120:121]
	ds_load_b64 v[120:121], v2 offset:912
	s_wait_loadcnt 0x1
	v_fmac_f64_e32 v[154:155], v[124:125], v[122:123]
	s_wait_dscnt 0x1
	v_fmac_f64_e32 v[154:155], v[126:127], v[128:129]
	s_wait_loadcnt 0x0
	s_delay_alu instid0(VALU_DEP_1) | instskip(SKIP_1) | instid1(VALU_DEP_1)
	v_fmac_f64_e32 v[154:155], v[140:141], v[130:131]
	s_wait_dscnt 0x0
	v_fmac_f64_e32 v[154:155], v[142:143], v[120:121]
	s_delay_alu instid0(VALU_DEP_1)
	v_add_f64_e64 v[118:119], v[118:119], -v[154:155]
	scratch_store_b64 off, v[118:119], off offset:88
	s_wait_xcnt 0x0
	v_cmpx_lt_u32_e32 10, v0
	s_cbranch_execz .LBB56_331
; %bb.330:
	scratch_load_b64 v[118:119], off, off offset:80
	v_mov_b64_e32 v[120:121], 0
	scratch_store_b64 off, v[120:121], off offset:80
	s_wait_loadcnt 0x0
	ds_store_b64 v1, v[118:119]
.LBB56_331:
	s_wait_xcnt 0x0
	s_or_b32 exec_lo, exec_lo, s0
	s_wait_storecnt_dscnt 0x0
	s_barrier_signal -1
	s_barrier_wait -1
	s_clause 0x5
	scratch_load_b128 v[118:121], off, off offset:80
	scratch_load_b128 v[122:125], off, off offset:96
	;; [unrolled: 1-line block ×6, first 2 shown]
	ds_load_2addr_b64 v[142:145], v2 offset0:69 offset1:70
	ds_load_2addr_b64 v[146:149], v2 offset0:71 offset1:72
	scratch_load_b128 v[150:153], off, off offset:176
	s_mov_b32 s0, exec_lo
	s_wait_loadcnt_dscnt 0x601
	v_fma_f64 v[154:155], v[120:121], v[142:143], 0
	s_wait_loadcnt 0x5
	s_delay_alu instid0(VALU_DEP_1) | instskip(SKIP_4) | instid1(VALU_DEP_1)
	v_fmac_f64_e32 v[154:155], v[122:123], v[144:145]
	scratch_load_b128 v[120:123], off, off offset:192
	s_wait_dscnt 0x0
	v_fmac_f64_e32 v[154:155], v[124:125], v[146:147]
	s_wait_loadcnt 0x5
	v_fmac_f64_e32 v[154:155], v[126:127], v[148:149]
	ds_load_2addr_b64 v[124:127], v2 offset0:73 offset1:74
	ds_load_2addr_b64 v[142:145], v2 offset0:75 offset1:76
	scratch_load_b128 v[146:149], off, off offset:208
	s_wait_dscnt 0x1
	v_fmac_f64_e32 v[154:155], v[128:129], v[124:125]
	s_wait_loadcnt 0x5
	s_delay_alu instid0(VALU_DEP_1) | instskip(SKIP_4) | instid1(VALU_DEP_1)
	v_fmac_f64_e32 v[154:155], v[130:131], v[126:127]
	scratch_load_b128 v[124:127], off, off offset:224
	s_wait_dscnt 0x0
	v_fmac_f64_e32 v[154:155], v[132:133], v[142:143]
	s_wait_loadcnt 0x5
	v_fmac_f64_e32 v[154:155], v[134:135], v[144:145]
	ds_load_2addr_b64 v[128:131], v2 offset0:77 offset1:78
	ds_load_2addr_b64 v[132:135], v2 offset0:79 offset1:80
	scratch_load_b128 v[142:145], off, off offset:240
	s_wait_dscnt 0x1
	v_fmac_f64_e32 v[154:155], v[136:137], v[128:129]
	s_wait_loadcnt 0x5
	s_delay_alu instid0(VALU_DEP_1) | instskip(SKIP_4) | instid1(VALU_DEP_1)
	v_fmac_f64_e32 v[154:155], v[138:139], v[130:131]
	scratch_load_b128 v[128:131], off, off offset:256
	s_wait_dscnt 0x0
	v_fmac_f64_e32 v[154:155], v[140:141], v[132:133]
	s_wait_loadcnt 0x5
	v_fmac_f64_e32 v[154:155], v[150:151], v[134:135]
	ds_load_2addr_b64 v[132:135], v2 offset0:81 offset1:82
	ds_load_2addr_b64 v[136:139], v2 offset0:83 offset1:84
	s_wait_dscnt 0x1
	v_fmac_f64_e32 v[154:155], v[152:153], v[132:133]
	scratch_load_b128 v[150:153], off, off offset:272
	s_wait_loadcnt 0x5
	v_fmac_f64_e32 v[154:155], v[120:121], v[134:135]
	s_wait_dscnt 0x0
	s_delay_alu instid0(VALU_DEP_1)
	v_fmac_f64_e32 v[154:155], v[122:123], v[136:137]
	scratch_load_b128 v[120:123], off, off offset:288
	s_wait_loadcnt 0x5
	v_fmac_f64_e32 v[154:155], v[146:147], v[138:139]
	ds_load_2addr_b64 v[132:135], v2 offset0:85 offset1:86
	ds_load_2addr_b64 v[136:139], v2 offset0:87 offset1:88
	s_wait_dscnt 0x1
	v_fmac_f64_e32 v[154:155], v[148:149], v[132:133]
	scratch_load_b128 v[146:149], off, off offset:304
	s_wait_loadcnt 0x5
	v_fmac_f64_e32 v[154:155], v[124:125], v[134:135]
	s_wait_dscnt 0x0
	s_delay_alu instid0(VALU_DEP_1)
	v_fmac_f64_e32 v[154:155], v[126:127], v[136:137]
	scratch_load_b128 v[124:127], off, off offset:320
	s_wait_loadcnt 0x5
	v_fmac_f64_e32 v[154:155], v[142:143], v[138:139]
	ds_load_2addr_b64 v[132:135], v2 offset0:89 offset1:90
	ds_load_2addr_b64 v[136:139], v2 offset0:91 offset1:92
	scratch_load_b128 v[140:143], off, off offset:336
	s_wait_dscnt 0x1
	v_fmac_f64_e32 v[154:155], v[144:145], v[132:133]
	s_wait_loadcnt 0x5
	s_delay_alu instid0(VALU_DEP_1) | instskip(SKIP_1) | instid1(VALU_DEP_1)
	v_fmac_f64_e32 v[154:155], v[128:129], v[134:135]
	s_wait_dscnt 0x0
	v_fmac_f64_e32 v[154:155], v[130:131], v[136:137]
	scratch_load_b128 v[128:131], off, off offset:352
	s_wait_loadcnt 0x5
	v_fmac_f64_e32 v[154:155], v[150:151], v[138:139]
	ds_load_2addr_b64 v[132:135], v2 offset0:93 offset1:94
	ds_load_2addr_b64 v[136:139], v2 offset0:95 offset1:96
	s_wait_dscnt 0x1
	v_fmac_f64_e32 v[154:155], v[152:153], v[132:133]
	scratch_load_b128 v[150:153], off, off offset:368
	s_wait_loadcnt 0x5
	v_fmac_f64_e32 v[154:155], v[120:121], v[134:135]
	s_wait_dscnt 0x0
	s_delay_alu instid0(VALU_DEP_1)
	v_fmac_f64_e32 v[154:155], v[122:123], v[136:137]
	scratch_load_b128 v[120:123], off, off offset:384
	s_wait_loadcnt 0x5
	v_fmac_f64_e32 v[154:155], v[146:147], v[138:139]
	ds_load_2addr_b64 v[132:135], v2 offset0:97 offset1:98
	ds_load_2addr_b64 v[136:139], v2 offset0:99 offset1:100
	s_wait_dscnt 0x1
	v_fmac_f64_e32 v[154:155], v[148:149], v[132:133]
	s_wait_loadcnt 0x4
	s_delay_alu instid0(VALU_DEP_1)
	v_fmac_f64_e32 v[154:155], v[124:125], v[134:135]
	scratch_load_b128 v[132:135], off, off offset:400
	s_wait_dscnt 0x0
	v_fmac_f64_e32 v[154:155], v[126:127], v[136:137]
	scratch_load_b128 v[124:127], off, off offset:416
	s_wait_loadcnt 0x5
	v_fmac_f64_e32 v[154:155], v[140:141], v[138:139]
	ds_load_2addr_b64 v[136:139], v2 offset0:101 offset1:102
	ds_load_2addr_b64 v[144:147], v2 offset0:103 offset1:104
	s_wait_dscnt 0x1
	v_fmac_f64_e32 v[154:155], v[142:143], v[136:137]
	s_wait_loadcnt 0x4
	s_delay_alu instid0(VALU_DEP_1)
	v_fmac_f64_e32 v[154:155], v[128:129], v[138:139]
	scratch_load_b128 v[136:139], off, off offset:432
	s_wait_dscnt 0x0
	v_fmac_f64_e32 v[154:155], v[130:131], v[144:145]
	scratch_load_b64 v[144:145], off, off offset:448
	ds_load_2addr_b64 v[128:131], v2 offset0:105 offset1:106
	ds_load_2addr_b64 v[140:143], v2 offset0:107 offset1:108
	s_wait_loadcnt 0x5
	v_fmac_f64_e32 v[154:155], v[150:151], v[146:147]
	s_wait_dscnt 0x1
	s_delay_alu instid0(VALU_DEP_1) | instskip(SKIP_1) | instid1(VALU_DEP_1)
	v_fmac_f64_e32 v[154:155], v[152:153], v[128:129]
	s_wait_loadcnt 0x4
	v_fmac_f64_e32 v[154:155], v[120:121], v[130:131]
	s_wait_dscnt 0x0
	s_delay_alu instid0(VALU_DEP_1)
	v_fmac_f64_e32 v[154:155], v[122:123], v[140:141]
	ds_load_2addr_b64 v[120:123], v2 offset0:109 offset1:110
	ds_load_2addr_b64 v[128:131], v2 offset0:111 offset1:112
	s_wait_loadcnt 0x3
	v_fmac_f64_e32 v[154:155], v[132:133], v[142:143]
	s_wait_dscnt 0x1
	s_delay_alu instid0(VALU_DEP_1) | instskip(SKIP_1) | instid1(VALU_DEP_1)
	v_fmac_f64_e32 v[154:155], v[134:135], v[120:121]
	s_wait_loadcnt 0x2
	v_fmac_f64_e32 v[154:155], v[124:125], v[122:123]
	ds_load_2addr_b64 v[120:123], v2 offset0:113 offset1:114
	s_wait_dscnt 0x1
	v_fmac_f64_e32 v[154:155], v[126:127], v[128:129]
	s_wait_loadcnt 0x1
	s_delay_alu instid0(VALU_DEP_1) | instskip(SKIP_1) | instid1(VALU_DEP_1)
	v_fmac_f64_e32 v[154:155], v[136:137], v[130:131]
	s_wait_dscnt 0x0
	v_fmac_f64_e32 v[154:155], v[138:139], v[120:121]
	s_wait_loadcnt 0x0
	s_delay_alu instid0(VALU_DEP_1) | instskip(NEXT) | instid1(VALU_DEP_1)
	v_fmac_f64_e32 v[154:155], v[144:145], v[122:123]
	v_add_f64_e64 v[2:3], v[118:119], -v[154:155]
	scratch_store_b64 off, v[2:3], off offset:80
	s_wait_xcnt 0x0
	v_cmpx_lt_u32_e32 9, v0
	s_cbranch_execz .LBB56_333
; %bb.332:
	scratch_load_b64 v[2:3], off, off offset:72
	v_mov_b64_e32 v[118:119], 0
	scratch_store_b64 off, v[118:119], off offset:72
	s_wait_loadcnt 0x0
	ds_store_b64 v1, v[2:3]
.LBB56_333:
	s_wait_xcnt 0x0
	s_or_b32 exec_lo, exec_lo, s0
	s_wait_storecnt_dscnt 0x0
	s_barrier_signal -1
	s_barrier_wait -1
	s_clause 0x5
	scratch_load_b128 v[118:121], off, off offset:72
	scratch_load_b128 v[122:125], off, off offset:88
	;; [unrolled: 1-line block ×6, first 2 shown]
	v_mov_b32_e32 v2, 0
	ds_load_b128 v[142:145], v2 offset:544
	ds_load_b128 v[146:149], v2 offset:560
	scratch_load_b128 v[150:153], off, off offset:168
	s_mov_b32 s0, exec_lo
	s_wait_loadcnt_dscnt 0x601
	v_fma_f64 v[154:155], v[120:121], v[142:143], 0
	s_wait_loadcnt 0x5
	s_delay_alu instid0(VALU_DEP_1) | instskip(SKIP_4) | instid1(VALU_DEP_1)
	v_fmac_f64_e32 v[154:155], v[122:123], v[144:145]
	scratch_load_b128 v[120:123], off, off offset:184
	s_wait_dscnt 0x0
	v_fmac_f64_e32 v[154:155], v[124:125], v[146:147]
	s_wait_loadcnt 0x5
	v_fmac_f64_e32 v[154:155], v[126:127], v[148:149]
	ds_load_b128 v[124:127], v2 offset:576
	ds_load_b128 v[142:145], v2 offset:592
	scratch_load_b128 v[146:149], off, off offset:200
	s_wait_dscnt 0x1
	v_fmac_f64_e32 v[154:155], v[128:129], v[124:125]
	s_wait_loadcnt 0x5
	s_delay_alu instid0(VALU_DEP_1) | instskip(SKIP_4) | instid1(VALU_DEP_1)
	v_fmac_f64_e32 v[154:155], v[130:131], v[126:127]
	scratch_load_b128 v[124:127], off, off offset:216
	s_wait_dscnt 0x0
	v_fmac_f64_e32 v[154:155], v[132:133], v[142:143]
	s_wait_loadcnt 0x5
	v_fmac_f64_e32 v[154:155], v[134:135], v[144:145]
	ds_load_b128 v[128:131], v2 offset:608
	ds_load_b128 v[132:135], v2 offset:624
	scratch_load_b128 v[142:145], off, off offset:232
	s_wait_dscnt 0x1
	v_fmac_f64_e32 v[154:155], v[136:137], v[128:129]
	s_wait_loadcnt 0x5
	s_delay_alu instid0(VALU_DEP_1) | instskip(SKIP_4) | instid1(VALU_DEP_1)
	v_fmac_f64_e32 v[154:155], v[138:139], v[130:131]
	scratch_load_b128 v[128:131], off, off offset:248
	s_wait_dscnt 0x0
	v_fmac_f64_e32 v[154:155], v[140:141], v[132:133]
	s_wait_loadcnt 0x5
	v_fmac_f64_e32 v[154:155], v[150:151], v[134:135]
	ds_load_b128 v[132:135], v2 offset:640
	ds_load_b128 v[136:139], v2 offset:656
	s_wait_dscnt 0x1
	v_fmac_f64_e32 v[154:155], v[152:153], v[132:133]
	scratch_load_b128 v[150:153], off, off offset:264
	s_wait_loadcnt 0x5
	v_fmac_f64_e32 v[154:155], v[120:121], v[134:135]
	s_wait_dscnt 0x0
	s_delay_alu instid0(VALU_DEP_1)
	v_fmac_f64_e32 v[154:155], v[122:123], v[136:137]
	scratch_load_b128 v[120:123], off, off offset:280
	s_wait_loadcnt 0x5
	v_fmac_f64_e32 v[154:155], v[146:147], v[138:139]
	ds_load_b128 v[132:135], v2 offset:672
	ds_load_b128 v[136:139], v2 offset:688
	s_wait_dscnt 0x1
	v_fmac_f64_e32 v[154:155], v[148:149], v[132:133]
	scratch_load_b128 v[146:149], off, off offset:296
	s_wait_loadcnt 0x5
	v_fmac_f64_e32 v[154:155], v[124:125], v[134:135]
	s_wait_dscnt 0x0
	s_delay_alu instid0(VALU_DEP_1)
	v_fmac_f64_e32 v[154:155], v[126:127], v[136:137]
	scratch_load_b128 v[124:127], off, off offset:312
	s_wait_loadcnt 0x5
	v_fmac_f64_e32 v[154:155], v[142:143], v[138:139]
	ds_load_b128 v[132:135], v2 offset:704
	ds_load_b128 v[136:139], v2 offset:720
	scratch_load_b128 v[140:143], off, off offset:328
	s_wait_dscnt 0x1
	v_fmac_f64_e32 v[154:155], v[144:145], v[132:133]
	s_wait_loadcnt 0x5
	s_delay_alu instid0(VALU_DEP_1) | instskip(SKIP_1) | instid1(VALU_DEP_1)
	v_fmac_f64_e32 v[154:155], v[128:129], v[134:135]
	s_wait_dscnt 0x0
	v_fmac_f64_e32 v[154:155], v[130:131], v[136:137]
	scratch_load_b128 v[128:131], off, off offset:344
	s_wait_loadcnt 0x5
	v_fmac_f64_e32 v[154:155], v[150:151], v[138:139]
	ds_load_b128 v[132:135], v2 offset:736
	ds_load_b128 v[136:139], v2 offset:752
	s_wait_dscnt 0x1
	v_fmac_f64_e32 v[154:155], v[152:153], v[132:133]
	scratch_load_b128 v[150:153], off, off offset:360
	s_wait_loadcnt 0x5
	v_fmac_f64_e32 v[154:155], v[120:121], v[134:135]
	s_wait_dscnt 0x0
	s_delay_alu instid0(VALU_DEP_1)
	v_fmac_f64_e32 v[154:155], v[122:123], v[136:137]
	scratch_load_b128 v[120:123], off, off offset:376
	s_wait_loadcnt 0x5
	v_fmac_f64_e32 v[154:155], v[146:147], v[138:139]
	ds_load_b128 v[132:135], v2 offset:768
	ds_load_b128 v[136:139], v2 offset:784
	s_wait_dscnt 0x1
	v_fmac_f64_e32 v[154:155], v[148:149], v[132:133]
	s_wait_loadcnt 0x4
	s_delay_alu instid0(VALU_DEP_1)
	v_fmac_f64_e32 v[154:155], v[124:125], v[134:135]
	scratch_load_b128 v[132:135], off, off offset:392
	s_wait_dscnt 0x0
	v_fmac_f64_e32 v[154:155], v[126:127], v[136:137]
	scratch_load_b128 v[124:127], off, off offset:408
	s_wait_loadcnt 0x5
	v_fmac_f64_e32 v[154:155], v[140:141], v[138:139]
	ds_load_b128 v[136:139], v2 offset:800
	ds_load_b128 v[144:147], v2 offset:816
	s_wait_dscnt 0x1
	v_fmac_f64_e32 v[154:155], v[142:143], v[136:137]
	s_wait_loadcnt 0x4
	s_delay_alu instid0(VALU_DEP_1)
	v_fmac_f64_e32 v[154:155], v[128:129], v[138:139]
	scratch_load_b128 v[136:139], off, off offset:424
	s_wait_dscnt 0x0
	v_fmac_f64_e32 v[154:155], v[130:131], v[144:145]
	scratch_load_b128 v[128:131], off, off offset:440
	s_wait_loadcnt 0x5
	v_fmac_f64_e32 v[154:155], v[150:151], v[146:147]
	ds_load_b128 v[140:143], v2 offset:832
	ds_load_b128 v[144:147], v2 offset:848
	s_wait_dscnt 0x1
	v_fmac_f64_e32 v[154:155], v[152:153], v[140:141]
	s_wait_loadcnt 0x4
	s_delay_alu instid0(VALU_DEP_1) | instskip(SKIP_1) | instid1(VALU_DEP_1)
	v_fmac_f64_e32 v[154:155], v[120:121], v[142:143]
	s_wait_dscnt 0x0
	v_fmac_f64_e32 v[154:155], v[122:123], v[144:145]
	ds_load_b128 v[120:123], v2 offset:864
	ds_load_b128 v[140:143], v2 offset:880
	s_wait_loadcnt 0x3
	v_fmac_f64_e32 v[154:155], v[132:133], v[146:147]
	s_wait_dscnt 0x1
	s_delay_alu instid0(VALU_DEP_1) | instskip(SKIP_1) | instid1(VALU_DEP_1)
	v_fmac_f64_e32 v[154:155], v[134:135], v[120:121]
	s_wait_loadcnt 0x2
	v_fmac_f64_e32 v[154:155], v[124:125], v[122:123]
	ds_load_b128 v[120:123], v2 offset:896
	ds_load_b64 v[124:125], v2 offset:912
	s_wait_dscnt 0x2
	v_fmac_f64_e32 v[154:155], v[126:127], v[140:141]
	s_wait_loadcnt 0x1
	s_delay_alu instid0(VALU_DEP_1) | instskip(SKIP_1) | instid1(VALU_DEP_1)
	v_fmac_f64_e32 v[154:155], v[136:137], v[142:143]
	s_wait_dscnt 0x1
	v_fmac_f64_e32 v[154:155], v[138:139], v[120:121]
	s_wait_loadcnt 0x0
	s_delay_alu instid0(VALU_DEP_1) | instskip(SKIP_1) | instid1(VALU_DEP_1)
	v_fmac_f64_e32 v[154:155], v[128:129], v[122:123]
	s_wait_dscnt 0x0
	v_fmac_f64_e32 v[154:155], v[130:131], v[124:125]
	s_delay_alu instid0(VALU_DEP_1)
	v_add_f64_e64 v[118:119], v[118:119], -v[154:155]
	scratch_store_b64 off, v[118:119], off offset:72
	s_wait_xcnt 0x0
	v_cmpx_lt_u32_e32 8, v0
	s_cbranch_execz .LBB56_335
; %bb.334:
	scratch_load_b64 v[118:119], off, off offset:64
	v_mov_b64_e32 v[120:121], 0
	scratch_store_b64 off, v[120:121], off offset:64
	s_wait_loadcnt 0x0
	ds_store_b64 v1, v[118:119]
.LBB56_335:
	s_wait_xcnt 0x0
	s_or_b32 exec_lo, exec_lo, s0
	s_wait_storecnt_dscnt 0x0
	s_barrier_signal -1
	s_barrier_wait -1
	s_clause 0x5
	scratch_load_b128 v[118:121], off, off offset:64
	scratch_load_b128 v[122:125], off, off offset:80
	;; [unrolled: 1-line block ×6, first 2 shown]
	ds_load_2addr_b64 v[142:145], v2 offset0:67 offset1:68
	ds_load_2addr_b64 v[146:149], v2 offset0:69 offset1:70
	scratch_load_b128 v[150:153], off, off offset:160
	s_mov_b32 s0, exec_lo
	s_wait_loadcnt_dscnt 0x601
	v_fma_f64 v[154:155], v[120:121], v[142:143], 0
	s_wait_loadcnt 0x5
	s_delay_alu instid0(VALU_DEP_1) | instskip(SKIP_4) | instid1(VALU_DEP_1)
	v_fmac_f64_e32 v[154:155], v[122:123], v[144:145]
	scratch_load_b128 v[120:123], off, off offset:176
	s_wait_dscnt 0x0
	v_fmac_f64_e32 v[154:155], v[124:125], v[146:147]
	s_wait_loadcnt 0x5
	v_fmac_f64_e32 v[154:155], v[126:127], v[148:149]
	ds_load_2addr_b64 v[124:127], v2 offset0:71 offset1:72
	ds_load_2addr_b64 v[142:145], v2 offset0:73 offset1:74
	scratch_load_b128 v[146:149], off, off offset:192
	s_wait_dscnt 0x1
	v_fmac_f64_e32 v[154:155], v[128:129], v[124:125]
	s_wait_loadcnt 0x5
	s_delay_alu instid0(VALU_DEP_1) | instskip(SKIP_4) | instid1(VALU_DEP_1)
	v_fmac_f64_e32 v[154:155], v[130:131], v[126:127]
	scratch_load_b128 v[124:127], off, off offset:208
	s_wait_dscnt 0x0
	v_fmac_f64_e32 v[154:155], v[132:133], v[142:143]
	s_wait_loadcnt 0x5
	v_fmac_f64_e32 v[154:155], v[134:135], v[144:145]
	ds_load_2addr_b64 v[128:131], v2 offset0:75 offset1:76
	ds_load_2addr_b64 v[132:135], v2 offset0:77 offset1:78
	scratch_load_b128 v[142:145], off, off offset:224
	s_wait_dscnt 0x1
	v_fmac_f64_e32 v[154:155], v[136:137], v[128:129]
	s_wait_loadcnt 0x5
	s_delay_alu instid0(VALU_DEP_1) | instskip(SKIP_4) | instid1(VALU_DEP_1)
	v_fmac_f64_e32 v[154:155], v[138:139], v[130:131]
	scratch_load_b128 v[128:131], off, off offset:240
	s_wait_dscnt 0x0
	v_fmac_f64_e32 v[154:155], v[140:141], v[132:133]
	s_wait_loadcnt 0x5
	v_fmac_f64_e32 v[154:155], v[150:151], v[134:135]
	ds_load_2addr_b64 v[132:135], v2 offset0:79 offset1:80
	ds_load_2addr_b64 v[136:139], v2 offset0:81 offset1:82
	s_wait_dscnt 0x1
	v_fmac_f64_e32 v[154:155], v[152:153], v[132:133]
	scratch_load_b128 v[150:153], off, off offset:256
	s_wait_loadcnt 0x5
	v_fmac_f64_e32 v[154:155], v[120:121], v[134:135]
	s_wait_dscnt 0x0
	s_delay_alu instid0(VALU_DEP_1)
	v_fmac_f64_e32 v[154:155], v[122:123], v[136:137]
	scratch_load_b128 v[120:123], off, off offset:272
	s_wait_loadcnt 0x5
	v_fmac_f64_e32 v[154:155], v[146:147], v[138:139]
	ds_load_2addr_b64 v[132:135], v2 offset0:83 offset1:84
	ds_load_2addr_b64 v[136:139], v2 offset0:85 offset1:86
	s_wait_dscnt 0x1
	v_fmac_f64_e32 v[154:155], v[148:149], v[132:133]
	scratch_load_b128 v[146:149], off, off offset:288
	s_wait_loadcnt 0x5
	v_fmac_f64_e32 v[154:155], v[124:125], v[134:135]
	s_wait_dscnt 0x0
	s_delay_alu instid0(VALU_DEP_1)
	v_fmac_f64_e32 v[154:155], v[126:127], v[136:137]
	scratch_load_b128 v[124:127], off, off offset:304
	s_wait_loadcnt 0x5
	v_fmac_f64_e32 v[154:155], v[142:143], v[138:139]
	ds_load_2addr_b64 v[132:135], v2 offset0:87 offset1:88
	ds_load_2addr_b64 v[136:139], v2 offset0:89 offset1:90
	scratch_load_b128 v[140:143], off, off offset:320
	s_wait_dscnt 0x1
	v_fmac_f64_e32 v[154:155], v[144:145], v[132:133]
	s_wait_loadcnt 0x5
	s_delay_alu instid0(VALU_DEP_1) | instskip(SKIP_1) | instid1(VALU_DEP_1)
	v_fmac_f64_e32 v[154:155], v[128:129], v[134:135]
	s_wait_dscnt 0x0
	v_fmac_f64_e32 v[154:155], v[130:131], v[136:137]
	scratch_load_b128 v[128:131], off, off offset:336
	s_wait_loadcnt 0x5
	v_fmac_f64_e32 v[154:155], v[150:151], v[138:139]
	ds_load_2addr_b64 v[132:135], v2 offset0:91 offset1:92
	ds_load_2addr_b64 v[136:139], v2 offset0:93 offset1:94
	s_wait_dscnt 0x1
	v_fmac_f64_e32 v[154:155], v[152:153], v[132:133]
	scratch_load_b128 v[150:153], off, off offset:352
	s_wait_loadcnt 0x5
	v_fmac_f64_e32 v[154:155], v[120:121], v[134:135]
	s_wait_dscnt 0x0
	s_delay_alu instid0(VALU_DEP_1)
	v_fmac_f64_e32 v[154:155], v[122:123], v[136:137]
	scratch_load_b128 v[120:123], off, off offset:368
	s_wait_loadcnt 0x5
	v_fmac_f64_e32 v[154:155], v[146:147], v[138:139]
	ds_load_2addr_b64 v[132:135], v2 offset0:95 offset1:96
	ds_load_2addr_b64 v[136:139], v2 offset0:97 offset1:98
	s_wait_dscnt 0x1
	v_fmac_f64_e32 v[154:155], v[148:149], v[132:133]
	s_wait_loadcnt 0x4
	s_delay_alu instid0(VALU_DEP_1)
	v_fmac_f64_e32 v[154:155], v[124:125], v[134:135]
	scratch_load_b128 v[132:135], off, off offset:384
	s_wait_dscnt 0x0
	v_fmac_f64_e32 v[154:155], v[126:127], v[136:137]
	scratch_load_b128 v[124:127], off, off offset:400
	s_wait_loadcnt 0x5
	v_fmac_f64_e32 v[154:155], v[140:141], v[138:139]
	ds_load_2addr_b64 v[136:139], v2 offset0:99 offset1:100
	ds_load_2addr_b64 v[144:147], v2 offset0:101 offset1:102
	s_wait_dscnt 0x1
	v_fmac_f64_e32 v[154:155], v[142:143], v[136:137]
	s_wait_loadcnt 0x4
	s_delay_alu instid0(VALU_DEP_1)
	v_fmac_f64_e32 v[154:155], v[128:129], v[138:139]
	scratch_load_b128 v[136:139], off, off offset:416
	s_wait_dscnt 0x0
	v_fmac_f64_e32 v[154:155], v[130:131], v[144:145]
	scratch_load_b128 v[128:131], off, off offset:432
	s_wait_loadcnt 0x5
	v_fmac_f64_e32 v[154:155], v[150:151], v[146:147]
	ds_load_2addr_b64 v[140:143], v2 offset0:103 offset1:104
	ds_load_2addr_b64 v[144:147], v2 offset0:105 offset1:106
	scratch_load_b64 v[148:149], off, off offset:448
	s_wait_dscnt 0x1
	v_fmac_f64_e32 v[154:155], v[152:153], v[140:141]
	s_wait_loadcnt 0x5
	s_delay_alu instid0(VALU_DEP_1) | instskip(SKIP_1) | instid1(VALU_DEP_1)
	v_fmac_f64_e32 v[154:155], v[120:121], v[142:143]
	s_wait_dscnt 0x0
	v_fmac_f64_e32 v[154:155], v[122:123], v[144:145]
	ds_load_2addr_b64 v[120:123], v2 offset0:107 offset1:108
	ds_load_2addr_b64 v[140:143], v2 offset0:109 offset1:110
	s_wait_loadcnt 0x4
	v_fmac_f64_e32 v[154:155], v[132:133], v[146:147]
	s_wait_dscnt 0x1
	s_delay_alu instid0(VALU_DEP_1) | instskip(SKIP_1) | instid1(VALU_DEP_1)
	v_fmac_f64_e32 v[154:155], v[134:135], v[120:121]
	s_wait_loadcnt 0x3
	v_fmac_f64_e32 v[154:155], v[124:125], v[122:123]
	s_wait_dscnt 0x0
	s_delay_alu instid0(VALU_DEP_1)
	v_fmac_f64_e32 v[154:155], v[126:127], v[140:141]
	ds_load_2addr_b64 v[120:123], v2 offset0:111 offset1:112
	ds_load_2addr_b64 v[124:127], v2 offset0:113 offset1:114
	s_wait_loadcnt 0x2
	v_fmac_f64_e32 v[154:155], v[136:137], v[142:143]
	s_wait_dscnt 0x1
	s_delay_alu instid0(VALU_DEP_1) | instskip(SKIP_1) | instid1(VALU_DEP_1)
	v_fmac_f64_e32 v[154:155], v[138:139], v[120:121]
	s_wait_loadcnt 0x1
	v_fmac_f64_e32 v[154:155], v[128:129], v[122:123]
	s_wait_dscnt 0x0
	s_delay_alu instid0(VALU_DEP_1) | instskip(SKIP_1) | instid1(VALU_DEP_1)
	v_fmac_f64_e32 v[154:155], v[130:131], v[124:125]
	s_wait_loadcnt 0x0
	v_fmac_f64_e32 v[154:155], v[148:149], v[126:127]
	s_delay_alu instid0(VALU_DEP_1)
	v_add_f64_e64 v[2:3], v[118:119], -v[154:155]
	scratch_store_b64 off, v[2:3], off offset:64
	s_wait_xcnt 0x0
	v_cmpx_lt_u32_e32 7, v0
	s_cbranch_execz .LBB56_337
; %bb.336:
	scratch_load_b64 v[2:3], off, off offset:56
	v_mov_b64_e32 v[118:119], 0
	scratch_store_b64 off, v[118:119], off offset:56
	s_wait_loadcnt 0x0
	ds_store_b64 v1, v[2:3]
.LBB56_337:
	s_wait_xcnt 0x0
	s_or_b32 exec_lo, exec_lo, s0
	s_wait_storecnt_dscnt 0x0
	s_barrier_signal -1
	s_barrier_wait -1
	s_clause 0x5
	scratch_load_b128 v[118:121], off, off offset:56
	scratch_load_b128 v[122:125], off, off offset:72
	scratch_load_b128 v[126:129], off, off offset:88
	scratch_load_b128 v[130:133], off, off offset:104
	scratch_load_b128 v[134:137], off, off offset:120
	scratch_load_b128 v[138:141], off, off offset:136
	v_mov_b32_e32 v2, 0
	ds_load_b128 v[142:145], v2 offset:528
	ds_load_b128 v[146:149], v2 offset:544
	scratch_load_b128 v[150:153], off, off offset:152
	s_mov_b32 s0, exec_lo
	s_wait_loadcnt_dscnt 0x601
	v_fma_f64 v[154:155], v[120:121], v[142:143], 0
	s_wait_loadcnt 0x5
	s_delay_alu instid0(VALU_DEP_1) | instskip(SKIP_4) | instid1(VALU_DEP_1)
	v_fmac_f64_e32 v[154:155], v[122:123], v[144:145]
	scratch_load_b128 v[120:123], off, off offset:168
	s_wait_dscnt 0x0
	v_fmac_f64_e32 v[154:155], v[124:125], v[146:147]
	s_wait_loadcnt 0x5
	v_fmac_f64_e32 v[154:155], v[126:127], v[148:149]
	ds_load_b128 v[124:127], v2 offset:560
	ds_load_b128 v[142:145], v2 offset:576
	scratch_load_b128 v[146:149], off, off offset:184
	s_wait_dscnt 0x1
	v_fmac_f64_e32 v[154:155], v[128:129], v[124:125]
	s_wait_loadcnt 0x5
	s_delay_alu instid0(VALU_DEP_1) | instskip(SKIP_4) | instid1(VALU_DEP_1)
	v_fmac_f64_e32 v[154:155], v[130:131], v[126:127]
	scratch_load_b128 v[124:127], off, off offset:200
	s_wait_dscnt 0x0
	v_fmac_f64_e32 v[154:155], v[132:133], v[142:143]
	s_wait_loadcnt 0x5
	v_fmac_f64_e32 v[154:155], v[134:135], v[144:145]
	ds_load_b128 v[128:131], v2 offset:592
	ds_load_b128 v[132:135], v2 offset:608
	scratch_load_b128 v[142:145], off, off offset:216
	s_wait_dscnt 0x1
	v_fmac_f64_e32 v[154:155], v[136:137], v[128:129]
	s_wait_loadcnt 0x5
	s_delay_alu instid0(VALU_DEP_1) | instskip(SKIP_4) | instid1(VALU_DEP_1)
	v_fmac_f64_e32 v[154:155], v[138:139], v[130:131]
	scratch_load_b128 v[128:131], off, off offset:232
	s_wait_dscnt 0x0
	v_fmac_f64_e32 v[154:155], v[140:141], v[132:133]
	s_wait_loadcnt 0x5
	v_fmac_f64_e32 v[154:155], v[150:151], v[134:135]
	ds_load_b128 v[132:135], v2 offset:624
	ds_load_b128 v[136:139], v2 offset:640
	s_wait_dscnt 0x1
	v_fmac_f64_e32 v[154:155], v[152:153], v[132:133]
	scratch_load_b128 v[150:153], off, off offset:248
	s_wait_loadcnt 0x5
	v_fmac_f64_e32 v[154:155], v[120:121], v[134:135]
	s_wait_dscnt 0x0
	s_delay_alu instid0(VALU_DEP_1)
	v_fmac_f64_e32 v[154:155], v[122:123], v[136:137]
	scratch_load_b128 v[120:123], off, off offset:264
	s_wait_loadcnt 0x5
	v_fmac_f64_e32 v[154:155], v[146:147], v[138:139]
	ds_load_b128 v[132:135], v2 offset:656
	ds_load_b128 v[136:139], v2 offset:672
	s_wait_dscnt 0x1
	v_fmac_f64_e32 v[154:155], v[148:149], v[132:133]
	scratch_load_b128 v[146:149], off, off offset:280
	s_wait_loadcnt 0x5
	v_fmac_f64_e32 v[154:155], v[124:125], v[134:135]
	s_wait_dscnt 0x0
	s_delay_alu instid0(VALU_DEP_1)
	v_fmac_f64_e32 v[154:155], v[126:127], v[136:137]
	scratch_load_b128 v[124:127], off, off offset:296
	s_wait_loadcnt 0x5
	v_fmac_f64_e32 v[154:155], v[142:143], v[138:139]
	ds_load_b128 v[132:135], v2 offset:688
	ds_load_b128 v[136:139], v2 offset:704
	scratch_load_b128 v[140:143], off, off offset:312
	s_wait_dscnt 0x1
	v_fmac_f64_e32 v[154:155], v[144:145], v[132:133]
	s_wait_loadcnt 0x5
	s_delay_alu instid0(VALU_DEP_1) | instskip(SKIP_1) | instid1(VALU_DEP_1)
	v_fmac_f64_e32 v[154:155], v[128:129], v[134:135]
	s_wait_dscnt 0x0
	v_fmac_f64_e32 v[154:155], v[130:131], v[136:137]
	scratch_load_b128 v[128:131], off, off offset:328
	s_wait_loadcnt 0x5
	v_fmac_f64_e32 v[154:155], v[150:151], v[138:139]
	ds_load_b128 v[132:135], v2 offset:720
	ds_load_b128 v[136:139], v2 offset:736
	s_wait_dscnt 0x1
	v_fmac_f64_e32 v[154:155], v[152:153], v[132:133]
	scratch_load_b128 v[150:153], off, off offset:344
	s_wait_loadcnt 0x5
	v_fmac_f64_e32 v[154:155], v[120:121], v[134:135]
	s_wait_dscnt 0x0
	s_delay_alu instid0(VALU_DEP_1)
	v_fmac_f64_e32 v[154:155], v[122:123], v[136:137]
	scratch_load_b128 v[120:123], off, off offset:360
	s_wait_loadcnt 0x5
	v_fmac_f64_e32 v[154:155], v[146:147], v[138:139]
	ds_load_b128 v[132:135], v2 offset:752
	ds_load_b128 v[136:139], v2 offset:768
	s_wait_dscnt 0x1
	v_fmac_f64_e32 v[154:155], v[148:149], v[132:133]
	s_wait_loadcnt 0x4
	s_delay_alu instid0(VALU_DEP_1)
	v_fmac_f64_e32 v[154:155], v[124:125], v[134:135]
	scratch_load_b128 v[132:135], off, off offset:376
	s_wait_dscnt 0x0
	v_fmac_f64_e32 v[154:155], v[126:127], v[136:137]
	scratch_load_b128 v[124:127], off, off offset:392
	s_wait_loadcnt 0x5
	v_fmac_f64_e32 v[154:155], v[140:141], v[138:139]
	ds_load_b128 v[136:139], v2 offset:784
	ds_load_b128 v[144:147], v2 offset:800
	s_wait_dscnt 0x1
	v_fmac_f64_e32 v[154:155], v[142:143], v[136:137]
	s_wait_loadcnt 0x4
	s_delay_alu instid0(VALU_DEP_1)
	v_fmac_f64_e32 v[154:155], v[128:129], v[138:139]
	scratch_load_b128 v[136:139], off, off offset:408
	s_wait_dscnt 0x0
	v_fmac_f64_e32 v[154:155], v[130:131], v[144:145]
	scratch_load_b128 v[128:131], off, off offset:424
	s_wait_loadcnt 0x5
	v_fmac_f64_e32 v[154:155], v[150:151], v[146:147]
	ds_load_b128 v[140:143], v2 offset:816
	ds_load_b128 v[144:147], v2 offset:832
	s_wait_dscnt 0x1
	v_fmac_f64_e32 v[154:155], v[152:153], v[140:141]
	s_wait_loadcnt 0x4
	s_delay_alu instid0(VALU_DEP_1) | instskip(SKIP_4) | instid1(VALU_DEP_1)
	v_fmac_f64_e32 v[154:155], v[120:121], v[142:143]
	scratch_load_b128 v[140:143], off, off offset:440
	s_wait_dscnt 0x0
	v_fmac_f64_e32 v[154:155], v[122:123], v[144:145]
	s_wait_loadcnt 0x4
	v_fmac_f64_e32 v[154:155], v[132:133], v[146:147]
	ds_load_b128 v[120:123], v2 offset:848
	ds_load_b128 v[144:147], v2 offset:864
	s_wait_dscnt 0x1
	v_fmac_f64_e32 v[154:155], v[134:135], v[120:121]
	s_wait_loadcnt 0x3
	s_delay_alu instid0(VALU_DEP_1) | instskip(SKIP_1) | instid1(VALU_DEP_1)
	v_fmac_f64_e32 v[154:155], v[124:125], v[122:123]
	s_wait_dscnt 0x0
	v_fmac_f64_e32 v[154:155], v[126:127], v[144:145]
	ds_load_b128 v[120:123], v2 offset:880
	ds_load_b128 v[124:127], v2 offset:896
	s_wait_loadcnt 0x2
	v_fmac_f64_e32 v[154:155], v[136:137], v[146:147]
	s_wait_dscnt 0x1
	s_delay_alu instid0(VALU_DEP_1) | instskip(SKIP_4) | instid1(VALU_DEP_1)
	v_fmac_f64_e32 v[154:155], v[138:139], v[120:121]
	ds_load_b64 v[120:121], v2 offset:912
	s_wait_loadcnt 0x1
	v_fmac_f64_e32 v[154:155], v[128:129], v[122:123]
	s_wait_dscnt 0x1
	v_fmac_f64_e32 v[154:155], v[130:131], v[124:125]
	s_wait_loadcnt 0x0
	s_delay_alu instid0(VALU_DEP_1) | instskip(SKIP_1) | instid1(VALU_DEP_1)
	v_fmac_f64_e32 v[154:155], v[140:141], v[126:127]
	s_wait_dscnt 0x0
	v_fmac_f64_e32 v[154:155], v[142:143], v[120:121]
	s_delay_alu instid0(VALU_DEP_1)
	v_add_f64_e64 v[118:119], v[118:119], -v[154:155]
	scratch_store_b64 off, v[118:119], off offset:56
	s_wait_xcnt 0x0
	v_cmpx_lt_u32_e32 6, v0
	s_cbranch_execz .LBB56_339
; %bb.338:
	scratch_load_b64 v[118:119], off, off offset:48
	v_mov_b64_e32 v[120:121], 0
	scratch_store_b64 off, v[120:121], off offset:48
	s_wait_loadcnt 0x0
	ds_store_b64 v1, v[118:119]
.LBB56_339:
	s_wait_xcnt 0x0
	s_or_b32 exec_lo, exec_lo, s0
	s_wait_storecnt_dscnt 0x0
	s_barrier_signal -1
	s_barrier_wait -1
	s_clause 0x5
	scratch_load_b128 v[118:121], off, off offset:48
	scratch_load_b128 v[122:125], off, off offset:64
	;; [unrolled: 1-line block ×6, first 2 shown]
	ds_load_2addr_b64 v[142:145], v2 offset0:65 offset1:66
	ds_load_2addr_b64 v[146:149], v2 offset0:67 offset1:68
	scratch_load_b128 v[150:153], off, off offset:144
	s_mov_b32 s0, exec_lo
	s_wait_loadcnt_dscnt 0x601
	v_fma_f64 v[154:155], v[120:121], v[142:143], 0
	s_wait_loadcnt 0x5
	s_delay_alu instid0(VALU_DEP_1) | instskip(SKIP_4) | instid1(VALU_DEP_1)
	v_fmac_f64_e32 v[154:155], v[122:123], v[144:145]
	scratch_load_b128 v[120:123], off, off offset:160
	s_wait_dscnt 0x0
	v_fmac_f64_e32 v[154:155], v[124:125], v[146:147]
	s_wait_loadcnt 0x5
	v_fmac_f64_e32 v[154:155], v[126:127], v[148:149]
	ds_load_2addr_b64 v[124:127], v2 offset0:69 offset1:70
	ds_load_2addr_b64 v[142:145], v2 offset0:71 offset1:72
	scratch_load_b128 v[146:149], off, off offset:176
	s_wait_dscnt 0x1
	v_fmac_f64_e32 v[154:155], v[128:129], v[124:125]
	s_wait_loadcnt 0x5
	s_delay_alu instid0(VALU_DEP_1) | instskip(SKIP_4) | instid1(VALU_DEP_1)
	v_fmac_f64_e32 v[154:155], v[130:131], v[126:127]
	scratch_load_b128 v[124:127], off, off offset:192
	s_wait_dscnt 0x0
	v_fmac_f64_e32 v[154:155], v[132:133], v[142:143]
	s_wait_loadcnt 0x5
	v_fmac_f64_e32 v[154:155], v[134:135], v[144:145]
	ds_load_2addr_b64 v[128:131], v2 offset0:73 offset1:74
	ds_load_2addr_b64 v[132:135], v2 offset0:75 offset1:76
	scratch_load_b128 v[142:145], off, off offset:208
	s_wait_dscnt 0x1
	v_fmac_f64_e32 v[154:155], v[136:137], v[128:129]
	s_wait_loadcnt 0x5
	s_delay_alu instid0(VALU_DEP_1) | instskip(SKIP_4) | instid1(VALU_DEP_1)
	v_fmac_f64_e32 v[154:155], v[138:139], v[130:131]
	scratch_load_b128 v[128:131], off, off offset:224
	s_wait_dscnt 0x0
	v_fmac_f64_e32 v[154:155], v[140:141], v[132:133]
	s_wait_loadcnt 0x5
	v_fmac_f64_e32 v[154:155], v[150:151], v[134:135]
	ds_load_2addr_b64 v[132:135], v2 offset0:77 offset1:78
	ds_load_2addr_b64 v[136:139], v2 offset0:79 offset1:80
	s_wait_dscnt 0x1
	v_fmac_f64_e32 v[154:155], v[152:153], v[132:133]
	scratch_load_b128 v[150:153], off, off offset:240
	s_wait_loadcnt 0x5
	v_fmac_f64_e32 v[154:155], v[120:121], v[134:135]
	s_wait_dscnt 0x0
	s_delay_alu instid0(VALU_DEP_1)
	v_fmac_f64_e32 v[154:155], v[122:123], v[136:137]
	scratch_load_b128 v[120:123], off, off offset:256
	s_wait_loadcnt 0x5
	v_fmac_f64_e32 v[154:155], v[146:147], v[138:139]
	ds_load_2addr_b64 v[132:135], v2 offset0:81 offset1:82
	ds_load_2addr_b64 v[136:139], v2 offset0:83 offset1:84
	s_wait_dscnt 0x1
	v_fmac_f64_e32 v[154:155], v[148:149], v[132:133]
	scratch_load_b128 v[146:149], off, off offset:272
	s_wait_loadcnt 0x5
	v_fmac_f64_e32 v[154:155], v[124:125], v[134:135]
	s_wait_dscnt 0x0
	s_delay_alu instid0(VALU_DEP_1)
	v_fmac_f64_e32 v[154:155], v[126:127], v[136:137]
	scratch_load_b128 v[124:127], off, off offset:288
	s_wait_loadcnt 0x5
	v_fmac_f64_e32 v[154:155], v[142:143], v[138:139]
	ds_load_2addr_b64 v[132:135], v2 offset0:85 offset1:86
	ds_load_2addr_b64 v[136:139], v2 offset0:87 offset1:88
	scratch_load_b128 v[140:143], off, off offset:304
	s_wait_dscnt 0x1
	v_fmac_f64_e32 v[154:155], v[144:145], v[132:133]
	s_wait_loadcnt 0x5
	s_delay_alu instid0(VALU_DEP_1) | instskip(SKIP_1) | instid1(VALU_DEP_1)
	v_fmac_f64_e32 v[154:155], v[128:129], v[134:135]
	s_wait_dscnt 0x0
	v_fmac_f64_e32 v[154:155], v[130:131], v[136:137]
	scratch_load_b128 v[128:131], off, off offset:320
	s_wait_loadcnt 0x5
	v_fmac_f64_e32 v[154:155], v[150:151], v[138:139]
	ds_load_2addr_b64 v[132:135], v2 offset0:89 offset1:90
	ds_load_2addr_b64 v[136:139], v2 offset0:91 offset1:92
	s_wait_dscnt 0x1
	v_fmac_f64_e32 v[154:155], v[152:153], v[132:133]
	scratch_load_b128 v[150:153], off, off offset:336
	s_wait_loadcnt 0x5
	v_fmac_f64_e32 v[154:155], v[120:121], v[134:135]
	s_wait_dscnt 0x0
	s_delay_alu instid0(VALU_DEP_1)
	v_fmac_f64_e32 v[154:155], v[122:123], v[136:137]
	scratch_load_b128 v[120:123], off, off offset:352
	s_wait_loadcnt 0x5
	v_fmac_f64_e32 v[154:155], v[146:147], v[138:139]
	ds_load_2addr_b64 v[132:135], v2 offset0:93 offset1:94
	ds_load_2addr_b64 v[136:139], v2 offset0:95 offset1:96
	scratch_load_b128 v[144:147], off, off offset:368
	s_wait_dscnt 0x1
	v_fmac_f64_e32 v[154:155], v[148:149], v[132:133]
	s_wait_loadcnt 0x5
	s_delay_alu instid0(VALU_DEP_1) | instskip(SKIP_1) | instid1(VALU_DEP_1)
	v_fmac_f64_e32 v[154:155], v[124:125], v[134:135]
	s_wait_dscnt 0x0
	v_fmac_f64_e32 v[154:155], v[126:127], v[136:137]
	scratch_load_b128 v[124:127], off, off offset:384
	s_wait_loadcnt 0x5
	v_fmac_f64_e32 v[154:155], v[140:141], v[138:139]
	ds_load_2addr_b64 v[132:135], v2 offset0:97 offset1:98
	ds_load_2addr_b64 v[136:139], v2 offset0:99 offset1:100
	s_wait_dscnt 0x1
	v_fmac_f64_e32 v[154:155], v[142:143], v[132:133]
	s_wait_loadcnt 0x4
	s_delay_alu instid0(VALU_DEP_1)
	v_fmac_f64_e32 v[154:155], v[128:129], v[134:135]
	scratch_load_b128 v[132:135], off, off offset:400
	s_wait_dscnt 0x0
	v_fmac_f64_e32 v[154:155], v[130:131], v[136:137]
	scratch_load_b128 v[128:131], off, off offset:416
	s_wait_loadcnt 0x5
	v_fmac_f64_e32 v[154:155], v[150:151], v[138:139]
	ds_load_2addr_b64 v[136:139], v2 offset0:101 offset1:102
	ds_load_2addr_b64 v[140:143], v2 offset0:103 offset1:104
	s_wait_dscnt 0x1
	v_fmac_f64_e32 v[154:155], v[152:153], v[136:137]
	s_wait_loadcnt 0x4
	s_delay_alu instid0(VALU_DEP_1) | instskip(SKIP_4) | instid1(VALU_DEP_1)
	v_fmac_f64_e32 v[154:155], v[120:121], v[138:139]
	scratch_load_b128 v[136:139], off, off offset:432
	s_wait_dscnt 0x0
	v_fmac_f64_e32 v[154:155], v[122:123], v[140:141]
	s_wait_loadcnt 0x4
	v_fmac_f64_e32 v[154:155], v[144:145], v[142:143]
	scratch_load_b64 v[144:145], off, off offset:448
	ds_load_2addr_b64 v[120:123], v2 offset0:105 offset1:106
	ds_load_2addr_b64 v[140:143], v2 offset0:107 offset1:108
	s_wait_dscnt 0x1
	v_fmac_f64_e32 v[154:155], v[146:147], v[120:121]
	s_wait_loadcnt 0x4
	s_delay_alu instid0(VALU_DEP_1) | instskip(SKIP_1) | instid1(VALU_DEP_1)
	v_fmac_f64_e32 v[154:155], v[124:125], v[122:123]
	s_wait_dscnt 0x0
	v_fmac_f64_e32 v[154:155], v[126:127], v[140:141]
	ds_load_2addr_b64 v[120:123], v2 offset0:109 offset1:110
	ds_load_2addr_b64 v[124:127], v2 offset0:111 offset1:112
	s_wait_loadcnt 0x3
	v_fmac_f64_e32 v[154:155], v[132:133], v[142:143]
	s_wait_dscnt 0x1
	s_delay_alu instid0(VALU_DEP_1) | instskip(SKIP_1) | instid1(VALU_DEP_1)
	v_fmac_f64_e32 v[154:155], v[134:135], v[120:121]
	s_wait_loadcnt 0x2
	v_fmac_f64_e32 v[154:155], v[128:129], v[122:123]
	ds_load_2addr_b64 v[120:123], v2 offset0:113 offset1:114
	s_wait_dscnt 0x1
	v_fmac_f64_e32 v[154:155], v[130:131], v[124:125]
	s_wait_loadcnt 0x1
	s_delay_alu instid0(VALU_DEP_1) | instskip(SKIP_1) | instid1(VALU_DEP_1)
	v_fmac_f64_e32 v[154:155], v[136:137], v[126:127]
	s_wait_dscnt 0x0
	v_fmac_f64_e32 v[154:155], v[138:139], v[120:121]
	s_wait_loadcnt 0x0
	s_delay_alu instid0(VALU_DEP_1) | instskip(NEXT) | instid1(VALU_DEP_1)
	v_fmac_f64_e32 v[154:155], v[144:145], v[122:123]
	v_add_f64_e64 v[2:3], v[118:119], -v[154:155]
	scratch_store_b64 off, v[2:3], off offset:48
	s_wait_xcnt 0x0
	v_cmpx_lt_u32_e32 5, v0
	s_cbranch_execz .LBB56_341
; %bb.340:
	scratch_load_b64 v[2:3], off, off offset:40
	v_mov_b64_e32 v[118:119], 0
	scratch_store_b64 off, v[118:119], off offset:40
	s_wait_loadcnt 0x0
	ds_store_b64 v1, v[2:3]
.LBB56_341:
	s_wait_xcnt 0x0
	s_or_b32 exec_lo, exec_lo, s0
	s_wait_storecnt_dscnt 0x0
	s_barrier_signal -1
	s_barrier_wait -1
	s_clause 0x5
	scratch_load_b128 v[118:121], off, off offset:40
	scratch_load_b128 v[122:125], off, off offset:56
	;; [unrolled: 1-line block ×6, first 2 shown]
	v_mov_b32_e32 v2, 0
	ds_load_b128 v[142:145], v2 offset:512
	ds_load_b128 v[146:149], v2 offset:528
	scratch_load_b128 v[150:153], off, off offset:136
	s_mov_b32 s0, exec_lo
	s_wait_loadcnt_dscnt 0x601
	v_fma_f64 v[154:155], v[120:121], v[142:143], 0
	s_wait_loadcnt 0x5
	s_delay_alu instid0(VALU_DEP_1) | instskip(SKIP_4) | instid1(VALU_DEP_1)
	v_fmac_f64_e32 v[154:155], v[122:123], v[144:145]
	scratch_load_b128 v[120:123], off, off offset:152
	s_wait_dscnt 0x0
	v_fmac_f64_e32 v[154:155], v[124:125], v[146:147]
	s_wait_loadcnt 0x5
	v_fmac_f64_e32 v[154:155], v[126:127], v[148:149]
	ds_load_b128 v[124:127], v2 offset:544
	ds_load_b128 v[142:145], v2 offset:560
	scratch_load_b128 v[146:149], off, off offset:168
	s_wait_dscnt 0x1
	v_fmac_f64_e32 v[154:155], v[128:129], v[124:125]
	s_wait_loadcnt 0x5
	s_delay_alu instid0(VALU_DEP_1) | instskip(SKIP_4) | instid1(VALU_DEP_1)
	v_fmac_f64_e32 v[154:155], v[130:131], v[126:127]
	scratch_load_b128 v[124:127], off, off offset:184
	s_wait_dscnt 0x0
	v_fmac_f64_e32 v[154:155], v[132:133], v[142:143]
	s_wait_loadcnt 0x5
	v_fmac_f64_e32 v[154:155], v[134:135], v[144:145]
	ds_load_b128 v[128:131], v2 offset:576
	ds_load_b128 v[132:135], v2 offset:592
	scratch_load_b128 v[142:145], off, off offset:200
	s_wait_dscnt 0x1
	v_fmac_f64_e32 v[154:155], v[136:137], v[128:129]
	s_wait_loadcnt 0x5
	s_delay_alu instid0(VALU_DEP_1) | instskip(SKIP_4) | instid1(VALU_DEP_1)
	v_fmac_f64_e32 v[154:155], v[138:139], v[130:131]
	scratch_load_b128 v[128:131], off, off offset:216
	s_wait_dscnt 0x0
	v_fmac_f64_e32 v[154:155], v[140:141], v[132:133]
	s_wait_loadcnt 0x5
	v_fmac_f64_e32 v[154:155], v[150:151], v[134:135]
	ds_load_b128 v[132:135], v2 offset:608
	ds_load_b128 v[136:139], v2 offset:624
	s_wait_dscnt 0x1
	v_fmac_f64_e32 v[154:155], v[152:153], v[132:133]
	scratch_load_b128 v[150:153], off, off offset:232
	s_wait_loadcnt 0x5
	v_fmac_f64_e32 v[154:155], v[120:121], v[134:135]
	s_wait_dscnt 0x0
	s_delay_alu instid0(VALU_DEP_1)
	v_fmac_f64_e32 v[154:155], v[122:123], v[136:137]
	scratch_load_b128 v[120:123], off, off offset:248
	s_wait_loadcnt 0x5
	v_fmac_f64_e32 v[154:155], v[146:147], v[138:139]
	ds_load_b128 v[132:135], v2 offset:640
	ds_load_b128 v[136:139], v2 offset:656
	s_wait_dscnt 0x1
	v_fmac_f64_e32 v[154:155], v[148:149], v[132:133]
	scratch_load_b128 v[146:149], off, off offset:264
	s_wait_loadcnt 0x5
	v_fmac_f64_e32 v[154:155], v[124:125], v[134:135]
	s_wait_dscnt 0x0
	s_delay_alu instid0(VALU_DEP_1)
	v_fmac_f64_e32 v[154:155], v[126:127], v[136:137]
	scratch_load_b128 v[124:127], off, off offset:280
	s_wait_loadcnt 0x5
	v_fmac_f64_e32 v[154:155], v[142:143], v[138:139]
	ds_load_b128 v[132:135], v2 offset:672
	ds_load_b128 v[136:139], v2 offset:688
	scratch_load_b128 v[140:143], off, off offset:296
	s_wait_dscnt 0x1
	v_fmac_f64_e32 v[154:155], v[144:145], v[132:133]
	s_wait_loadcnt 0x5
	s_delay_alu instid0(VALU_DEP_1) | instskip(SKIP_1) | instid1(VALU_DEP_1)
	v_fmac_f64_e32 v[154:155], v[128:129], v[134:135]
	s_wait_dscnt 0x0
	v_fmac_f64_e32 v[154:155], v[130:131], v[136:137]
	scratch_load_b128 v[128:131], off, off offset:312
	s_wait_loadcnt 0x5
	v_fmac_f64_e32 v[154:155], v[150:151], v[138:139]
	ds_load_b128 v[132:135], v2 offset:704
	ds_load_b128 v[136:139], v2 offset:720
	s_wait_dscnt 0x1
	v_fmac_f64_e32 v[154:155], v[152:153], v[132:133]
	scratch_load_b128 v[150:153], off, off offset:328
	s_wait_loadcnt 0x5
	v_fmac_f64_e32 v[154:155], v[120:121], v[134:135]
	s_wait_dscnt 0x0
	s_delay_alu instid0(VALU_DEP_1)
	v_fmac_f64_e32 v[154:155], v[122:123], v[136:137]
	scratch_load_b128 v[120:123], off, off offset:344
	s_wait_loadcnt 0x5
	v_fmac_f64_e32 v[154:155], v[146:147], v[138:139]
	ds_load_b128 v[132:135], v2 offset:736
	ds_load_b128 v[136:139], v2 offset:752
	scratch_load_b128 v[144:147], off, off offset:360
	s_wait_dscnt 0x1
	v_fmac_f64_e32 v[154:155], v[148:149], v[132:133]
	s_wait_loadcnt 0x5
	s_delay_alu instid0(VALU_DEP_1) | instskip(SKIP_1) | instid1(VALU_DEP_1)
	v_fmac_f64_e32 v[154:155], v[124:125], v[134:135]
	s_wait_dscnt 0x0
	v_fmac_f64_e32 v[154:155], v[126:127], v[136:137]
	scratch_load_b128 v[124:127], off, off offset:376
	s_wait_loadcnt 0x5
	v_fmac_f64_e32 v[154:155], v[140:141], v[138:139]
	ds_load_b128 v[132:135], v2 offset:768
	ds_load_b128 v[136:139], v2 offset:784
	s_wait_dscnt 0x1
	v_fmac_f64_e32 v[154:155], v[142:143], v[132:133]
	s_wait_loadcnt 0x4
	s_delay_alu instid0(VALU_DEP_1)
	v_fmac_f64_e32 v[154:155], v[128:129], v[134:135]
	scratch_load_b128 v[132:135], off, off offset:392
	s_wait_dscnt 0x0
	v_fmac_f64_e32 v[154:155], v[130:131], v[136:137]
	scratch_load_b128 v[128:131], off, off offset:408
	s_wait_loadcnt 0x5
	v_fmac_f64_e32 v[154:155], v[150:151], v[138:139]
	ds_load_b128 v[136:139], v2 offset:800
	ds_load_b128 v[140:143], v2 offset:816
	s_wait_dscnt 0x1
	v_fmac_f64_e32 v[154:155], v[152:153], v[136:137]
	s_wait_loadcnt 0x4
	s_delay_alu instid0(VALU_DEP_1)
	v_fmac_f64_e32 v[154:155], v[120:121], v[138:139]
	scratch_load_b128 v[136:139], off, off offset:424
	s_wait_dscnt 0x0
	v_fmac_f64_e32 v[154:155], v[122:123], v[140:141]
	scratch_load_b128 v[120:123], off, off offset:440
	s_wait_loadcnt 0x5
	v_fmac_f64_e32 v[154:155], v[144:145], v[142:143]
	ds_load_b128 v[140:143], v2 offset:832
	ds_load_b128 v[148:151], v2 offset:848
	s_wait_dscnt 0x1
	v_fmac_f64_e32 v[154:155], v[146:147], v[140:141]
	s_wait_loadcnt 0x4
	s_delay_alu instid0(VALU_DEP_1) | instskip(SKIP_1) | instid1(VALU_DEP_1)
	v_fmac_f64_e32 v[154:155], v[124:125], v[142:143]
	s_wait_dscnt 0x0
	v_fmac_f64_e32 v[154:155], v[126:127], v[148:149]
	ds_load_b128 v[124:127], v2 offset:864
	ds_load_b128 v[140:143], v2 offset:880
	s_wait_loadcnt 0x3
	v_fmac_f64_e32 v[154:155], v[132:133], v[150:151]
	s_wait_dscnt 0x1
	s_delay_alu instid0(VALU_DEP_1) | instskip(SKIP_1) | instid1(VALU_DEP_1)
	v_fmac_f64_e32 v[154:155], v[134:135], v[124:125]
	s_wait_loadcnt 0x2
	v_fmac_f64_e32 v[154:155], v[128:129], v[126:127]
	ds_load_b128 v[124:127], v2 offset:896
	ds_load_b64 v[128:129], v2 offset:912
	s_wait_dscnt 0x2
	v_fmac_f64_e32 v[154:155], v[130:131], v[140:141]
	s_wait_loadcnt 0x1
	s_delay_alu instid0(VALU_DEP_1) | instskip(SKIP_1) | instid1(VALU_DEP_1)
	v_fmac_f64_e32 v[154:155], v[136:137], v[142:143]
	s_wait_dscnt 0x1
	v_fmac_f64_e32 v[154:155], v[138:139], v[124:125]
	s_wait_loadcnt 0x0
	s_delay_alu instid0(VALU_DEP_1) | instskip(SKIP_1) | instid1(VALU_DEP_1)
	v_fmac_f64_e32 v[154:155], v[120:121], v[126:127]
	s_wait_dscnt 0x0
	v_fmac_f64_e32 v[154:155], v[122:123], v[128:129]
	s_delay_alu instid0(VALU_DEP_1)
	v_add_f64_e64 v[118:119], v[118:119], -v[154:155]
	scratch_store_b64 off, v[118:119], off offset:40
	s_wait_xcnt 0x0
	v_cmpx_lt_u32_e32 4, v0
	s_cbranch_execz .LBB56_343
; %bb.342:
	scratch_load_b64 v[118:119], off, off offset:32
	v_mov_b64_e32 v[120:121], 0
	scratch_store_b64 off, v[120:121], off offset:32
	s_wait_loadcnt 0x0
	ds_store_b64 v1, v[118:119]
.LBB56_343:
	s_wait_xcnt 0x0
	s_or_b32 exec_lo, exec_lo, s0
	s_wait_storecnt_dscnt 0x0
	s_barrier_signal -1
	s_barrier_wait -1
	s_clause 0x5
	scratch_load_b128 v[118:121], off, off offset:32
	scratch_load_b128 v[122:125], off, off offset:48
	;; [unrolled: 1-line block ×6, first 2 shown]
	ds_load_2addr_b64 v[142:145], v2 offset0:63 offset1:64
	ds_load_2addr_b64 v[146:149], v2 offset0:65 offset1:66
	scratch_load_b128 v[150:153], off, off offset:128
	s_mov_b32 s0, exec_lo
	s_wait_loadcnt_dscnt 0x601
	v_fma_f64 v[154:155], v[120:121], v[142:143], 0
	s_wait_loadcnt 0x5
	s_delay_alu instid0(VALU_DEP_1) | instskip(SKIP_4) | instid1(VALU_DEP_1)
	v_fmac_f64_e32 v[154:155], v[122:123], v[144:145]
	scratch_load_b128 v[120:123], off, off offset:144
	s_wait_dscnt 0x0
	v_fmac_f64_e32 v[154:155], v[124:125], v[146:147]
	s_wait_loadcnt 0x5
	v_fmac_f64_e32 v[154:155], v[126:127], v[148:149]
	ds_load_2addr_b64 v[124:127], v2 offset0:67 offset1:68
	ds_load_2addr_b64 v[142:145], v2 offset0:69 offset1:70
	scratch_load_b128 v[146:149], off, off offset:160
	s_wait_dscnt 0x1
	v_fmac_f64_e32 v[154:155], v[128:129], v[124:125]
	s_wait_loadcnt 0x5
	s_delay_alu instid0(VALU_DEP_1) | instskip(SKIP_4) | instid1(VALU_DEP_1)
	v_fmac_f64_e32 v[154:155], v[130:131], v[126:127]
	scratch_load_b128 v[124:127], off, off offset:176
	s_wait_dscnt 0x0
	v_fmac_f64_e32 v[154:155], v[132:133], v[142:143]
	s_wait_loadcnt 0x5
	v_fmac_f64_e32 v[154:155], v[134:135], v[144:145]
	ds_load_2addr_b64 v[128:131], v2 offset0:71 offset1:72
	ds_load_2addr_b64 v[132:135], v2 offset0:73 offset1:74
	scratch_load_b128 v[142:145], off, off offset:192
	s_wait_dscnt 0x1
	v_fmac_f64_e32 v[154:155], v[136:137], v[128:129]
	s_wait_loadcnt 0x5
	s_delay_alu instid0(VALU_DEP_1) | instskip(SKIP_4) | instid1(VALU_DEP_1)
	v_fmac_f64_e32 v[154:155], v[138:139], v[130:131]
	scratch_load_b128 v[128:131], off, off offset:208
	s_wait_dscnt 0x0
	v_fmac_f64_e32 v[154:155], v[140:141], v[132:133]
	s_wait_loadcnt 0x5
	v_fmac_f64_e32 v[154:155], v[150:151], v[134:135]
	ds_load_2addr_b64 v[132:135], v2 offset0:75 offset1:76
	ds_load_2addr_b64 v[136:139], v2 offset0:77 offset1:78
	s_wait_dscnt 0x1
	v_fmac_f64_e32 v[154:155], v[152:153], v[132:133]
	scratch_load_b128 v[150:153], off, off offset:224
	s_wait_loadcnt 0x5
	v_fmac_f64_e32 v[154:155], v[120:121], v[134:135]
	s_wait_dscnt 0x0
	s_delay_alu instid0(VALU_DEP_1)
	v_fmac_f64_e32 v[154:155], v[122:123], v[136:137]
	scratch_load_b128 v[120:123], off, off offset:240
	s_wait_loadcnt 0x5
	v_fmac_f64_e32 v[154:155], v[146:147], v[138:139]
	ds_load_2addr_b64 v[132:135], v2 offset0:79 offset1:80
	ds_load_2addr_b64 v[136:139], v2 offset0:81 offset1:82
	s_wait_dscnt 0x1
	v_fmac_f64_e32 v[154:155], v[148:149], v[132:133]
	scratch_load_b128 v[146:149], off, off offset:256
	s_wait_loadcnt 0x5
	v_fmac_f64_e32 v[154:155], v[124:125], v[134:135]
	s_wait_dscnt 0x0
	s_delay_alu instid0(VALU_DEP_1)
	v_fmac_f64_e32 v[154:155], v[126:127], v[136:137]
	scratch_load_b128 v[124:127], off, off offset:272
	s_wait_loadcnt 0x5
	v_fmac_f64_e32 v[154:155], v[142:143], v[138:139]
	ds_load_2addr_b64 v[132:135], v2 offset0:83 offset1:84
	ds_load_2addr_b64 v[136:139], v2 offset0:85 offset1:86
	scratch_load_b128 v[140:143], off, off offset:288
	s_wait_dscnt 0x1
	v_fmac_f64_e32 v[154:155], v[144:145], v[132:133]
	s_wait_loadcnt 0x5
	s_delay_alu instid0(VALU_DEP_1) | instskip(SKIP_1) | instid1(VALU_DEP_1)
	v_fmac_f64_e32 v[154:155], v[128:129], v[134:135]
	s_wait_dscnt 0x0
	v_fmac_f64_e32 v[154:155], v[130:131], v[136:137]
	scratch_load_b128 v[128:131], off, off offset:304
	s_wait_loadcnt 0x5
	v_fmac_f64_e32 v[154:155], v[150:151], v[138:139]
	ds_load_2addr_b64 v[132:135], v2 offset0:87 offset1:88
	ds_load_2addr_b64 v[136:139], v2 offset0:89 offset1:90
	s_wait_dscnt 0x1
	v_fmac_f64_e32 v[154:155], v[152:153], v[132:133]
	scratch_load_b128 v[150:153], off, off offset:320
	s_wait_loadcnt 0x5
	v_fmac_f64_e32 v[154:155], v[120:121], v[134:135]
	s_wait_dscnt 0x0
	s_delay_alu instid0(VALU_DEP_1)
	v_fmac_f64_e32 v[154:155], v[122:123], v[136:137]
	scratch_load_b128 v[120:123], off, off offset:336
	s_wait_loadcnt 0x5
	v_fmac_f64_e32 v[154:155], v[146:147], v[138:139]
	ds_load_2addr_b64 v[132:135], v2 offset0:91 offset1:92
	ds_load_2addr_b64 v[136:139], v2 offset0:93 offset1:94
	scratch_load_b128 v[144:147], off, off offset:352
	s_wait_dscnt 0x1
	v_fmac_f64_e32 v[154:155], v[148:149], v[132:133]
	s_wait_loadcnt 0x5
	s_delay_alu instid0(VALU_DEP_1) | instskip(SKIP_1) | instid1(VALU_DEP_1)
	v_fmac_f64_e32 v[154:155], v[124:125], v[134:135]
	s_wait_dscnt 0x0
	v_fmac_f64_e32 v[154:155], v[126:127], v[136:137]
	scratch_load_b128 v[124:127], off, off offset:368
	s_wait_loadcnt 0x5
	v_fmac_f64_e32 v[154:155], v[140:141], v[138:139]
	ds_load_2addr_b64 v[132:135], v2 offset0:95 offset1:96
	ds_load_2addr_b64 v[136:139], v2 offset0:97 offset1:98
	s_wait_dscnt 0x1
	v_fmac_f64_e32 v[154:155], v[142:143], v[132:133]
	s_wait_loadcnt 0x4
	s_delay_alu instid0(VALU_DEP_1)
	v_fmac_f64_e32 v[154:155], v[128:129], v[134:135]
	scratch_load_b128 v[132:135], off, off offset:384
	s_wait_dscnt 0x0
	v_fmac_f64_e32 v[154:155], v[130:131], v[136:137]
	scratch_load_b128 v[128:131], off, off offset:400
	s_wait_loadcnt 0x5
	v_fmac_f64_e32 v[154:155], v[150:151], v[138:139]
	ds_load_2addr_b64 v[136:139], v2 offset0:99 offset1:100
	ds_load_2addr_b64 v[140:143], v2 offset0:101 offset1:102
	s_wait_dscnt 0x1
	v_fmac_f64_e32 v[154:155], v[152:153], v[136:137]
	s_wait_loadcnt 0x4
	s_delay_alu instid0(VALU_DEP_1)
	v_fmac_f64_e32 v[154:155], v[120:121], v[138:139]
	scratch_load_b128 v[136:139], off, off offset:416
	s_wait_dscnt 0x0
	v_fmac_f64_e32 v[154:155], v[122:123], v[140:141]
	scratch_load_b128 v[120:123], off, off offset:432
	s_wait_loadcnt 0x5
	v_fmac_f64_e32 v[154:155], v[144:145], v[142:143]
	ds_load_2addr_b64 v[140:143], v2 offset0:103 offset1:104
	ds_load_2addr_b64 v[148:151], v2 offset0:105 offset1:106
	scratch_load_b64 v[144:145], off, off offset:448
	s_wait_dscnt 0x1
	v_fmac_f64_e32 v[154:155], v[146:147], v[140:141]
	s_wait_loadcnt 0x5
	s_delay_alu instid0(VALU_DEP_1) | instskip(SKIP_1) | instid1(VALU_DEP_1)
	v_fmac_f64_e32 v[154:155], v[124:125], v[142:143]
	s_wait_dscnt 0x0
	v_fmac_f64_e32 v[154:155], v[126:127], v[148:149]
	ds_load_2addr_b64 v[124:127], v2 offset0:107 offset1:108
	ds_load_2addr_b64 v[140:143], v2 offset0:109 offset1:110
	s_wait_loadcnt 0x4
	v_fmac_f64_e32 v[154:155], v[132:133], v[150:151]
	s_wait_dscnt 0x1
	s_delay_alu instid0(VALU_DEP_1) | instskip(SKIP_1) | instid1(VALU_DEP_1)
	v_fmac_f64_e32 v[154:155], v[134:135], v[124:125]
	s_wait_loadcnt 0x3
	v_fmac_f64_e32 v[154:155], v[128:129], v[126:127]
	s_wait_dscnt 0x0
	s_delay_alu instid0(VALU_DEP_1)
	v_fmac_f64_e32 v[154:155], v[130:131], v[140:141]
	ds_load_2addr_b64 v[124:127], v2 offset0:111 offset1:112
	ds_load_2addr_b64 v[128:131], v2 offset0:113 offset1:114
	s_wait_loadcnt 0x2
	v_fmac_f64_e32 v[154:155], v[136:137], v[142:143]
	s_wait_dscnt 0x1
	s_delay_alu instid0(VALU_DEP_1) | instskip(SKIP_1) | instid1(VALU_DEP_1)
	v_fmac_f64_e32 v[154:155], v[138:139], v[124:125]
	s_wait_loadcnt 0x1
	v_fmac_f64_e32 v[154:155], v[120:121], v[126:127]
	s_wait_dscnt 0x0
	s_delay_alu instid0(VALU_DEP_1) | instskip(SKIP_1) | instid1(VALU_DEP_1)
	v_fmac_f64_e32 v[154:155], v[122:123], v[128:129]
	s_wait_loadcnt 0x0
	v_fmac_f64_e32 v[154:155], v[144:145], v[130:131]
	s_delay_alu instid0(VALU_DEP_1)
	v_add_f64_e64 v[2:3], v[118:119], -v[154:155]
	scratch_store_b64 off, v[2:3], off offset:32
	s_wait_xcnt 0x0
	v_cmpx_lt_u32_e32 3, v0
	s_cbranch_execz .LBB56_345
; %bb.344:
	scratch_load_b64 v[2:3], off, off offset:24
	v_mov_b64_e32 v[118:119], 0
	scratch_store_b64 off, v[118:119], off offset:24
	s_wait_loadcnt 0x0
	ds_store_b64 v1, v[2:3]
.LBB56_345:
	s_wait_xcnt 0x0
	s_or_b32 exec_lo, exec_lo, s0
	s_wait_storecnt_dscnt 0x0
	s_barrier_signal -1
	s_barrier_wait -1
	s_clause 0x5
	scratch_load_b128 v[118:121], off, off offset:24
	scratch_load_b128 v[122:125], off, off offset:40
	;; [unrolled: 1-line block ×6, first 2 shown]
	v_mov_b32_e32 v2, 0
	ds_load_b128 v[142:145], v2 offset:496
	ds_load_b128 v[146:149], v2 offset:512
	scratch_load_b128 v[150:153], off, off offset:120
	s_mov_b32 s0, exec_lo
	s_wait_loadcnt_dscnt 0x601
	v_fma_f64 v[154:155], v[120:121], v[142:143], 0
	s_wait_loadcnt 0x5
	s_delay_alu instid0(VALU_DEP_1) | instskip(SKIP_4) | instid1(VALU_DEP_1)
	v_fmac_f64_e32 v[154:155], v[122:123], v[144:145]
	scratch_load_b128 v[120:123], off, off offset:136
	s_wait_dscnt 0x0
	v_fmac_f64_e32 v[154:155], v[124:125], v[146:147]
	s_wait_loadcnt 0x5
	v_fmac_f64_e32 v[154:155], v[126:127], v[148:149]
	ds_load_b128 v[124:127], v2 offset:528
	ds_load_b128 v[142:145], v2 offset:544
	scratch_load_b128 v[146:149], off, off offset:152
	s_wait_dscnt 0x1
	v_fmac_f64_e32 v[154:155], v[128:129], v[124:125]
	s_wait_loadcnt 0x5
	s_delay_alu instid0(VALU_DEP_1) | instskip(SKIP_4) | instid1(VALU_DEP_1)
	v_fmac_f64_e32 v[154:155], v[130:131], v[126:127]
	scratch_load_b128 v[124:127], off, off offset:168
	s_wait_dscnt 0x0
	v_fmac_f64_e32 v[154:155], v[132:133], v[142:143]
	s_wait_loadcnt 0x5
	v_fmac_f64_e32 v[154:155], v[134:135], v[144:145]
	ds_load_b128 v[128:131], v2 offset:560
	ds_load_b128 v[132:135], v2 offset:576
	scratch_load_b128 v[142:145], off, off offset:184
	s_wait_dscnt 0x1
	v_fmac_f64_e32 v[154:155], v[136:137], v[128:129]
	s_wait_loadcnt 0x5
	s_delay_alu instid0(VALU_DEP_1) | instskip(SKIP_4) | instid1(VALU_DEP_1)
	v_fmac_f64_e32 v[154:155], v[138:139], v[130:131]
	scratch_load_b128 v[128:131], off, off offset:200
	s_wait_dscnt 0x0
	v_fmac_f64_e32 v[154:155], v[140:141], v[132:133]
	s_wait_loadcnt 0x5
	v_fmac_f64_e32 v[154:155], v[150:151], v[134:135]
	ds_load_b128 v[132:135], v2 offset:592
	ds_load_b128 v[136:139], v2 offset:608
	s_wait_dscnt 0x1
	v_fmac_f64_e32 v[154:155], v[152:153], v[132:133]
	scratch_load_b128 v[150:153], off, off offset:216
	s_wait_loadcnt 0x5
	v_fmac_f64_e32 v[154:155], v[120:121], v[134:135]
	s_wait_dscnt 0x0
	s_delay_alu instid0(VALU_DEP_1)
	v_fmac_f64_e32 v[154:155], v[122:123], v[136:137]
	scratch_load_b128 v[120:123], off, off offset:232
	s_wait_loadcnt 0x5
	v_fmac_f64_e32 v[154:155], v[146:147], v[138:139]
	ds_load_b128 v[132:135], v2 offset:624
	ds_load_b128 v[136:139], v2 offset:640
	s_wait_dscnt 0x1
	v_fmac_f64_e32 v[154:155], v[148:149], v[132:133]
	scratch_load_b128 v[146:149], off, off offset:248
	s_wait_loadcnt 0x5
	v_fmac_f64_e32 v[154:155], v[124:125], v[134:135]
	s_wait_dscnt 0x0
	s_delay_alu instid0(VALU_DEP_1)
	v_fmac_f64_e32 v[154:155], v[126:127], v[136:137]
	scratch_load_b128 v[124:127], off, off offset:264
	s_wait_loadcnt 0x5
	v_fmac_f64_e32 v[154:155], v[142:143], v[138:139]
	ds_load_b128 v[132:135], v2 offset:656
	ds_load_b128 v[136:139], v2 offset:672
	scratch_load_b128 v[140:143], off, off offset:280
	s_wait_dscnt 0x1
	v_fmac_f64_e32 v[154:155], v[144:145], v[132:133]
	s_wait_loadcnt 0x5
	s_delay_alu instid0(VALU_DEP_1) | instskip(SKIP_1) | instid1(VALU_DEP_1)
	v_fmac_f64_e32 v[154:155], v[128:129], v[134:135]
	s_wait_dscnt 0x0
	v_fmac_f64_e32 v[154:155], v[130:131], v[136:137]
	scratch_load_b128 v[128:131], off, off offset:296
	s_wait_loadcnt 0x5
	v_fmac_f64_e32 v[154:155], v[150:151], v[138:139]
	ds_load_b128 v[132:135], v2 offset:688
	ds_load_b128 v[136:139], v2 offset:704
	s_wait_dscnt 0x1
	v_fmac_f64_e32 v[154:155], v[152:153], v[132:133]
	scratch_load_b128 v[150:153], off, off offset:312
	s_wait_loadcnt 0x5
	v_fmac_f64_e32 v[154:155], v[120:121], v[134:135]
	s_wait_dscnt 0x0
	s_delay_alu instid0(VALU_DEP_1)
	v_fmac_f64_e32 v[154:155], v[122:123], v[136:137]
	scratch_load_b128 v[120:123], off, off offset:328
	s_wait_loadcnt 0x5
	v_fmac_f64_e32 v[154:155], v[146:147], v[138:139]
	ds_load_b128 v[132:135], v2 offset:720
	ds_load_b128 v[136:139], v2 offset:736
	scratch_load_b128 v[144:147], off, off offset:344
	s_wait_dscnt 0x1
	v_fmac_f64_e32 v[154:155], v[148:149], v[132:133]
	s_wait_loadcnt 0x5
	s_delay_alu instid0(VALU_DEP_1) | instskip(SKIP_1) | instid1(VALU_DEP_1)
	v_fmac_f64_e32 v[154:155], v[124:125], v[134:135]
	s_wait_dscnt 0x0
	v_fmac_f64_e32 v[154:155], v[126:127], v[136:137]
	scratch_load_b128 v[124:127], off, off offset:360
	s_wait_loadcnt 0x5
	v_fmac_f64_e32 v[154:155], v[140:141], v[138:139]
	ds_load_b128 v[132:135], v2 offset:752
	ds_load_b128 v[136:139], v2 offset:768
	s_wait_dscnt 0x1
	v_fmac_f64_e32 v[154:155], v[142:143], v[132:133]
	s_wait_loadcnt 0x4
	s_delay_alu instid0(VALU_DEP_1)
	v_fmac_f64_e32 v[154:155], v[128:129], v[134:135]
	scratch_load_b128 v[132:135], off, off offset:376
	s_wait_dscnt 0x0
	v_fmac_f64_e32 v[154:155], v[130:131], v[136:137]
	scratch_load_b128 v[128:131], off, off offset:392
	s_wait_loadcnt 0x5
	v_fmac_f64_e32 v[154:155], v[150:151], v[138:139]
	ds_load_b128 v[136:139], v2 offset:784
	ds_load_b128 v[140:143], v2 offset:800
	s_wait_dscnt 0x1
	v_fmac_f64_e32 v[154:155], v[152:153], v[136:137]
	s_wait_loadcnt 0x4
	s_delay_alu instid0(VALU_DEP_1)
	v_fmac_f64_e32 v[154:155], v[120:121], v[138:139]
	scratch_load_b128 v[136:139], off, off offset:408
	;; [unrolled: 13-line block ×3, first 2 shown]
	s_wait_dscnt 0x0
	v_fmac_f64_e32 v[154:155], v[126:127], v[148:149]
	ds_load_b128 v[124:127], v2 offset:848
	ds_load_b128 v[144:147], v2 offset:864
	s_wait_loadcnt 0x4
	v_fmac_f64_e32 v[154:155], v[132:133], v[150:151]
	s_wait_dscnt 0x1
	s_delay_alu instid0(VALU_DEP_1) | instskip(SKIP_1) | instid1(VALU_DEP_1)
	v_fmac_f64_e32 v[154:155], v[134:135], v[124:125]
	s_wait_loadcnt 0x3
	v_fmac_f64_e32 v[154:155], v[128:129], v[126:127]
	s_wait_dscnt 0x0
	s_delay_alu instid0(VALU_DEP_1)
	v_fmac_f64_e32 v[154:155], v[130:131], v[144:145]
	ds_load_b128 v[124:127], v2 offset:880
	ds_load_b128 v[128:131], v2 offset:896
	s_wait_loadcnt 0x2
	v_fmac_f64_e32 v[154:155], v[136:137], v[146:147]
	s_wait_dscnt 0x1
	s_delay_alu instid0(VALU_DEP_1) | instskip(SKIP_1) | instid1(VALU_DEP_1)
	v_fmac_f64_e32 v[154:155], v[138:139], v[124:125]
	s_wait_loadcnt 0x1
	v_fmac_f64_e32 v[154:155], v[120:121], v[126:127]
	ds_load_b64 v[120:121], v2 offset:912
	s_wait_dscnt 0x1
	v_fmac_f64_e32 v[154:155], v[122:123], v[128:129]
	s_wait_loadcnt 0x0
	s_delay_alu instid0(VALU_DEP_1) | instskip(SKIP_1) | instid1(VALU_DEP_1)
	v_fmac_f64_e32 v[154:155], v[140:141], v[130:131]
	s_wait_dscnt 0x0
	v_fmac_f64_e32 v[154:155], v[142:143], v[120:121]
	s_delay_alu instid0(VALU_DEP_1)
	v_add_f64_e64 v[118:119], v[118:119], -v[154:155]
	scratch_store_b64 off, v[118:119], off offset:24
	s_wait_xcnt 0x0
	v_cmpx_lt_u32_e32 2, v0
	s_cbranch_execz .LBB56_347
; %bb.346:
	scratch_load_b64 v[118:119], off, off offset:16
	v_mov_b64_e32 v[120:121], 0
	scratch_store_b64 off, v[120:121], off offset:16
	s_wait_loadcnt 0x0
	ds_store_b64 v1, v[118:119]
.LBB56_347:
	s_wait_xcnt 0x0
	s_or_b32 exec_lo, exec_lo, s0
	s_wait_storecnt_dscnt 0x0
	s_barrier_signal -1
	s_barrier_wait -1
	s_clause 0x5
	scratch_load_b128 v[118:121], off, off offset:16
	scratch_load_b128 v[122:125], off, off offset:32
	scratch_load_b128 v[126:129], off, off offset:48
	scratch_load_b128 v[130:133], off, off offset:64
	scratch_load_b128 v[134:137], off, off offset:80
	scratch_load_b128 v[138:141], off, off offset:96
	ds_load_2addr_b64 v[142:145], v2 offset0:61 offset1:62
	ds_load_2addr_b64 v[146:149], v2 offset0:63 offset1:64
	scratch_load_b128 v[150:153], off, off offset:112
	s_mov_b32 s0, exec_lo
	s_wait_loadcnt_dscnt 0x601
	v_fma_f64 v[154:155], v[120:121], v[142:143], 0
	s_wait_loadcnt 0x5
	s_delay_alu instid0(VALU_DEP_1) | instskip(SKIP_4) | instid1(VALU_DEP_1)
	v_fmac_f64_e32 v[154:155], v[122:123], v[144:145]
	scratch_load_b128 v[120:123], off, off offset:128
	s_wait_dscnt 0x0
	v_fmac_f64_e32 v[154:155], v[124:125], v[146:147]
	s_wait_loadcnt 0x5
	v_fmac_f64_e32 v[154:155], v[126:127], v[148:149]
	ds_load_2addr_b64 v[124:127], v2 offset0:65 offset1:66
	ds_load_2addr_b64 v[142:145], v2 offset0:67 offset1:68
	scratch_load_b128 v[146:149], off, off offset:144
	s_wait_dscnt 0x1
	v_fmac_f64_e32 v[154:155], v[128:129], v[124:125]
	s_wait_loadcnt 0x5
	s_delay_alu instid0(VALU_DEP_1) | instskip(SKIP_4) | instid1(VALU_DEP_1)
	v_fmac_f64_e32 v[154:155], v[130:131], v[126:127]
	scratch_load_b128 v[124:127], off, off offset:160
	s_wait_dscnt 0x0
	v_fmac_f64_e32 v[154:155], v[132:133], v[142:143]
	s_wait_loadcnt 0x5
	v_fmac_f64_e32 v[154:155], v[134:135], v[144:145]
	ds_load_2addr_b64 v[128:131], v2 offset0:69 offset1:70
	ds_load_2addr_b64 v[132:135], v2 offset0:71 offset1:72
	scratch_load_b128 v[142:145], off, off offset:176
	s_wait_dscnt 0x1
	v_fmac_f64_e32 v[154:155], v[136:137], v[128:129]
	s_wait_loadcnt 0x5
	s_delay_alu instid0(VALU_DEP_1) | instskip(SKIP_4) | instid1(VALU_DEP_1)
	v_fmac_f64_e32 v[154:155], v[138:139], v[130:131]
	scratch_load_b128 v[128:131], off, off offset:192
	s_wait_dscnt 0x0
	v_fmac_f64_e32 v[154:155], v[140:141], v[132:133]
	s_wait_loadcnt 0x5
	v_fmac_f64_e32 v[154:155], v[150:151], v[134:135]
	ds_load_2addr_b64 v[132:135], v2 offset0:73 offset1:74
	ds_load_2addr_b64 v[136:139], v2 offset0:75 offset1:76
	s_wait_dscnt 0x1
	v_fmac_f64_e32 v[154:155], v[152:153], v[132:133]
	scratch_load_b128 v[150:153], off, off offset:208
	s_wait_loadcnt 0x5
	v_fmac_f64_e32 v[154:155], v[120:121], v[134:135]
	s_wait_dscnt 0x0
	s_delay_alu instid0(VALU_DEP_1)
	v_fmac_f64_e32 v[154:155], v[122:123], v[136:137]
	scratch_load_b128 v[120:123], off, off offset:224
	s_wait_loadcnt 0x5
	v_fmac_f64_e32 v[154:155], v[146:147], v[138:139]
	ds_load_2addr_b64 v[132:135], v2 offset0:77 offset1:78
	ds_load_2addr_b64 v[136:139], v2 offset0:79 offset1:80
	s_wait_dscnt 0x1
	v_fmac_f64_e32 v[154:155], v[148:149], v[132:133]
	scratch_load_b128 v[146:149], off, off offset:240
	s_wait_loadcnt 0x5
	v_fmac_f64_e32 v[154:155], v[124:125], v[134:135]
	s_wait_dscnt 0x0
	s_delay_alu instid0(VALU_DEP_1)
	v_fmac_f64_e32 v[154:155], v[126:127], v[136:137]
	scratch_load_b128 v[124:127], off, off offset:256
	s_wait_loadcnt 0x5
	v_fmac_f64_e32 v[154:155], v[142:143], v[138:139]
	ds_load_2addr_b64 v[132:135], v2 offset0:81 offset1:82
	ds_load_2addr_b64 v[136:139], v2 offset0:83 offset1:84
	scratch_load_b128 v[140:143], off, off offset:272
	s_wait_dscnt 0x1
	v_fmac_f64_e32 v[154:155], v[144:145], v[132:133]
	s_wait_loadcnt 0x5
	s_delay_alu instid0(VALU_DEP_1) | instskip(SKIP_1) | instid1(VALU_DEP_1)
	v_fmac_f64_e32 v[154:155], v[128:129], v[134:135]
	s_wait_dscnt 0x0
	v_fmac_f64_e32 v[154:155], v[130:131], v[136:137]
	scratch_load_b128 v[128:131], off, off offset:288
	s_wait_loadcnt 0x5
	v_fmac_f64_e32 v[154:155], v[150:151], v[138:139]
	ds_load_2addr_b64 v[132:135], v2 offset0:85 offset1:86
	ds_load_2addr_b64 v[136:139], v2 offset0:87 offset1:88
	s_wait_dscnt 0x1
	v_fmac_f64_e32 v[154:155], v[152:153], v[132:133]
	scratch_load_b128 v[150:153], off, off offset:304
	s_wait_loadcnt 0x5
	v_fmac_f64_e32 v[154:155], v[120:121], v[134:135]
	s_wait_dscnt 0x0
	s_delay_alu instid0(VALU_DEP_1)
	v_fmac_f64_e32 v[154:155], v[122:123], v[136:137]
	scratch_load_b128 v[120:123], off, off offset:320
	s_wait_loadcnt 0x5
	v_fmac_f64_e32 v[154:155], v[146:147], v[138:139]
	ds_load_2addr_b64 v[132:135], v2 offset0:89 offset1:90
	ds_load_2addr_b64 v[136:139], v2 offset0:91 offset1:92
	scratch_load_b128 v[144:147], off, off offset:336
	s_wait_dscnt 0x1
	v_fmac_f64_e32 v[154:155], v[148:149], v[132:133]
	s_wait_loadcnt 0x5
	s_delay_alu instid0(VALU_DEP_1) | instskip(SKIP_1) | instid1(VALU_DEP_1)
	v_fmac_f64_e32 v[154:155], v[124:125], v[134:135]
	s_wait_dscnt 0x0
	v_fmac_f64_e32 v[154:155], v[126:127], v[136:137]
	scratch_load_b128 v[124:127], off, off offset:352
	s_wait_loadcnt 0x5
	v_fmac_f64_e32 v[154:155], v[140:141], v[138:139]
	ds_load_2addr_b64 v[132:135], v2 offset0:93 offset1:94
	ds_load_2addr_b64 v[136:139], v2 offset0:95 offset1:96
	s_wait_dscnt 0x1
	v_fmac_f64_e32 v[154:155], v[142:143], v[132:133]
	scratch_load_b128 v[140:143], off, off offset:368
	s_wait_loadcnt 0x5
	v_fmac_f64_e32 v[154:155], v[128:129], v[134:135]
	s_wait_dscnt 0x0
	s_delay_alu instid0(VALU_DEP_1)
	v_fmac_f64_e32 v[154:155], v[130:131], v[136:137]
	scratch_load_b128 v[128:131], off, off offset:384
	s_wait_loadcnt 0x5
	v_fmac_f64_e32 v[154:155], v[150:151], v[138:139]
	ds_load_2addr_b64 v[132:135], v2 offset0:97 offset1:98
	ds_load_2addr_b64 v[136:139], v2 offset0:99 offset1:100
	s_wait_dscnt 0x1
	v_fmac_f64_e32 v[154:155], v[152:153], v[132:133]
	s_wait_loadcnt 0x4
	s_delay_alu instid0(VALU_DEP_1)
	v_fmac_f64_e32 v[154:155], v[120:121], v[134:135]
	scratch_load_b128 v[132:135], off, off offset:400
	s_wait_dscnt 0x0
	v_fmac_f64_e32 v[154:155], v[122:123], v[136:137]
	scratch_load_b128 v[120:123], off, off offset:416
	s_wait_loadcnt 0x5
	v_fmac_f64_e32 v[154:155], v[144:145], v[138:139]
	ds_load_2addr_b64 v[136:139], v2 offset0:101 offset1:102
	ds_load_2addr_b64 v[148:151], v2 offset0:103 offset1:104
	s_wait_dscnt 0x1
	v_fmac_f64_e32 v[154:155], v[146:147], v[136:137]
	s_wait_loadcnt 0x4
	s_delay_alu instid0(VALU_DEP_1) | instskip(SKIP_4) | instid1(VALU_DEP_1)
	v_fmac_f64_e32 v[154:155], v[124:125], v[138:139]
	scratch_load_b128 v[136:139], off, off offset:432
	s_wait_dscnt 0x0
	v_fmac_f64_e32 v[154:155], v[126:127], v[148:149]
	s_wait_loadcnt 0x4
	v_fmac_f64_e32 v[154:155], v[140:141], v[150:151]
	scratch_load_b64 v[140:141], off, off offset:448
	ds_load_2addr_b64 v[124:127], v2 offset0:105 offset1:106
	ds_load_2addr_b64 v[144:147], v2 offset0:107 offset1:108
	s_wait_dscnt 0x1
	v_fmac_f64_e32 v[154:155], v[142:143], v[124:125]
	s_wait_loadcnt 0x4
	s_delay_alu instid0(VALU_DEP_1) | instskip(SKIP_1) | instid1(VALU_DEP_1)
	v_fmac_f64_e32 v[154:155], v[128:129], v[126:127]
	s_wait_dscnt 0x0
	v_fmac_f64_e32 v[154:155], v[130:131], v[144:145]
	ds_load_2addr_b64 v[124:127], v2 offset0:109 offset1:110
	ds_load_2addr_b64 v[128:131], v2 offset0:111 offset1:112
	s_wait_loadcnt 0x3
	v_fmac_f64_e32 v[154:155], v[132:133], v[146:147]
	s_wait_dscnt 0x1
	s_delay_alu instid0(VALU_DEP_1) | instskip(SKIP_1) | instid1(VALU_DEP_1)
	v_fmac_f64_e32 v[154:155], v[134:135], v[124:125]
	s_wait_loadcnt 0x2
	v_fmac_f64_e32 v[154:155], v[120:121], v[126:127]
	s_wait_dscnt 0x0
	s_delay_alu instid0(VALU_DEP_1) | instskip(SKIP_4) | instid1(VALU_DEP_1)
	v_fmac_f64_e32 v[154:155], v[122:123], v[128:129]
	ds_load_2addr_b64 v[120:123], v2 offset0:113 offset1:114
	s_wait_loadcnt 0x1
	v_fmac_f64_e32 v[154:155], v[136:137], v[130:131]
	s_wait_dscnt 0x0
	v_fmac_f64_e32 v[154:155], v[138:139], v[120:121]
	s_wait_loadcnt 0x0
	s_delay_alu instid0(VALU_DEP_1) | instskip(NEXT) | instid1(VALU_DEP_1)
	v_fmac_f64_e32 v[154:155], v[140:141], v[122:123]
	v_add_f64_e64 v[2:3], v[118:119], -v[154:155]
	scratch_store_b64 off, v[2:3], off offset:16
	s_wait_xcnt 0x0
	v_cmpx_lt_u32_e32 1, v0
	s_cbranch_execz .LBB56_349
; %bb.348:
	scratch_load_b64 v[2:3], off, off offset:8
	v_mov_b64_e32 v[118:119], 0
	scratch_store_b64 off, v[118:119], off offset:8
	s_wait_loadcnt 0x0
	ds_store_b64 v1, v[2:3]
.LBB56_349:
	s_wait_xcnt 0x0
	s_or_b32 exec_lo, exec_lo, s0
	s_wait_storecnt_dscnt 0x0
	s_barrier_signal -1
	s_barrier_wait -1
	s_clause 0x5
	scratch_load_b128 v[120:123], off, off offset:8
	scratch_load_b128 v[124:127], off, off offset:24
	;; [unrolled: 1-line block ×6, first 2 shown]
	v_dual_mov_b32 v118, 0 :: v_dual_ashrrev_i32 v9, 31, v8
	ds_load_b128 v[144:147], v118 offset:480
	ds_load_b128 v[148:151], v118 offset:496
	scratch_load_b128 v[152:155], off, off offset:104
	v_dual_ashrrev_i32 v11, 31, v10 :: v_dual_ashrrev_i32 v13, 31, v12
	v_dual_ashrrev_i32 v15, 31, v14 :: v_dual_ashrrev_i32 v17, 31, v16
	v_dual_ashrrev_i32 v19, 31, v18 :: v_dual_ashrrev_i32 v21, 31, v20
	v_dual_ashrrev_i32 v23, 31, v22 :: v_dual_ashrrev_i32 v25, 31, v24
	v_dual_ashrrev_i32 v27, 31, v26 :: v_dual_ashrrev_i32 v29, 31, v28
	v_dual_ashrrev_i32 v31, 31, v30 :: v_dual_ashrrev_i32 v33, 31, v32
	v_dual_ashrrev_i32 v35, 31, v34 :: v_dual_ashrrev_i32 v37, 31, v36
	v_dual_ashrrev_i32 v39, 31, v38 :: v_dual_ashrrev_i32 v41, 31, v40
	v_dual_ashrrev_i32 v43, 31, v42 :: v_dual_ashrrev_i32 v45, 31, v44
	v_dual_ashrrev_i32 v47, 31, v46 :: v_dual_ashrrev_i32 v49, 31, v48
	v_dual_ashrrev_i32 v51, 31, v50 :: v_dual_ashrrev_i32 v53, 31, v52
	v_dual_ashrrev_i32 v55, 31, v54 :: v_dual_ashrrev_i32 v57, 31, v56
	v_dual_ashrrev_i32 v59, 31, v58 :: v_dual_ashrrev_i32 v61, 31, v60
	v_dual_ashrrev_i32 v63, 31, v62 :: v_dual_ashrrev_i32 v65, 31, v64
	v_dual_ashrrev_i32 v67, 31, v66 :: v_dual_ashrrev_i32 v73, 31, v72
	v_dual_ashrrev_i32 v71, 31, v70 :: v_dual_ashrrev_i32 v77, 31, v76
	v_dual_ashrrev_i32 v75, 31, v74 :: v_dual_ashrrev_i32 v81, 31, v80
	v_dual_ashrrev_i32 v79, 31, v78 :: v_dual_ashrrev_i32 v85, 31, v84
	v_dual_ashrrev_i32 v83, 31, v82 :: v_dual_ashrrev_i32 v89, 31, v88
	v_dual_ashrrev_i32 v87, 31, v86 :: v_dual_ashrrev_i32 v93, 31, v92
	v_dual_ashrrev_i32 v91, 31, v90 :: v_dual_ashrrev_i32 v97, 31, v96
	v_dual_ashrrev_i32 v95, 31, v94 :: v_dual_ashrrev_i32 v101, 31, v100
	v_dual_ashrrev_i32 v99, 31, v98 :: v_dual_ashrrev_i32 v105, 31, v104
	v_dual_ashrrev_i32 v103, 31, v102 :: v_dual_ashrrev_i32 v109, 31, v108
	v_dual_ashrrev_i32 v107, 31, v106 :: v_dual_ashrrev_i32 v113, 31, v112
	v_dual_ashrrev_i32 v111, 31, v110 :: v_dual_ashrrev_i32 v117, 31, v116
	v_ashrrev_i32_e32 v115, 31, v114
	s_mov_b32 s0, exec_lo
	v_ashrrev_i32_e32 v69, 31, v68
	s_wait_loadcnt_dscnt 0x601
	v_fma_f64 v[2:3], v[122:123], v[144:145], 0
	s_wait_loadcnt 0x5
	s_delay_alu instid0(VALU_DEP_1) | instskip(SKIP_4) | instid1(VALU_DEP_1)
	v_fmac_f64_e32 v[2:3], v[124:125], v[146:147]
	scratch_load_b128 v[122:125], off, off offset:120
	s_wait_dscnt 0x0
	v_fmac_f64_e32 v[2:3], v[126:127], v[148:149]
	s_wait_loadcnt 0x5
	v_fmac_f64_e32 v[2:3], v[128:129], v[150:151]
	ds_load_b128 v[126:129], v118 offset:512
	ds_load_b128 v[144:147], v118 offset:528
	scratch_load_b128 v[148:151], off, off offset:136
	s_wait_dscnt 0x1
	v_fmac_f64_e32 v[2:3], v[130:131], v[126:127]
	s_wait_loadcnt 0x5
	s_delay_alu instid0(VALU_DEP_1) | instskip(SKIP_4) | instid1(VALU_DEP_1)
	v_fmac_f64_e32 v[2:3], v[132:133], v[128:129]
	scratch_load_b128 v[126:129], off, off offset:152
	s_wait_dscnt 0x0
	v_fmac_f64_e32 v[2:3], v[134:135], v[144:145]
	s_wait_loadcnt 0x5
	v_fmac_f64_e32 v[2:3], v[136:137], v[146:147]
	ds_load_b128 v[130:133], v118 offset:544
	ds_load_b128 v[134:137], v118 offset:560
	scratch_load_b128 v[144:147], off, off offset:168
	s_wait_dscnt 0x1
	v_fmac_f64_e32 v[2:3], v[138:139], v[130:131]
	s_wait_loadcnt 0x5
	s_delay_alu instid0(VALU_DEP_1) | instskip(SKIP_4) | instid1(VALU_DEP_1)
	v_fmac_f64_e32 v[2:3], v[140:141], v[132:133]
	scratch_load_b128 v[130:133], off, off offset:184
	s_wait_dscnt 0x0
	v_fmac_f64_e32 v[2:3], v[142:143], v[134:135]
	s_wait_loadcnt 0x5
	v_fmac_f64_e32 v[2:3], v[152:153], v[136:137]
	ds_load_b128 v[134:137], v118 offset:576
	ds_load_b128 v[138:141], v118 offset:592
	s_wait_dscnt 0x1
	v_fmac_f64_e32 v[2:3], v[154:155], v[134:135]
	scratch_load_b128 v[152:155], off, off offset:200
	s_wait_loadcnt 0x5
	v_fmac_f64_e32 v[2:3], v[122:123], v[136:137]
	s_wait_dscnt 0x0
	s_delay_alu instid0(VALU_DEP_1)
	v_fmac_f64_e32 v[2:3], v[124:125], v[138:139]
	scratch_load_b128 v[122:125], off, off offset:216
	s_wait_loadcnt 0x5
	v_fmac_f64_e32 v[2:3], v[148:149], v[140:141]
	ds_load_b128 v[134:137], v118 offset:608
	ds_load_b128 v[138:141], v118 offset:624
	s_wait_dscnt 0x1
	v_fmac_f64_e32 v[2:3], v[150:151], v[134:135]
	scratch_load_b128 v[148:151], off, off offset:232
	s_wait_loadcnt 0x5
	v_fmac_f64_e32 v[2:3], v[126:127], v[136:137]
	s_wait_dscnt 0x0
	s_delay_alu instid0(VALU_DEP_1)
	v_fmac_f64_e32 v[2:3], v[128:129], v[138:139]
	scratch_load_b128 v[126:129], off, off offset:248
	s_wait_loadcnt 0x5
	v_fmac_f64_e32 v[2:3], v[144:145], v[140:141]
	ds_load_b128 v[134:137], v118 offset:640
	ds_load_b128 v[138:141], v118 offset:656
	scratch_load_b128 v[142:145], off, off offset:264
	s_wait_dscnt 0x1
	v_fmac_f64_e32 v[2:3], v[146:147], v[134:135]
	s_wait_loadcnt 0x5
	s_delay_alu instid0(VALU_DEP_1) | instskip(SKIP_1) | instid1(VALU_DEP_1)
	v_fmac_f64_e32 v[2:3], v[130:131], v[136:137]
	s_wait_dscnt 0x0
	v_fmac_f64_e32 v[2:3], v[132:133], v[138:139]
	scratch_load_b128 v[130:133], off, off offset:280
	s_wait_loadcnt 0x5
	v_fmac_f64_e32 v[2:3], v[152:153], v[140:141]
	ds_load_b128 v[134:137], v118 offset:672
	ds_load_b128 v[138:141], v118 offset:688
	s_wait_dscnt 0x1
	v_fmac_f64_e32 v[2:3], v[154:155], v[134:135]
	scratch_load_b128 v[152:155], off, off offset:296
	s_wait_loadcnt 0x5
	v_fmac_f64_e32 v[2:3], v[122:123], v[136:137]
	s_wait_dscnt 0x0
	s_delay_alu instid0(VALU_DEP_1)
	v_fmac_f64_e32 v[2:3], v[124:125], v[138:139]
	scratch_load_b128 v[122:125], off, off offset:312
	s_wait_loadcnt 0x5
	v_fmac_f64_e32 v[2:3], v[148:149], v[140:141]
	ds_load_b128 v[134:137], v118 offset:704
	ds_load_b128 v[138:141], v118 offset:720
	scratch_load_b128 v[146:149], off, off offset:328
	s_wait_dscnt 0x1
	v_fmac_f64_e32 v[2:3], v[150:151], v[134:135]
	s_wait_loadcnt 0x5
	s_delay_alu instid0(VALU_DEP_1) | instskip(SKIP_1) | instid1(VALU_DEP_1)
	v_fmac_f64_e32 v[2:3], v[126:127], v[136:137]
	s_wait_dscnt 0x0
	v_fmac_f64_e32 v[2:3], v[128:129], v[138:139]
	scratch_load_b128 v[126:129], off, off offset:344
	s_wait_loadcnt 0x5
	v_fmac_f64_e32 v[2:3], v[142:143], v[140:141]
	ds_load_b128 v[134:137], v118 offset:736
	ds_load_b128 v[138:141], v118 offset:752
	s_wait_dscnt 0x1
	v_fmac_f64_e32 v[2:3], v[144:145], v[134:135]
	scratch_load_b128 v[142:145], off, off offset:360
	s_wait_loadcnt 0x5
	v_fmac_f64_e32 v[2:3], v[130:131], v[136:137]
	s_wait_dscnt 0x0
	s_delay_alu instid0(VALU_DEP_1)
	v_fmac_f64_e32 v[2:3], v[132:133], v[138:139]
	scratch_load_b128 v[130:133], off, off offset:376
	s_wait_loadcnt 0x5
	v_fmac_f64_e32 v[2:3], v[152:153], v[140:141]
	ds_load_b128 v[134:137], v118 offset:768
	ds_load_b128 v[138:141], v118 offset:784
	s_wait_dscnt 0x1
	v_fmac_f64_e32 v[2:3], v[154:155], v[134:135]
	s_wait_loadcnt 0x4
	s_delay_alu instid0(VALU_DEP_1)
	v_fmac_f64_e32 v[2:3], v[122:123], v[136:137]
	scratch_load_b128 v[134:137], off, off offset:392
	s_wait_dscnt 0x0
	v_fmac_f64_e32 v[2:3], v[124:125], v[138:139]
	scratch_load_b128 v[122:125], off, off offset:408
	s_wait_loadcnt 0x5
	v_fmac_f64_e32 v[2:3], v[146:147], v[140:141]
	ds_load_b128 v[138:141], v118 offset:800
	ds_load_b128 v[150:153], v118 offset:816
	s_wait_dscnt 0x1
	v_fmac_f64_e32 v[2:3], v[148:149], v[138:139]
	s_wait_loadcnt 0x4
	s_delay_alu instid0(VALU_DEP_1)
	v_fmac_f64_e32 v[2:3], v[126:127], v[140:141]
	scratch_load_b128 v[138:141], off, off offset:424
	s_wait_dscnt 0x0
	v_fmac_f64_e32 v[2:3], v[128:129], v[150:151]
	scratch_load_b128 v[126:129], off, off offset:440
	s_wait_loadcnt 0x5
	v_fmac_f64_e32 v[2:3], v[142:143], v[152:153]
	ds_load_b128 v[146:149], v118 offset:832
	ds_load_b128 v[150:153], v118 offset:848
	s_wait_dscnt 0x1
	v_fmac_f64_e32 v[2:3], v[144:145], v[146:147]
	s_wait_loadcnt 0x4
	s_delay_alu instid0(VALU_DEP_1) | instskip(SKIP_1) | instid1(VALU_DEP_1)
	v_fmac_f64_e32 v[2:3], v[130:131], v[148:149]
	s_wait_dscnt 0x0
	v_fmac_f64_e32 v[2:3], v[132:133], v[150:151]
	ds_load_b128 v[130:133], v118 offset:864
	ds_load_b128 v[142:145], v118 offset:880
	s_wait_loadcnt 0x3
	v_fmac_f64_e32 v[2:3], v[134:135], v[152:153]
	s_wait_dscnt 0x1
	s_delay_alu instid0(VALU_DEP_1) | instskip(SKIP_1) | instid1(VALU_DEP_1)
	v_fmac_f64_e32 v[2:3], v[136:137], v[130:131]
	s_wait_loadcnt 0x2
	v_fmac_f64_e32 v[2:3], v[122:123], v[132:133]
	s_wait_dscnt 0x0
	s_delay_alu instid0(VALU_DEP_1) | instskip(SKIP_4) | instid1(VALU_DEP_1)
	v_fmac_f64_e32 v[2:3], v[124:125], v[142:143]
	ds_load_b128 v[122:125], v118 offset:896
	s_wait_loadcnt 0x1
	v_fmac_f64_e32 v[2:3], v[138:139], v[144:145]
	s_wait_dscnt 0x0
	v_fmac_f64_e32 v[2:3], v[140:141], v[122:123]
	ds_load_b64 v[122:123], v118 offset:912
	s_wait_loadcnt 0x0
	v_fmac_f64_e32 v[2:3], v[126:127], v[124:125]
	s_wait_dscnt 0x0
	s_delay_alu instid0(VALU_DEP_1) | instskip(NEXT) | instid1(VALU_DEP_1)
	v_fmac_f64_e32 v[2:3], v[128:129], v[122:123]
	v_add_f64_e64 v[2:3], v[120:121], -v[2:3]
	scratch_store_b64 off, v[2:3], off offset:8
	s_wait_xcnt 0x0
	v_cmpx_ne_u32_e32 0, v0
	s_cbranch_execz .LBB56_351
; %bb.350:
	scratch_load_b64 v[2:3], off, off
	v_mov_b64_e32 v[120:121], 0
	scratch_store_b64 off, v[120:121], off
	s_wait_loadcnt 0x0
	ds_store_b64 v1, v[2:3]
.LBB56_351:
	s_wait_xcnt 0x0
	s_or_b32 exec_lo, exec_lo, s0
	s_wait_storecnt_dscnt 0x0
	s_barrier_signal -1
	s_barrier_wait -1
	s_clause 0x5
	scratch_load_b128 v[120:123], off, off
	scratch_load_b128 v[0:3], off, off offset:16
	scratch_load_b128 v[124:127], off, off offset:32
	;; [unrolled: 1-line block ×5, first 2 shown]
	ds_load_2addr_b64 v[140:143], v118 offset0:59 offset1:60
	scratch_load_b128 v[144:147], off, off offset:96
	s_and_b32 vcc_lo, exec_lo, s18
	s_wait_loadcnt_dscnt 0x600
	v_fma_f64 v[150:151], v[122:123], v[140:141], 0
	s_wait_loadcnt 0x5
	s_delay_alu instid0(VALU_DEP_1)
	v_fmac_f64_e32 v[150:151], v[0:1], v[142:143]
	ds_load_2addr_b64 v[140:143], v118 offset0:61 offset1:62
	s_wait_dscnt 0x0
	v_fmac_f64_e32 v[150:151], v[2:3], v[140:141]
	scratch_load_b128 v[0:3], off, off offset:112
	s_wait_loadcnt 0x5
	v_fmac_f64_e32 v[150:151], v[124:125], v[142:143]
	ds_load_2addr_b64 v[122:125], v118 offset0:63 offset1:64
	scratch_load_b128 v[140:143], off, off offset:128
	s_wait_dscnt 0x0
	v_fmac_f64_e32 v[150:151], v[126:127], v[122:123]
	s_wait_loadcnt 0x5
	s_delay_alu instid0(VALU_DEP_1)
	v_fmac_f64_e32 v[150:151], v[128:129], v[124:125]
	ds_load_2addr_b64 v[122:125], v118 offset0:65 offset1:66
	scratch_load_b128 v[126:129], off, off offset:144
	s_wait_dscnt 0x0
	v_fmac_f64_e32 v[150:151], v[130:131], v[122:123]
	s_wait_loadcnt 0x5
	s_delay_alu instid0(VALU_DEP_1)
	;; [unrolled: 7-line block ×4, first 2 shown]
	v_fmac_f64_e32 v[150:151], v[144:145], v[124:125]
	ds_load_2addr_b64 v[122:125], v118 offset0:71 offset1:72
	s_wait_dscnt 0x0
	v_fmac_f64_e32 v[150:151], v[146:147], v[122:123]
	scratch_load_b128 v[144:147], off, off offset:192
	s_wait_loadcnt 0x5
	v_fmac_f64_e32 v[150:151], v[0:1], v[124:125]
	ds_load_2addr_b64 v[122:125], v118 offset0:73 offset1:74
	s_wait_dscnt 0x0
	v_fmac_f64_e32 v[150:151], v[2:3], v[122:123]
	scratch_load_b128 v[0:3], off, off offset:208
	s_wait_loadcnt 0x5
	v_fmac_f64_e32 v[150:151], v[140:141], v[124:125]
	ds_load_2addr_b64 v[122:125], v118 offset0:75 offset1:76
	scratch_load_b128 v[138:141], off, off offset:224
	s_wait_dscnt 0x0
	v_fmac_f64_e32 v[150:151], v[142:143], v[122:123]
	s_wait_loadcnt 0x5
	s_delay_alu instid0(VALU_DEP_1)
	v_fmac_f64_e32 v[150:151], v[126:127], v[124:125]
	ds_load_2addr_b64 v[122:125], v118 offset0:77 offset1:78
	s_wait_dscnt 0x0
	v_fmac_f64_e32 v[150:151], v[128:129], v[122:123]
	scratch_load_b128 v[126:129], off, off offset:240
	s_wait_loadcnt 0x5
	v_fmac_f64_e32 v[150:151], v[130:131], v[124:125]
	ds_load_2addr_b64 v[122:125], v118 offset0:79 offset1:80
	s_wait_dscnt 0x0
	v_fmac_f64_e32 v[150:151], v[132:133], v[122:123]
	scratch_load_b128 v[130:133], off, off offset:256
	s_wait_loadcnt 0x5
	;; [unrolled: 6-line block ×3, first 2 shown]
	v_fmac_f64_e32 v[150:151], v[144:145], v[124:125]
	ds_load_2addr_b64 v[122:125], v118 offset0:83 offset1:84
	scratch_load_b128 v[142:145], off, off offset:288
	s_wait_dscnt 0x0
	v_fmac_f64_e32 v[150:151], v[146:147], v[122:123]
	scratch_load_b128 v[146:149], off, off offset:400
	s_wait_loadcnt 0x6
	v_fmac_f64_e32 v[150:151], v[0:1], v[124:125]
	ds_load_2addr_b64 v[122:125], v118 offset0:85 offset1:86
	s_wait_dscnt 0x0
	v_fmac_f64_e32 v[150:151], v[2:3], v[122:123]
	scratch_load_b128 v[0:3], off, off offset:304
	s_wait_loadcnt 0x6
	v_fmac_f64_e32 v[150:151], v[138:139], v[124:125]
	ds_load_2addr_b64 v[122:125], v118 offset0:87 offset1:88
	;; [unrolled: 6-line block ×7, first 2 shown]
	s_wait_dscnt 0x0
	v_fmac_f64_e32 v[150:151], v[2:3], v[122:123]
	ds_load_2addr_b64 v[0:3], v118 offset0:99 offset1:100
	s_wait_loadcnt 0x4
	v_fmac_f64_e32 v[150:151], v[138:139], v[124:125]
	scratch_load_b128 v[122:125], off, off offset:416
	s_wait_dscnt 0x0
	v_fmac_f64_e32 v[150:151], v[140:141], v[0:1]
	ds_load_2addr_b64 v[138:141], v118 offset0:101 offset1:102
	s_wait_loadcnt 0x4
	v_fmac_f64_e32 v[150:151], v[126:127], v[2:3]
	scratch_load_b128 v[0:3], off, off offset:432
	s_wait_dscnt 0x0
	v_fmac_f64_e32 v[150:151], v[128:129], v[138:139]
	ds_load_2addr_b64 v[126:129], v118 offset0:103 offset1:104
	s_wait_loadcnt 0x4
	v_fmac_f64_e32 v[150:151], v[130:131], v[140:141]
	scratch_load_b64 v[130:131], off, off offset:448
	s_wait_dscnt 0x0
	v_fmac_f64_e32 v[150:151], v[132:133], v[126:127]
	s_wait_loadcnt 0x4
	s_delay_alu instid0(VALU_DEP_1) | instskip(SKIP_4) | instid1(VALU_DEP_1)
	v_fmac_f64_e32 v[150:151], v[134:135], v[128:129]
	ds_load_2addr_b64 v[126:129], v118 offset0:105 offset1:106
	s_wait_dscnt 0x0
	v_fmac_f64_e32 v[150:151], v[136:137], v[126:127]
	s_wait_loadcnt 0x3
	v_fmac_f64_e32 v[150:151], v[142:143], v[128:129]
	ds_load_2addr_b64 v[126:129], v118 offset0:107 offset1:108
	s_wait_dscnt 0x0
	v_fmac_f64_e32 v[150:151], v[144:145], v[126:127]
	s_delay_alu instid0(VALU_DEP_1) | instskip(SKIP_4) | instid1(VALU_DEP_1)
	v_fmac_f64_e32 v[150:151], v[146:147], v[128:129]
	ds_load_2addr_b64 v[126:129], v118 offset0:109 offset1:110
	s_wait_dscnt 0x0
	v_fmac_f64_e32 v[150:151], v[148:149], v[126:127]
	s_wait_loadcnt 0x2
	v_fmac_f64_e32 v[150:151], v[122:123], v[128:129]
	ds_load_2addr_b64 v[126:129], v118 offset0:111 offset1:112
	s_wait_dscnt 0x0
	v_fmac_f64_e32 v[150:151], v[124:125], v[126:127]
	ds_load_2addr_b64 v[122:125], v118 offset0:113 offset1:114
	s_wait_loadcnt 0x1
	v_fmac_f64_e32 v[150:151], v[0:1], v[128:129]
	s_wait_dscnt 0x0
	s_delay_alu instid0(VALU_DEP_1) | instskip(SKIP_1) | instid1(VALU_DEP_1)
	v_fmac_f64_e32 v[150:151], v[2:3], v[122:123]
	s_wait_loadcnt 0x0
	v_fmac_f64_e32 v[150:151], v[130:131], v[124:125]
	s_delay_alu instid0(VALU_DEP_1)
	v_add_f64_e64 v[150:151], v[120:121], -v[150:151]
	scratch_store_b64 off, v[150:151], off
	s_cbranch_vccz .LBB56_464
; %bb.352:
	v_mov_b32_e32 v0, 0
	global_load_b32 v1, v0, s[2:3] offset:220
	s_wait_loadcnt 0x0
	v_cmp_ne_u32_e32 vcc_lo, 56, v1
	s_cbranch_vccz .LBB56_354
; %bb.353:
	v_lshlrev_b32_e32 v1, 3, v1
	scratch_load_b64 v[118:119], v1, off offset:-8
	s_wait_loadcnt 0x0
	scratch_store_b64 off, v[118:119], off offset:440
	scratch_store_b64 v1, v[2:3], off offset:-8
.LBB56_354:
	global_load_b32 v0, v0, s[2:3] offset:216
	s_wait_loadcnt 0x0
	v_cmp_eq_u32_e32 vcc_lo, 55, v0
	s_cbranch_vccnz .LBB56_356
; %bb.355:
	s_wait_xcnt 0x0
	v_lshlrev_b32_e32 v0, 3, v0
	s_delay_alu instid0(VALU_DEP_1)
	v_mov_b32_e32 v118, v0
	scratch_load_b64 v[0:1], v118, off offset:-8
	scratch_load_b64 v[2:3], off, off offset:432
	s_wait_loadcnt 0x1
	scratch_store_b64 off, v[0:1], off offset:432
	s_wait_loadcnt 0x0
	scratch_store_b64 v118, v[2:3], off offset:-8
.LBB56_356:
	s_wait_xcnt 0x0
	v_mov_b32_e32 v0, 0
	global_load_b32 v1, v0, s[2:3] offset:212
	s_wait_loadcnt 0x0
	v_cmp_eq_u32_e32 vcc_lo, 54, v1
	s_cbranch_vccnz .LBB56_358
; %bb.357:
	v_lshlrev_b32_e32 v1, 3, v1
	scratch_load_b64 v[2:3], v1, off offset:-8
	scratch_load_b64 v[118:119], off, off offset:424
	s_wait_loadcnt 0x1
	scratch_store_b64 off, v[2:3], off offset:424
	s_wait_loadcnt 0x0
	scratch_store_b64 v1, v[118:119], off offset:-8
.LBB56_358:
	global_load_b32 v0, v0, s[2:3] offset:208
	s_wait_loadcnt 0x0
	v_cmp_eq_u32_e32 vcc_lo, 53, v0
	s_cbranch_vccnz .LBB56_360
; %bb.359:
	s_wait_xcnt 0x0
	v_lshlrev_b32_e32 v0, 3, v0
	s_delay_alu instid0(VALU_DEP_1)
	v_mov_b32_e32 v118, v0
	scratch_load_b64 v[0:1], v118, off offset:-8
	scratch_load_b64 v[2:3], off, off offset:416
	s_wait_loadcnt 0x1
	scratch_store_b64 off, v[0:1], off offset:416
	s_wait_loadcnt 0x0
	scratch_store_b64 v118, v[2:3], off offset:-8
.LBB56_360:
	s_wait_xcnt 0x0
	v_mov_b32_e32 v0, 0
	global_load_b32 v1, v0, s[2:3] offset:204
	s_wait_loadcnt 0x0
	v_cmp_eq_u32_e32 vcc_lo, 52, v1
	s_cbranch_vccnz .LBB56_362
; %bb.361:
	v_lshlrev_b32_e32 v1, 3, v1
	scratch_load_b64 v[2:3], v1, off offset:-8
	scratch_load_b64 v[118:119], off, off offset:408
	s_wait_loadcnt 0x1
	scratch_store_b64 off, v[2:3], off offset:408
	s_wait_loadcnt 0x0
	scratch_store_b64 v1, v[118:119], off offset:-8
.LBB56_362:
	;; [unrolled: 31-line block ×27, first 2 shown]
	global_load_b32 v0, v0, s[2:3]
	scratch_load_b64 v[150:151], off, off
	s_wait_loadcnt 0x1
	v_cmp_eq_u32_e32 vcc_lo, 1, v0
	s_cbranch_vccnz .LBB56_464
; %bb.463:
	s_wait_xcnt 0x1
	v_lshlrev_b32_e32 v0, 3, v0
	s_delay_alu instid0(VALU_DEP_1)
	v_mov_b32_e32 v2, v0
	scratch_load_b64 v[0:1], v2, off offset:-8
	s_wait_loadcnt 0x0
	scratch_store_b64 off, v[0:1], off
	scratch_store_b64 v2, v[150:151], off offset:-8
	scratch_load_b64 v[150:151], off, off
.LBB56_464:
	v_lshl_add_u64 v[152:153], v[8:9], 3, s[4:5]
	v_lshl_add_u64 v[146:147], v[10:11], 3, s[4:5]
	;; [unrolled: 1-line block ×53, first 2 shown]
	s_wait_xcnt 0x1
	v_lshl_add_u64 v[0:1], v[114:115], 3, s[4:5]
	s_clause 0x8
	scratch_load_b128 v[80:83], off, off offset:8
	scratch_load_b128 v[84:87], off, off offset:24
	;; [unrolled: 1-line block ×9, first 2 shown]
	s_wait_loadcnt 0x9
	global_store_b64 v[6:7], v[150:151], off
	s_clause 0x1
	scratch_load_b128 v[154:157], off, off offset:152
	scratch_load_b128 v[158:161], off, off offset:168
	v_lshl_add_u64 v[2:3], v[116:117], 3, s[4:5]
	s_wait_loadcnt 0xa
	s_clause 0x1
	global_store_b64 v[4:5], v[80:81], off
	global_store_b64 v[152:153], v[82:83], off
	s_clause 0x1
	scratch_load_b128 v[4:7], off, off offset:184
	scratch_load_b128 v[80:83], off, off offset:200
	s_wait_loadcnt 0xb
	s_clause 0x1
	global_store_b64 v[146:147], v[84:85], off
	global_store_b64 v[148:149], v[86:87], off
	s_clause 0x1
	scratch_load_b128 v[84:87], off, off offset:216
	scratch_load_b128 v[146:149], off, off offset:232
	;; [unrolled: 7-line block ×8, first 2 shown]
	s_wait_loadcnt 0x12
	s_clause 0x1
	global_store_b64 v[118:119], v[112:113], off
	global_store_b64 v[120:121], v[114:115], off
	scratch_load_b128 v[112:115], off, off offset:440
	s_wait_loadcnt 0x12
	s_clause 0x1
	global_store_b64 v[8:9], v[154:155], off
	global_store_b64 v[10:11], v[156:157], off
	s_wait_loadcnt 0x11
	s_clause 0x1
	global_store_b64 v[12:13], v[158:159], off
	global_store_b64 v[14:15], v[160:161], off
	;; [unrolled: 4-line block ×19, first 2 shown]
	s_sendmsg sendmsg(MSG_DEALLOC_VGPRS)
	s_endpgm
	.section	.rodata,"a",@progbits
	.p2align	6, 0x0
	.amdhsa_kernel _ZN9rocsolver6v33100L18getri_kernel_smallILi57EdPdEEvT1_iilPiilS4_bb
		.amdhsa_group_segment_fixed_size 920
		.amdhsa_private_segment_fixed_size 464
		.amdhsa_kernarg_size 60
		.amdhsa_user_sgpr_count 2
		.amdhsa_user_sgpr_dispatch_ptr 0
		.amdhsa_user_sgpr_queue_ptr 0
		.amdhsa_user_sgpr_kernarg_segment_ptr 1
		.amdhsa_user_sgpr_dispatch_id 0
		.amdhsa_user_sgpr_kernarg_preload_length 0
		.amdhsa_user_sgpr_kernarg_preload_offset 0
		.amdhsa_user_sgpr_private_segment_size 0
		.amdhsa_wavefront_size32 1
		.amdhsa_uses_dynamic_stack 0
		.amdhsa_enable_private_segment 1
		.amdhsa_system_sgpr_workgroup_id_x 1
		.amdhsa_system_sgpr_workgroup_id_y 0
		.amdhsa_system_sgpr_workgroup_id_z 0
		.amdhsa_system_sgpr_workgroup_info 0
		.amdhsa_system_vgpr_workitem_id 0
		.amdhsa_next_free_vgpr 164
		.amdhsa_next_free_sgpr 19
		.amdhsa_named_barrier_count 0
		.amdhsa_reserve_vcc 1
		.amdhsa_float_round_mode_32 0
		.amdhsa_float_round_mode_16_64 0
		.amdhsa_float_denorm_mode_32 3
		.amdhsa_float_denorm_mode_16_64 3
		.amdhsa_fp16_overflow 0
		.amdhsa_memory_ordered 1
		.amdhsa_forward_progress 1
		.amdhsa_inst_pref_size 255
		.amdhsa_round_robin_scheduling 0
		.amdhsa_exception_fp_ieee_invalid_op 0
		.amdhsa_exception_fp_denorm_src 0
		.amdhsa_exception_fp_ieee_div_zero 0
		.amdhsa_exception_fp_ieee_overflow 0
		.amdhsa_exception_fp_ieee_underflow 0
		.amdhsa_exception_fp_ieee_inexact 0
		.amdhsa_exception_int_div_zero 0
	.end_amdhsa_kernel
	.section	.text._ZN9rocsolver6v33100L18getri_kernel_smallILi57EdPdEEvT1_iilPiilS4_bb,"axG",@progbits,_ZN9rocsolver6v33100L18getri_kernel_smallILi57EdPdEEvT1_iilPiilS4_bb,comdat
.Lfunc_end56:
	.size	_ZN9rocsolver6v33100L18getri_kernel_smallILi57EdPdEEvT1_iilPiilS4_bb, .Lfunc_end56-_ZN9rocsolver6v33100L18getri_kernel_smallILi57EdPdEEvT1_iilPiilS4_bb
                                        ; -- End function
	.set _ZN9rocsolver6v33100L18getri_kernel_smallILi57EdPdEEvT1_iilPiilS4_bb.num_vgpr, 164
	.set _ZN9rocsolver6v33100L18getri_kernel_smallILi57EdPdEEvT1_iilPiilS4_bb.num_agpr, 0
	.set _ZN9rocsolver6v33100L18getri_kernel_smallILi57EdPdEEvT1_iilPiilS4_bb.numbered_sgpr, 19
	.set _ZN9rocsolver6v33100L18getri_kernel_smallILi57EdPdEEvT1_iilPiilS4_bb.num_named_barrier, 0
	.set _ZN9rocsolver6v33100L18getri_kernel_smallILi57EdPdEEvT1_iilPiilS4_bb.private_seg_size, 464
	.set _ZN9rocsolver6v33100L18getri_kernel_smallILi57EdPdEEvT1_iilPiilS4_bb.uses_vcc, 1
	.set _ZN9rocsolver6v33100L18getri_kernel_smallILi57EdPdEEvT1_iilPiilS4_bb.uses_flat_scratch, 1
	.set _ZN9rocsolver6v33100L18getri_kernel_smallILi57EdPdEEvT1_iilPiilS4_bb.has_dyn_sized_stack, 0
	.set _ZN9rocsolver6v33100L18getri_kernel_smallILi57EdPdEEvT1_iilPiilS4_bb.has_recursion, 0
	.set _ZN9rocsolver6v33100L18getri_kernel_smallILi57EdPdEEvT1_iilPiilS4_bb.has_indirect_call, 0
	.section	.AMDGPU.csdata,"",@progbits
; Kernel info:
; codeLenInByte = 58056
; TotalNumSgprs: 21
; NumVgprs: 164
; ScratchSize: 464
; MemoryBound: 0
; FloatMode: 240
; IeeeMode: 1
; LDSByteSize: 920 bytes/workgroup (compile time only)
; SGPRBlocks: 0
; VGPRBlocks: 10
; NumSGPRsForWavesPerEU: 21
; NumVGPRsForWavesPerEU: 164
; NamedBarCnt: 0
; Occupancy: 5
; WaveLimiterHint : 1
; COMPUTE_PGM_RSRC2:SCRATCH_EN: 1
; COMPUTE_PGM_RSRC2:USER_SGPR: 2
; COMPUTE_PGM_RSRC2:TRAP_HANDLER: 0
; COMPUTE_PGM_RSRC2:TGID_X_EN: 1
; COMPUTE_PGM_RSRC2:TGID_Y_EN: 0
; COMPUTE_PGM_RSRC2:TGID_Z_EN: 0
; COMPUTE_PGM_RSRC2:TIDIG_COMP_CNT: 0
	.section	.text._ZN9rocsolver6v33100L18getri_kernel_smallILi58EdPdEEvT1_iilPiilS4_bb,"axG",@progbits,_ZN9rocsolver6v33100L18getri_kernel_smallILi58EdPdEEvT1_iilPiilS4_bb,comdat
	.globl	_ZN9rocsolver6v33100L18getri_kernel_smallILi58EdPdEEvT1_iilPiilS4_bb ; -- Begin function _ZN9rocsolver6v33100L18getri_kernel_smallILi58EdPdEEvT1_iilPiilS4_bb
	.p2align	8
	.type	_ZN9rocsolver6v33100L18getri_kernel_smallILi58EdPdEEvT1_iilPiilS4_bb,@function
_ZN9rocsolver6v33100L18getri_kernel_smallILi58EdPdEEvT1_iilPiilS4_bb: ; @_ZN9rocsolver6v33100L18getri_kernel_smallILi58EdPdEEvT1_iilPiilS4_bb
; %bb.0:
	s_mov_b32 s2, exec_lo
	v_cmpx_gt_u32_e32 58, v0
	s_cbranch_execz .LBB57_242
; %bb.1:
	s_clause 0x2
	s_load_b32 s2, s[0:1], 0x38
	s_load_b128 s[12:15], s[0:1], 0x10
	s_load_b128 s[4:7], s[0:1], 0x28
	s_getreg_b32 s9, hwreg(HW_REG_IB_STS2, 6, 4)
                                        ; implicit-def: $sgpr16_sgpr17
	s_wait_kmcnt 0x0
	s_bitcmp1_b32 s2, 8
	s_cselect_b32 s20, -1, 0
	s_bfe_u32 s3, ttmp6, 0x4000c
	s_and_b32 s8, ttmp6, 15
	s_add_co_i32 s3, s3, 1
	s_delay_alu instid0(SALU_CYCLE_1) | instskip(NEXT) | instid1(SALU_CYCLE_1)
	s_mul_i32 s3, ttmp9, s3
	s_add_co_i32 s8, s8, s3
	s_cmp_eq_u32 s9, 0
	s_cselect_b32 s18, ttmp9, s8
	s_bfe_u32 s2, s2, 0x10008
	s_ashr_i32 s19, s18, 31
	s_cmp_eq_u32 s2, 0
	s_cbranch_scc1 .LBB57_3
; %bb.2:
	s_load_b32 s2, s[0:1], 0x20
	s_mul_u64 s[4:5], s[4:5], s[18:19]
	s_delay_alu instid0(SALU_CYCLE_1) | instskip(NEXT) | instid1(SALU_CYCLE_1)
	s_lshl_b64 s[4:5], s[4:5], 2
	s_add_nc_u64 s[4:5], s[14:15], s[4:5]
	s_wait_kmcnt 0x0
	s_ashr_i32 s3, s2, 31
	s_delay_alu instid0(SALU_CYCLE_1) | instskip(NEXT) | instid1(SALU_CYCLE_1)
	s_lshl_b64 s[2:3], s[2:3], 2
	s_add_nc_u64 s[16:17], s[4:5], s[2:3]
.LBB57_3:
	s_clause 0x1
	s_load_b128 s[8:11], s[0:1], 0x0
	s_load_b32 s4, s[0:1], 0x38
	s_wait_xcnt 0x0
	s_mul_u64 s[0:1], s[12:13], s[18:19]
	v_dual_mov_b32 v3, 0 :: v_dual_lshlrev_b32 v2, 3, v0
	s_lshl_b64 s[0:1], s[0:1], 3
	s_wait_kmcnt 0x0
	v_add3_u32 v8, s11, s11, v0
	s_ashr_i32 s3, s10, 31
	s_mov_b32 s2, s10
	s_add_nc_u64 s[0:1], s[8:9], s[0:1]
	s_lshl_b64 s[2:3], s[2:3], 3
	v_add_nc_u32_e32 v10, s11, v8
	s_add_nc_u64 s[2:3], s[0:1], s[2:3]
	s_ashr_i32 s1, s11, 31
	v_add_nc_u64_e32 v[4:5], s[2:3], v[2:3]
	s_mov_b32 s0, s11
	v_add_nc_u32_e32 v12, s11, v10
	s_bitcmp0_b32 s4, 0
	s_delay_alu instid0(VALU_DEP_2) | instskip(NEXT) | instid1(VALU_DEP_2)
	v_lshl_add_u64 v[6:7], s[0:1], 3, v[4:5]
	v_add_nc_u32_e32 v14, s11, v12
	s_mov_b32 s1, -1
	s_delay_alu instid0(VALU_DEP_1)
	v_add_nc_u32_e32 v16, s11, v14
	s_clause 0x3
	global_load_b64 v[84:85], v0, s[2:3] scale_offset
	global_load_b64 v[86:87], v[6:7], off
	global_load_b64 v[88:89], v8, s[2:3] scale_offset
	global_load_b64 v[90:91], v10, s[2:3] scale_offset
	v_add_nc_u32_e32 v18, s11, v16
	s_delay_alu instid0(VALU_DEP_1)
	v_add_nc_u32_e32 v20, s11, v18
	s_clause 0x3
	global_load_b64 v[92:93], v12, s[2:3] scale_offset
	global_load_b64 v[94:95], v14, s[2:3] scale_offset
	;; [unrolled: 1-line block ×4, first 2 shown]
	v_add_nc_u32_e32 v22, s11, v20
	s_delay_alu instid0(VALU_DEP_1) | instskip(NEXT) | instid1(VALU_DEP_1)
	v_add_nc_u32_e32 v24, s11, v22
	v_add_nc_u32_e32 v26, s11, v24
	s_delay_alu instid0(VALU_DEP_1) | instskip(SKIP_4) | instid1(VALU_DEP_1)
	v_add_nc_u32_e32 v28, s11, v26
	s_clause 0x1
	global_load_b64 v[100:101], v20, s[2:3] scale_offset
	global_load_b64 v[102:103], v22, s[2:3] scale_offset
	v_add_nc_u32_e32 v30, s11, v28
	v_add_nc_u32_e32 v32, s11, v30
	s_clause 0x3
	global_load_b64 v[104:105], v24, s[2:3] scale_offset
	global_load_b64 v[106:107], v26, s[2:3] scale_offset
	;; [unrolled: 1-line block ×4, first 2 shown]
	v_add_nc_u32_e32 v34, s11, v32
	s_delay_alu instid0(VALU_DEP_1) | instskip(NEXT) | instid1(VALU_DEP_1)
	v_add_nc_u32_e32 v36, s11, v34
	v_add_nc_u32_e32 v38, s11, v36
	s_delay_alu instid0(VALU_DEP_1) | instskip(SKIP_4) | instid1(VALU_DEP_1)
	v_add_nc_u32_e32 v40, s11, v38
	s_clause 0x1
	global_load_b64 v[112:113], v32, s[2:3] scale_offset
	global_load_b64 v[114:115], v34, s[2:3] scale_offset
	v_add_nc_u32_e32 v42, s11, v40
	v_add_nc_u32_e32 v44, s11, v42
	s_clause 0x1
	global_load_b64 v[116:117], v36, s[2:3] scale_offset
	global_load_b64 v[118:119], v38, s[2:3] scale_offset
	v_add_nc_u32_e32 v46, s11, v44
	s_delay_alu instid0(VALU_DEP_1) | instskip(NEXT) | instid1(VALU_DEP_1)
	v_add_nc_u32_e32 v48, s11, v46
	v_add_nc_u32_e32 v50, s11, v48
	s_delay_alu instid0(VALU_DEP_1)
	v_add_nc_u32_e32 v52, s11, v50
	s_clause 0x3
	global_load_b64 v[120:121], v40, s[2:3] scale_offset
	global_load_b64 v[122:123], v42, s[2:3] scale_offset
	;; [unrolled: 1-line block ×4, first 2 shown]
	v_add_nc_u32_e32 v54, s11, v52
	s_delay_alu instid0(VALU_DEP_1)
	v_add_nc_u32_e32 v56, s11, v54
	s_clause 0x3
	global_load_b64 v[128:129], v48, s[2:3] scale_offset
	global_load_b64 v[130:131], v50, s[2:3] scale_offset
	;; [unrolled: 1-line block ×4, first 2 shown]
	v_add_nc_u32_e32 v58, s11, v56
	s_delay_alu instid0(VALU_DEP_1) | instskip(NEXT) | instid1(VALU_DEP_1)
	v_add_nc_u32_e32 v60, s11, v58
	v_add_nc_u32_e32 v62, s11, v60
	s_delay_alu instid0(VALU_DEP_1) | instskip(NEXT) | instid1(VALU_DEP_1)
	v_add_nc_u32_e32 v64, s11, v62
	v_add_nc_u32_e32 v66, s11, v64
	s_delay_alu instid0(VALU_DEP_1)
	v_add_nc_u32_e32 v68, s11, v66
	s_clause 0x3
	global_load_b64 v[136:137], v56, s[2:3] scale_offset
	global_load_b64 v[138:139], v58, s[2:3] scale_offset
	;; [unrolled: 1-line block ×4, first 2 shown]
	v_add_nc_u32_e32 v70, s11, v68
	s_delay_alu instid0(VALU_DEP_1) | instskip(NEXT) | instid1(VALU_DEP_1)
	v_add_nc_u32_e32 v72, s11, v70
	v_add_nc_u32_e32 v74, s11, v72
	s_delay_alu instid0(VALU_DEP_1)
	v_add_nc_u32_e32 v76, s11, v74
	s_clause 0x3
	global_load_b64 v[144:145], v64, s[2:3] scale_offset
	global_load_b64 v[146:147], v66, s[2:3] scale_offset
	;; [unrolled: 1-line block ×4, first 2 shown]
	v_add_nc_u32_e32 v78, s11, v76
	s_delay_alu instid0(VALU_DEP_1)
	v_add_nc_u32_e32 v80, s11, v78
	s_clause 0x1
	global_load_b64 v[152:153], v72, s[2:3] scale_offset
	global_load_b64 v[154:155], v74, s[2:3] scale_offset
	v_add_nc_u32_e32 v82, s11, v80
	s_wait_loadcnt 0x22
	scratch_store_b128 off, v[84:87], off
	s_wait_xcnt 0x0
	v_add_nc_u32_e32 v84, s11, v82
	s_clause 0x1
	global_load_b64 v[156:157], v76, s[2:3] scale_offset
	global_load_b64 v[158:159], v78, s[2:3] scale_offset
	s_wait_loadcnt 0x22
	scratch_store_b128 off, v[88:91], off offset:16
	v_add_nc_u32_e32 v86, s11, v84
	s_wait_xcnt 0x0
	s_delay_alu instid0(VALU_DEP_1)
	v_add_nc_u32_e32 v88, s11, v86
	s_clause 0x1
	global_load_b64 v[160:161], v80, s[2:3] scale_offset
	global_load_b64 v[162:163], v82, s[2:3] scale_offset
	s_wait_loadcnt 0x22
	scratch_store_b128 off, v[92:95], off offset:32
	s_wait_loadcnt 0x20
	scratch_store_b128 off, v[96:99], off offset:48
	v_add_nc_u32_e32 v90, s11, v88
	s_wait_xcnt 0x1
	s_delay_alu instid0(VALU_DEP_1) | instskip(NEXT) | instid1(VALU_DEP_1)
	v_add_nc_u32_e32 v92, s11, v90
	v_add_nc_u32_e32 v94, s11, v92
	s_wait_xcnt 0x0
	s_delay_alu instid0(VALU_DEP_1) | instskip(SKIP_4) | instid1(VALU_DEP_1)
	v_add_nc_u32_e32 v96, s11, v94
	s_wait_loadcnt 0x1e
	scratch_store_b128 off, v[100:103], off offset:64
	v_add_nc_u32_e32 v98, s11, v96
	s_wait_xcnt 0x0
	v_add_nc_u32_e32 v100, s11, v98
	s_wait_loadcnt 0x1c
	scratch_store_b128 off, v[104:107], off offset:80
	s_wait_loadcnt 0x1a
	scratch_store_b128 off, v[108:111], off offset:96
	v_add_nc_u32_e32 v102, s11, v100
	s_wait_xcnt 0x1
	s_delay_alu instid0(VALU_DEP_1) | instskip(NEXT) | instid1(VALU_DEP_1)
	v_add_nc_u32_e32 v104, s11, v102
	v_add_nc_u32_e32 v106, s11, v104
	s_wait_xcnt 0x0
	s_delay_alu instid0(VALU_DEP_1) | instskip(SKIP_4) | instid1(VALU_DEP_1)
	v_add_nc_u32_e32 v108, s11, v106
	s_wait_loadcnt 0x18
	scratch_store_b128 off, v[112:115], off offset:112
	v_add_nc_u32_e32 v110, s11, v108
	s_wait_xcnt 0x0
	v_add_nc_u32_e32 v112, s11, v110
	s_wait_loadcnt 0x16
	scratch_store_b128 off, v[116:119], off offset:128
	v_add_nc_u32_e32 v114, s11, v112
	s_wait_xcnt 0x0
	s_delay_alu instid0(VALU_DEP_1) | instskip(NEXT) | instid1(VALU_DEP_1)
	v_add_nc_u32_e32 v116, s11, v114
	v_add_nc_u32_e32 v118, s11, v116
	s_wait_loadcnt 0x14
	scratch_store_b128 off, v[120:123], off offset:144
	s_clause 0x1
	global_load_b64 v[120:121], v84, s[2:3] scale_offset
	global_load_b64 v[122:123], v86, s[2:3] scale_offset
	s_wait_loadcnt 0x14
	scratch_store_b128 off, v[124:127], off offset:160
	s_wait_loadcnt 0x12
	scratch_store_b128 off, v[128:131], off offset:176
	;; [unrolled: 2-line block ×3, first 2 shown]
	s_clause 0x3
	global_load_b64 v[124:125], v88, s[2:3] scale_offset
	global_load_b64 v[126:127], v90, s[2:3] scale_offset
	global_load_b64 v[128:129], v92, s[2:3] scale_offset
	global_load_b64 v[130:131], v94, s[2:3] scale_offset
	s_wait_loadcnt 0x12
	scratch_store_b128 off, v[136:139], off offset:208
	s_wait_loadcnt 0x10
	scratch_store_b128 off, v[140:143], off offset:224
	s_clause 0x3
	global_load_b64 v[132:133], v96, s[2:3] scale_offset
	global_load_b64 v[134:135], v98, s[2:3] scale_offset
	;; [unrolled: 1-line block ×4, first 2 shown]
	s_wait_loadcnt 0x12
	scratch_store_b128 off, v[144:147], off offset:240
	s_wait_loadcnt 0x10
	scratch_store_b128 off, v[148:151], off offset:256
	;; [unrolled: 2-line block ×3, first 2 shown]
	s_clause 0x3
	global_load_b64 v[140:141], v104, s[2:3] scale_offset
	global_load_b64 v[142:143], v106, s[2:3] scale_offset
	;; [unrolled: 1-line block ×4, first 2 shown]
	s_wait_loadcnt 0x10
	scratch_store_b128 off, v[156:159], off offset:288
	s_clause 0x1
	global_load_b64 v[148:149], v112, s[2:3] scale_offset
	global_load_b64 v[150:151], v114, s[2:3] scale_offset
	s_wait_loadcnt 0x10
	scratch_store_b128 off, v[160:163], off offset:304
	s_clause 0x1
	global_load_b64 v[152:153], v116, s[2:3] scale_offset
	global_load_b64 v[154:155], v118, s[2:3] scale_offset
	s_wait_loadcnt 0x10
	scratch_store_b128 off, v[120:123], off offset:320
	s_wait_loadcnt 0xe
	scratch_store_b128 off, v[124:127], off offset:336
	;; [unrolled: 2-line block ×9, first 2 shown]
	s_cbranch_scc1 .LBB57_240
; %bb.4:
	v_cmp_eq_u32_e64 s0, 0, v0
	s_wait_xcnt 0x0
	s_and_saveexec_b32 s1, s0
; %bb.5:
	v_mov_b32_e32 v1, 0
	ds_store_b32 v1, v1 offset:928
; %bb.6:
	s_or_b32 exec_lo, exec_lo, s1
	s_wait_storecnt_dscnt 0x0
	s_barrier_signal -1
	s_barrier_wait -1
	scratch_load_b64 v[120:121], v0, off scale_offset
	s_mov_b32 s4, exec_lo
	s_wait_loadcnt 0x0
	v_cmpx_eq_f64_e32 0, v[120:121]
	s_cbranch_execz .LBB57_10
; %bb.7:
	v_mov_b32_e32 v1, 0
	s_mov_b32 s5, 0
	ds_load_b32 v3, v1 offset:928
	s_wait_dscnt 0x0
	v_readfirstlane_b32 s1, v3
	v_add_nc_u32_e32 v3, 1, v0
	s_cmp_eq_u32 s1, 0
	s_delay_alu instid0(VALU_DEP_1) | instskip(SKIP_1) | instid1(SALU_CYCLE_1)
	v_cmp_gt_i32_e32 vcc_lo, s1, v3
	s_cselect_b32 s8, -1, 0
	s_or_b32 s8, s8, vcc_lo
	s_delay_alu instid0(SALU_CYCLE_1)
	s_and_b32 exec_lo, exec_lo, s8
	s_cbranch_execz .LBB57_10
; %bb.8:
	v_mov_b32_e32 v9, s1
.LBB57_9:                               ; =>This Inner Loop Header: Depth=1
	ds_cmpstore_rtn_b32 v9, v1, v3, v9 offset:928
	s_wait_dscnt 0x0
	v_cmp_ne_u32_e32 vcc_lo, 0, v9
	v_cmp_le_i32_e64 s1, v9, v3
	s_and_b32 s1, vcc_lo, s1
	s_delay_alu instid0(SALU_CYCLE_1) | instskip(NEXT) | instid1(SALU_CYCLE_1)
	s_and_b32 s1, exec_lo, s1
	s_or_b32 s5, s1, s5
	s_delay_alu instid0(SALU_CYCLE_1)
	s_and_not1_b32 exec_lo, exec_lo, s5
	s_cbranch_execnz .LBB57_9
.LBB57_10:
	s_or_b32 exec_lo, exec_lo, s4
	v_mov_b32_e32 v1, 0
	s_barrier_signal -1
	s_barrier_wait -1
	ds_load_b32 v3, v1 offset:928
	s_and_saveexec_b32 s1, s0
	s_cbranch_execz .LBB57_12
; %bb.11:
	s_lshl_b64 s[4:5], s[18:19], 2
	s_delay_alu instid0(SALU_CYCLE_1)
	s_add_nc_u64 s[4:5], s[6:7], s[4:5]
	s_wait_dscnt 0x0
	global_store_b32 v1, v3, s[4:5]
.LBB57_12:
	s_wait_xcnt 0x0
	s_or_b32 exec_lo, exec_lo, s1
	s_wait_dscnt 0x0
	v_cmp_ne_u32_e32 vcc_lo, 0, v3
	s_mov_b32 s1, 0
	s_cbranch_vccnz .LBB57_240
; %bb.13:
	v_lshl_add_u32 v3, v0, 3, 0
	v_add_nc_u32_e32 v1, 0x1d0, v2
	scratch_load_b64 v[120:121], v3, off
	s_wait_loadcnt 0x0
	v_div_scale_f64 v[122:123], null, v[120:121], v[120:121], 1.0
	v_div_scale_f64 v[128:129], vcc_lo, 1.0, v[120:121], 1.0
	s_delay_alu instid0(VALU_DEP_2) | instskip(SKIP_1) | instid1(TRANS32_DEP_1)
	v_rcp_f64_e32 v[124:125], v[122:123]
	v_nop
	v_fma_f64 v[126:127], -v[122:123], v[124:125], 1.0
	s_delay_alu instid0(VALU_DEP_1) | instskip(NEXT) | instid1(VALU_DEP_1)
	v_fmac_f64_e32 v[124:125], v[124:125], v[126:127]
	v_fma_f64 v[126:127], -v[122:123], v[124:125], 1.0
	s_delay_alu instid0(VALU_DEP_1) | instskip(NEXT) | instid1(VALU_DEP_1)
	v_fmac_f64_e32 v[124:125], v[124:125], v[126:127]
	v_mul_f64_e32 v[126:127], v[128:129], v[124:125]
	s_delay_alu instid0(VALU_DEP_1) | instskip(NEXT) | instid1(VALU_DEP_1)
	v_fma_f64 v[122:123], -v[122:123], v[126:127], v[128:129]
	v_div_fmas_f64 v[122:123], v[122:123], v[124:125], v[126:127]
	s_delay_alu instid0(VALU_DEP_1)
	v_div_fixup_f64 v[120:121], v[122:123], v[120:121], 1.0
	scratch_store_b64 v3, v[120:121], off
	scratch_load_b64 v[122:123], off, off offset:8
	s_wait_xcnt 0x1
	v_xor_b32_e32 v121, 0x80000000, v121
	s_wait_loadcnt 0x0
	ds_store_2addr_b64 v2, v[120:121], v[122:123] offset1:58
	s_wait_storecnt_dscnt 0x0
	s_barrier_signal -1
	s_barrier_wait -1
	s_wait_xcnt 0x0
	s_and_saveexec_b32 s1, s0
	s_cbranch_execz .LBB57_15
; %bb.14:
	scratch_load_b64 v[120:121], v3, off
	ds_load_b64 v[122:123], v1
	s_wait_loadcnt_dscnt 0x0
	v_fma_f64 v[120:121], v[120:121], v[122:123], 0
	v_mov_b32_e32 v9, 0
	ds_load_b64 v[124:125], v9 offset:8
	s_wait_dscnt 0x0
	v_mul_f64_e32 v[120:121], v[120:121], v[124:125]
	scratch_store_b64 off, v[120:121], off offset:8
.LBB57_15:
	s_wait_xcnt 0x0
	s_or_b32 exec_lo, exec_lo, s1
	s_wait_storecnt 0x0
	s_barrier_signal -1
	s_barrier_wait -1
	scratch_load_b64 v[120:121], off, off offset:16
	s_mov_b32 s1, exec_lo
	s_wait_loadcnt 0x0
	ds_store_b64 v1, v[120:121]
	s_wait_dscnt 0x0
	s_barrier_signal -1
	s_barrier_wait -1
	v_cmpx_gt_u32_e32 2, v0
	s_cbranch_execz .LBB57_19
; %bb.16:
	scratch_load_b64 v[120:121], v3, off
	ds_load_b64 v[122:123], v1
	s_wait_loadcnt_dscnt 0x0
	v_fma_f64 v[120:121], v[120:121], v[122:123], 0
	s_and_saveexec_b32 s4, s0
	s_cbranch_execz .LBB57_18
; %bb.17:
	scratch_load_b64 v[122:123], off, off offset:8
	v_mov_b32_e32 v3, 0
	ds_load_b64 v[124:125], v3 offset:472
	s_wait_loadcnt_dscnt 0x0
	v_fmac_f64_e32 v[120:121], v[122:123], v[124:125]
.LBB57_18:
	s_or_b32 exec_lo, exec_lo, s4
	v_mov_b32_e32 v3, 0
	ds_load_b64 v[122:123], v3 offset:16
	s_wait_dscnt 0x0
	v_mul_f64_e32 v[120:121], v[120:121], v[122:123]
	scratch_store_b64 off, v[120:121], off offset:16
.LBB57_19:
	s_wait_xcnt 0x0
	s_or_b32 exec_lo, exec_lo, s1
	s_wait_storecnt 0x0
	s_barrier_signal -1
	s_barrier_wait -1
	scratch_load_b64 v[120:121], off, off offset:24
	v_add_nc_u32_e32 v3, -1, v0
	s_mov_b32 s0, exec_lo
	s_wait_loadcnt 0x0
	ds_store_b64 v1, v[120:121]
	s_wait_dscnt 0x0
	s_barrier_signal -1
	s_barrier_wait -1
	v_cmpx_gt_u32_e32 3, v0
	s_cbranch_execz .LBB57_23
; %bb.20:
	v_mov_b64_e32 v[120:121], 0
	v_dual_add_nc_u32 v9, -1, v0 :: v_dual_mov_b32 v13, v2
	v_add_nc_u32_e32 v11, 0x1d0, v2
	s_mov_b32 s1, 0
.LBB57_21:                              ; =>This Inner Loop Header: Depth=1
	scratch_load_b64 v[122:123], v13, off
	ds_load_b64 v[124:125], v11
	v_dual_add_nc_u32 v9, 1, v9 :: v_dual_add_nc_u32 v11, 8, v11
	s_wait_xcnt 0x0
	v_add_nc_u32_e32 v13, 8, v13
	s_delay_alu instid0(VALU_DEP_2)
	v_cmp_lt_u32_e32 vcc_lo, 1, v9
	s_or_b32 s1, vcc_lo, s1
	s_wait_loadcnt_dscnt 0x0
	v_fmac_f64_e32 v[120:121], v[122:123], v[124:125]
	s_and_not1_b32 exec_lo, exec_lo, s1
	s_cbranch_execnz .LBB57_21
; %bb.22:
	s_or_b32 exec_lo, exec_lo, s1
	v_mov_b32_e32 v9, 0
	ds_load_b64 v[122:123], v9 offset:24
	s_wait_dscnt 0x0
	v_mul_f64_e32 v[120:121], v[120:121], v[122:123]
	scratch_store_b64 off, v[120:121], off offset:24
.LBB57_23:
	s_wait_xcnt 0x0
	s_or_b32 exec_lo, exec_lo, s0
	s_wait_storecnt 0x0
	s_barrier_signal -1
	s_barrier_wait -1
	scratch_load_b64 v[120:121], off, off offset:32
	s_mov_b32 s0, exec_lo
	s_wait_loadcnt 0x0
	ds_store_b64 v1, v[120:121]
	s_wait_dscnt 0x0
	s_barrier_signal -1
	s_barrier_wait -1
	v_cmpx_gt_u32_e32 4, v0
	s_cbranch_execz .LBB57_27
; %bb.24:
	v_mov_b64_e32 v[120:121], 0
	v_dual_add_nc_u32 v9, -1, v0 :: v_dual_mov_b32 v13, v2
	v_add_nc_u32_e32 v11, 0x1d0, v2
	s_mov_b32 s1, 0
.LBB57_25:                              ; =>This Inner Loop Header: Depth=1
	scratch_load_b64 v[122:123], v13, off
	ds_load_b64 v[124:125], v11
	v_dual_add_nc_u32 v9, 1, v9 :: v_dual_add_nc_u32 v11, 8, v11
	s_wait_xcnt 0x0
	v_add_nc_u32_e32 v13, 8, v13
	s_delay_alu instid0(VALU_DEP_2)
	v_cmp_lt_u32_e32 vcc_lo, 2, v9
	s_or_b32 s1, vcc_lo, s1
	s_wait_loadcnt_dscnt 0x0
	v_fmac_f64_e32 v[120:121], v[122:123], v[124:125]
	s_and_not1_b32 exec_lo, exec_lo, s1
	s_cbranch_execnz .LBB57_25
; %bb.26:
	s_or_b32 exec_lo, exec_lo, s1
	v_mov_b32_e32 v9, 0
	ds_load_b64 v[122:123], v9 offset:32
	s_wait_dscnt 0x0
	v_mul_f64_e32 v[120:121], v[120:121], v[122:123]
	scratch_store_b64 off, v[120:121], off offset:32
.LBB57_27:
	s_wait_xcnt 0x0
	s_or_b32 exec_lo, exec_lo, s0
	s_wait_storecnt 0x0
	s_barrier_signal -1
	s_barrier_wait -1
	scratch_load_b64 v[120:121], off, off offset:40
	;; [unrolled: 40-line block ×20, first 2 shown]
	s_mov_b32 s0, exec_lo
	s_wait_loadcnt 0x0
	ds_store_b64 v1, v[120:121]
	s_wait_dscnt 0x0
	s_barrier_signal -1
	s_barrier_wait -1
	v_cmpx_gt_u32_e32 23, v0
	s_cbranch_execz .LBB57_103
; %bb.100:
	v_mov_b64_e32 v[120:121], 0
	v_dual_add_nc_u32 v9, -1, v0 :: v_dual_mov_b32 v13, v2
	v_add_nc_u32_e32 v11, 0x1d0, v2
	s_mov_b32 s1, 0
.LBB57_101:                             ; =>This Inner Loop Header: Depth=1
	scratch_load_b64 v[122:123], v13, off
	ds_load_b64 v[124:125], v11
	v_dual_add_nc_u32 v9, 1, v9 :: v_dual_add_nc_u32 v11, 8, v11
	s_wait_xcnt 0x0
	v_add_nc_u32_e32 v13, 8, v13
	s_delay_alu instid0(VALU_DEP_2)
	v_cmp_lt_u32_e32 vcc_lo, 21, v9
	s_or_b32 s1, vcc_lo, s1
	s_wait_loadcnt_dscnt 0x0
	v_fmac_f64_e32 v[120:121], v[122:123], v[124:125]
	s_and_not1_b32 exec_lo, exec_lo, s1
	s_cbranch_execnz .LBB57_101
; %bb.102:
	s_or_b32 exec_lo, exec_lo, s1
	v_mov_b32_e32 v9, 0
	ds_load_b64 v[122:123], v9 offset:184
	s_wait_dscnt 0x0
	v_mul_f64_e32 v[120:121], v[120:121], v[122:123]
	scratch_store_b64 off, v[120:121], off offset:184
.LBB57_103:
	s_wait_xcnt 0x0
	s_or_b32 exec_lo, exec_lo, s0
	s_wait_storecnt 0x0
	s_barrier_signal -1
	s_barrier_wait -1
	scratch_load_b64 v[120:121], off, off offset:192
	s_mov_b32 s0, exec_lo
	s_wait_loadcnt 0x0
	ds_store_b64 v1, v[120:121]
	s_wait_dscnt 0x0
	s_barrier_signal -1
	s_barrier_wait -1
	v_cmpx_gt_u32_e32 24, v0
	s_cbranch_execz .LBB57_107
; %bb.104:
	v_mov_b64_e32 v[120:121], 0
	v_dual_add_nc_u32 v9, -1, v0 :: v_dual_mov_b32 v13, v2
	v_add_nc_u32_e32 v11, 0x1d0, v2
	s_mov_b32 s1, 0
.LBB57_105:                             ; =>This Inner Loop Header: Depth=1
	scratch_load_b64 v[122:123], v13, off
	ds_load_b64 v[124:125], v11
	v_dual_add_nc_u32 v9, 1, v9 :: v_dual_add_nc_u32 v11, 8, v11
	s_wait_xcnt 0x0
	v_add_nc_u32_e32 v13, 8, v13
	s_delay_alu instid0(VALU_DEP_2)
	v_cmp_lt_u32_e32 vcc_lo, 22, v9
	s_or_b32 s1, vcc_lo, s1
	s_wait_loadcnt_dscnt 0x0
	v_fmac_f64_e32 v[120:121], v[122:123], v[124:125]
	s_and_not1_b32 exec_lo, exec_lo, s1
	s_cbranch_execnz .LBB57_105
; %bb.106:
	s_or_b32 exec_lo, exec_lo, s1
	v_mov_b32_e32 v9, 0
	ds_load_b64 v[122:123], v9 offset:192
	s_wait_dscnt 0x0
	v_mul_f64_e32 v[120:121], v[120:121], v[122:123]
	scratch_store_b64 off, v[120:121], off offset:192
.LBB57_107:
	s_wait_xcnt 0x0
	s_or_b32 exec_lo, exec_lo, s0
	s_wait_storecnt 0x0
	s_barrier_signal -1
	s_barrier_wait -1
	scratch_load_b64 v[120:121], off, off offset:200
	;; [unrolled: 40-line block ×34, first 2 shown]
	s_mov_b32 s0, exec_lo
	s_wait_loadcnt 0x0
	ds_store_b64 v1, v[120:121]
	s_wait_dscnt 0x0
	s_barrier_signal -1
	s_barrier_wait -1
	v_cmpx_ne_u32_e32 57, v0
	s_cbranch_execz .LBB57_239
; %bb.236:
	v_mov_b64_e32 v[120:121], 0
	s_mov_b32 s1, 0
.LBB57_237:                             ; =>This Inner Loop Header: Depth=1
	scratch_load_b64 v[122:123], v2, off
	ds_load_b64 v[124:125], v1
	v_dual_add_nc_u32 v3, 1, v3 :: v_dual_add_nc_u32 v1, 8, v1
	s_wait_xcnt 0x0
	v_add_nc_u32_e32 v2, 8, v2
	s_delay_alu instid0(VALU_DEP_2)
	v_cmp_lt_u32_e32 vcc_lo, 55, v3
	s_or_b32 s1, vcc_lo, s1
	s_wait_loadcnt_dscnt 0x0
	v_fmac_f64_e32 v[120:121], v[122:123], v[124:125]
	s_and_not1_b32 exec_lo, exec_lo, s1
	s_cbranch_execnz .LBB57_237
; %bb.238:
	s_or_b32 exec_lo, exec_lo, s1
	v_mov_b32_e32 v1, 0
	ds_load_b64 v[2:3], v1 offset:456
	s_wait_dscnt 0x0
	v_mul_f64_e32 v[2:3], v[120:121], v[2:3]
	scratch_store_b64 off, v[2:3], off offset:456
.LBB57_239:
	s_wait_xcnt 0x0
	s_or_b32 exec_lo, exec_lo, s0
	s_mov_b32 s1, -1
	s_wait_storecnt 0x0
	s_barrier_signal -1
	s_barrier_wait -1
.LBB57_240:
	s_and_b32 vcc_lo, exec_lo, s1
	s_cbranch_vccz .LBB57_242
; %bb.241:
	v_mov_b32_e32 v1, 0
	s_lshl_b64 s[0:1], s[18:19], 2
	s_delay_alu instid0(SALU_CYCLE_1)
	s_add_nc_u64 s[0:1], s[6:7], s[0:1]
	global_load_b32 v1, v1, s[0:1]
	s_wait_loadcnt 0x0
	v_cmp_ne_u32_e32 vcc_lo, 0, v1
	s_cbranch_vccz .LBB57_243
.LBB57_242:
	s_sendmsg sendmsg(MSG_DEALLOC_VGPRS)
	s_endpgm
.LBB57_243:
	s_wait_xcnt 0x0
	v_lshl_add_u32 v1, v0, 3, 0x1d0
	s_mov_b32 s0, exec_lo
	v_cmpx_eq_u32_e32 57, v0
	s_cbranch_execz .LBB57_245
; %bb.244:
	scratch_load_b64 v[2:3], off, off offset:448
	v_mov_b64_e32 v[120:121], 0
	scratch_store_b64 off, v[120:121], off offset:448
	s_wait_loadcnt 0x0
	ds_store_b64 v1, v[2:3]
.LBB57_245:
	s_wait_xcnt 0x0
	s_or_b32 exec_lo, exec_lo, s0
	s_wait_storecnt_dscnt 0x0
	s_barrier_signal -1
	s_barrier_wait -1
	scratch_load_b128 v[120:123], off, off offset:448
	v_mov_b32_e32 v2, 0
	s_mov_b32 s0, exec_lo
	ds_load_b64 v[124:125], v2 offset:920
	s_wait_loadcnt_dscnt 0x0
	v_fma_f64 v[122:123], v[122:123], v[124:125], 0
	s_delay_alu instid0(VALU_DEP_1)
	v_add_f64_e64 v[120:121], v[120:121], -v[122:123]
	scratch_store_b64 off, v[120:121], off offset:448
	s_wait_xcnt 0x0
	v_cmpx_lt_u32_e32 55, v0
	s_cbranch_execz .LBB57_247
; %bb.246:
	scratch_load_b64 v[120:121], off, off offset:440
	v_mov_b64_e32 v[122:123], 0
	scratch_store_b64 off, v[122:123], off offset:440
	s_wait_loadcnt 0x0
	ds_store_b64 v1, v[120:121]
.LBB57_247:
	s_wait_xcnt 0x0
	s_or_b32 exec_lo, exec_lo, s0
	s_wait_storecnt_dscnt 0x0
	s_barrier_signal -1
	s_barrier_wait -1
	s_clause 0x1
	scratch_load_b128 v[120:123], off, off offset:440
	scratch_load_b64 v[128:129], off, off offset:456
	ds_load_b128 v[124:127], v2 offset:912
	s_mov_b32 s0, exec_lo
	s_wait_loadcnt_dscnt 0x100
	v_fma_f64 v[2:3], v[122:123], v[124:125], 0
	s_wait_loadcnt 0x0
	s_delay_alu instid0(VALU_DEP_1) | instskip(NEXT) | instid1(VALU_DEP_1)
	v_fmac_f64_e32 v[2:3], v[128:129], v[126:127]
	v_add_f64_e64 v[2:3], v[120:121], -v[2:3]
	scratch_store_b64 off, v[2:3], off offset:440
	s_wait_xcnt 0x0
	v_cmpx_lt_u32_e32 54, v0
	s_cbranch_execz .LBB57_249
; %bb.248:
	scratch_load_b64 v[2:3], off, off offset:432
	v_mov_b64_e32 v[120:121], 0
	scratch_store_b64 off, v[120:121], off offset:432
	s_wait_loadcnt 0x0
	ds_store_b64 v1, v[2:3]
.LBB57_249:
	s_wait_xcnt 0x0
	s_or_b32 exec_lo, exec_lo, s0
	s_wait_storecnt_dscnt 0x0
	s_barrier_signal -1
	s_barrier_wait -1
	s_clause 0x1
	scratch_load_b128 v[120:123], off, off offset:432
	scratch_load_b128 v[124:127], off, off offset:448
	v_mov_b32_e32 v2, 0
	ds_load_2addr_b64 v[128:131], v2 offset0:113 offset1:114
	ds_load_b64 v[132:133], v2 offset:920
	s_mov_b32 s0, exec_lo
	s_wait_loadcnt_dscnt 0x101
	v_fma_f64 v[122:123], v[122:123], v[128:129], 0
	s_wait_loadcnt 0x0
	s_delay_alu instid0(VALU_DEP_1) | instskip(SKIP_1) | instid1(VALU_DEP_1)
	v_fmac_f64_e32 v[122:123], v[124:125], v[130:131]
	s_wait_dscnt 0x0
	v_fmac_f64_e32 v[122:123], v[126:127], v[132:133]
	s_delay_alu instid0(VALU_DEP_1)
	v_add_f64_e64 v[120:121], v[120:121], -v[122:123]
	scratch_store_b64 off, v[120:121], off offset:432
	s_wait_xcnt 0x0
	v_cmpx_lt_u32_e32 53, v0
	s_cbranch_execz .LBB57_251
; %bb.250:
	scratch_load_b64 v[120:121], off, off offset:424
	v_mov_b64_e32 v[122:123], 0
	scratch_store_b64 off, v[122:123], off offset:424
	s_wait_loadcnt 0x0
	ds_store_b64 v1, v[120:121]
.LBB57_251:
	s_wait_xcnt 0x0
	s_or_b32 exec_lo, exec_lo, s0
	s_wait_storecnt_dscnt 0x0
	s_barrier_signal -1
	s_barrier_wait -1
	s_clause 0x2
	scratch_load_b128 v[120:123], off, off offset:424
	scratch_load_b128 v[124:127], off, off offset:440
	scratch_load_b64 v[136:137], off, off offset:456
	ds_load_b128 v[128:131], v2 offset:896
	ds_load_b128 v[132:135], v2 offset:912
	s_mov_b32 s0, exec_lo
	s_wait_loadcnt_dscnt 0x201
	v_fma_f64 v[2:3], v[122:123], v[128:129], 0
	s_wait_loadcnt 0x1
	s_delay_alu instid0(VALU_DEP_1) | instskip(SKIP_1) | instid1(VALU_DEP_1)
	v_fmac_f64_e32 v[2:3], v[124:125], v[130:131]
	s_wait_dscnt 0x0
	v_fmac_f64_e32 v[2:3], v[126:127], v[132:133]
	s_wait_loadcnt 0x0
	s_delay_alu instid0(VALU_DEP_1) | instskip(NEXT) | instid1(VALU_DEP_1)
	v_fmac_f64_e32 v[2:3], v[136:137], v[134:135]
	v_add_f64_e64 v[2:3], v[120:121], -v[2:3]
	scratch_store_b64 off, v[2:3], off offset:424
	s_wait_xcnt 0x0
	v_cmpx_lt_u32_e32 52, v0
	s_cbranch_execz .LBB57_253
; %bb.252:
	scratch_load_b64 v[2:3], off, off offset:416
	v_mov_b64_e32 v[120:121], 0
	scratch_store_b64 off, v[120:121], off offset:416
	s_wait_loadcnt 0x0
	ds_store_b64 v1, v[2:3]
.LBB57_253:
	s_wait_xcnt 0x0
	s_or_b32 exec_lo, exec_lo, s0
	s_wait_storecnt_dscnt 0x0
	s_barrier_signal -1
	s_barrier_wait -1
	s_clause 0x2
	scratch_load_b128 v[120:123], off, off offset:416
	scratch_load_b128 v[124:127], off, off offset:432
	;; [unrolled: 1-line block ×3, first 2 shown]
	v_mov_b32_e32 v2, 0
	ds_load_2addr_b64 v[132:135], v2 offset0:111 offset1:112
	ds_load_2addr_b64 v[136:139], v2 offset0:113 offset1:114
	s_mov_b32 s0, exec_lo
	s_wait_loadcnt_dscnt 0x201
	v_fma_f64 v[122:123], v[122:123], v[132:133], 0
	s_wait_loadcnt 0x1
	s_delay_alu instid0(VALU_DEP_1) | instskip(SKIP_4) | instid1(VALU_DEP_1)
	v_fmac_f64_e32 v[122:123], v[124:125], v[134:135]
	ds_load_b64 v[124:125], v2 offset:920
	s_wait_dscnt 0x1
	v_fmac_f64_e32 v[122:123], v[126:127], v[136:137]
	s_wait_loadcnt 0x0
	v_fmac_f64_e32 v[122:123], v[128:129], v[138:139]
	s_wait_dscnt 0x0
	s_delay_alu instid0(VALU_DEP_1) | instskip(NEXT) | instid1(VALU_DEP_1)
	v_fmac_f64_e32 v[122:123], v[130:131], v[124:125]
	v_add_f64_e64 v[120:121], v[120:121], -v[122:123]
	scratch_store_b64 off, v[120:121], off offset:416
	s_wait_xcnt 0x0
	v_cmpx_lt_u32_e32 51, v0
	s_cbranch_execz .LBB57_255
; %bb.254:
	scratch_load_b64 v[120:121], off, off offset:408
	v_mov_b64_e32 v[122:123], 0
	scratch_store_b64 off, v[122:123], off offset:408
	s_wait_loadcnt 0x0
	ds_store_b64 v1, v[120:121]
.LBB57_255:
	s_wait_xcnt 0x0
	s_or_b32 exec_lo, exec_lo, s0
	s_wait_storecnt_dscnt 0x0
	s_barrier_signal -1
	s_barrier_wait -1
	s_clause 0x3
	scratch_load_b128 v[120:123], off, off offset:408
	scratch_load_b128 v[124:127], off, off offset:424
	;; [unrolled: 1-line block ×3, first 2 shown]
	scratch_load_b64 v[140:141], off, off offset:456
	ds_load_b128 v[132:135], v2 offset:880
	ds_load_b128 v[136:139], v2 offset:896
	s_mov_b32 s0, exec_lo
	s_wait_loadcnt_dscnt 0x301
	v_fma_f64 v[132:133], v[122:123], v[132:133], 0
	s_wait_loadcnt 0x2
	s_delay_alu instid0(VALU_DEP_1) | instskip(SKIP_4) | instid1(VALU_DEP_1)
	v_fmac_f64_e32 v[132:133], v[124:125], v[134:135]
	ds_load_b128 v[122:125], v2 offset:912
	s_wait_dscnt 0x1
	v_fmac_f64_e32 v[132:133], v[126:127], v[136:137]
	s_wait_loadcnt 0x1
	v_fmac_f64_e32 v[132:133], v[128:129], v[138:139]
	s_wait_dscnt 0x0
	s_delay_alu instid0(VALU_DEP_1) | instskip(SKIP_1) | instid1(VALU_DEP_1)
	v_fmac_f64_e32 v[132:133], v[130:131], v[122:123]
	s_wait_loadcnt 0x0
	v_fmac_f64_e32 v[132:133], v[140:141], v[124:125]
	s_delay_alu instid0(VALU_DEP_1)
	v_add_f64_e64 v[2:3], v[120:121], -v[132:133]
	scratch_store_b64 off, v[2:3], off offset:408
	s_wait_xcnt 0x0
	v_cmpx_lt_u32_e32 50, v0
	s_cbranch_execz .LBB57_257
; %bb.256:
	scratch_load_b64 v[2:3], off, off offset:400
	v_mov_b64_e32 v[120:121], 0
	scratch_store_b64 off, v[120:121], off offset:400
	s_wait_loadcnt 0x0
	ds_store_b64 v1, v[2:3]
.LBB57_257:
	s_wait_xcnt 0x0
	s_or_b32 exec_lo, exec_lo, s0
	s_wait_storecnt_dscnt 0x0
	s_barrier_signal -1
	s_barrier_wait -1
	s_clause 0x3
	scratch_load_b128 v[120:123], off, off offset:400
	scratch_load_b128 v[124:127], off, off offset:416
	;; [unrolled: 1-line block ×4, first 2 shown]
	v_mov_b32_e32 v2, 0
	ds_load_2addr_b64 v[136:139], v2 offset0:109 offset1:110
	ds_load_2addr_b64 v[140:143], v2 offset0:111 offset1:112
	s_mov_b32 s0, exec_lo
	s_wait_loadcnt_dscnt 0x301
	v_fma_f64 v[136:137], v[122:123], v[136:137], 0
	s_wait_loadcnt 0x2
	s_delay_alu instid0(VALU_DEP_1) | instskip(SKIP_1) | instid1(VALU_DEP_1)
	v_fmac_f64_e32 v[136:137], v[124:125], v[138:139]
	s_wait_dscnt 0x0
	v_fmac_f64_e32 v[136:137], v[126:127], v[140:141]
	ds_load_2addr_b64 v[122:125], v2 offset0:113 offset1:114
	ds_load_b64 v[126:127], v2 offset:920
	s_wait_loadcnt 0x1
	v_fmac_f64_e32 v[136:137], v[128:129], v[142:143]
	s_wait_dscnt 0x1
	s_delay_alu instid0(VALU_DEP_1) | instskip(SKIP_1) | instid1(VALU_DEP_1)
	v_fmac_f64_e32 v[136:137], v[130:131], v[122:123]
	s_wait_loadcnt 0x0
	v_fmac_f64_e32 v[136:137], v[132:133], v[124:125]
	s_wait_dscnt 0x0
	s_delay_alu instid0(VALU_DEP_1) | instskip(NEXT) | instid1(VALU_DEP_1)
	v_fmac_f64_e32 v[136:137], v[134:135], v[126:127]
	v_add_f64_e64 v[120:121], v[120:121], -v[136:137]
	scratch_store_b64 off, v[120:121], off offset:400
	s_wait_xcnt 0x0
	v_cmpx_lt_u32_e32 49, v0
	s_cbranch_execz .LBB57_259
; %bb.258:
	scratch_load_b64 v[120:121], off, off offset:392
	v_mov_b64_e32 v[122:123], 0
	scratch_store_b64 off, v[122:123], off offset:392
	s_wait_loadcnt 0x0
	ds_store_b64 v1, v[120:121]
.LBB57_259:
	s_wait_xcnt 0x0
	s_or_b32 exec_lo, exec_lo, s0
	s_wait_storecnt_dscnt 0x0
	s_barrier_signal -1
	s_barrier_wait -1
	s_clause 0x4
	scratch_load_b128 v[120:123], off, off offset:392
	scratch_load_b128 v[124:127], off, off offset:408
	;; [unrolled: 1-line block ×4, first 2 shown]
	scratch_load_b64 v[144:145], off, off offset:456
	ds_load_b128 v[136:139], v2 offset:864
	ds_load_b128 v[140:143], v2 offset:880
	s_mov_b32 s0, exec_lo
	s_wait_loadcnt_dscnt 0x401
	v_fma_f64 v[136:137], v[122:123], v[136:137], 0
	s_wait_loadcnt 0x3
	s_delay_alu instid0(VALU_DEP_1) | instskip(SKIP_1) | instid1(VALU_DEP_1)
	v_fmac_f64_e32 v[136:137], v[124:125], v[138:139]
	s_wait_dscnt 0x0
	v_fmac_f64_e32 v[136:137], v[126:127], v[140:141]
	s_wait_loadcnt 0x2
	s_delay_alu instid0(VALU_DEP_1)
	v_fmac_f64_e32 v[136:137], v[128:129], v[142:143]
	ds_load_b128 v[122:125], v2 offset:896
	ds_load_b128 v[126:129], v2 offset:912
	s_wait_dscnt 0x1
	v_fmac_f64_e32 v[136:137], v[130:131], v[122:123]
	s_wait_loadcnt 0x1
	s_delay_alu instid0(VALU_DEP_1) | instskip(SKIP_1) | instid1(VALU_DEP_1)
	v_fmac_f64_e32 v[136:137], v[132:133], v[124:125]
	s_wait_dscnt 0x0
	v_fmac_f64_e32 v[136:137], v[134:135], v[126:127]
	s_wait_loadcnt 0x0
	s_delay_alu instid0(VALU_DEP_1) | instskip(NEXT) | instid1(VALU_DEP_1)
	v_fmac_f64_e32 v[136:137], v[144:145], v[128:129]
	v_add_f64_e64 v[2:3], v[120:121], -v[136:137]
	scratch_store_b64 off, v[2:3], off offset:392
	s_wait_xcnt 0x0
	v_cmpx_lt_u32_e32 48, v0
	s_cbranch_execz .LBB57_261
; %bb.260:
	scratch_load_b64 v[2:3], off, off offset:384
	v_mov_b64_e32 v[120:121], 0
	scratch_store_b64 off, v[120:121], off offset:384
	s_wait_loadcnt 0x0
	ds_store_b64 v1, v[2:3]
.LBB57_261:
	s_wait_xcnt 0x0
	s_or_b32 exec_lo, exec_lo, s0
	s_wait_storecnt_dscnt 0x0
	s_barrier_signal -1
	s_barrier_wait -1
	s_clause 0x4
	scratch_load_b128 v[120:123], off, off offset:384
	scratch_load_b128 v[124:127], off, off offset:400
	;; [unrolled: 1-line block ×5, first 2 shown]
	v_mov_b32_e32 v2, 0
	ds_load_2addr_b64 v[140:143], v2 offset0:107 offset1:108
	ds_load_2addr_b64 v[144:147], v2 offset0:109 offset1:110
	s_mov_b32 s0, exec_lo
	s_wait_loadcnt_dscnt 0x401
	v_fma_f64 v[140:141], v[122:123], v[140:141], 0
	s_wait_loadcnt 0x3
	s_delay_alu instid0(VALU_DEP_1) | instskip(SKIP_1) | instid1(VALU_DEP_1)
	v_fmac_f64_e32 v[140:141], v[124:125], v[142:143]
	s_wait_dscnt 0x0
	v_fmac_f64_e32 v[140:141], v[126:127], v[144:145]
	s_wait_loadcnt 0x2
	s_delay_alu instid0(VALU_DEP_1)
	v_fmac_f64_e32 v[140:141], v[128:129], v[146:147]
	ds_load_2addr_b64 v[122:125], v2 offset0:111 offset1:112
	ds_load_2addr_b64 v[126:129], v2 offset0:113 offset1:114
	s_wait_dscnt 0x1
	v_fmac_f64_e32 v[140:141], v[130:131], v[122:123]
	ds_load_b64 v[122:123], v2 offset:920
	s_wait_loadcnt 0x1
	v_fmac_f64_e32 v[140:141], v[132:133], v[124:125]
	s_wait_dscnt 0x1
	s_delay_alu instid0(VALU_DEP_1) | instskip(SKIP_1) | instid1(VALU_DEP_1)
	v_fmac_f64_e32 v[140:141], v[134:135], v[126:127]
	s_wait_loadcnt 0x0
	v_fmac_f64_e32 v[140:141], v[136:137], v[128:129]
	s_wait_dscnt 0x0
	s_delay_alu instid0(VALU_DEP_1) | instskip(NEXT) | instid1(VALU_DEP_1)
	v_fmac_f64_e32 v[140:141], v[138:139], v[122:123]
	v_add_f64_e64 v[120:121], v[120:121], -v[140:141]
	scratch_store_b64 off, v[120:121], off offset:384
	s_wait_xcnt 0x0
	v_cmpx_lt_u32_e32 47, v0
	s_cbranch_execz .LBB57_263
; %bb.262:
	scratch_load_b64 v[120:121], off, off offset:376
	v_mov_b64_e32 v[122:123], 0
	scratch_store_b64 off, v[122:123], off offset:376
	s_wait_loadcnt 0x0
	ds_store_b64 v1, v[120:121]
.LBB57_263:
	s_wait_xcnt 0x0
	s_or_b32 exec_lo, exec_lo, s0
	s_wait_storecnt_dscnt 0x0
	s_barrier_signal -1
	s_barrier_wait -1
	s_clause 0x5
	scratch_load_b128 v[120:123], off, off offset:376
	scratch_load_b128 v[124:127], off, off offset:392
	;; [unrolled: 1-line block ×5, first 2 shown]
	scratch_load_b64 v[148:149], off, off offset:456
	ds_load_b128 v[140:143], v2 offset:848
	ds_load_b128 v[144:147], v2 offset:864
	s_mov_b32 s0, exec_lo
	s_wait_loadcnt_dscnt 0x501
	v_fma_f64 v[140:141], v[122:123], v[140:141], 0
	s_wait_loadcnt 0x4
	s_delay_alu instid0(VALU_DEP_1) | instskip(SKIP_1) | instid1(VALU_DEP_1)
	v_fmac_f64_e32 v[140:141], v[124:125], v[142:143]
	s_wait_dscnt 0x0
	v_fmac_f64_e32 v[140:141], v[126:127], v[144:145]
	s_wait_loadcnt 0x3
	s_delay_alu instid0(VALU_DEP_1)
	v_fmac_f64_e32 v[140:141], v[128:129], v[146:147]
	ds_load_b128 v[122:125], v2 offset:880
	ds_load_b128 v[126:129], v2 offset:896
	s_wait_dscnt 0x1
	v_fmac_f64_e32 v[140:141], v[130:131], v[122:123]
	s_wait_loadcnt 0x2
	s_delay_alu instid0(VALU_DEP_1) | instskip(SKIP_4) | instid1(VALU_DEP_1)
	v_fmac_f64_e32 v[140:141], v[132:133], v[124:125]
	ds_load_b128 v[122:125], v2 offset:912
	s_wait_dscnt 0x1
	v_fmac_f64_e32 v[140:141], v[134:135], v[126:127]
	s_wait_loadcnt 0x1
	v_fmac_f64_e32 v[140:141], v[136:137], v[128:129]
	s_wait_dscnt 0x0
	s_delay_alu instid0(VALU_DEP_1) | instskip(SKIP_1) | instid1(VALU_DEP_1)
	v_fmac_f64_e32 v[140:141], v[138:139], v[122:123]
	s_wait_loadcnt 0x0
	v_fmac_f64_e32 v[140:141], v[148:149], v[124:125]
	s_delay_alu instid0(VALU_DEP_1)
	v_add_f64_e64 v[2:3], v[120:121], -v[140:141]
	scratch_store_b64 off, v[2:3], off offset:376
	s_wait_xcnt 0x0
	v_cmpx_lt_u32_e32 46, v0
	s_cbranch_execz .LBB57_265
; %bb.264:
	scratch_load_b64 v[2:3], off, off offset:368
	v_mov_b64_e32 v[120:121], 0
	scratch_store_b64 off, v[120:121], off offset:368
	s_wait_loadcnt 0x0
	ds_store_b64 v1, v[2:3]
.LBB57_265:
	s_wait_xcnt 0x0
	s_or_b32 exec_lo, exec_lo, s0
	s_wait_storecnt_dscnt 0x0
	s_barrier_signal -1
	s_barrier_wait -1
	s_clause 0x5
	scratch_load_b128 v[120:123], off, off offset:368
	scratch_load_b128 v[124:127], off, off offset:384
	scratch_load_b128 v[128:131], off, off offset:400
	scratch_load_b128 v[132:135], off, off offset:416
	scratch_load_b128 v[136:139], off, off offset:432
	scratch_load_b128 v[140:143], off, off offset:448
	v_mov_b32_e32 v2, 0
	ds_load_2addr_b64 v[144:147], v2 offset0:105 offset1:106
	ds_load_2addr_b64 v[148:151], v2 offset0:107 offset1:108
	s_mov_b32 s0, exec_lo
	s_wait_loadcnt_dscnt 0x501
	v_fma_f64 v[144:145], v[122:123], v[144:145], 0
	s_wait_loadcnt 0x4
	s_delay_alu instid0(VALU_DEP_1) | instskip(SKIP_1) | instid1(VALU_DEP_1)
	v_fmac_f64_e32 v[144:145], v[124:125], v[146:147]
	s_wait_dscnt 0x0
	v_fmac_f64_e32 v[144:145], v[126:127], v[148:149]
	s_wait_loadcnt 0x3
	s_delay_alu instid0(VALU_DEP_1)
	v_fmac_f64_e32 v[144:145], v[128:129], v[150:151]
	ds_load_2addr_b64 v[122:125], v2 offset0:109 offset1:110
	ds_load_2addr_b64 v[126:129], v2 offset0:111 offset1:112
	s_wait_dscnt 0x1
	v_fmac_f64_e32 v[144:145], v[130:131], v[122:123]
	s_wait_loadcnt 0x2
	s_delay_alu instid0(VALU_DEP_1) | instskip(SKIP_1) | instid1(VALU_DEP_1)
	v_fmac_f64_e32 v[144:145], v[132:133], v[124:125]
	s_wait_dscnt 0x0
	v_fmac_f64_e32 v[144:145], v[134:135], v[126:127]
	ds_load_2addr_b64 v[122:125], v2 offset0:113 offset1:114
	ds_load_b64 v[126:127], v2 offset:920
	s_wait_loadcnt 0x1
	v_fmac_f64_e32 v[144:145], v[136:137], v[128:129]
	s_wait_dscnt 0x1
	s_delay_alu instid0(VALU_DEP_1) | instskip(SKIP_1) | instid1(VALU_DEP_1)
	v_fmac_f64_e32 v[144:145], v[138:139], v[122:123]
	s_wait_loadcnt 0x0
	v_fmac_f64_e32 v[144:145], v[140:141], v[124:125]
	s_wait_dscnt 0x0
	s_delay_alu instid0(VALU_DEP_1) | instskip(NEXT) | instid1(VALU_DEP_1)
	v_fmac_f64_e32 v[144:145], v[142:143], v[126:127]
	v_add_f64_e64 v[120:121], v[120:121], -v[144:145]
	scratch_store_b64 off, v[120:121], off offset:368
	s_wait_xcnt 0x0
	v_cmpx_lt_u32_e32 45, v0
	s_cbranch_execz .LBB57_267
; %bb.266:
	scratch_load_b64 v[120:121], off, off offset:360
	v_mov_b64_e32 v[122:123], 0
	scratch_store_b64 off, v[122:123], off offset:360
	s_wait_loadcnt 0x0
	ds_store_b64 v1, v[120:121]
.LBB57_267:
	s_wait_xcnt 0x0
	s_or_b32 exec_lo, exec_lo, s0
	s_wait_storecnt_dscnt 0x0
	s_barrier_signal -1
	s_barrier_wait -1
	s_clause 0x5
	scratch_load_b128 v[120:123], off, off offset:360
	scratch_load_b128 v[124:127], off, off offset:376
	;; [unrolled: 1-line block ×6, first 2 shown]
	ds_load_b128 v[144:147], v2 offset:832
	ds_load_b128 v[148:151], v2 offset:848
	s_mov_b32 s0, exec_lo
	s_wait_loadcnt_dscnt 0x501
	v_fma_f64 v[144:145], v[122:123], v[144:145], 0
	s_wait_loadcnt 0x4
	s_delay_alu instid0(VALU_DEP_1) | instskip(SKIP_4) | instid1(VALU_DEP_1)
	v_fmac_f64_e32 v[144:145], v[124:125], v[146:147]
	scratch_load_b64 v[146:147], off, off offset:456
	s_wait_dscnt 0x0
	v_fmac_f64_e32 v[144:145], v[126:127], v[148:149]
	s_wait_loadcnt 0x4
	v_fmac_f64_e32 v[144:145], v[128:129], v[150:151]
	ds_load_b128 v[122:125], v2 offset:864
	ds_load_b128 v[126:129], v2 offset:880
	s_wait_dscnt 0x1
	v_fmac_f64_e32 v[144:145], v[130:131], v[122:123]
	s_wait_loadcnt 0x3
	s_delay_alu instid0(VALU_DEP_1) | instskip(SKIP_1) | instid1(VALU_DEP_1)
	v_fmac_f64_e32 v[144:145], v[132:133], v[124:125]
	s_wait_dscnt 0x0
	v_fmac_f64_e32 v[144:145], v[134:135], v[126:127]
	s_wait_loadcnt 0x2
	s_delay_alu instid0(VALU_DEP_1)
	v_fmac_f64_e32 v[144:145], v[136:137], v[128:129]
	ds_load_b128 v[122:125], v2 offset:896
	ds_load_b128 v[126:129], v2 offset:912
	s_wait_dscnt 0x1
	v_fmac_f64_e32 v[144:145], v[138:139], v[122:123]
	s_wait_loadcnt 0x1
	s_delay_alu instid0(VALU_DEP_1) | instskip(SKIP_1) | instid1(VALU_DEP_1)
	v_fmac_f64_e32 v[144:145], v[140:141], v[124:125]
	s_wait_dscnt 0x0
	v_fmac_f64_e32 v[144:145], v[142:143], v[126:127]
	s_wait_loadcnt 0x0
	s_delay_alu instid0(VALU_DEP_1) | instskip(NEXT) | instid1(VALU_DEP_1)
	v_fmac_f64_e32 v[144:145], v[146:147], v[128:129]
	v_add_f64_e64 v[2:3], v[120:121], -v[144:145]
	scratch_store_b64 off, v[2:3], off offset:360
	s_wait_xcnt 0x0
	v_cmpx_lt_u32_e32 44, v0
	s_cbranch_execz .LBB57_269
; %bb.268:
	scratch_load_b64 v[2:3], off, off offset:352
	v_mov_b64_e32 v[120:121], 0
	scratch_store_b64 off, v[120:121], off offset:352
	s_wait_loadcnt 0x0
	ds_store_b64 v1, v[2:3]
.LBB57_269:
	s_wait_xcnt 0x0
	s_or_b32 exec_lo, exec_lo, s0
	s_wait_storecnt_dscnt 0x0
	s_barrier_signal -1
	s_barrier_wait -1
	s_clause 0x5
	scratch_load_b128 v[120:123], off, off offset:352
	scratch_load_b128 v[124:127], off, off offset:368
	;; [unrolled: 1-line block ×6, first 2 shown]
	v_mov_b32_e32 v2, 0
	ds_load_2addr_b64 v[144:147], v2 offset0:103 offset1:104
	ds_load_2addr_b64 v[148:151], v2 offset0:105 offset1:106
	s_mov_b32 s0, exec_lo
	s_wait_loadcnt_dscnt 0x501
	v_fma_f64 v[152:153], v[122:123], v[144:145], 0
	s_wait_loadcnt 0x4
	s_delay_alu instid0(VALU_DEP_1) | instskip(SKIP_4) | instid1(VALU_DEP_1)
	v_fmac_f64_e32 v[152:153], v[124:125], v[146:147]
	scratch_load_b128 v[122:125], off, off offset:448
	s_wait_dscnt 0x0
	v_fmac_f64_e32 v[152:153], v[126:127], v[148:149]
	s_wait_loadcnt 0x4
	v_fmac_f64_e32 v[152:153], v[128:129], v[150:151]
	ds_load_2addr_b64 v[126:129], v2 offset0:107 offset1:108
	ds_load_2addr_b64 v[144:147], v2 offset0:109 offset1:110
	s_wait_dscnt 0x1
	v_fmac_f64_e32 v[152:153], v[130:131], v[126:127]
	s_wait_loadcnt 0x3
	s_delay_alu instid0(VALU_DEP_1)
	v_fmac_f64_e32 v[152:153], v[132:133], v[128:129]
	ds_load_2addr_b64 v[126:129], v2 offset0:111 offset1:112
	ds_load_2addr_b64 v[130:133], v2 offset0:113 offset1:114
	s_wait_dscnt 0x2
	v_fmac_f64_e32 v[152:153], v[134:135], v[144:145]
	s_wait_loadcnt 0x2
	s_delay_alu instid0(VALU_DEP_1) | instskip(SKIP_1) | instid1(VALU_DEP_1)
	v_fmac_f64_e32 v[152:153], v[136:137], v[146:147]
	s_wait_dscnt 0x1
	v_fmac_f64_e32 v[152:153], v[138:139], v[126:127]
	s_wait_loadcnt 0x1
	s_delay_alu instid0(VALU_DEP_1) | instskip(SKIP_1) | instid1(VALU_DEP_1)
	v_fmac_f64_e32 v[152:153], v[140:141], v[128:129]
	s_wait_dscnt 0x0
	v_fmac_f64_e32 v[152:153], v[142:143], v[130:131]
	s_wait_loadcnt 0x0
	s_delay_alu instid0(VALU_DEP_1) | instskip(SKIP_3) | instid1(VALU_DEP_1)
	v_fmac_f64_e32 v[152:153], v[122:123], v[132:133]
	ds_load_b64 v[122:123], v2 offset:920
	s_wait_dscnt 0x0
	v_fmac_f64_e32 v[152:153], v[124:125], v[122:123]
	v_add_f64_e64 v[120:121], v[120:121], -v[152:153]
	scratch_store_b64 off, v[120:121], off offset:352
	s_wait_xcnt 0x0
	v_cmpx_lt_u32_e32 43, v0
	s_cbranch_execz .LBB57_271
; %bb.270:
	scratch_load_b64 v[120:121], off, off offset:344
	v_mov_b64_e32 v[122:123], 0
	scratch_store_b64 off, v[122:123], off offset:344
	s_wait_loadcnt 0x0
	ds_store_b64 v1, v[120:121]
.LBB57_271:
	s_wait_xcnt 0x0
	s_or_b32 exec_lo, exec_lo, s0
	s_wait_storecnt_dscnt 0x0
	s_barrier_signal -1
	s_barrier_wait -1
	s_clause 0x5
	scratch_load_b128 v[120:123], off, off offset:344
	scratch_load_b128 v[124:127], off, off offset:360
	;; [unrolled: 1-line block ×6, first 2 shown]
	ds_load_b128 v[144:147], v2 offset:816
	ds_load_b128 v[148:151], v2 offset:832
	s_mov_b32 s0, exec_lo
	s_wait_loadcnt_dscnt 0x501
	v_fma_f64 v[152:153], v[122:123], v[144:145], 0
	s_wait_loadcnt 0x4
	s_delay_alu instid0(VALU_DEP_1)
	v_fmac_f64_e32 v[152:153], v[124:125], v[146:147]
	scratch_load_b128 v[122:125], off, off offset:440
	s_wait_dscnt 0x0
	v_fmac_f64_e32 v[152:153], v[126:127], v[148:149]
	scratch_load_b64 v[148:149], off, off offset:456
	s_wait_loadcnt 0x5
	v_fmac_f64_e32 v[152:153], v[128:129], v[150:151]
	ds_load_b128 v[126:129], v2 offset:848
	ds_load_b128 v[144:147], v2 offset:864
	s_wait_dscnt 0x1
	v_fmac_f64_e32 v[152:153], v[130:131], v[126:127]
	s_wait_loadcnt 0x4
	s_delay_alu instid0(VALU_DEP_1)
	v_fmac_f64_e32 v[152:153], v[132:133], v[128:129]
	ds_load_b128 v[126:129], v2 offset:880
	ds_load_b128 v[130:133], v2 offset:896
	s_wait_dscnt 0x2
	v_fmac_f64_e32 v[152:153], v[134:135], v[144:145]
	s_wait_loadcnt 0x3
	s_delay_alu instid0(VALU_DEP_1) | instskip(SKIP_1) | instid1(VALU_DEP_1)
	v_fmac_f64_e32 v[152:153], v[136:137], v[146:147]
	s_wait_dscnt 0x1
	v_fmac_f64_e32 v[152:153], v[138:139], v[126:127]
	s_wait_loadcnt 0x2
	s_delay_alu instid0(VALU_DEP_1) | instskip(SKIP_4) | instid1(VALU_DEP_1)
	v_fmac_f64_e32 v[152:153], v[140:141], v[128:129]
	ds_load_b128 v[126:129], v2 offset:912
	s_wait_dscnt 0x1
	v_fmac_f64_e32 v[152:153], v[142:143], v[130:131]
	s_wait_loadcnt 0x1
	v_fmac_f64_e32 v[152:153], v[122:123], v[132:133]
	s_wait_dscnt 0x0
	s_delay_alu instid0(VALU_DEP_1) | instskip(SKIP_1) | instid1(VALU_DEP_1)
	v_fmac_f64_e32 v[152:153], v[124:125], v[126:127]
	s_wait_loadcnt 0x0
	v_fmac_f64_e32 v[152:153], v[148:149], v[128:129]
	s_delay_alu instid0(VALU_DEP_1)
	v_add_f64_e64 v[2:3], v[120:121], -v[152:153]
	scratch_store_b64 off, v[2:3], off offset:344
	s_wait_xcnt 0x0
	v_cmpx_lt_u32_e32 42, v0
	s_cbranch_execz .LBB57_273
; %bb.272:
	scratch_load_b64 v[2:3], off, off offset:336
	v_mov_b64_e32 v[120:121], 0
	scratch_store_b64 off, v[120:121], off offset:336
	s_wait_loadcnt 0x0
	ds_store_b64 v1, v[2:3]
.LBB57_273:
	s_wait_xcnt 0x0
	s_or_b32 exec_lo, exec_lo, s0
	s_wait_storecnt_dscnt 0x0
	s_barrier_signal -1
	s_barrier_wait -1
	s_clause 0x5
	scratch_load_b128 v[120:123], off, off offset:336
	scratch_load_b128 v[124:127], off, off offset:352
	;; [unrolled: 1-line block ×6, first 2 shown]
	v_mov_b32_e32 v2, 0
	ds_load_2addr_b64 v[144:147], v2 offset0:101 offset1:102
	ds_load_2addr_b64 v[148:151], v2 offset0:103 offset1:104
	s_mov_b32 s0, exec_lo
	s_wait_loadcnt_dscnt 0x501
	v_fma_f64 v[152:153], v[122:123], v[144:145], 0
	s_wait_loadcnt 0x4
	s_delay_alu instid0(VALU_DEP_1) | instskip(SKIP_4) | instid1(VALU_DEP_1)
	v_fmac_f64_e32 v[152:153], v[124:125], v[146:147]
	scratch_load_b128 v[122:125], off, off offset:432
	s_wait_dscnt 0x0
	v_fmac_f64_e32 v[152:153], v[126:127], v[148:149]
	s_wait_loadcnt 0x4
	v_fmac_f64_e32 v[152:153], v[128:129], v[150:151]
	scratch_load_b128 v[126:129], off, off offset:448
	ds_load_2addr_b64 v[144:147], v2 offset0:105 offset1:106
	ds_load_2addr_b64 v[148:151], v2 offset0:107 offset1:108
	s_wait_dscnt 0x1
	v_fmac_f64_e32 v[152:153], v[130:131], v[144:145]
	s_wait_loadcnt 0x4
	s_delay_alu instid0(VALU_DEP_1) | instskip(SKIP_1) | instid1(VALU_DEP_1)
	v_fmac_f64_e32 v[152:153], v[132:133], v[146:147]
	s_wait_dscnt 0x0
	v_fmac_f64_e32 v[152:153], v[134:135], v[148:149]
	s_wait_loadcnt 0x3
	s_delay_alu instid0(VALU_DEP_1)
	v_fmac_f64_e32 v[152:153], v[136:137], v[150:151]
	ds_load_2addr_b64 v[130:133], v2 offset0:109 offset1:110
	ds_load_2addr_b64 v[134:137], v2 offset0:111 offset1:112
	s_wait_dscnt 0x1
	v_fmac_f64_e32 v[152:153], v[138:139], v[130:131]
	s_wait_loadcnt 0x2
	s_delay_alu instid0(VALU_DEP_1) | instskip(SKIP_1) | instid1(VALU_DEP_1)
	v_fmac_f64_e32 v[152:153], v[140:141], v[132:133]
	s_wait_dscnt 0x0
	v_fmac_f64_e32 v[152:153], v[142:143], v[134:135]
	s_wait_loadcnt 0x1
	s_delay_alu instid0(VALU_DEP_1)
	v_fmac_f64_e32 v[152:153], v[122:123], v[136:137]
	ds_load_2addr_b64 v[130:133], v2 offset0:113 offset1:114
	ds_load_b64 v[122:123], v2 offset:920
	s_wait_dscnt 0x1
	v_fmac_f64_e32 v[152:153], v[124:125], v[130:131]
	s_wait_loadcnt 0x0
	s_delay_alu instid0(VALU_DEP_1) | instskip(SKIP_1) | instid1(VALU_DEP_1)
	v_fmac_f64_e32 v[152:153], v[126:127], v[132:133]
	s_wait_dscnt 0x0
	v_fmac_f64_e32 v[152:153], v[128:129], v[122:123]
	s_delay_alu instid0(VALU_DEP_1)
	v_add_f64_e64 v[120:121], v[120:121], -v[152:153]
	scratch_store_b64 off, v[120:121], off offset:336
	s_wait_xcnt 0x0
	v_cmpx_lt_u32_e32 41, v0
	s_cbranch_execz .LBB57_275
; %bb.274:
	scratch_load_b64 v[120:121], off, off offset:328
	v_mov_b64_e32 v[122:123], 0
	scratch_store_b64 off, v[122:123], off offset:328
	s_wait_loadcnt 0x0
	ds_store_b64 v1, v[120:121]
.LBB57_275:
	s_wait_xcnt 0x0
	s_or_b32 exec_lo, exec_lo, s0
	s_wait_storecnt_dscnt 0x0
	s_barrier_signal -1
	s_barrier_wait -1
	s_clause 0x5
	scratch_load_b128 v[120:123], off, off offset:328
	scratch_load_b128 v[124:127], off, off offset:344
	;; [unrolled: 1-line block ×6, first 2 shown]
	ds_load_b128 v[144:147], v2 offset:800
	ds_load_b128 v[148:151], v2 offset:816
	s_mov_b32 s0, exec_lo
	s_wait_loadcnt_dscnt 0x501
	v_fma_f64 v[152:153], v[122:123], v[144:145], 0
	s_wait_loadcnt 0x4
	s_delay_alu instid0(VALU_DEP_1) | instskip(SKIP_4) | instid1(VALU_DEP_1)
	v_fmac_f64_e32 v[152:153], v[124:125], v[146:147]
	scratch_load_b128 v[122:125], off, off offset:424
	s_wait_dscnt 0x0
	v_fmac_f64_e32 v[152:153], v[126:127], v[148:149]
	s_wait_loadcnt 0x4
	v_fmac_f64_e32 v[152:153], v[128:129], v[150:151]
	scratch_load_b128 v[126:129], off, off offset:440
	ds_load_b128 v[144:147], v2 offset:832
	ds_load_b128 v[148:151], v2 offset:848
	s_wait_dscnt 0x1
	v_fmac_f64_e32 v[152:153], v[130:131], v[144:145]
	scratch_load_b64 v[144:145], off, off offset:456
	s_wait_loadcnt 0x5
	v_fmac_f64_e32 v[152:153], v[132:133], v[146:147]
	s_wait_dscnt 0x0
	s_delay_alu instid0(VALU_DEP_1) | instskip(SKIP_1) | instid1(VALU_DEP_1)
	v_fmac_f64_e32 v[152:153], v[134:135], v[148:149]
	s_wait_loadcnt 0x4
	v_fmac_f64_e32 v[152:153], v[136:137], v[150:151]
	ds_load_b128 v[130:133], v2 offset:864
	ds_load_b128 v[134:137], v2 offset:880
	s_wait_dscnt 0x1
	v_fmac_f64_e32 v[152:153], v[138:139], v[130:131]
	s_wait_loadcnt 0x3
	s_delay_alu instid0(VALU_DEP_1) | instskip(SKIP_1) | instid1(VALU_DEP_1)
	v_fmac_f64_e32 v[152:153], v[140:141], v[132:133]
	s_wait_dscnt 0x0
	v_fmac_f64_e32 v[152:153], v[142:143], v[134:135]
	s_wait_loadcnt 0x2
	s_delay_alu instid0(VALU_DEP_1)
	v_fmac_f64_e32 v[152:153], v[122:123], v[136:137]
	ds_load_b128 v[130:133], v2 offset:896
	ds_load_b128 v[134:137], v2 offset:912
	s_wait_dscnt 0x1
	v_fmac_f64_e32 v[152:153], v[124:125], v[130:131]
	s_wait_loadcnt 0x1
	s_delay_alu instid0(VALU_DEP_1) | instskip(SKIP_1) | instid1(VALU_DEP_1)
	v_fmac_f64_e32 v[152:153], v[126:127], v[132:133]
	s_wait_dscnt 0x0
	v_fmac_f64_e32 v[152:153], v[128:129], v[134:135]
	s_wait_loadcnt 0x0
	s_delay_alu instid0(VALU_DEP_1) | instskip(NEXT) | instid1(VALU_DEP_1)
	v_fmac_f64_e32 v[152:153], v[144:145], v[136:137]
	v_add_f64_e64 v[2:3], v[120:121], -v[152:153]
	scratch_store_b64 off, v[2:3], off offset:328
	s_wait_xcnt 0x0
	v_cmpx_lt_u32_e32 40, v0
	s_cbranch_execz .LBB57_277
; %bb.276:
	scratch_load_b64 v[2:3], off, off offset:320
	v_mov_b64_e32 v[120:121], 0
	scratch_store_b64 off, v[120:121], off offset:320
	s_wait_loadcnt 0x0
	ds_store_b64 v1, v[2:3]
.LBB57_277:
	s_wait_xcnt 0x0
	s_or_b32 exec_lo, exec_lo, s0
	s_wait_storecnt_dscnt 0x0
	s_barrier_signal -1
	s_barrier_wait -1
	s_clause 0x5
	scratch_load_b128 v[120:123], off, off offset:320
	scratch_load_b128 v[124:127], off, off offset:336
	;; [unrolled: 1-line block ×6, first 2 shown]
	v_mov_b32_e32 v2, 0
	ds_load_2addr_b64 v[144:147], v2 offset0:99 offset1:100
	ds_load_2addr_b64 v[148:151], v2 offset0:101 offset1:102
	s_mov_b32 s0, exec_lo
	s_wait_loadcnt_dscnt 0x501
	v_fma_f64 v[152:153], v[122:123], v[144:145], 0
	s_wait_loadcnt 0x4
	s_delay_alu instid0(VALU_DEP_1) | instskip(SKIP_4) | instid1(VALU_DEP_1)
	v_fmac_f64_e32 v[152:153], v[124:125], v[146:147]
	scratch_load_b128 v[122:125], off, off offset:416
	s_wait_dscnt 0x0
	v_fmac_f64_e32 v[152:153], v[126:127], v[148:149]
	s_wait_loadcnt 0x4
	v_fmac_f64_e32 v[152:153], v[128:129], v[150:151]
	scratch_load_b128 v[126:129], off, off offset:432
	ds_load_2addr_b64 v[144:147], v2 offset0:103 offset1:104
	ds_load_2addr_b64 v[148:151], v2 offset0:105 offset1:106
	s_wait_dscnt 0x1
	v_fmac_f64_e32 v[152:153], v[130:131], v[144:145]
	s_wait_loadcnt 0x4
	s_delay_alu instid0(VALU_DEP_1) | instskip(SKIP_4) | instid1(VALU_DEP_1)
	v_fmac_f64_e32 v[152:153], v[132:133], v[146:147]
	scratch_load_b128 v[130:133], off, off offset:448
	s_wait_dscnt 0x0
	v_fmac_f64_e32 v[152:153], v[134:135], v[148:149]
	s_wait_loadcnt 0x4
	v_fmac_f64_e32 v[152:153], v[136:137], v[150:151]
	ds_load_2addr_b64 v[134:137], v2 offset0:107 offset1:108
	ds_load_2addr_b64 v[144:147], v2 offset0:109 offset1:110
	s_wait_dscnt 0x1
	v_fmac_f64_e32 v[152:153], v[138:139], v[134:135]
	s_wait_loadcnt 0x3
	s_delay_alu instid0(VALU_DEP_1)
	v_fmac_f64_e32 v[152:153], v[140:141], v[136:137]
	ds_load_2addr_b64 v[134:137], v2 offset0:111 offset1:112
	ds_load_2addr_b64 v[138:141], v2 offset0:113 offset1:114
	s_wait_dscnt 0x2
	v_fmac_f64_e32 v[152:153], v[142:143], v[144:145]
	s_wait_loadcnt 0x2
	s_delay_alu instid0(VALU_DEP_1) | instskip(SKIP_4) | instid1(VALU_DEP_1)
	v_fmac_f64_e32 v[152:153], v[122:123], v[146:147]
	ds_load_b64 v[122:123], v2 offset:920
	s_wait_dscnt 0x2
	v_fmac_f64_e32 v[152:153], v[124:125], v[134:135]
	s_wait_loadcnt 0x1
	v_fmac_f64_e32 v[152:153], v[126:127], v[136:137]
	s_wait_dscnt 0x1
	s_delay_alu instid0(VALU_DEP_1) | instskip(SKIP_1) | instid1(VALU_DEP_1)
	v_fmac_f64_e32 v[152:153], v[128:129], v[138:139]
	s_wait_loadcnt 0x0
	v_fmac_f64_e32 v[152:153], v[130:131], v[140:141]
	s_wait_dscnt 0x0
	s_delay_alu instid0(VALU_DEP_1) | instskip(NEXT) | instid1(VALU_DEP_1)
	v_fmac_f64_e32 v[152:153], v[132:133], v[122:123]
	v_add_f64_e64 v[120:121], v[120:121], -v[152:153]
	scratch_store_b64 off, v[120:121], off offset:320
	s_wait_xcnt 0x0
	v_cmpx_lt_u32_e32 39, v0
	s_cbranch_execz .LBB57_279
; %bb.278:
	scratch_load_b64 v[120:121], off, off offset:312
	v_mov_b64_e32 v[122:123], 0
	scratch_store_b64 off, v[122:123], off offset:312
	s_wait_loadcnt 0x0
	ds_store_b64 v1, v[120:121]
.LBB57_279:
	s_wait_xcnt 0x0
	s_or_b32 exec_lo, exec_lo, s0
	s_wait_storecnt_dscnt 0x0
	s_barrier_signal -1
	s_barrier_wait -1
	s_clause 0x5
	scratch_load_b128 v[120:123], off, off offset:312
	scratch_load_b128 v[124:127], off, off offset:328
	;; [unrolled: 1-line block ×6, first 2 shown]
	ds_load_b128 v[144:147], v2 offset:784
	ds_load_b128 v[148:151], v2 offset:800
	s_mov_b32 s0, exec_lo
	s_wait_loadcnt_dscnt 0x501
	v_fma_f64 v[152:153], v[122:123], v[144:145], 0
	s_wait_loadcnt 0x4
	s_delay_alu instid0(VALU_DEP_1) | instskip(SKIP_4) | instid1(VALU_DEP_1)
	v_fmac_f64_e32 v[152:153], v[124:125], v[146:147]
	scratch_load_b128 v[122:125], off, off offset:408
	s_wait_dscnt 0x0
	v_fmac_f64_e32 v[152:153], v[126:127], v[148:149]
	s_wait_loadcnt 0x4
	v_fmac_f64_e32 v[152:153], v[128:129], v[150:151]
	scratch_load_b128 v[126:129], off, off offset:424
	ds_load_b128 v[144:147], v2 offset:816
	ds_load_b128 v[148:151], v2 offset:832
	s_wait_dscnt 0x1
	v_fmac_f64_e32 v[152:153], v[130:131], v[144:145]
	s_wait_loadcnt 0x4
	s_delay_alu instid0(VALU_DEP_1)
	v_fmac_f64_e32 v[152:153], v[132:133], v[146:147]
	scratch_load_b128 v[130:133], off, off offset:440
	s_wait_dscnt 0x0
	v_fmac_f64_e32 v[152:153], v[134:135], v[148:149]
	scratch_load_b64 v[148:149], off, off offset:456
	s_wait_loadcnt 0x5
	v_fmac_f64_e32 v[152:153], v[136:137], v[150:151]
	ds_load_b128 v[134:137], v2 offset:848
	ds_load_b128 v[144:147], v2 offset:864
	s_wait_dscnt 0x1
	v_fmac_f64_e32 v[152:153], v[138:139], v[134:135]
	s_wait_loadcnt 0x4
	s_delay_alu instid0(VALU_DEP_1)
	v_fmac_f64_e32 v[152:153], v[140:141], v[136:137]
	ds_load_b128 v[134:137], v2 offset:880
	ds_load_b128 v[138:141], v2 offset:896
	s_wait_dscnt 0x2
	v_fmac_f64_e32 v[152:153], v[142:143], v[144:145]
	s_wait_loadcnt 0x3
	s_delay_alu instid0(VALU_DEP_1) | instskip(SKIP_1) | instid1(VALU_DEP_1)
	v_fmac_f64_e32 v[152:153], v[122:123], v[146:147]
	s_wait_dscnt 0x1
	v_fmac_f64_e32 v[152:153], v[124:125], v[134:135]
	ds_load_b128 v[122:125], v2 offset:912
	s_wait_loadcnt 0x2
	v_fmac_f64_e32 v[152:153], v[126:127], v[136:137]
	s_wait_dscnt 0x1
	s_delay_alu instid0(VALU_DEP_1) | instskip(SKIP_1) | instid1(VALU_DEP_1)
	v_fmac_f64_e32 v[152:153], v[128:129], v[138:139]
	s_wait_loadcnt 0x1
	v_fmac_f64_e32 v[152:153], v[130:131], v[140:141]
	s_wait_dscnt 0x0
	s_delay_alu instid0(VALU_DEP_1) | instskip(SKIP_1) | instid1(VALU_DEP_1)
	v_fmac_f64_e32 v[152:153], v[132:133], v[122:123]
	s_wait_loadcnt 0x0
	v_fmac_f64_e32 v[152:153], v[148:149], v[124:125]
	s_delay_alu instid0(VALU_DEP_1)
	v_add_f64_e64 v[2:3], v[120:121], -v[152:153]
	scratch_store_b64 off, v[2:3], off offset:312
	s_wait_xcnt 0x0
	v_cmpx_lt_u32_e32 38, v0
	s_cbranch_execz .LBB57_281
; %bb.280:
	scratch_load_b64 v[2:3], off, off offset:304
	v_mov_b64_e32 v[120:121], 0
	scratch_store_b64 off, v[120:121], off offset:304
	s_wait_loadcnt 0x0
	ds_store_b64 v1, v[2:3]
.LBB57_281:
	s_wait_xcnt 0x0
	s_or_b32 exec_lo, exec_lo, s0
	s_wait_storecnt_dscnt 0x0
	s_barrier_signal -1
	s_barrier_wait -1
	s_clause 0x5
	scratch_load_b128 v[120:123], off, off offset:304
	scratch_load_b128 v[124:127], off, off offset:320
	;; [unrolled: 1-line block ×6, first 2 shown]
	v_mov_b32_e32 v2, 0
	ds_load_2addr_b64 v[144:147], v2 offset0:97 offset1:98
	ds_load_2addr_b64 v[148:151], v2 offset0:99 offset1:100
	s_mov_b32 s0, exec_lo
	s_wait_loadcnt_dscnt 0x501
	v_fma_f64 v[152:153], v[122:123], v[144:145], 0
	s_wait_loadcnt 0x4
	s_delay_alu instid0(VALU_DEP_1) | instskip(SKIP_4) | instid1(VALU_DEP_1)
	v_fmac_f64_e32 v[152:153], v[124:125], v[146:147]
	scratch_load_b128 v[122:125], off, off offset:400
	s_wait_dscnt 0x0
	v_fmac_f64_e32 v[152:153], v[126:127], v[148:149]
	s_wait_loadcnt 0x4
	v_fmac_f64_e32 v[152:153], v[128:129], v[150:151]
	scratch_load_b128 v[126:129], off, off offset:416
	ds_load_2addr_b64 v[144:147], v2 offset0:101 offset1:102
	ds_load_2addr_b64 v[148:151], v2 offset0:103 offset1:104
	s_wait_dscnt 0x1
	v_fmac_f64_e32 v[152:153], v[130:131], v[144:145]
	s_wait_loadcnt 0x4
	s_delay_alu instid0(VALU_DEP_1) | instskip(SKIP_4) | instid1(VALU_DEP_1)
	v_fmac_f64_e32 v[152:153], v[132:133], v[146:147]
	scratch_load_b128 v[130:133], off, off offset:432
	s_wait_dscnt 0x0
	v_fmac_f64_e32 v[152:153], v[134:135], v[148:149]
	s_wait_loadcnt 0x4
	v_fmac_f64_e32 v[152:153], v[136:137], v[150:151]
	scratch_load_b128 v[134:137], off, off offset:448
	ds_load_2addr_b64 v[144:147], v2 offset0:105 offset1:106
	ds_load_2addr_b64 v[148:151], v2 offset0:107 offset1:108
	s_wait_dscnt 0x1
	v_fmac_f64_e32 v[152:153], v[138:139], v[144:145]
	s_wait_loadcnt 0x4
	s_delay_alu instid0(VALU_DEP_1) | instskip(SKIP_1) | instid1(VALU_DEP_1)
	v_fmac_f64_e32 v[152:153], v[140:141], v[146:147]
	s_wait_dscnt 0x0
	v_fmac_f64_e32 v[152:153], v[142:143], v[148:149]
	ds_load_2addr_b64 v[138:141], v2 offset0:109 offset1:110
	ds_load_2addr_b64 v[142:145], v2 offset0:111 offset1:112
	s_wait_loadcnt 0x3
	v_fmac_f64_e32 v[152:153], v[122:123], v[150:151]
	s_wait_dscnt 0x1
	s_delay_alu instid0(VALU_DEP_1) | instskip(SKIP_1) | instid1(VALU_DEP_1)
	v_fmac_f64_e32 v[152:153], v[124:125], v[138:139]
	s_wait_loadcnt 0x2
	v_fmac_f64_e32 v[152:153], v[126:127], v[140:141]
	ds_load_2addr_b64 v[122:125], v2 offset0:113 offset1:114
	ds_load_b64 v[126:127], v2 offset:920
	s_wait_dscnt 0x2
	v_fmac_f64_e32 v[152:153], v[128:129], v[142:143]
	s_wait_loadcnt 0x1
	s_delay_alu instid0(VALU_DEP_1) | instskip(SKIP_1) | instid1(VALU_DEP_1)
	v_fmac_f64_e32 v[152:153], v[130:131], v[144:145]
	s_wait_dscnt 0x1
	v_fmac_f64_e32 v[152:153], v[132:133], v[122:123]
	s_wait_loadcnt 0x0
	s_delay_alu instid0(VALU_DEP_1) | instskip(SKIP_1) | instid1(VALU_DEP_1)
	v_fmac_f64_e32 v[152:153], v[134:135], v[124:125]
	s_wait_dscnt 0x0
	v_fmac_f64_e32 v[152:153], v[136:137], v[126:127]
	s_delay_alu instid0(VALU_DEP_1)
	v_add_f64_e64 v[120:121], v[120:121], -v[152:153]
	scratch_store_b64 off, v[120:121], off offset:304
	s_wait_xcnt 0x0
	v_cmpx_lt_u32_e32 37, v0
	s_cbranch_execz .LBB57_283
; %bb.282:
	scratch_load_b64 v[120:121], off, off offset:296
	v_mov_b64_e32 v[122:123], 0
	scratch_store_b64 off, v[122:123], off offset:296
	s_wait_loadcnt 0x0
	ds_store_b64 v1, v[120:121]
.LBB57_283:
	s_wait_xcnt 0x0
	s_or_b32 exec_lo, exec_lo, s0
	s_wait_storecnt_dscnt 0x0
	s_barrier_signal -1
	s_barrier_wait -1
	s_clause 0x5
	scratch_load_b128 v[120:123], off, off offset:296
	scratch_load_b128 v[124:127], off, off offset:312
	;; [unrolled: 1-line block ×6, first 2 shown]
	ds_load_b128 v[144:147], v2 offset:768
	ds_load_b128 v[148:151], v2 offset:784
	s_mov_b32 s0, exec_lo
	s_wait_loadcnt_dscnt 0x501
	v_fma_f64 v[152:153], v[122:123], v[144:145], 0
	s_wait_loadcnt 0x4
	s_delay_alu instid0(VALU_DEP_1) | instskip(SKIP_4) | instid1(VALU_DEP_1)
	v_fmac_f64_e32 v[152:153], v[124:125], v[146:147]
	scratch_load_b128 v[122:125], off, off offset:392
	s_wait_dscnt 0x0
	v_fmac_f64_e32 v[152:153], v[126:127], v[148:149]
	s_wait_loadcnt 0x4
	v_fmac_f64_e32 v[152:153], v[128:129], v[150:151]
	scratch_load_b128 v[126:129], off, off offset:408
	ds_load_b128 v[144:147], v2 offset:800
	ds_load_b128 v[148:151], v2 offset:816
	s_wait_dscnt 0x1
	v_fmac_f64_e32 v[152:153], v[130:131], v[144:145]
	s_wait_loadcnt 0x4
	s_delay_alu instid0(VALU_DEP_1) | instskip(SKIP_4) | instid1(VALU_DEP_1)
	v_fmac_f64_e32 v[152:153], v[132:133], v[146:147]
	scratch_load_b128 v[130:133], off, off offset:424
	s_wait_dscnt 0x0
	v_fmac_f64_e32 v[152:153], v[134:135], v[148:149]
	s_wait_loadcnt 0x4
	v_fmac_f64_e32 v[152:153], v[136:137], v[150:151]
	scratch_load_b128 v[134:137], off, off offset:440
	ds_load_b128 v[144:147], v2 offset:832
	ds_load_b128 v[148:151], v2 offset:848
	s_wait_dscnt 0x1
	v_fmac_f64_e32 v[152:153], v[138:139], v[144:145]
	s_wait_loadcnt 0x4
	s_delay_alu instid0(VALU_DEP_1)
	v_fmac_f64_e32 v[152:153], v[140:141], v[146:147]
	scratch_load_b64 v[146:147], off, off offset:456
	s_wait_dscnt 0x0
	v_fmac_f64_e32 v[152:153], v[142:143], v[148:149]
	ds_load_b128 v[138:141], v2 offset:864
	ds_load_b128 v[142:145], v2 offset:880
	s_wait_loadcnt 0x4
	v_fmac_f64_e32 v[152:153], v[122:123], v[150:151]
	s_wait_dscnt 0x1
	s_delay_alu instid0(VALU_DEP_1) | instskip(SKIP_1) | instid1(VALU_DEP_1)
	v_fmac_f64_e32 v[152:153], v[124:125], v[138:139]
	s_wait_loadcnt 0x3
	v_fmac_f64_e32 v[152:153], v[126:127], v[140:141]
	s_wait_dscnt 0x0
	s_delay_alu instid0(VALU_DEP_1)
	v_fmac_f64_e32 v[152:153], v[128:129], v[142:143]
	ds_load_b128 v[122:125], v2 offset:896
	ds_load_b128 v[126:129], v2 offset:912
	s_wait_loadcnt 0x2
	v_fmac_f64_e32 v[152:153], v[130:131], v[144:145]
	s_wait_dscnt 0x1
	s_delay_alu instid0(VALU_DEP_1) | instskip(SKIP_1) | instid1(VALU_DEP_1)
	v_fmac_f64_e32 v[152:153], v[132:133], v[122:123]
	s_wait_loadcnt 0x1
	v_fmac_f64_e32 v[152:153], v[134:135], v[124:125]
	s_wait_dscnt 0x0
	s_delay_alu instid0(VALU_DEP_1) | instskip(SKIP_1) | instid1(VALU_DEP_1)
	v_fmac_f64_e32 v[152:153], v[136:137], v[126:127]
	s_wait_loadcnt 0x0
	v_fmac_f64_e32 v[152:153], v[146:147], v[128:129]
	s_delay_alu instid0(VALU_DEP_1)
	v_add_f64_e64 v[2:3], v[120:121], -v[152:153]
	scratch_store_b64 off, v[2:3], off offset:296
	s_wait_xcnt 0x0
	v_cmpx_lt_u32_e32 36, v0
	s_cbranch_execz .LBB57_285
; %bb.284:
	scratch_load_b64 v[2:3], off, off offset:288
	v_mov_b64_e32 v[120:121], 0
	scratch_store_b64 off, v[120:121], off offset:288
	s_wait_loadcnt 0x0
	ds_store_b64 v1, v[2:3]
.LBB57_285:
	s_wait_xcnt 0x0
	s_or_b32 exec_lo, exec_lo, s0
	s_wait_storecnt_dscnt 0x0
	s_barrier_signal -1
	s_barrier_wait -1
	s_clause 0x5
	scratch_load_b128 v[120:123], off, off offset:288
	scratch_load_b128 v[124:127], off, off offset:304
	;; [unrolled: 1-line block ×6, first 2 shown]
	v_mov_b32_e32 v2, 0
	ds_load_2addr_b64 v[144:147], v2 offset0:95 offset1:96
	ds_load_2addr_b64 v[148:151], v2 offset0:97 offset1:98
	s_mov_b32 s0, exec_lo
	s_wait_loadcnt_dscnt 0x501
	v_fma_f64 v[152:153], v[122:123], v[144:145], 0
	s_wait_loadcnt 0x4
	s_delay_alu instid0(VALU_DEP_1) | instskip(SKIP_4) | instid1(VALU_DEP_1)
	v_fmac_f64_e32 v[152:153], v[124:125], v[146:147]
	scratch_load_b128 v[122:125], off, off offset:384
	s_wait_dscnt 0x0
	v_fmac_f64_e32 v[152:153], v[126:127], v[148:149]
	s_wait_loadcnt 0x4
	v_fmac_f64_e32 v[152:153], v[128:129], v[150:151]
	scratch_load_b128 v[126:129], off, off offset:400
	ds_load_2addr_b64 v[144:147], v2 offset0:99 offset1:100
	ds_load_2addr_b64 v[148:151], v2 offset0:101 offset1:102
	s_wait_dscnt 0x1
	v_fmac_f64_e32 v[152:153], v[130:131], v[144:145]
	s_wait_loadcnt 0x4
	s_delay_alu instid0(VALU_DEP_1) | instskip(SKIP_4) | instid1(VALU_DEP_1)
	v_fmac_f64_e32 v[152:153], v[132:133], v[146:147]
	scratch_load_b128 v[130:133], off, off offset:416
	s_wait_dscnt 0x0
	v_fmac_f64_e32 v[152:153], v[134:135], v[148:149]
	s_wait_loadcnt 0x4
	v_fmac_f64_e32 v[152:153], v[136:137], v[150:151]
	scratch_load_b128 v[134:137], off, off offset:432
	ds_load_2addr_b64 v[144:147], v2 offset0:103 offset1:104
	ds_load_2addr_b64 v[148:151], v2 offset0:105 offset1:106
	s_wait_dscnt 0x1
	v_fmac_f64_e32 v[152:153], v[138:139], v[144:145]
	s_wait_loadcnt 0x4
	s_delay_alu instid0(VALU_DEP_1)
	v_fmac_f64_e32 v[152:153], v[140:141], v[146:147]
	scratch_load_b128 v[138:141], off, off offset:448
	s_wait_dscnt 0x0
	v_fmac_f64_e32 v[152:153], v[142:143], v[148:149]
	ds_load_2addr_b64 v[142:145], v2 offset0:107 offset1:108
	ds_load_2addr_b64 v[146:149], v2 offset0:109 offset1:110
	s_wait_loadcnt 0x4
	v_fmac_f64_e32 v[152:153], v[122:123], v[150:151]
	s_wait_dscnt 0x1
	s_delay_alu instid0(VALU_DEP_1) | instskip(SKIP_1) | instid1(VALU_DEP_1)
	v_fmac_f64_e32 v[152:153], v[124:125], v[142:143]
	s_wait_loadcnt 0x3
	v_fmac_f64_e32 v[152:153], v[126:127], v[144:145]
	s_wait_dscnt 0x0
	s_delay_alu instid0(VALU_DEP_1)
	v_fmac_f64_e32 v[152:153], v[128:129], v[146:147]
	ds_load_2addr_b64 v[122:125], v2 offset0:111 offset1:112
	ds_load_2addr_b64 v[126:129], v2 offset0:113 offset1:114
	s_wait_loadcnt 0x2
	v_fmac_f64_e32 v[152:153], v[130:131], v[148:149]
	s_wait_dscnt 0x1
	s_delay_alu instid0(VALU_DEP_1) | instskip(SKIP_4) | instid1(VALU_DEP_1)
	v_fmac_f64_e32 v[152:153], v[132:133], v[122:123]
	ds_load_b64 v[122:123], v2 offset:920
	s_wait_loadcnt 0x1
	v_fmac_f64_e32 v[152:153], v[134:135], v[124:125]
	s_wait_dscnt 0x1
	v_fmac_f64_e32 v[152:153], v[136:137], v[126:127]
	s_wait_loadcnt 0x0
	s_delay_alu instid0(VALU_DEP_1) | instskip(SKIP_1) | instid1(VALU_DEP_1)
	v_fmac_f64_e32 v[152:153], v[138:139], v[128:129]
	s_wait_dscnt 0x0
	v_fmac_f64_e32 v[152:153], v[140:141], v[122:123]
	s_delay_alu instid0(VALU_DEP_1)
	v_add_f64_e64 v[120:121], v[120:121], -v[152:153]
	scratch_store_b64 off, v[120:121], off offset:288
	s_wait_xcnt 0x0
	v_cmpx_lt_u32_e32 35, v0
	s_cbranch_execz .LBB57_287
; %bb.286:
	scratch_load_b64 v[120:121], off, off offset:280
	v_mov_b64_e32 v[122:123], 0
	scratch_store_b64 off, v[122:123], off offset:280
	s_wait_loadcnt 0x0
	ds_store_b64 v1, v[120:121]
.LBB57_287:
	s_wait_xcnt 0x0
	s_or_b32 exec_lo, exec_lo, s0
	s_wait_storecnt_dscnt 0x0
	s_barrier_signal -1
	s_barrier_wait -1
	s_clause 0x5
	scratch_load_b128 v[120:123], off, off offset:280
	scratch_load_b128 v[124:127], off, off offset:296
	;; [unrolled: 1-line block ×6, first 2 shown]
	ds_load_b128 v[144:147], v2 offset:752
	ds_load_b128 v[148:151], v2 offset:768
	scratch_load_b128 v[152:155], off, off offset:376
	s_mov_b32 s0, exec_lo
	s_wait_loadcnt_dscnt 0x601
	v_fma_f64 v[156:157], v[122:123], v[144:145], 0
	s_wait_loadcnt 0x5
	s_delay_alu instid0(VALU_DEP_1) | instskip(SKIP_4) | instid1(VALU_DEP_1)
	v_fmac_f64_e32 v[156:157], v[124:125], v[146:147]
	scratch_load_b128 v[122:125], off, off offset:392
	s_wait_dscnt 0x0
	v_fmac_f64_e32 v[156:157], v[126:127], v[148:149]
	s_wait_loadcnt 0x5
	v_fmac_f64_e32 v[156:157], v[128:129], v[150:151]
	ds_load_b128 v[126:129], v2 offset:784
	ds_load_b128 v[144:147], v2 offset:800
	s_wait_dscnt 0x1
	v_fmac_f64_e32 v[156:157], v[130:131], v[126:127]
	s_wait_loadcnt 0x4
	s_delay_alu instid0(VALU_DEP_1)
	v_fmac_f64_e32 v[156:157], v[132:133], v[128:129]
	s_clause 0x1
	scratch_load_b128 v[126:129], off, off offset:408
	scratch_load_b128 v[130:133], off, off offset:424
	s_wait_dscnt 0x0
	v_fmac_f64_e32 v[156:157], v[134:135], v[144:145]
	s_wait_loadcnt 0x5
	s_delay_alu instid0(VALU_DEP_1)
	v_fmac_f64_e32 v[156:157], v[136:137], v[146:147]
	ds_load_b128 v[134:137], v2 offset:816
	ds_load_b128 v[144:147], v2 offset:832
	s_wait_dscnt 0x1
	v_fmac_f64_e32 v[156:157], v[138:139], v[134:135]
	s_wait_loadcnt 0x4
	s_delay_alu instid0(VALU_DEP_1) | instskip(SKIP_4) | instid1(VALU_DEP_1)
	v_fmac_f64_e32 v[156:157], v[140:141], v[136:137]
	scratch_load_b128 v[134:137], off, off offset:440
	s_wait_dscnt 0x0
	v_fmac_f64_e32 v[156:157], v[142:143], v[144:145]
	s_wait_loadcnt 0x4
	v_fmac_f64_e32 v[156:157], v[152:153], v[146:147]
	scratch_load_b64 v[146:147], off, off offset:456
	ds_load_b128 v[138:141], v2 offset:848
	ds_load_b128 v[142:145], v2 offset:864
	s_wait_dscnt 0x1
	v_fmac_f64_e32 v[156:157], v[154:155], v[138:139]
	s_wait_loadcnt 0x4
	s_delay_alu instid0(VALU_DEP_1) | instskip(SKIP_1) | instid1(VALU_DEP_1)
	v_fmac_f64_e32 v[156:157], v[122:123], v[140:141]
	s_wait_dscnt 0x0
	v_fmac_f64_e32 v[156:157], v[124:125], v[142:143]
	ds_load_b128 v[122:125], v2 offset:880
	ds_load_b128 v[138:141], v2 offset:896
	s_wait_loadcnt 0x3
	v_fmac_f64_e32 v[156:157], v[126:127], v[144:145]
	s_wait_dscnt 0x1
	s_delay_alu instid0(VALU_DEP_1) | instskip(SKIP_1) | instid1(VALU_DEP_1)
	v_fmac_f64_e32 v[156:157], v[128:129], v[122:123]
	s_wait_loadcnt 0x2
	v_fmac_f64_e32 v[156:157], v[130:131], v[124:125]
	ds_load_b128 v[122:125], v2 offset:912
	s_wait_dscnt 0x1
	v_fmac_f64_e32 v[156:157], v[132:133], v[138:139]
	s_wait_loadcnt 0x1
	s_delay_alu instid0(VALU_DEP_1) | instskip(SKIP_1) | instid1(VALU_DEP_1)
	v_fmac_f64_e32 v[156:157], v[134:135], v[140:141]
	s_wait_dscnt 0x0
	v_fmac_f64_e32 v[156:157], v[136:137], v[122:123]
	s_wait_loadcnt 0x0
	s_delay_alu instid0(VALU_DEP_1) | instskip(NEXT) | instid1(VALU_DEP_1)
	v_fmac_f64_e32 v[156:157], v[146:147], v[124:125]
	v_add_f64_e64 v[2:3], v[120:121], -v[156:157]
	scratch_store_b64 off, v[2:3], off offset:280
	s_wait_xcnt 0x0
	v_cmpx_lt_u32_e32 34, v0
	s_cbranch_execz .LBB57_289
; %bb.288:
	scratch_load_b64 v[2:3], off, off offset:272
	v_mov_b64_e32 v[120:121], 0
	scratch_store_b64 off, v[120:121], off offset:272
	s_wait_loadcnt 0x0
	ds_store_b64 v1, v[2:3]
.LBB57_289:
	s_wait_xcnt 0x0
	s_or_b32 exec_lo, exec_lo, s0
	s_wait_storecnt_dscnt 0x0
	s_barrier_signal -1
	s_barrier_wait -1
	s_clause 0x5
	scratch_load_b128 v[120:123], off, off offset:272
	scratch_load_b128 v[124:127], off, off offset:288
	;; [unrolled: 1-line block ×6, first 2 shown]
	v_mov_b32_e32 v2, 0
	ds_load_2addr_b64 v[144:147], v2 offset0:93 offset1:94
	ds_load_2addr_b64 v[148:151], v2 offset0:95 offset1:96
	scratch_load_b128 v[152:155], off, off offset:368
	s_mov_b32 s0, exec_lo
	s_wait_loadcnt_dscnt 0x601
	v_fma_f64 v[156:157], v[122:123], v[144:145], 0
	s_wait_loadcnt 0x5
	s_delay_alu instid0(VALU_DEP_1) | instskip(SKIP_4) | instid1(VALU_DEP_1)
	v_fmac_f64_e32 v[156:157], v[124:125], v[146:147]
	scratch_load_b128 v[122:125], off, off offset:384
	s_wait_dscnt 0x0
	v_fmac_f64_e32 v[156:157], v[126:127], v[148:149]
	s_wait_loadcnt 0x5
	v_fmac_f64_e32 v[156:157], v[128:129], v[150:151]
	ds_load_2addr_b64 v[126:129], v2 offset0:97 offset1:98
	ds_load_2addr_b64 v[144:147], v2 offset0:99 offset1:100
	s_wait_dscnt 0x1
	v_fmac_f64_e32 v[156:157], v[130:131], v[126:127]
	s_wait_loadcnt 0x4
	s_delay_alu instid0(VALU_DEP_1)
	v_fmac_f64_e32 v[156:157], v[132:133], v[128:129]
	s_clause 0x1
	scratch_load_b128 v[126:129], off, off offset:400
	scratch_load_b128 v[130:133], off, off offset:416
	s_wait_dscnt 0x0
	v_fmac_f64_e32 v[156:157], v[134:135], v[144:145]
	s_wait_loadcnt 0x5
	s_delay_alu instid0(VALU_DEP_1)
	v_fmac_f64_e32 v[156:157], v[136:137], v[146:147]
	ds_load_2addr_b64 v[134:137], v2 offset0:101 offset1:102
	ds_load_2addr_b64 v[144:147], v2 offset0:103 offset1:104
	s_wait_dscnt 0x1
	v_fmac_f64_e32 v[156:157], v[138:139], v[134:135]
	s_wait_loadcnt 0x4
	s_delay_alu instid0(VALU_DEP_1)
	v_fmac_f64_e32 v[156:157], v[140:141], v[136:137]
	s_clause 0x1
	scratch_load_b128 v[134:137], off, off offset:432
	scratch_load_b128 v[138:141], off, off offset:448
	s_wait_dscnt 0x0
	v_fmac_f64_e32 v[156:157], v[142:143], v[144:145]
	s_wait_loadcnt 0x5
	s_delay_alu instid0(VALU_DEP_1)
	v_fmac_f64_e32 v[156:157], v[152:153], v[146:147]
	ds_load_2addr_b64 v[142:145], v2 offset0:105 offset1:106
	ds_load_2addr_b64 v[146:149], v2 offset0:107 offset1:108
	s_wait_dscnt 0x1
	v_fmac_f64_e32 v[156:157], v[154:155], v[142:143]
	s_wait_loadcnt 0x4
	s_delay_alu instid0(VALU_DEP_1) | instskip(SKIP_1) | instid1(VALU_DEP_1)
	v_fmac_f64_e32 v[156:157], v[122:123], v[144:145]
	s_wait_dscnt 0x0
	v_fmac_f64_e32 v[156:157], v[124:125], v[146:147]
	ds_load_2addr_b64 v[122:125], v2 offset0:109 offset1:110
	ds_load_2addr_b64 v[142:145], v2 offset0:111 offset1:112
	s_wait_loadcnt 0x3
	v_fmac_f64_e32 v[156:157], v[126:127], v[148:149]
	s_wait_dscnt 0x1
	s_delay_alu instid0(VALU_DEP_1) | instskip(SKIP_1) | instid1(VALU_DEP_1)
	v_fmac_f64_e32 v[156:157], v[128:129], v[122:123]
	s_wait_loadcnt 0x2
	v_fmac_f64_e32 v[156:157], v[130:131], v[124:125]
	ds_load_2addr_b64 v[122:125], v2 offset0:113 offset1:114
	ds_load_b64 v[126:127], v2 offset:920
	s_wait_dscnt 0x2
	v_fmac_f64_e32 v[156:157], v[132:133], v[142:143]
	s_wait_loadcnt 0x1
	s_delay_alu instid0(VALU_DEP_1) | instskip(SKIP_1) | instid1(VALU_DEP_1)
	v_fmac_f64_e32 v[156:157], v[134:135], v[144:145]
	s_wait_dscnt 0x1
	v_fmac_f64_e32 v[156:157], v[136:137], v[122:123]
	s_wait_loadcnt 0x0
	s_delay_alu instid0(VALU_DEP_1) | instskip(SKIP_1) | instid1(VALU_DEP_1)
	v_fmac_f64_e32 v[156:157], v[138:139], v[124:125]
	s_wait_dscnt 0x0
	v_fmac_f64_e32 v[156:157], v[140:141], v[126:127]
	s_delay_alu instid0(VALU_DEP_1)
	v_add_f64_e64 v[120:121], v[120:121], -v[156:157]
	scratch_store_b64 off, v[120:121], off offset:272
	s_wait_xcnt 0x0
	v_cmpx_lt_u32_e32 33, v0
	s_cbranch_execz .LBB57_291
; %bb.290:
	scratch_load_b64 v[120:121], off, off offset:264
	v_mov_b64_e32 v[122:123], 0
	scratch_store_b64 off, v[122:123], off offset:264
	s_wait_loadcnt 0x0
	ds_store_b64 v1, v[120:121]
.LBB57_291:
	s_wait_xcnt 0x0
	s_or_b32 exec_lo, exec_lo, s0
	s_wait_storecnt_dscnt 0x0
	s_barrier_signal -1
	s_barrier_wait -1
	s_clause 0x5
	scratch_load_b128 v[120:123], off, off offset:264
	scratch_load_b128 v[124:127], off, off offset:280
	scratch_load_b128 v[128:131], off, off offset:296
	scratch_load_b128 v[132:135], off, off offset:312
	scratch_load_b128 v[136:139], off, off offset:328
	scratch_load_b128 v[140:143], off, off offset:344
	ds_load_b128 v[144:147], v2 offset:736
	ds_load_b128 v[148:151], v2 offset:752
	scratch_load_b128 v[152:155], off, off offset:360
	s_mov_b32 s0, exec_lo
	s_wait_loadcnt_dscnt 0x601
	v_fma_f64 v[156:157], v[122:123], v[144:145], 0
	s_wait_loadcnt 0x5
	s_delay_alu instid0(VALU_DEP_1) | instskip(SKIP_4) | instid1(VALU_DEP_1)
	v_fmac_f64_e32 v[156:157], v[124:125], v[146:147]
	scratch_load_b128 v[122:125], off, off offset:376
	s_wait_dscnt 0x0
	v_fmac_f64_e32 v[156:157], v[126:127], v[148:149]
	s_wait_loadcnt 0x5
	v_fmac_f64_e32 v[156:157], v[128:129], v[150:151]
	ds_load_b128 v[126:129], v2 offset:768
	ds_load_b128 v[144:147], v2 offset:784
	s_wait_dscnt 0x1
	v_fmac_f64_e32 v[156:157], v[130:131], v[126:127]
	s_wait_loadcnt 0x4
	s_delay_alu instid0(VALU_DEP_1)
	v_fmac_f64_e32 v[156:157], v[132:133], v[128:129]
	s_clause 0x1
	scratch_load_b128 v[126:129], off, off offset:392
	scratch_load_b128 v[130:133], off, off offset:408
	s_wait_dscnt 0x0
	v_fmac_f64_e32 v[156:157], v[134:135], v[144:145]
	s_wait_loadcnt 0x5
	s_delay_alu instid0(VALU_DEP_1)
	v_fmac_f64_e32 v[156:157], v[136:137], v[146:147]
	ds_load_b128 v[134:137], v2 offset:800
	ds_load_b128 v[144:147], v2 offset:816
	s_wait_dscnt 0x1
	v_fmac_f64_e32 v[156:157], v[138:139], v[134:135]
	s_wait_loadcnt 0x4
	s_delay_alu instid0(VALU_DEP_1)
	v_fmac_f64_e32 v[156:157], v[140:141], v[136:137]
	s_clause 0x1
	scratch_load_b128 v[134:137], off, off offset:424
	scratch_load_b128 v[138:141], off, off offset:440
	s_wait_dscnt 0x0
	v_fmac_f64_e32 v[156:157], v[142:143], v[144:145]
	s_wait_loadcnt 0x5
	s_delay_alu instid0(VALU_DEP_1)
	v_fmac_f64_e32 v[156:157], v[152:153], v[146:147]
	ds_load_b128 v[142:145], v2 offset:832
	ds_load_b128 v[146:149], v2 offset:848
	scratch_load_b64 v[150:151], off, off offset:456
	s_wait_dscnt 0x1
	v_fmac_f64_e32 v[156:157], v[154:155], v[142:143]
	s_wait_loadcnt 0x5
	s_delay_alu instid0(VALU_DEP_1) | instskip(SKIP_1) | instid1(VALU_DEP_1)
	v_fmac_f64_e32 v[156:157], v[122:123], v[144:145]
	s_wait_dscnt 0x0
	v_fmac_f64_e32 v[156:157], v[124:125], v[146:147]
	ds_load_b128 v[122:125], v2 offset:864
	ds_load_b128 v[142:145], v2 offset:880
	s_wait_loadcnt 0x4
	v_fmac_f64_e32 v[156:157], v[126:127], v[148:149]
	s_wait_dscnt 0x1
	s_delay_alu instid0(VALU_DEP_1) | instskip(SKIP_1) | instid1(VALU_DEP_1)
	v_fmac_f64_e32 v[156:157], v[128:129], v[122:123]
	s_wait_loadcnt 0x3
	v_fmac_f64_e32 v[156:157], v[130:131], v[124:125]
	ds_load_b128 v[122:125], v2 offset:896
	ds_load_b128 v[126:129], v2 offset:912
	s_wait_dscnt 0x2
	v_fmac_f64_e32 v[156:157], v[132:133], v[142:143]
	s_wait_loadcnt 0x2
	s_delay_alu instid0(VALU_DEP_1) | instskip(SKIP_1) | instid1(VALU_DEP_1)
	v_fmac_f64_e32 v[156:157], v[134:135], v[144:145]
	s_wait_dscnt 0x1
	v_fmac_f64_e32 v[156:157], v[136:137], v[122:123]
	s_wait_loadcnt 0x1
	s_delay_alu instid0(VALU_DEP_1) | instskip(SKIP_1) | instid1(VALU_DEP_1)
	v_fmac_f64_e32 v[156:157], v[138:139], v[124:125]
	s_wait_dscnt 0x0
	v_fmac_f64_e32 v[156:157], v[140:141], v[126:127]
	s_wait_loadcnt 0x0
	s_delay_alu instid0(VALU_DEP_1) | instskip(NEXT) | instid1(VALU_DEP_1)
	v_fmac_f64_e32 v[156:157], v[150:151], v[128:129]
	v_add_f64_e64 v[2:3], v[120:121], -v[156:157]
	scratch_store_b64 off, v[2:3], off offset:264
	s_wait_xcnt 0x0
	v_cmpx_lt_u32_e32 32, v0
	s_cbranch_execz .LBB57_293
; %bb.292:
	scratch_load_b64 v[2:3], off, off offset:256
	v_mov_b64_e32 v[120:121], 0
	scratch_store_b64 off, v[120:121], off offset:256
	s_wait_loadcnt 0x0
	ds_store_b64 v1, v[2:3]
.LBB57_293:
	s_wait_xcnt 0x0
	s_or_b32 exec_lo, exec_lo, s0
	s_wait_storecnt_dscnt 0x0
	s_barrier_signal -1
	s_barrier_wait -1
	s_clause 0x5
	scratch_load_b128 v[120:123], off, off offset:256
	scratch_load_b128 v[124:127], off, off offset:272
	;; [unrolled: 1-line block ×6, first 2 shown]
	v_mov_b32_e32 v2, 0
	ds_load_2addr_b64 v[144:147], v2 offset0:91 offset1:92
	ds_load_2addr_b64 v[148:151], v2 offset0:93 offset1:94
	scratch_load_b128 v[152:155], off, off offset:352
	s_mov_b32 s0, exec_lo
	s_wait_loadcnt_dscnt 0x601
	v_fma_f64 v[156:157], v[122:123], v[144:145], 0
	s_wait_loadcnt 0x5
	s_delay_alu instid0(VALU_DEP_1) | instskip(SKIP_4) | instid1(VALU_DEP_1)
	v_fmac_f64_e32 v[156:157], v[124:125], v[146:147]
	scratch_load_b128 v[122:125], off, off offset:368
	s_wait_dscnt 0x0
	v_fmac_f64_e32 v[156:157], v[126:127], v[148:149]
	s_wait_loadcnt 0x5
	v_fmac_f64_e32 v[156:157], v[128:129], v[150:151]
	ds_load_2addr_b64 v[126:129], v2 offset0:95 offset1:96
	ds_load_2addr_b64 v[144:147], v2 offset0:97 offset1:98
	s_wait_dscnt 0x1
	v_fmac_f64_e32 v[156:157], v[130:131], v[126:127]
	s_wait_loadcnt 0x4
	s_delay_alu instid0(VALU_DEP_1)
	v_fmac_f64_e32 v[156:157], v[132:133], v[128:129]
	s_clause 0x1
	scratch_load_b128 v[126:129], off, off offset:384
	scratch_load_b128 v[130:133], off, off offset:400
	s_wait_dscnt 0x0
	v_fmac_f64_e32 v[156:157], v[134:135], v[144:145]
	s_wait_loadcnt 0x5
	s_delay_alu instid0(VALU_DEP_1)
	v_fmac_f64_e32 v[156:157], v[136:137], v[146:147]
	ds_load_2addr_b64 v[134:137], v2 offset0:99 offset1:100
	ds_load_2addr_b64 v[144:147], v2 offset0:101 offset1:102
	s_wait_dscnt 0x1
	v_fmac_f64_e32 v[156:157], v[138:139], v[134:135]
	s_wait_loadcnt 0x4
	s_delay_alu instid0(VALU_DEP_1)
	v_fmac_f64_e32 v[156:157], v[140:141], v[136:137]
	s_clause 0x1
	scratch_load_b128 v[134:137], off, off offset:416
	scratch_load_b128 v[138:141], off, off offset:432
	s_wait_dscnt 0x0
	v_fmac_f64_e32 v[156:157], v[142:143], v[144:145]
	s_wait_loadcnt 0x5
	s_delay_alu instid0(VALU_DEP_1)
	v_fmac_f64_e32 v[156:157], v[152:153], v[146:147]
	ds_load_2addr_b64 v[142:145], v2 offset0:103 offset1:104
	ds_load_2addr_b64 v[146:149], v2 offset0:105 offset1:106
	s_wait_dscnt 0x1
	v_fmac_f64_e32 v[156:157], v[154:155], v[142:143]
	s_wait_loadcnt 0x4
	s_delay_alu instid0(VALU_DEP_1) | instskip(SKIP_4) | instid1(VALU_DEP_1)
	v_fmac_f64_e32 v[156:157], v[122:123], v[144:145]
	scratch_load_b128 v[142:145], off, off offset:448
	s_wait_dscnt 0x0
	v_fmac_f64_e32 v[156:157], v[124:125], v[146:147]
	s_wait_loadcnt 0x4
	v_fmac_f64_e32 v[156:157], v[126:127], v[148:149]
	ds_load_2addr_b64 v[122:125], v2 offset0:107 offset1:108
	ds_load_2addr_b64 v[146:149], v2 offset0:109 offset1:110
	s_wait_dscnt 0x1
	v_fmac_f64_e32 v[156:157], v[128:129], v[122:123]
	s_wait_loadcnt 0x3
	s_delay_alu instid0(VALU_DEP_1)
	v_fmac_f64_e32 v[156:157], v[130:131], v[124:125]
	ds_load_2addr_b64 v[122:125], v2 offset0:111 offset1:112
	ds_load_2addr_b64 v[126:129], v2 offset0:113 offset1:114
	s_wait_dscnt 0x2
	v_fmac_f64_e32 v[156:157], v[132:133], v[146:147]
	s_wait_loadcnt 0x2
	s_delay_alu instid0(VALU_DEP_1) | instskip(SKIP_1) | instid1(VALU_DEP_1)
	v_fmac_f64_e32 v[156:157], v[134:135], v[148:149]
	s_wait_dscnt 0x1
	v_fmac_f64_e32 v[156:157], v[136:137], v[122:123]
	ds_load_b64 v[122:123], v2 offset:920
	s_wait_loadcnt 0x1
	v_fmac_f64_e32 v[156:157], v[138:139], v[124:125]
	s_wait_dscnt 0x1
	s_delay_alu instid0(VALU_DEP_1) | instskip(SKIP_1) | instid1(VALU_DEP_1)
	v_fmac_f64_e32 v[156:157], v[140:141], v[126:127]
	s_wait_loadcnt 0x0
	v_fmac_f64_e32 v[156:157], v[142:143], v[128:129]
	s_wait_dscnt 0x0
	s_delay_alu instid0(VALU_DEP_1) | instskip(NEXT) | instid1(VALU_DEP_1)
	v_fmac_f64_e32 v[156:157], v[144:145], v[122:123]
	v_add_f64_e64 v[120:121], v[120:121], -v[156:157]
	scratch_store_b64 off, v[120:121], off offset:256
	s_wait_xcnt 0x0
	v_cmpx_lt_u32_e32 31, v0
	s_cbranch_execz .LBB57_295
; %bb.294:
	scratch_load_b64 v[120:121], off, off offset:248
	v_mov_b64_e32 v[122:123], 0
	scratch_store_b64 off, v[122:123], off offset:248
	s_wait_loadcnt 0x0
	ds_store_b64 v1, v[120:121]
.LBB57_295:
	s_wait_xcnt 0x0
	s_or_b32 exec_lo, exec_lo, s0
	s_wait_storecnt_dscnt 0x0
	s_barrier_signal -1
	s_barrier_wait -1
	s_clause 0x5
	scratch_load_b128 v[120:123], off, off offset:248
	scratch_load_b128 v[124:127], off, off offset:264
	;; [unrolled: 1-line block ×6, first 2 shown]
	ds_load_b128 v[144:147], v2 offset:720
	ds_load_b128 v[148:151], v2 offset:736
	scratch_load_b128 v[152:155], off, off offset:344
	s_mov_b32 s0, exec_lo
	s_wait_loadcnt_dscnt 0x601
	v_fma_f64 v[156:157], v[122:123], v[144:145], 0
	s_wait_loadcnt 0x5
	s_delay_alu instid0(VALU_DEP_1) | instskip(SKIP_4) | instid1(VALU_DEP_1)
	v_fmac_f64_e32 v[156:157], v[124:125], v[146:147]
	scratch_load_b128 v[122:125], off, off offset:360
	s_wait_dscnt 0x0
	v_fmac_f64_e32 v[156:157], v[126:127], v[148:149]
	s_wait_loadcnt 0x5
	v_fmac_f64_e32 v[156:157], v[128:129], v[150:151]
	ds_load_b128 v[126:129], v2 offset:752
	ds_load_b128 v[144:147], v2 offset:768
	scratch_load_b128 v[148:151], off, off offset:376
	s_wait_dscnt 0x1
	v_fmac_f64_e32 v[156:157], v[130:131], v[126:127]
	s_wait_loadcnt 0x5
	s_delay_alu instid0(VALU_DEP_1) | instskip(SKIP_4) | instid1(VALU_DEP_1)
	v_fmac_f64_e32 v[156:157], v[132:133], v[128:129]
	scratch_load_b128 v[126:129], off, off offset:392
	s_wait_dscnt 0x0
	v_fmac_f64_e32 v[156:157], v[134:135], v[144:145]
	s_wait_loadcnt 0x5
	v_fmac_f64_e32 v[156:157], v[136:137], v[146:147]
	ds_load_b128 v[130:133], v2 offset:784
	ds_load_b128 v[134:137], v2 offset:800
	s_wait_dscnt 0x1
	v_fmac_f64_e32 v[156:157], v[138:139], v[130:131]
	s_wait_loadcnt 0x4
	s_delay_alu instid0(VALU_DEP_1) | instskip(SKIP_4) | instid1(VALU_DEP_1)
	v_fmac_f64_e32 v[156:157], v[140:141], v[132:133]
	scratch_load_b128 v[130:133], off, off offset:408
	s_wait_dscnt 0x0
	v_fmac_f64_e32 v[156:157], v[142:143], v[134:135]
	s_wait_loadcnt 0x4
	v_fmac_f64_e32 v[156:157], v[152:153], v[136:137]
	scratch_load_b128 v[134:137], off, off offset:424
	ds_load_b128 v[138:141], v2 offset:816
	ds_load_b128 v[142:145], v2 offset:832
	scratch_load_b64 v[146:147], off, off offset:456
	s_wait_dscnt 0x1
	v_fmac_f64_e32 v[156:157], v[154:155], v[138:139]
	s_wait_loadcnt 0x5
	s_delay_alu instid0(VALU_DEP_1) | instskip(SKIP_4) | instid1(VALU_DEP_1)
	v_fmac_f64_e32 v[156:157], v[122:123], v[140:141]
	scratch_load_b128 v[138:141], off, off offset:440
	s_wait_dscnt 0x0
	v_fmac_f64_e32 v[156:157], v[124:125], v[142:143]
	s_wait_loadcnt 0x5
	v_fmac_f64_e32 v[156:157], v[148:149], v[144:145]
	ds_load_b128 v[122:125], v2 offset:848
	ds_load_b128 v[142:145], v2 offset:864
	s_wait_dscnt 0x1
	v_fmac_f64_e32 v[156:157], v[150:151], v[122:123]
	s_wait_loadcnt 0x4
	s_delay_alu instid0(VALU_DEP_1) | instskip(SKIP_1) | instid1(VALU_DEP_1)
	v_fmac_f64_e32 v[156:157], v[126:127], v[124:125]
	s_wait_dscnt 0x0
	v_fmac_f64_e32 v[156:157], v[128:129], v[142:143]
	ds_load_b128 v[122:125], v2 offset:880
	ds_load_b128 v[126:129], v2 offset:896
	s_wait_loadcnt 0x3
	v_fmac_f64_e32 v[156:157], v[130:131], v[144:145]
	s_wait_dscnt 0x1
	s_delay_alu instid0(VALU_DEP_1) | instskip(SKIP_1) | instid1(VALU_DEP_1)
	v_fmac_f64_e32 v[156:157], v[132:133], v[122:123]
	s_wait_loadcnt 0x2
	v_fmac_f64_e32 v[156:157], v[134:135], v[124:125]
	ds_load_b128 v[122:125], v2 offset:912
	s_wait_dscnt 0x1
	v_fmac_f64_e32 v[156:157], v[136:137], v[126:127]
	s_wait_loadcnt 0x0
	s_delay_alu instid0(VALU_DEP_1) | instskip(SKIP_1) | instid1(VALU_DEP_1)
	v_fmac_f64_e32 v[156:157], v[138:139], v[128:129]
	s_wait_dscnt 0x0
	v_fmac_f64_e32 v[156:157], v[140:141], v[122:123]
	s_delay_alu instid0(VALU_DEP_1) | instskip(NEXT) | instid1(VALU_DEP_1)
	v_fmac_f64_e32 v[156:157], v[146:147], v[124:125]
	v_add_f64_e64 v[2:3], v[120:121], -v[156:157]
	scratch_store_b64 off, v[2:3], off offset:248
	s_wait_xcnt 0x0
	v_cmpx_lt_u32_e32 30, v0
	s_cbranch_execz .LBB57_297
; %bb.296:
	scratch_load_b64 v[2:3], off, off offset:240
	v_mov_b64_e32 v[120:121], 0
	scratch_store_b64 off, v[120:121], off offset:240
	s_wait_loadcnt 0x0
	ds_store_b64 v1, v[2:3]
.LBB57_297:
	s_wait_xcnt 0x0
	s_or_b32 exec_lo, exec_lo, s0
	s_wait_storecnt_dscnt 0x0
	s_barrier_signal -1
	s_barrier_wait -1
	s_clause 0x5
	scratch_load_b128 v[120:123], off, off offset:240
	scratch_load_b128 v[124:127], off, off offset:256
	;; [unrolled: 1-line block ×6, first 2 shown]
	v_mov_b32_e32 v2, 0
	ds_load_2addr_b64 v[144:147], v2 offset0:89 offset1:90
	ds_load_2addr_b64 v[148:151], v2 offset0:91 offset1:92
	scratch_load_b128 v[152:155], off, off offset:336
	s_mov_b32 s0, exec_lo
	s_wait_loadcnt_dscnt 0x601
	v_fma_f64 v[156:157], v[122:123], v[144:145], 0
	s_wait_loadcnt 0x5
	s_delay_alu instid0(VALU_DEP_1) | instskip(SKIP_4) | instid1(VALU_DEP_1)
	v_fmac_f64_e32 v[156:157], v[124:125], v[146:147]
	scratch_load_b128 v[122:125], off, off offset:352
	s_wait_dscnt 0x0
	v_fmac_f64_e32 v[156:157], v[126:127], v[148:149]
	s_wait_loadcnt 0x5
	v_fmac_f64_e32 v[156:157], v[128:129], v[150:151]
	ds_load_2addr_b64 v[126:129], v2 offset0:93 offset1:94
	ds_load_2addr_b64 v[144:147], v2 offset0:95 offset1:96
	scratch_load_b128 v[148:151], off, off offset:368
	s_wait_dscnt 0x1
	v_fmac_f64_e32 v[156:157], v[130:131], v[126:127]
	s_wait_loadcnt 0x5
	s_delay_alu instid0(VALU_DEP_1) | instskip(SKIP_4) | instid1(VALU_DEP_1)
	v_fmac_f64_e32 v[156:157], v[132:133], v[128:129]
	scratch_load_b128 v[126:129], off, off offset:384
	s_wait_dscnt 0x0
	v_fmac_f64_e32 v[156:157], v[134:135], v[144:145]
	s_wait_loadcnt 0x5
	v_fmac_f64_e32 v[156:157], v[136:137], v[146:147]
	ds_load_2addr_b64 v[130:133], v2 offset0:97 offset1:98
	ds_load_2addr_b64 v[134:137], v2 offset0:99 offset1:100
	s_wait_dscnt 0x1
	v_fmac_f64_e32 v[156:157], v[138:139], v[130:131]
	s_wait_loadcnt 0x4
	s_delay_alu instid0(VALU_DEP_1) | instskip(SKIP_4) | instid1(VALU_DEP_1)
	v_fmac_f64_e32 v[156:157], v[140:141], v[132:133]
	scratch_load_b128 v[130:133], off, off offset:400
	s_wait_dscnt 0x0
	v_fmac_f64_e32 v[156:157], v[142:143], v[134:135]
	s_wait_loadcnt 0x4
	v_fmac_f64_e32 v[156:157], v[152:153], v[136:137]
	scratch_load_b128 v[134:137], off, off offset:416
	ds_load_2addr_b64 v[138:141], v2 offset0:101 offset1:102
	ds_load_2addr_b64 v[142:145], v2 offset0:103 offset1:104
	s_wait_dscnt 0x1
	v_fmac_f64_e32 v[156:157], v[154:155], v[138:139]
	s_wait_loadcnt 0x4
	s_delay_alu instid0(VALU_DEP_1)
	v_fmac_f64_e32 v[156:157], v[122:123], v[140:141]
	scratch_load_b128 v[138:141], off, off offset:432
	s_wait_dscnt 0x0
	v_fmac_f64_e32 v[156:157], v[124:125], v[142:143]
	scratch_load_b128 v[122:125], off, off offset:448
	s_wait_loadcnt 0x5
	v_fmac_f64_e32 v[156:157], v[148:149], v[144:145]
	ds_load_2addr_b64 v[142:145], v2 offset0:105 offset1:106
	ds_load_2addr_b64 v[146:149], v2 offset0:107 offset1:108
	s_wait_dscnt 0x1
	v_fmac_f64_e32 v[156:157], v[150:151], v[142:143]
	s_wait_loadcnt 0x4
	s_delay_alu instid0(VALU_DEP_1) | instskip(SKIP_1) | instid1(VALU_DEP_1)
	v_fmac_f64_e32 v[156:157], v[126:127], v[144:145]
	s_wait_dscnt 0x0
	v_fmac_f64_e32 v[156:157], v[128:129], v[146:147]
	ds_load_2addr_b64 v[126:129], v2 offset0:109 offset1:110
	ds_load_2addr_b64 v[142:145], v2 offset0:111 offset1:112
	s_wait_loadcnt 0x3
	v_fmac_f64_e32 v[156:157], v[130:131], v[148:149]
	s_wait_dscnt 0x1
	s_delay_alu instid0(VALU_DEP_1) | instskip(SKIP_1) | instid1(VALU_DEP_1)
	v_fmac_f64_e32 v[156:157], v[132:133], v[126:127]
	s_wait_loadcnt 0x2
	v_fmac_f64_e32 v[156:157], v[134:135], v[128:129]
	ds_load_2addr_b64 v[126:129], v2 offset0:113 offset1:114
	ds_load_b64 v[130:131], v2 offset:920
	s_wait_dscnt 0x2
	v_fmac_f64_e32 v[156:157], v[136:137], v[142:143]
	s_wait_loadcnt 0x1
	s_delay_alu instid0(VALU_DEP_1) | instskip(SKIP_1) | instid1(VALU_DEP_1)
	v_fmac_f64_e32 v[156:157], v[138:139], v[144:145]
	s_wait_dscnt 0x1
	v_fmac_f64_e32 v[156:157], v[140:141], v[126:127]
	s_wait_loadcnt 0x0
	s_delay_alu instid0(VALU_DEP_1) | instskip(SKIP_1) | instid1(VALU_DEP_1)
	v_fmac_f64_e32 v[156:157], v[122:123], v[128:129]
	s_wait_dscnt 0x0
	v_fmac_f64_e32 v[156:157], v[124:125], v[130:131]
	s_delay_alu instid0(VALU_DEP_1)
	v_add_f64_e64 v[120:121], v[120:121], -v[156:157]
	scratch_store_b64 off, v[120:121], off offset:240
	s_wait_xcnt 0x0
	v_cmpx_lt_u32_e32 29, v0
	s_cbranch_execz .LBB57_299
; %bb.298:
	scratch_load_b64 v[120:121], off, off offset:232
	v_mov_b64_e32 v[122:123], 0
	scratch_store_b64 off, v[122:123], off offset:232
	s_wait_loadcnt 0x0
	ds_store_b64 v1, v[120:121]
.LBB57_299:
	s_wait_xcnt 0x0
	s_or_b32 exec_lo, exec_lo, s0
	s_wait_storecnt_dscnt 0x0
	s_barrier_signal -1
	s_barrier_wait -1
	s_clause 0x5
	scratch_load_b128 v[120:123], off, off offset:232
	scratch_load_b128 v[124:127], off, off offset:248
	;; [unrolled: 1-line block ×6, first 2 shown]
	ds_load_b128 v[144:147], v2 offset:704
	ds_load_b128 v[148:151], v2 offset:720
	scratch_load_b128 v[152:155], off, off offset:328
	s_mov_b32 s0, exec_lo
	s_wait_loadcnt_dscnt 0x601
	v_fma_f64 v[156:157], v[122:123], v[144:145], 0
	s_wait_loadcnt 0x5
	s_delay_alu instid0(VALU_DEP_1) | instskip(SKIP_4) | instid1(VALU_DEP_1)
	v_fmac_f64_e32 v[156:157], v[124:125], v[146:147]
	scratch_load_b128 v[122:125], off, off offset:344
	s_wait_dscnt 0x0
	v_fmac_f64_e32 v[156:157], v[126:127], v[148:149]
	s_wait_loadcnt 0x5
	v_fmac_f64_e32 v[156:157], v[128:129], v[150:151]
	ds_load_b128 v[126:129], v2 offset:736
	ds_load_b128 v[144:147], v2 offset:752
	scratch_load_b128 v[148:151], off, off offset:360
	s_wait_dscnt 0x1
	v_fmac_f64_e32 v[156:157], v[130:131], v[126:127]
	s_wait_loadcnt 0x5
	s_delay_alu instid0(VALU_DEP_1) | instskip(SKIP_4) | instid1(VALU_DEP_1)
	v_fmac_f64_e32 v[156:157], v[132:133], v[128:129]
	scratch_load_b128 v[126:129], off, off offset:376
	s_wait_dscnt 0x0
	v_fmac_f64_e32 v[156:157], v[134:135], v[144:145]
	s_wait_loadcnt 0x5
	v_fmac_f64_e32 v[156:157], v[136:137], v[146:147]
	ds_load_b128 v[130:133], v2 offset:768
	ds_load_b128 v[134:137], v2 offset:784
	s_wait_dscnt 0x1
	v_fmac_f64_e32 v[156:157], v[138:139], v[130:131]
	s_wait_loadcnt 0x4
	s_delay_alu instid0(VALU_DEP_1) | instskip(SKIP_4) | instid1(VALU_DEP_1)
	v_fmac_f64_e32 v[156:157], v[140:141], v[132:133]
	scratch_load_b128 v[130:133], off, off offset:392
	s_wait_dscnt 0x0
	v_fmac_f64_e32 v[156:157], v[142:143], v[134:135]
	s_wait_loadcnt 0x4
	v_fmac_f64_e32 v[156:157], v[152:153], v[136:137]
	scratch_load_b128 v[134:137], off, off offset:408
	ds_load_b128 v[138:141], v2 offset:800
	ds_load_b128 v[142:145], v2 offset:816
	s_wait_dscnt 0x1
	v_fmac_f64_e32 v[156:157], v[154:155], v[138:139]
	s_wait_loadcnt 0x4
	s_delay_alu instid0(VALU_DEP_1)
	v_fmac_f64_e32 v[156:157], v[122:123], v[140:141]
	scratch_load_b128 v[138:141], off, off offset:424
	s_wait_dscnt 0x0
	v_fmac_f64_e32 v[156:157], v[124:125], v[142:143]
	scratch_load_b128 v[122:125], off, off offset:440
	s_wait_loadcnt 0x5
	v_fmac_f64_e32 v[156:157], v[148:149], v[144:145]
	ds_load_b128 v[142:145], v2 offset:832
	ds_load_b128 v[146:149], v2 offset:848
	s_wait_dscnt 0x1
	v_fmac_f64_e32 v[156:157], v[150:151], v[142:143]
	scratch_load_b64 v[150:151], off, off offset:456
	s_wait_loadcnt 0x5
	v_fmac_f64_e32 v[156:157], v[126:127], v[144:145]
	s_wait_dscnt 0x0
	s_delay_alu instid0(VALU_DEP_1)
	v_fmac_f64_e32 v[156:157], v[128:129], v[146:147]
	ds_load_b128 v[126:129], v2 offset:864
	ds_load_b128 v[142:145], v2 offset:880
	s_wait_loadcnt 0x4
	v_fmac_f64_e32 v[156:157], v[130:131], v[148:149]
	s_wait_dscnt 0x1
	s_delay_alu instid0(VALU_DEP_1) | instskip(SKIP_1) | instid1(VALU_DEP_1)
	v_fmac_f64_e32 v[156:157], v[132:133], v[126:127]
	s_wait_loadcnt 0x3
	v_fmac_f64_e32 v[156:157], v[134:135], v[128:129]
	ds_load_b128 v[126:129], v2 offset:896
	ds_load_b128 v[130:133], v2 offset:912
	s_wait_dscnt 0x2
	v_fmac_f64_e32 v[156:157], v[136:137], v[142:143]
	s_wait_loadcnt 0x2
	s_delay_alu instid0(VALU_DEP_1) | instskip(SKIP_1) | instid1(VALU_DEP_1)
	v_fmac_f64_e32 v[156:157], v[138:139], v[144:145]
	s_wait_dscnt 0x1
	v_fmac_f64_e32 v[156:157], v[140:141], v[126:127]
	s_wait_loadcnt 0x1
	s_delay_alu instid0(VALU_DEP_1) | instskip(SKIP_1) | instid1(VALU_DEP_1)
	v_fmac_f64_e32 v[156:157], v[122:123], v[128:129]
	s_wait_dscnt 0x0
	v_fmac_f64_e32 v[156:157], v[124:125], v[130:131]
	s_wait_loadcnt 0x0
	s_delay_alu instid0(VALU_DEP_1) | instskip(NEXT) | instid1(VALU_DEP_1)
	v_fmac_f64_e32 v[156:157], v[150:151], v[132:133]
	v_add_f64_e64 v[2:3], v[120:121], -v[156:157]
	scratch_store_b64 off, v[2:3], off offset:232
	s_wait_xcnt 0x0
	v_cmpx_lt_u32_e32 28, v0
	s_cbranch_execz .LBB57_301
; %bb.300:
	scratch_load_b64 v[2:3], off, off offset:224
	v_mov_b64_e32 v[120:121], 0
	scratch_store_b64 off, v[120:121], off offset:224
	s_wait_loadcnt 0x0
	ds_store_b64 v1, v[2:3]
.LBB57_301:
	s_wait_xcnt 0x0
	s_or_b32 exec_lo, exec_lo, s0
	s_wait_storecnt_dscnt 0x0
	s_barrier_signal -1
	s_barrier_wait -1
	s_clause 0x5
	scratch_load_b128 v[120:123], off, off offset:224
	scratch_load_b128 v[124:127], off, off offset:240
	;; [unrolled: 1-line block ×6, first 2 shown]
	v_mov_b32_e32 v2, 0
	ds_load_2addr_b64 v[144:147], v2 offset0:87 offset1:88
	ds_load_2addr_b64 v[148:151], v2 offset0:89 offset1:90
	scratch_load_b128 v[152:155], off, off offset:320
	s_mov_b32 s0, exec_lo
	s_wait_loadcnt_dscnt 0x601
	v_fma_f64 v[156:157], v[122:123], v[144:145], 0
	s_wait_loadcnt 0x5
	s_delay_alu instid0(VALU_DEP_1) | instskip(SKIP_4) | instid1(VALU_DEP_1)
	v_fmac_f64_e32 v[156:157], v[124:125], v[146:147]
	scratch_load_b128 v[122:125], off, off offset:336
	s_wait_dscnt 0x0
	v_fmac_f64_e32 v[156:157], v[126:127], v[148:149]
	s_wait_loadcnt 0x5
	v_fmac_f64_e32 v[156:157], v[128:129], v[150:151]
	ds_load_2addr_b64 v[126:129], v2 offset0:91 offset1:92
	ds_load_2addr_b64 v[144:147], v2 offset0:93 offset1:94
	scratch_load_b128 v[148:151], off, off offset:352
	s_wait_dscnt 0x1
	v_fmac_f64_e32 v[156:157], v[130:131], v[126:127]
	s_wait_loadcnt 0x5
	s_delay_alu instid0(VALU_DEP_1) | instskip(SKIP_4) | instid1(VALU_DEP_1)
	v_fmac_f64_e32 v[156:157], v[132:133], v[128:129]
	scratch_load_b128 v[126:129], off, off offset:368
	s_wait_dscnt 0x0
	v_fmac_f64_e32 v[156:157], v[134:135], v[144:145]
	s_wait_loadcnt 0x5
	v_fmac_f64_e32 v[156:157], v[136:137], v[146:147]
	ds_load_2addr_b64 v[130:133], v2 offset0:95 offset1:96
	ds_load_2addr_b64 v[134:137], v2 offset0:97 offset1:98
	s_wait_dscnt 0x1
	v_fmac_f64_e32 v[156:157], v[138:139], v[130:131]
	s_wait_loadcnt 0x4
	s_delay_alu instid0(VALU_DEP_1) | instskip(SKIP_4) | instid1(VALU_DEP_1)
	v_fmac_f64_e32 v[156:157], v[140:141], v[132:133]
	scratch_load_b128 v[130:133], off, off offset:384
	s_wait_dscnt 0x0
	v_fmac_f64_e32 v[156:157], v[142:143], v[134:135]
	s_wait_loadcnt 0x4
	v_fmac_f64_e32 v[156:157], v[152:153], v[136:137]
	scratch_load_b128 v[134:137], off, off offset:400
	ds_load_2addr_b64 v[138:141], v2 offset0:99 offset1:100
	ds_load_2addr_b64 v[142:145], v2 offset0:101 offset1:102
	s_wait_dscnt 0x1
	v_fmac_f64_e32 v[156:157], v[154:155], v[138:139]
	s_wait_loadcnt 0x4
	s_delay_alu instid0(VALU_DEP_1)
	v_fmac_f64_e32 v[156:157], v[122:123], v[140:141]
	scratch_load_b128 v[138:141], off, off offset:416
	s_wait_dscnt 0x0
	v_fmac_f64_e32 v[156:157], v[124:125], v[142:143]
	scratch_load_b128 v[122:125], off, off offset:432
	s_wait_loadcnt 0x5
	v_fmac_f64_e32 v[156:157], v[148:149], v[144:145]
	ds_load_2addr_b64 v[142:145], v2 offset0:103 offset1:104
	ds_load_2addr_b64 v[146:149], v2 offset0:105 offset1:106
	s_wait_dscnt 0x1
	v_fmac_f64_e32 v[156:157], v[150:151], v[142:143]
	s_wait_loadcnt 0x4
	s_delay_alu instid0(VALU_DEP_1) | instskip(SKIP_4) | instid1(VALU_DEP_1)
	v_fmac_f64_e32 v[156:157], v[126:127], v[144:145]
	scratch_load_b128 v[142:145], off, off offset:448
	s_wait_dscnt 0x0
	v_fmac_f64_e32 v[156:157], v[128:129], v[146:147]
	s_wait_loadcnt 0x4
	v_fmac_f64_e32 v[156:157], v[130:131], v[148:149]
	ds_load_2addr_b64 v[126:129], v2 offset0:107 offset1:108
	ds_load_2addr_b64 v[146:149], v2 offset0:109 offset1:110
	s_wait_dscnt 0x1
	v_fmac_f64_e32 v[156:157], v[132:133], v[126:127]
	s_wait_loadcnt 0x3
	s_delay_alu instid0(VALU_DEP_1)
	v_fmac_f64_e32 v[156:157], v[134:135], v[128:129]
	ds_load_2addr_b64 v[126:129], v2 offset0:111 offset1:112
	ds_load_2addr_b64 v[130:133], v2 offset0:113 offset1:114
	s_wait_dscnt 0x2
	v_fmac_f64_e32 v[156:157], v[136:137], v[146:147]
	s_wait_loadcnt 0x2
	s_delay_alu instid0(VALU_DEP_1) | instskip(SKIP_1) | instid1(VALU_DEP_1)
	v_fmac_f64_e32 v[156:157], v[138:139], v[148:149]
	s_wait_dscnt 0x1
	v_fmac_f64_e32 v[156:157], v[140:141], v[126:127]
	s_wait_loadcnt 0x1
	s_delay_alu instid0(VALU_DEP_1) | instskip(SKIP_4) | instid1(VALU_DEP_1)
	v_fmac_f64_e32 v[156:157], v[122:123], v[128:129]
	ds_load_b64 v[122:123], v2 offset:920
	s_wait_dscnt 0x1
	v_fmac_f64_e32 v[156:157], v[124:125], v[130:131]
	s_wait_loadcnt 0x0
	v_fmac_f64_e32 v[156:157], v[142:143], v[132:133]
	s_wait_dscnt 0x0
	s_delay_alu instid0(VALU_DEP_1) | instskip(NEXT) | instid1(VALU_DEP_1)
	v_fmac_f64_e32 v[156:157], v[144:145], v[122:123]
	v_add_f64_e64 v[120:121], v[120:121], -v[156:157]
	scratch_store_b64 off, v[120:121], off offset:224
	s_wait_xcnt 0x0
	v_cmpx_lt_u32_e32 27, v0
	s_cbranch_execz .LBB57_303
; %bb.302:
	scratch_load_b64 v[120:121], off, off offset:216
	v_mov_b64_e32 v[122:123], 0
	scratch_store_b64 off, v[122:123], off offset:216
	s_wait_loadcnt 0x0
	ds_store_b64 v1, v[120:121]
.LBB57_303:
	s_wait_xcnt 0x0
	s_or_b32 exec_lo, exec_lo, s0
	s_wait_storecnt_dscnt 0x0
	s_barrier_signal -1
	s_barrier_wait -1
	s_clause 0x5
	scratch_load_b128 v[120:123], off, off offset:216
	scratch_load_b128 v[124:127], off, off offset:232
	;; [unrolled: 1-line block ×6, first 2 shown]
	ds_load_b128 v[144:147], v2 offset:688
	ds_load_b128 v[148:151], v2 offset:704
	scratch_load_b128 v[152:155], off, off offset:312
	s_mov_b32 s0, exec_lo
	s_wait_loadcnt_dscnt 0x601
	v_fma_f64 v[156:157], v[122:123], v[144:145], 0
	s_wait_loadcnt 0x5
	s_delay_alu instid0(VALU_DEP_1) | instskip(SKIP_4) | instid1(VALU_DEP_1)
	v_fmac_f64_e32 v[156:157], v[124:125], v[146:147]
	scratch_load_b128 v[122:125], off, off offset:328
	s_wait_dscnt 0x0
	v_fmac_f64_e32 v[156:157], v[126:127], v[148:149]
	s_wait_loadcnt 0x5
	v_fmac_f64_e32 v[156:157], v[128:129], v[150:151]
	ds_load_b128 v[126:129], v2 offset:720
	ds_load_b128 v[144:147], v2 offset:736
	scratch_load_b128 v[148:151], off, off offset:344
	s_wait_dscnt 0x1
	v_fmac_f64_e32 v[156:157], v[130:131], v[126:127]
	s_wait_loadcnt 0x5
	s_delay_alu instid0(VALU_DEP_1) | instskip(SKIP_4) | instid1(VALU_DEP_1)
	v_fmac_f64_e32 v[156:157], v[132:133], v[128:129]
	scratch_load_b128 v[126:129], off, off offset:360
	s_wait_dscnt 0x0
	v_fmac_f64_e32 v[156:157], v[134:135], v[144:145]
	s_wait_loadcnt 0x5
	v_fmac_f64_e32 v[156:157], v[136:137], v[146:147]
	ds_load_b128 v[130:133], v2 offset:752
	ds_load_b128 v[134:137], v2 offset:768
	scratch_load_b128 v[144:147], off, off offset:376
	s_wait_dscnt 0x1
	v_fmac_f64_e32 v[156:157], v[138:139], v[130:131]
	s_wait_loadcnt 0x5
	s_delay_alu instid0(VALU_DEP_1) | instskip(SKIP_4) | instid1(VALU_DEP_1)
	v_fmac_f64_e32 v[156:157], v[140:141], v[132:133]
	scratch_load_b128 v[130:133], off, off offset:392
	s_wait_dscnt 0x0
	v_fmac_f64_e32 v[156:157], v[142:143], v[134:135]
	s_wait_loadcnt 0x5
	v_fmac_f64_e32 v[156:157], v[152:153], v[136:137]
	ds_load_b128 v[134:137], v2 offset:784
	ds_load_b128 v[138:141], v2 offset:800
	s_wait_dscnt 0x1
	v_fmac_f64_e32 v[156:157], v[154:155], v[134:135]
	s_wait_loadcnt 0x4
	s_delay_alu instid0(VALU_DEP_1)
	v_fmac_f64_e32 v[156:157], v[122:123], v[136:137]
	scratch_load_b128 v[134:137], off, off offset:408
	s_wait_dscnt 0x0
	v_fmac_f64_e32 v[156:157], v[124:125], v[138:139]
	scratch_load_b128 v[122:125], off, off offset:424
	s_wait_loadcnt 0x5
	v_fmac_f64_e32 v[156:157], v[148:149], v[140:141]
	ds_load_b128 v[138:141], v2 offset:816
	ds_load_b128 v[152:155], v2 offset:832
	scratch_load_b64 v[148:149], off, off offset:456
	s_wait_dscnt 0x1
	v_fmac_f64_e32 v[156:157], v[150:151], v[138:139]
	s_wait_loadcnt 0x5
	s_delay_alu instid0(VALU_DEP_1) | instskip(SKIP_4) | instid1(VALU_DEP_1)
	v_fmac_f64_e32 v[156:157], v[126:127], v[140:141]
	scratch_load_b128 v[138:141], off, off offset:440
	s_wait_dscnt 0x0
	v_fmac_f64_e32 v[156:157], v[128:129], v[152:153]
	s_wait_loadcnt 0x5
	v_fmac_f64_e32 v[156:157], v[144:145], v[154:155]
	ds_load_b128 v[126:129], v2 offset:848
	ds_load_b128 v[142:145], v2 offset:864
	s_wait_dscnt 0x1
	v_fmac_f64_e32 v[156:157], v[146:147], v[126:127]
	s_wait_loadcnt 0x4
	s_delay_alu instid0(VALU_DEP_1) | instskip(SKIP_1) | instid1(VALU_DEP_1)
	v_fmac_f64_e32 v[156:157], v[130:131], v[128:129]
	s_wait_dscnt 0x0
	v_fmac_f64_e32 v[156:157], v[132:133], v[142:143]
	ds_load_b128 v[126:129], v2 offset:880
	ds_load_b128 v[130:133], v2 offset:896
	s_wait_loadcnt 0x3
	v_fmac_f64_e32 v[156:157], v[134:135], v[144:145]
	s_wait_dscnt 0x1
	s_delay_alu instid0(VALU_DEP_1) | instskip(SKIP_1) | instid1(VALU_DEP_1)
	v_fmac_f64_e32 v[156:157], v[136:137], v[126:127]
	s_wait_loadcnt 0x2
	v_fmac_f64_e32 v[156:157], v[122:123], v[128:129]
	s_wait_dscnt 0x0
	s_delay_alu instid0(VALU_DEP_1) | instskip(SKIP_4) | instid1(VALU_DEP_1)
	v_fmac_f64_e32 v[156:157], v[124:125], v[130:131]
	ds_load_b128 v[122:125], v2 offset:912
	s_wait_loadcnt 0x0
	v_fmac_f64_e32 v[156:157], v[138:139], v[132:133]
	s_wait_dscnt 0x0
	v_fmac_f64_e32 v[156:157], v[140:141], v[122:123]
	s_delay_alu instid0(VALU_DEP_1) | instskip(NEXT) | instid1(VALU_DEP_1)
	v_fmac_f64_e32 v[156:157], v[148:149], v[124:125]
	v_add_f64_e64 v[2:3], v[120:121], -v[156:157]
	scratch_store_b64 off, v[2:3], off offset:216
	s_wait_xcnt 0x0
	v_cmpx_lt_u32_e32 26, v0
	s_cbranch_execz .LBB57_305
; %bb.304:
	scratch_load_b64 v[2:3], off, off offset:208
	v_mov_b64_e32 v[120:121], 0
	scratch_store_b64 off, v[120:121], off offset:208
	s_wait_loadcnt 0x0
	ds_store_b64 v1, v[2:3]
.LBB57_305:
	s_wait_xcnt 0x0
	s_or_b32 exec_lo, exec_lo, s0
	s_wait_storecnt_dscnt 0x0
	s_barrier_signal -1
	s_barrier_wait -1
	s_clause 0x5
	scratch_load_b128 v[120:123], off, off offset:208
	scratch_load_b128 v[124:127], off, off offset:224
	;; [unrolled: 1-line block ×6, first 2 shown]
	v_mov_b32_e32 v2, 0
	ds_load_2addr_b64 v[144:147], v2 offset0:85 offset1:86
	ds_load_2addr_b64 v[148:151], v2 offset0:87 offset1:88
	scratch_load_b128 v[152:155], off, off offset:304
	s_mov_b32 s0, exec_lo
	s_wait_loadcnt_dscnt 0x601
	v_fma_f64 v[156:157], v[122:123], v[144:145], 0
	s_wait_loadcnt 0x5
	s_delay_alu instid0(VALU_DEP_1) | instskip(SKIP_4) | instid1(VALU_DEP_1)
	v_fmac_f64_e32 v[156:157], v[124:125], v[146:147]
	scratch_load_b128 v[122:125], off, off offset:320
	s_wait_dscnt 0x0
	v_fmac_f64_e32 v[156:157], v[126:127], v[148:149]
	s_wait_loadcnt 0x5
	v_fmac_f64_e32 v[156:157], v[128:129], v[150:151]
	ds_load_2addr_b64 v[126:129], v2 offset0:89 offset1:90
	ds_load_2addr_b64 v[144:147], v2 offset0:91 offset1:92
	scratch_load_b128 v[148:151], off, off offset:336
	s_wait_dscnt 0x1
	v_fmac_f64_e32 v[156:157], v[130:131], v[126:127]
	s_wait_loadcnt 0x5
	s_delay_alu instid0(VALU_DEP_1) | instskip(SKIP_4) | instid1(VALU_DEP_1)
	v_fmac_f64_e32 v[156:157], v[132:133], v[128:129]
	scratch_load_b128 v[126:129], off, off offset:352
	s_wait_dscnt 0x0
	v_fmac_f64_e32 v[156:157], v[134:135], v[144:145]
	s_wait_loadcnt 0x5
	v_fmac_f64_e32 v[156:157], v[136:137], v[146:147]
	ds_load_2addr_b64 v[130:133], v2 offset0:93 offset1:94
	ds_load_2addr_b64 v[134:137], v2 offset0:95 offset1:96
	scratch_load_b128 v[144:147], off, off offset:368
	s_wait_dscnt 0x1
	v_fmac_f64_e32 v[156:157], v[138:139], v[130:131]
	s_wait_loadcnt 0x5
	s_delay_alu instid0(VALU_DEP_1) | instskip(SKIP_4) | instid1(VALU_DEP_1)
	v_fmac_f64_e32 v[156:157], v[140:141], v[132:133]
	scratch_load_b128 v[130:133], off, off offset:384
	s_wait_dscnt 0x0
	v_fmac_f64_e32 v[156:157], v[142:143], v[134:135]
	s_wait_loadcnt 0x5
	v_fmac_f64_e32 v[156:157], v[152:153], v[136:137]
	ds_load_2addr_b64 v[134:137], v2 offset0:97 offset1:98
	ds_load_2addr_b64 v[138:141], v2 offset0:99 offset1:100
	s_wait_dscnt 0x1
	v_fmac_f64_e32 v[156:157], v[154:155], v[134:135]
	s_wait_loadcnt 0x4
	s_delay_alu instid0(VALU_DEP_1)
	v_fmac_f64_e32 v[156:157], v[122:123], v[136:137]
	scratch_load_b128 v[134:137], off, off offset:400
	s_wait_dscnt 0x0
	v_fmac_f64_e32 v[156:157], v[124:125], v[138:139]
	scratch_load_b128 v[122:125], off, off offset:416
	s_wait_loadcnt 0x5
	v_fmac_f64_e32 v[156:157], v[148:149], v[140:141]
	ds_load_2addr_b64 v[138:141], v2 offset0:101 offset1:102
	ds_load_2addr_b64 v[152:155], v2 offset0:103 offset1:104
	s_wait_dscnt 0x1
	v_fmac_f64_e32 v[156:157], v[150:151], v[138:139]
	s_wait_loadcnt 0x4
	s_delay_alu instid0(VALU_DEP_1)
	v_fmac_f64_e32 v[156:157], v[126:127], v[140:141]
	scratch_load_b128 v[138:141], off, off offset:432
	s_wait_dscnt 0x0
	v_fmac_f64_e32 v[156:157], v[128:129], v[152:153]
	scratch_load_b128 v[126:129], off, off offset:448
	s_wait_loadcnt 0x5
	v_fmac_f64_e32 v[156:157], v[144:145], v[154:155]
	ds_load_2addr_b64 v[142:145], v2 offset0:105 offset1:106
	ds_load_2addr_b64 v[148:151], v2 offset0:107 offset1:108
	s_wait_dscnt 0x1
	v_fmac_f64_e32 v[156:157], v[146:147], v[142:143]
	s_wait_loadcnt 0x4
	s_delay_alu instid0(VALU_DEP_1) | instskip(SKIP_1) | instid1(VALU_DEP_1)
	v_fmac_f64_e32 v[156:157], v[130:131], v[144:145]
	s_wait_dscnt 0x0
	v_fmac_f64_e32 v[156:157], v[132:133], v[148:149]
	ds_load_2addr_b64 v[130:133], v2 offset0:109 offset1:110
	ds_load_2addr_b64 v[142:145], v2 offset0:111 offset1:112
	s_wait_loadcnt 0x3
	v_fmac_f64_e32 v[156:157], v[134:135], v[150:151]
	s_wait_dscnt 0x1
	s_delay_alu instid0(VALU_DEP_1) | instskip(SKIP_1) | instid1(VALU_DEP_1)
	v_fmac_f64_e32 v[156:157], v[136:137], v[130:131]
	s_wait_loadcnt 0x2
	v_fmac_f64_e32 v[156:157], v[122:123], v[132:133]
	s_wait_dscnt 0x0
	s_delay_alu instid0(VALU_DEP_1)
	v_fmac_f64_e32 v[156:157], v[124:125], v[142:143]
	ds_load_2addr_b64 v[122:125], v2 offset0:113 offset1:114
	ds_load_b64 v[130:131], v2 offset:920
	s_wait_loadcnt 0x1
	v_fmac_f64_e32 v[156:157], v[138:139], v[144:145]
	s_wait_dscnt 0x1
	s_delay_alu instid0(VALU_DEP_1) | instskip(SKIP_1) | instid1(VALU_DEP_1)
	v_fmac_f64_e32 v[156:157], v[140:141], v[122:123]
	s_wait_loadcnt 0x0
	v_fmac_f64_e32 v[156:157], v[126:127], v[124:125]
	s_wait_dscnt 0x0
	s_delay_alu instid0(VALU_DEP_1) | instskip(NEXT) | instid1(VALU_DEP_1)
	v_fmac_f64_e32 v[156:157], v[128:129], v[130:131]
	v_add_f64_e64 v[120:121], v[120:121], -v[156:157]
	scratch_store_b64 off, v[120:121], off offset:208
	s_wait_xcnt 0x0
	v_cmpx_lt_u32_e32 25, v0
	s_cbranch_execz .LBB57_307
; %bb.306:
	scratch_load_b64 v[120:121], off, off offset:200
	v_mov_b64_e32 v[122:123], 0
	scratch_store_b64 off, v[122:123], off offset:200
	s_wait_loadcnt 0x0
	ds_store_b64 v1, v[120:121]
.LBB57_307:
	s_wait_xcnt 0x0
	s_or_b32 exec_lo, exec_lo, s0
	s_wait_storecnt_dscnt 0x0
	s_barrier_signal -1
	s_barrier_wait -1
	s_clause 0x5
	scratch_load_b128 v[120:123], off, off offset:200
	scratch_load_b128 v[124:127], off, off offset:216
	;; [unrolled: 1-line block ×6, first 2 shown]
	ds_load_b128 v[144:147], v2 offset:672
	ds_load_b128 v[148:151], v2 offset:688
	scratch_load_b128 v[152:155], off, off offset:296
	s_mov_b32 s0, exec_lo
	s_wait_loadcnt_dscnt 0x601
	v_fma_f64 v[156:157], v[122:123], v[144:145], 0
	s_wait_loadcnt 0x5
	s_delay_alu instid0(VALU_DEP_1) | instskip(SKIP_4) | instid1(VALU_DEP_1)
	v_fmac_f64_e32 v[156:157], v[124:125], v[146:147]
	scratch_load_b128 v[122:125], off, off offset:312
	s_wait_dscnt 0x0
	v_fmac_f64_e32 v[156:157], v[126:127], v[148:149]
	s_wait_loadcnt 0x5
	v_fmac_f64_e32 v[156:157], v[128:129], v[150:151]
	ds_load_b128 v[126:129], v2 offset:704
	ds_load_b128 v[144:147], v2 offset:720
	scratch_load_b128 v[148:151], off, off offset:328
	s_wait_dscnt 0x1
	v_fmac_f64_e32 v[156:157], v[130:131], v[126:127]
	s_wait_loadcnt 0x5
	s_delay_alu instid0(VALU_DEP_1) | instskip(SKIP_4) | instid1(VALU_DEP_1)
	v_fmac_f64_e32 v[156:157], v[132:133], v[128:129]
	scratch_load_b128 v[126:129], off, off offset:344
	s_wait_dscnt 0x0
	v_fmac_f64_e32 v[156:157], v[134:135], v[144:145]
	s_wait_loadcnt 0x5
	v_fmac_f64_e32 v[156:157], v[136:137], v[146:147]
	ds_load_b128 v[130:133], v2 offset:736
	ds_load_b128 v[134:137], v2 offset:752
	scratch_load_b128 v[144:147], off, off offset:360
	s_wait_dscnt 0x1
	v_fmac_f64_e32 v[156:157], v[138:139], v[130:131]
	s_wait_loadcnt 0x5
	s_delay_alu instid0(VALU_DEP_1) | instskip(SKIP_4) | instid1(VALU_DEP_1)
	v_fmac_f64_e32 v[156:157], v[140:141], v[132:133]
	scratch_load_b128 v[130:133], off, off offset:376
	s_wait_dscnt 0x0
	v_fmac_f64_e32 v[156:157], v[142:143], v[134:135]
	s_wait_loadcnt 0x5
	v_fmac_f64_e32 v[156:157], v[152:153], v[136:137]
	ds_load_b128 v[134:137], v2 offset:768
	ds_load_b128 v[138:141], v2 offset:784
	s_wait_dscnt 0x1
	v_fmac_f64_e32 v[156:157], v[154:155], v[134:135]
	s_wait_loadcnt 0x4
	s_delay_alu instid0(VALU_DEP_1)
	v_fmac_f64_e32 v[156:157], v[122:123], v[136:137]
	scratch_load_b128 v[134:137], off, off offset:392
	s_wait_dscnt 0x0
	v_fmac_f64_e32 v[156:157], v[124:125], v[138:139]
	scratch_load_b128 v[122:125], off, off offset:408
	s_wait_loadcnt 0x5
	v_fmac_f64_e32 v[156:157], v[148:149], v[140:141]
	ds_load_b128 v[138:141], v2 offset:800
	ds_load_b128 v[152:155], v2 offset:816
	s_wait_dscnt 0x1
	v_fmac_f64_e32 v[156:157], v[150:151], v[138:139]
	s_wait_loadcnt 0x4
	s_delay_alu instid0(VALU_DEP_1)
	v_fmac_f64_e32 v[156:157], v[126:127], v[140:141]
	scratch_load_b128 v[138:141], off, off offset:424
	s_wait_dscnt 0x0
	v_fmac_f64_e32 v[156:157], v[128:129], v[152:153]
	scratch_load_b128 v[126:129], off, off offset:440
	s_wait_loadcnt 0x5
	v_fmac_f64_e32 v[156:157], v[144:145], v[154:155]
	ds_load_b128 v[142:145], v2 offset:832
	ds_load_b128 v[148:151], v2 offset:848
	s_wait_dscnt 0x1
	v_fmac_f64_e32 v[156:157], v[146:147], v[142:143]
	scratch_load_b64 v[146:147], off, off offset:456
	s_wait_loadcnt 0x5
	v_fmac_f64_e32 v[156:157], v[130:131], v[144:145]
	s_wait_dscnt 0x0
	s_delay_alu instid0(VALU_DEP_1)
	v_fmac_f64_e32 v[156:157], v[132:133], v[148:149]
	ds_load_b128 v[130:133], v2 offset:864
	ds_load_b128 v[142:145], v2 offset:880
	s_wait_loadcnt 0x4
	v_fmac_f64_e32 v[156:157], v[134:135], v[150:151]
	s_wait_dscnt 0x1
	s_delay_alu instid0(VALU_DEP_1) | instskip(SKIP_1) | instid1(VALU_DEP_1)
	v_fmac_f64_e32 v[156:157], v[136:137], v[130:131]
	s_wait_loadcnt 0x3
	v_fmac_f64_e32 v[156:157], v[122:123], v[132:133]
	s_wait_dscnt 0x0
	s_delay_alu instid0(VALU_DEP_1)
	v_fmac_f64_e32 v[156:157], v[124:125], v[142:143]
	ds_load_b128 v[122:125], v2 offset:896
	ds_load_b128 v[130:133], v2 offset:912
	s_wait_loadcnt 0x2
	v_fmac_f64_e32 v[156:157], v[138:139], v[144:145]
	s_wait_dscnt 0x1
	s_delay_alu instid0(VALU_DEP_1) | instskip(SKIP_1) | instid1(VALU_DEP_1)
	v_fmac_f64_e32 v[156:157], v[140:141], v[122:123]
	s_wait_loadcnt 0x1
	v_fmac_f64_e32 v[156:157], v[126:127], v[124:125]
	s_wait_dscnt 0x0
	s_delay_alu instid0(VALU_DEP_1) | instskip(SKIP_1) | instid1(VALU_DEP_1)
	v_fmac_f64_e32 v[156:157], v[128:129], v[130:131]
	s_wait_loadcnt 0x0
	v_fmac_f64_e32 v[156:157], v[146:147], v[132:133]
	s_delay_alu instid0(VALU_DEP_1)
	v_add_f64_e64 v[2:3], v[120:121], -v[156:157]
	scratch_store_b64 off, v[2:3], off offset:200
	s_wait_xcnt 0x0
	v_cmpx_lt_u32_e32 24, v0
	s_cbranch_execz .LBB57_309
; %bb.308:
	scratch_load_b64 v[2:3], off, off offset:192
	v_mov_b64_e32 v[120:121], 0
	scratch_store_b64 off, v[120:121], off offset:192
	s_wait_loadcnt 0x0
	ds_store_b64 v1, v[2:3]
.LBB57_309:
	s_wait_xcnt 0x0
	s_or_b32 exec_lo, exec_lo, s0
	s_wait_storecnt_dscnt 0x0
	s_barrier_signal -1
	s_barrier_wait -1
	s_clause 0x5
	scratch_load_b128 v[120:123], off, off offset:192
	scratch_load_b128 v[124:127], off, off offset:208
	scratch_load_b128 v[128:131], off, off offset:224
	scratch_load_b128 v[132:135], off, off offset:240
	scratch_load_b128 v[136:139], off, off offset:256
	scratch_load_b128 v[140:143], off, off offset:272
	v_mov_b32_e32 v2, 0
	ds_load_2addr_b64 v[144:147], v2 offset0:83 offset1:84
	ds_load_2addr_b64 v[148:151], v2 offset0:85 offset1:86
	scratch_load_b128 v[152:155], off, off offset:288
	s_mov_b32 s0, exec_lo
	s_wait_loadcnt_dscnt 0x601
	v_fma_f64 v[156:157], v[122:123], v[144:145], 0
	s_wait_loadcnt 0x5
	s_delay_alu instid0(VALU_DEP_1) | instskip(SKIP_4) | instid1(VALU_DEP_1)
	v_fmac_f64_e32 v[156:157], v[124:125], v[146:147]
	scratch_load_b128 v[122:125], off, off offset:304
	s_wait_dscnt 0x0
	v_fmac_f64_e32 v[156:157], v[126:127], v[148:149]
	s_wait_loadcnt 0x5
	v_fmac_f64_e32 v[156:157], v[128:129], v[150:151]
	ds_load_2addr_b64 v[126:129], v2 offset0:87 offset1:88
	ds_load_2addr_b64 v[144:147], v2 offset0:89 offset1:90
	scratch_load_b128 v[148:151], off, off offset:320
	s_wait_dscnt 0x1
	v_fmac_f64_e32 v[156:157], v[130:131], v[126:127]
	s_wait_loadcnt 0x5
	s_delay_alu instid0(VALU_DEP_1) | instskip(SKIP_4) | instid1(VALU_DEP_1)
	v_fmac_f64_e32 v[156:157], v[132:133], v[128:129]
	scratch_load_b128 v[126:129], off, off offset:336
	s_wait_dscnt 0x0
	v_fmac_f64_e32 v[156:157], v[134:135], v[144:145]
	s_wait_loadcnt 0x5
	v_fmac_f64_e32 v[156:157], v[136:137], v[146:147]
	ds_load_2addr_b64 v[130:133], v2 offset0:91 offset1:92
	ds_load_2addr_b64 v[134:137], v2 offset0:93 offset1:94
	scratch_load_b128 v[144:147], off, off offset:352
	s_wait_dscnt 0x1
	v_fmac_f64_e32 v[156:157], v[138:139], v[130:131]
	s_wait_loadcnt 0x5
	s_delay_alu instid0(VALU_DEP_1) | instskip(SKIP_4) | instid1(VALU_DEP_1)
	v_fmac_f64_e32 v[156:157], v[140:141], v[132:133]
	scratch_load_b128 v[130:133], off, off offset:368
	s_wait_dscnt 0x0
	v_fmac_f64_e32 v[156:157], v[142:143], v[134:135]
	s_wait_loadcnt 0x5
	v_fmac_f64_e32 v[156:157], v[152:153], v[136:137]
	ds_load_2addr_b64 v[134:137], v2 offset0:95 offset1:96
	ds_load_2addr_b64 v[138:141], v2 offset0:97 offset1:98
	s_wait_dscnt 0x1
	v_fmac_f64_e32 v[156:157], v[154:155], v[134:135]
	s_wait_loadcnt 0x4
	s_delay_alu instid0(VALU_DEP_1)
	v_fmac_f64_e32 v[156:157], v[122:123], v[136:137]
	scratch_load_b128 v[134:137], off, off offset:384
	s_wait_dscnt 0x0
	v_fmac_f64_e32 v[156:157], v[124:125], v[138:139]
	scratch_load_b128 v[122:125], off, off offset:400
	s_wait_loadcnt 0x5
	v_fmac_f64_e32 v[156:157], v[148:149], v[140:141]
	ds_load_2addr_b64 v[138:141], v2 offset0:99 offset1:100
	ds_load_2addr_b64 v[152:155], v2 offset0:101 offset1:102
	s_wait_dscnt 0x1
	v_fmac_f64_e32 v[156:157], v[150:151], v[138:139]
	s_wait_loadcnt 0x4
	s_delay_alu instid0(VALU_DEP_1)
	v_fmac_f64_e32 v[156:157], v[126:127], v[140:141]
	scratch_load_b128 v[138:141], off, off offset:416
	s_wait_dscnt 0x0
	v_fmac_f64_e32 v[156:157], v[128:129], v[152:153]
	scratch_load_b128 v[126:129], off, off offset:432
	s_wait_loadcnt 0x5
	v_fmac_f64_e32 v[156:157], v[144:145], v[154:155]
	ds_load_2addr_b64 v[142:145], v2 offset0:103 offset1:104
	ds_load_2addr_b64 v[148:151], v2 offset0:105 offset1:106
	s_wait_dscnt 0x1
	v_fmac_f64_e32 v[156:157], v[146:147], v[142:143]
	s_wait_loadcnt 0x4
	s_delay_alu instid0(VALU_DEP_1)
	v_fmac_f64_e32 v[156:157], v[130:131], v[144:145]
	scratch_load_b128 v[142:145], off, off offset:448
	s_wait_dscnt 0x0
	v_fmac_f64_e32 v[156:157], v[132:133], v[148:149]
	ds_load_2addr_b64 v[130:133], v2 offset0:107 offset1:108
	ds_load_2addr_b64 v[146:149], v2 offset0:109 offset1:110
	s_wait_loadcnt 0x4
	v_fmac_f64_e32 v[156:157], v[134:135], v[150:151]
	s_wait_dscnt 0x1
	s_delay_alu instid0(VALU_DEP_1) | instskip(SKIP_1) | instid1(VALU_DEP_1)
	v_fmac_f64_e32 v[156:157], v[136:137], v[130:131]
	s_wait_loadcnt 0x3
	v_fmac_f64_e32 v[156:157], v[122:123], v[132:133]
	s_wait_dscnt 0x0
	s_delay_alu instid0(VALU_DEP_1)
	v_fmac_f64_e32 v[156:157], v[124:125], v[146:147]
	ds_load_2addr_b64 v[122:125], v2 offset0:111 offset1:112
	ds_load_2addr_b64 v[130:133], v2 offset0:113 offset1:114
	s_wait_loadcnt 0x2
	v_fmac_f64_e32 v[156:157], v[138:139], v[148:149]
	s_wait_dscnt 0x1
	s_delay_alu instid0(VALU_DEP_1) | instskip(SKIP_4) | instid1(VALU_DEP_1)
	v_fmac_f64_e32 v[156:157], v[140:141], v[122:123]
	ds_load_b64 v[122:123], v2 offset:920
	s_wait_loadcnt 0x1
	v_fmac_f64_e32 v[156:157], v[126:127], v[124:125]
	s_wait_dscnt 0x1
	v_fmac_f64_e32 v[156:157], v[128:129], v[130:131]
	s_wait_loadcnt 0x0
	s_delay_alu instid0(VALU_DEP_1) | instskip(SKIP_1) | instid1(VALU_DEP_1)
	v_fmac_f64_e32 v[156:157], v[142:143], v[132:133]
	s_wait_dscnt 0x0
	v_fmac_f64_e32 v[156:157], v[144:145], v[122:123]
	s_delay_alu instid0(VALU_DEP_1)
	v_add_f64_e64 v[120:121], v[120:121], -v[156:157]
	scratch_store_b64 off, v[120:121], off offset:192
	s_wait_xcnt 0x0
	v_cmpx_lt_u32_e32 23, v0
	s_cbranch_execz .LBB57_311
; %bb.310:
	scratch_load_b64 v[120:121], off, off offset:184
	v_mov_b64_e32 v[122:123], 0
	scratch_store_b64 off, v[122:123], off offset:184
	s_wait_loadcnt 0x0
	ds_store_b64 v1, v[120:121]
.LBB57_311:
	s_wait_xcnt 0x0
	s_or_b32 exec_lo, exec_lo, s0
	s_wait_storecnt_dscnt 0x0
	s_barrier_signal -1
	s_barrier_wait -1
	s_clause 0x5
	scratch_load_b128 v[120:123], off, off offset:184
	scratch_load_b128 v[124:127], off, off offset:200
	;; [unrolled: 1-line block ×6, first 2 shown]
	ds_load_b128 v[144:147], v2 offset:656
	ds_load_b128 v[148:151], v2 offset:672
	scratch_load_b128 v[152:155], off, off offset:280
	s_mov_b32 s0, exec_lo
	s_wait_loadcnt_dscnt 0x601
	v_fma_f64 v[156:157], v[122:123], v[144:145], 0
	s_wait_loadcnt 0x5
	s_delay_alu instid0(VALU_DEP_1) | instskip(SKIP_4) | instid1(VALU_DEP_1)
	v_fmac_f64_e32 v[156:157], v[124:125], v[146:147]
	scratch_load_b128 v[122:125], off, off offset:296
	s_wait_dscnt 0x0
	v_fmac_f64_e32 v[156:157], v[126:127], v[148:149]
	s_wait_loadcnt 0x5
	v_fmac_f64_e32 v[156:157], v[128:129], v[150:151]
	ds_load_b128 v[126:129], v2 offset:688
	ds_load_b128 v[144:147], v2 offset:704
	scratch_load_b128 v[148:151], off, off offset:312
	s_wait_dscnt 0x1
	v_fmac_f64_e32 v[156:157], v[130:131], v[126:127]
	s_wait_loadcnt 0x5
	s_delay_alu instid0(VALU_DEP_1) | instskip(SKIP_4) | instid1(VALU_DEP_1)
	v_fmac_f64_e32 v[156:157], v[132:133], v[128:129]
	scratch_load_b128 v[126:129], off, off offset:328
	s_wait_dscnt 0x0
	v_fmac_f64_e32 v[156:157], v[134:135], v[144:145]
	s_wait_loadcnt 0x5
	v_fmac_f64_e32 v[156:157], v[136:137], v[146:147]
	ds_load_b128 v[130:133], v2 offset:720
	ds_load_b128 v[134:137], v2 offset:736
	scratch_load_b128 v[144:147], off, off offset:344
	s_wait_dscnt 0x1
	v_fmac_f64_e32 v[156:157], v[138:139], v[130:131]
	s_wait_loadcnt 0x5
	s_delay_alu instid0(VALU_DEP_1) | instskip(SKIP_4) | instid1(VALU_DEP_1)
	v_fmac_f64_e32 v[156:157], v[140:141], v[132:133]
	scratch_load_b128 v[130:133], off, off offset:360
	s_wait_dscnt 0x0
	v_fmac_f64_e32 v[156:157], v[142:143], v[134:135]
	s_wait_loadcnt 0x5
	v_fmac_f64_e32 v[156:157], v[152:153], v[136:137]
	ds_load_b128 v[134:137], v2 offset:752
	ds_load_b128 v[138:141], v2 offset:768
	s_wait_dscnt 0x1
	v_fmac_f64_e32 v[156:157], v[154:155], v[134:135]
	scratch_load_b128 v[152:155], off, off offset:376
	s_wait_loadcnt 0x5
	v_fmac_f64_e32 v[156:157], v[122:123], v[136:137]
	s_wait_dscnt 0x0
	s_delay_alu instid0(VALU_DEP_1)
	v_fmac_f64_e32 v[156:157], v[124:125], v[138:139]
	scratch_load_b128 v[122:125], off, off offset:392
	s_wait_loadcnt 0x5
	v_fmac_f64_e32 v[156:157], v[148:149], v[140:141]
	ds_load_b128 v[134:137], v2 offset:784
	ds_load_b128 v[138:141], v2 offset:800
	s_wait_dscnt 0x1
	v_fmac_f64_e32 v[156:157], v[150:151], v[134:135]
	s_wait_loadcnt 0x4
	s_delay_alu instid0(VALU_DEP_1)
	v_fmac_f64_e32 v[156:157], v[126:127], v[136:137]
	scratch_load_b128 v[134:137], off, off offset:408
	s_wait_dscnt 0x0
	v_fmac_f64_e32 v[156:157], v[128:129], v[138:139]
	scratch_load_b128 v[126:129], off, off offset:424
	s_wait_loadcnt 0x5
	v_fmac_f64_e32 v[156:157], v[144:145], v[140:141]
	ds_load_b128 v[138:141], v2 offset:816
	ds_load_b128 v[142:145], v2 offset:832
	s_wait_dscnt 0x1
	v_fmac_f64_e32 v[156:157], v[146:147], v[138:139]
	scratch_load_b64 v[146:147], off, off offset:456
	s_wait_loadcnt 0x5
	v_fmac_f64_e32 v[156:157], v[130:131], v[140:141]
	scratch_load_b128 v[138:141], off, off offset:440
	s_wait_dscnt 0x0
	v_fmac_f64_e32 v[156:157], v[132:133], v[142:143]
	s_wait_loadcnt 0x5
	s_delay_alu instid0(VALU_DEP_1)
	v_fmac_f64_e32 v[156:157], v[152:153], v[144:145]
	ds_load_b128 v[130:133], v2 offset:848
	ds_load_b128 v[142:145], v2 offset:864
	s_wait_dscnt 0x1
	v_fmac_f64_e32 v[156:157], v[154:155], v[130:131]
	s_wait_loadcnt 0x4
	s_delay_alu instid0(VALU_DEP_1) | instskip(SKIP_1) | instid1(VALU_DEP_1)
	v_fmac_f64_e32 v[156:157], v[122:123], v[132:133]
	s_wait_dscnt 0x0
	v_fmac_f64_e32 v[156:157], v[124:125], v[142:143]
	ds_load_b128 v[122:125], v2 offset:880
	ds_load_b128 v[130:133], v2 offset:896
	s_wait_loadcnt 0x3
	v_fmac_f64_e32 v[156:157], v[134:135], v[144:145]
	s_wait_dscnt 0x1
	s_delay_alu instid0(VALU_DEP_1) | instskip(SKIP_1) | instid1(VALU_DEP_1)
	v_fmac_f64_e32 v[156:157], v[136:137], v[122:123]
	s_wait_loadcnt 0x2
	v_fmac_f64_e32 v[156:157], v[126:127], v[124:125]
	ds_load_b128 v[122:125], v2 offset:912
	s_wait_dscnt 0x1
	v_fmac_f64_e32 v[156:157], v[128:129], v[130:131]
	s_wait_loadcnt 0x0
	s_delay_alu instid0(VALU_DEP_1) | instskip(SKIP_1) | instid1(VALU_DEP_1)
	v_fmac_f64_e32 v[156:157], v[138:139], v[132:133]
	s_wait_dscnt 0x0
	v_fmac_f64_e32 v[156:157], v[140:141], v[122:123]
	s_delay_alu instid0(VALU_DEP_1) | instskip(NEXT) | instid1(VALU_DEP_1)
	v_fmac_f64_e32 v[156:157], v[146:147], v[124:125]
	v_add_f64_e64 v[2:3], v[120:121], -v[156:157]
	scratch_store_b64 off, v[2:3], off offset:184
	s_wait_xcnt 0x0
	v_cmpx_lt_u32_e32 22, v0
	s_cbranch_execz .LBB57_313
; %bb.312:
	scratch_load_b64 v[2:3], off, off offset:176
	v_mov_b64_e32 v[120:121], 0
	scratch_store_b64 off, v[120:121], off offset:176
	s_wait_loadcnt 0x0
	ds_store_b64 v1, v[2:3]
.LBB57_313:
	s_wait_xcnt 0x0
	s_or_b32 exec_lo, exec_lo, s0
	s_wait_storecnt_dscnt 0x0
	s_barrier_signal -1
	s_barrier_wait -1
	s_clause 0x5
	scratch_load_b128 v[120:123], off, off offset:176
	scratch_load_b128 v[124:127], off, off offset:192
	;; [unrolled: 1-line block ×6, first 2 shown]
	v_mov_b32_e32 v2, 0
	ds_load_2addr_b64 v[144:147], v2 offset0:81 offset1:82
	ds_load_2addr_b64 v[148:151], v2 offset0:83 offset1:84
	scratch_load_b128 v[152:155], off, off offset:272
	s_mov_b32 s0, exec_lo
	s_wait_loadcnt_dscnt 0x601
	v_fma_f64 v[156:157], v[122:123], v[144:145], 0
	s_wait_loadcnt 0x5
	s_delay_alu instid0(VALU_DEP_1) | instskip(SKIP_4) | instid1(VALU_DEP_1)
	v_fmac_f64_e32 v[156:157], v[124:125], v[146:147]
	scratch_load_b128 v[122:125], off, off offset:288
	s_wait_dscnt 0x0
	v_fmac_f64_e32 v[156:157], v[126:127], v[148:149]
	s_wait_loadcnt 0x5
	v_fmac_f64_e32 v[156:157], v[128:129], v[150:151]
	ds_load_2addr_b64 v[126:129], v2 offset0:85 offset1:86
	ds_load_2addr_b64 v[144:147], v2 offset0:87 offset1:88
	scratch_load_b128 v[148:151], off, off offset:304
	s_wait_dscnt 0x1
	v_fmac_f64_e32 v[156:157], v[130:131], v[126:127]
	s_wait_loadcnt 0x5
	s_delay_alu instid0(VALU_DEP_1) | instskip(SKIP_4) | instid1(VALU_DEP_1)
	v_fmac_f64_e32 v[156:157], v[132:133], v[128:129]
	scratch_load_b128 v[126:129], off, off offset:320
	s_wait_dscnt 0x0
	v_fmac_f64_e32 v[156:157], v[134:135], v[144:145]
	s_wait_loadcnt 0x5
	v_fmac_f64_e32 v[156:157], v[136:137], v[146:147]
	ds_load_2addr_b64 v[130:133], v2 offset0:89 offset1:90
	ds_load_2addr_b64 v[134:137], v2 offset0:91 offset1:92
	scratch_load_b128 v[144:147], off, off offset:336
	s_wait_dscnt 0x1
	v_fmac_f64_e32 v[156:157], v[138:139], v[130:131]
	s_wait_loadcnt 0x5
	s_delay_alu instid0(VALU_DEP_1) | instskip(SKIP_4) | instid1(VALU_DEP_1)
	v_fmac_f64_e32 v[156:157], v[140:141], v[132:133]
	scratch_load_b128 v[130:133], off, off offset:352
	s_wait_dscnt 0x0
	v_fmac_f64_e32 v[156:157], v[142:143], v[134:135]
	s_wait_loadcnt 0x5
	v_fmac_f64_e32 v[156:157], v[152:153], v[136:137]
	ds_load_2addr_b64 v[134:137], v2 offset0:93 offset1:94
	ds_load_2addr_b64 v[138:141], v2 offset0:95 offset1:96
	s_wait_dscnt 0x1
	v_fmac_f64_e32 v[156:157], v[154:155], v[134:135]
	scratch_load_b128 v[152:155], off, off offset:368
	s_wait_loadcnt 0x5
	v_fmac_f64_e32 v[156:157], v[122:123], v[136:137]
	s_wait_dscnt 0x0
	s_delay_alu instid0(VALU_DEP_1)
	v_fmac_f64_e32 v[156:157], v[124:125], v[138:139]
	scratch_load_b128 v[122:125], off, off offset:384
	s_wait_loadcnt 0x5
	v_fmac_f64_e32 v[156:157], v[148:149], v[140:141]
	ds_load_2addr_b64 v[134:137], v2 offset0:97 offset1:98
	ds_load_2addr_b64 v[138:141], v2 offset0:99 offset1:100
	s_wait_dscnt 0x1
	v_fmac_f64_e32 v[156:157], v[150:151], v[134:135]
	s_wait_loadcnt 0x4
	s_delay_alu instid0(VALU_DEP_1)
	v_fmac_f64_e32 v[156:157], v[126:127], v[136:137]
	scratch_load_b128 v[134:137], off, off offset:400
	s_wait_dscnt 0x0
	v_fmac_f64_e32 v[156:157], v[128:129], v[138:139]
	scratch_load_b128 v[126:129], off, off offset:416
	s_wait_loadcnt 0x5
	v_fmac_f64_e32 v[156:157], v[144:145], v[140:141]
	ds_load_2addr_b64 v[138:141], v2 offset0:101 offset1:102
	ds_load_2addr_b64 v[142:145], v2 offset0:103 offset1:104
	s_wait_dscnt 0x1
	v_fmac_f64_e32 v[156:157], v[146:147], v[138:139]
	s_wait_loadcnt 0x4
	s_delay_alu instid0(VALU_DEP_1)
	v_fmac_f64_e32 v[156:157], v[130:131], v[140:141]
	scratch_load_b128 v[138:141], off, off offset:432
	s_wait_dscnt 0x0
	v_fmac_f64_e32 v[156:157], v[132:133], v[142:143]
	scratch_load_b128 v[130:133], off, off offset:448
	s_wait_loadcnt 0x5
	v_fmac_f64_e32 v[156:157], v[152:153], v[144:145]
	ds_load_2addr_b64 v[142:145], v2 offset0:105 offset1:106
	ds_load_2addr_b64 v[146:149], v2 offset0:107 offset1:108
	s_wait_dscnt 0x1
	v_fmac_f64_e32 v[156:157], v[154:155], v[142:143]
	s_wait_loadcnt 0x4
	s_delay_alu instid0(VALU_DEP_1) | instskip(SKIP_1) | instid1(VALU_DEP_1)
	v_fmac_f64_e32 v[156:157], v[122:123], v[144:145]
	s_wait_dscnt 0x0
	v_fmac_f64_e32 v[156:157], v[124:125], v[146:147]
	ds_load_2addr_b64 v[122:125], v2 offset0:109 offset1:110
	ds_load_2addr_b64 v[142:145], v2 offset0:111 offset1:112
	s_wait_loadcnt 0x3
	v_fmac_f64_e32 v[156:157], v[134:135], v[148:149]
	s_wait_dscnt 0x1
	s_delay_alu instid0(VALU_DEP_1) | instskip(SKIP_1) | instid1(VALU_DEP_1)
	v_fmac_f64_e32 v[156:157], v[136:137], v[122:123]
	s_wait_loadcnt 0x2
	v_fmac_f64_e32 v[156:157], v[126:127], v[124:125]
	ds_load_2addr_b64 v[122:125], v2 offset0:113 offset1:114
	ds_load_b64 v[126:127], v2 offset:920
	s_wait_dscnt 0x2
	v_fmac_f64_e32 v[156:157], v[128:129], v[142:143]
	s_wait_loadcnt 0x1
	s_delay_alu instid0(VALU_DEP_1) | instskip(SKIP_1) | instid1(VALU_DEP_1)
	v_fmac_f64_e32 v[156:157], v[138:139], v[144:145]
	s_wait_dscnt 0x1
	v_fmac_f64_e32 v[156:157], v[140:141], v[122:123]
	s_wait_loadcnt 0x0
	s_delay_alu instid0(VALU_DEP_1) | instskip(SKIP_1) | instid1(VALU_DEP_1)
	v_fmac_f64_e32 v[156:157], v[130:131], v[124:125]
	s_wait_dscnt 0x0
	v_fmac_f64_e32 v[156:157], v[132:133], v[126:127]
	s_delay_alu instid0(VALU_DEP_1)
	v_add_f64_e64 v[120:121], v[120:121], -v[156:157]
	scratch_store_b64 off, v[120:121], off offset:176
	s_wait_xcnt 0x0
	v_cmpx_lt_u32_e32 21, v0
	s_cbranch_execz .LBB57_315
; %bb.314:
	scratch_load_b64 v[120:121], off, off offset:168
	v_mov_b64_e32 v[122:123], 0
	scratch_store_b64 off, v[122:123], off offset:168
	s_wait_loadcnt 0x0
	ds_store_b64 v1, v[120:121]
.LBB57_315:
	s_wait_xcnt 0x0
	s_or_b32 exec_lo, exec_lo, s0
	s_wait_storecnt_dscnt 0x0
	s_barrier_signal -1
	s_barrier_wait -1
	s_clause 0x5
	scratch_load_b128 v[120:123], off, off offset:168
	scratch_load_b128 v[124:127], off, off offset:184
	;; [unrolled: 1-line block ×6, first 2 shown]
	ds_load_b128 v[144:147], v2 offset:640
	ds_load_b128 v[148:151], v2 offset:656
	scratch_load_b128 v[152:155], off, off offset:264
	s_mov_b32 s0, exec_lo
	s_wait_loadcnt_dscnt 0x601
	v_fma_f64 v[156:157], v[122:123], v[144:145], 0
	s_wait_loadcnt 0x5
	s_delay_alu instid0(VALU_DEP_1) | instskip(SKIP_4) | instid1(VALU_DEP_1)
	v_fmac_f64_e32 v[156:157], v[124:125], v[146:147]
	scratch_load_b128 v[122:125], off, off offset:280
	s_wait_dscnt 0x0
	v_fmac_f64_e32 v[156:157], v[126:127], v[148:149]
	s_wait_loadcnt 0x5
	v_fmac_f64_e32 v[156:157], v[128:129], v[150:151]
	ds_load_b128 v[126:129], v2 offset:672
	ds_load_b128 v[144:147], v2 offset:688
	scratch_load_b128 v[148:151], off, off offset:296
	s_wait_dscnt 0x1
	v_fmac_f64_e32 v[156:157], v[130:131], v[126:127]
	s_wait_loadcnt 0x5
	s_delay_alu instid0(VALU_DEP_1) | instskip(SKIP_4) | instid1(VALU_DEP_1)
	v_fmac_f64_e32 v[156:157], v[132:133], v[128:129]
	scratch_load_b128 v[126:129], off, off offset:312
	s_wait_dscnt 0x0
	v_fmac_f64_e32 v[156:157], v[134:135], v[144:145]
	s_wait_loadcnt 0x5
	v_fmac_f64_e32 v[156:157], v[136:137], v[146:147]
	ds_load_b128 v[130:133], v2 offset:704
	ds_load_b128 v[134:137], v2 offset:720
	scratch_load_b128 v[144:147], off, off offset:328
	s_wait_dscnt 0x1
	v_fmac_f64_e32 v[156:157], v[138:139], v[130:131]
	s_wait_loadcnt 0x5
	s_delay_alu instid0(VALU_DEP_1) | instskip(SKIP_4) | instid1(VALU_DEP_1)
	v_fmac_f64_e32 v[156:157], v[140:141], v[132:133]
	scratch_load_b128 v[130:133], off, off offset:344
	s_wait_dscnt 0x0
	v_fmac_f64_e32 v[156:157], v[142:143], v[134:135]
	s_wait_loadcnt 0x5
	v_fmac_f64_e32 v[156:157], v[152:153], v[136:137]
	ds_load_b128 v[134:137], v2 offset:736
	ds_load_b128 v[138:141], v2 offset:752
	s_wait_dscnt 0x1
	v_fmac_f64_e32 v[156:157], v[154:155], v[134:135]
	scratch_load_b128 v[152:155], off, off offset:360
	s_wait_loadcnt 0x5
	v_fmac_f64_e32 v[156:157], v[122:123], v[136:137]
	s_wait_dscnt 0x0
	s_delay_alu instid0(VALU_DEP_1)
	v_fmac_f64_e32 v[156:157], v[124:125], v[138:139]
	scratch_load_b128 v[122:125], off, off offset:376
	s_wait_loadcnt 0x5
	v_fmac_f64_e32 v[156:157], v[148:149], v[140:141]
	ds_load_b128 v[134:137], v2 offset:768
	ds_load_b128 v[138:141], v2 offset:784
	s_wait_dscnt 0x1
	v_fmac_f64_e32 v[156:157], v[150:151], v[134:135]
	s_wait_loadcnt 0x4
	s_delay_alu instid0(VALU_DEP_1)
	v_fmac_f64_e32 v[156:157], v[126:127], v[136:137]
	scratch_load_b128 v[134:137], off, off offset:392
	s_wait_dscnt 0x0
	v_fmac_f64_e32 v[156:157], v[128:129], v[138:139]
	scratch_load_b128 v[126:129], off, off offset:408
	s_wait_loadcnt 0x5
	v_fmac_f64_e32 v[156:157], v[144:145], v[140:141]
	ds_load_b128 v[138:141], v2 offset:800
	ds_load_b128 v[142:145], v2 offset:816
	s_wait_dscnt 0x1
	v_fmac_f64_e32 v[156:157], v[146:147], v[138:139]
	s_wait_loadcnt 0x4
	s_delay_alu instid0(VALU_DEP_1)
	v_fmac_f64_e32 v[156:157], v[130:131], v[140:141]
	scratch_load_b128 v[138:141], off, off offset:424
	s_wait_dscnt 0x0
	v_fmac_f64_e32 v[156:157], v[132:133], v[142:143]
	scratch_load_b128 v[130:133], off, off offset:440
	s_wait_loadcnt 0x5
	v_fmac_f64_e32 v[156:157], v[152:153], v[144:145]
	ds_load_b128 v[142:145], v2 offset:832
	ds_load_b128 v[146:149], v2 offset:848
	scratch_load_b64 v[150:151], off, off offset:456
	s_wait_dscnt 0x1
	v_fmac_f64_e32 v[156:157], v[154:155], v[142:143]
	s_wait_loadcnt 0x5
	s_delay_alu instid0(VALU_DEP_1) | instskip(SKIP_1) | instid1(VALU_DEP_1)
	v_fmac_f64_e32 v[156:157], v[122:123], v[144:145]
	s_wait_dscnt 0x0
	v_fmac_f64_e32 v[156:157], v[124:125], v[146:147]
	ds_load_b128 v[122:125], v2 offset:864
	ds_load_b128 v[142:145], v2 offset:880
	s_wait_loadcnt 0x4
	v_fmac_f64_e32 v[156:157], v[134:135], v[148:149]
	s_wait_dscnt 0x1
	s_delay_alu instid0(VALU_DEP_1) | instskip(SKIP_1) | instid1(VALU_DEP_1)
	v_fmac_f64_e32 v[156:157], v[136:137], v[122:123]
	s_wait_loadcnt 0x3
	v_fmac_f64_e32 v[156:157], v[126:127], v[124:125]
	s_wait_dscnt 0x0
	s_delay_alu instid0(VALU_DEP_1)
	v_fmac_f64_e32 v[156:157], v[128:129], v[142:143]
	ds_load_b128 v[122:125], v2 offset:896
	ds_load_b128 v[126:129], v2 offset:912
	s_wait_loadcnt 0x2
	v_fmac_f64_e32 v[156:157], v[138:139], v[144:145]
	s_wait_dscnt 0x1
	s_delay_alu instid0(VALU_DEP_1) | instskip(SKIP_1) | instid1(VALU_DEP_1)
	v_fmac_f64_e32 v[156:157], v[140:141], v[122:123]
	s_wait_loadcnt 0x1
	v_fmac_f64_e32 v[156:157], v[130:131], v[124:125]
	s_wait_dscnt 0x0
	s_delay_alu instid0(VALU_DEP_1) | instskip(SKIP_1) | instid1(VALU_DEP_1)
	v_fmac_f64_e32 v[156:157], v[132:133], v[126:127]
	s_wait_loadcnt 0x0
	v_fmac_f64_e32 v[156:157], v[150:151], v[128:129]
	s_delay_alu instid0(VALU_DEP_1)
	v_add_f64_e64 v[2:3], v[120:121], -v[156:157]
	scratch_store_b64 off, v[2:3], off offset:168
	s_wait_xcnt 0x0
	v_cmpx_lt_u32_e32 20, v0
	s_cbranch_execz .LBB57_317
; %bb.316:
	scratch_load_b64 v[2:3], off, off offset:160
	v_mov_b64_e32 v[120:121], 0
	scratch_store_b64 off, v[120:121], off offset:160
	s_wait_loadcnt 0x0
	ds_store_b64 v1, v[2:3]
.LBB57_317:
	s_wait_xcnt 0x0
	s_or_b32 exec_lo, exec_lo, s0
	s_wait_storecnt_dscnt 0x0
	s_barrier_signal -1
	s_barrier_wait -1
	s_clause 0x5
	scratch_load_b128 v[120:123], off, off offset:160
	scratch_load_b128 v[124:127], off, off offset:176
	;; [unrolled: 1-line block ×6, first 2 shown]
	v_mov_b32_e32 v2, 0
	ds_load_2addr_b64 v[144:147], v2 offset0:79 offset1:80
	ds_load_2addr_b64 v[148:151], v2 offset0:81 offset1:82
	scratch_load_b128 v[152:155], off, off offset:256
	s_mov_b32 s0, exec_lo
	s_wait_loadcnt_dscnt 0x601
	v_fma_f64 v[156:157], v[122:123], v[144:145], 0
	s_wait_loadcnt 0x5
	s_delay_alu instid0(VALU_DEP_1) | instskip(SKIP_4) | instid1(VALU_DEP_1)
	v_fmac_f64_e32 v[156:157], v[124:125], v[146:147]
	scratch_load_b128 v[122:125], off, off offset:272
	s_wait_dscnt 0x0
	v_fmac_f64_e32 v[156:157], v[126:127], v[148:149]
	s_wait_loadcnt 0x5
	v_fmac_f64_e32 v[156:157], v[128:129], v[150:151]
	ds_load_2addr_b64 v[126:129], v2 offset0:83 offset1:84
	ds_load_2addr_b64 v[144:147], v2 offset0:85 offset1:86
	scratch_load_b128 v[148:151], off, off offset:288
	s_wait_dscnt 0x1
	v_fmac_f64_e32 v[156:157], v[130:131], v[126:127]
	s_wait_loadcnt 0x5
	s_delay_alu instid0(VALU_DEP_1) | instskip(SKIP_4) | instid1(VALU_DEP_1)
	v_fmac_f64_e32 v[156:157], v[132:133], v[128:129]
	scratch_load_b128 v[126:129], off, off offset:304
	s_wait_dscnt 0x0
	v_fmac_f64_e32 v[156:157], v[134:135], v[144:145]
	s_wait_loadcnt 0x5
	v_fmac_f64_e32 v[156:157], v[136:137], v[146:147]
	ds_load_2addr_b64 v[130:133], v2 offset0:87 offset1:88
	ds_load_2addr_b64 v[134:137], v2 offset0:89 offset1:90
	scratch_load_b128 v[144:147], off, off offset:320
	s_wait_dscnt 0x1
	v_fmac_f64_e32 v[156:157], v[138:139], v[130:131]
	s_wait_loadcnt 0x5
	s_delay_alu instid0(VALU_DEP_1) | instskip(SKIP_4) | instid1(VALU_DEP_1)
	v_fmac_f64_e32 v[156:157], v[140:141], v[132:133]
	scratch_load_b128 v[130:133], off, off offset:336
	s_wait_dscnt 0x0
	v_fmac_f64_e32 v[156:157], v[142:143], v[134:135]
	s_wait_loadcnt 0x5
	v_fmac_f64_e32 v[156:157], v[152:153], v[136:137]
	ds_load_2addr_b64 v[134:137], v2 offset0:91 offset1:92
	ds_load_2addr_b64 v[138:141], v2 offset0:93 offset1:94
	s_wait_dscnt 0x1
	v_fmac_f64_e32 v[156:157], v[154:155], v[134:135]
	scratch_load_b128 v[152:155], off, off offset:352
	s_wait_loadcnt 0x5
	v_fmac_f64_e32 v[156:157], v[122:123], v[136:137]
	s_wait_dscnt 0x0
	s_delay_alu instid0(VALU_DEP_1)
	v_fmac_f64_e32 v[156:157], v[124:125], v[138:139]
	scratch_load_b128 v[122:125], off, off offset:368
	s_wait_loadcnt 0x5
	v_fmac_f64_e32 v[156:157], v[148:149], v[140:141]
	ds_load_2addr_b64 v[134:137], v2 offset0:95 offset1:96
	ds_load_2addr_b64 v[138:141], v2 offset0:97 offset1:98
	s_wait_dscnt 0x1
	v_fmac_f64_e32 v[156:157], v[150:151], v[134:135]
	s_wait_loadcnt 0x4
	s_delay_alu instid0(VALU_DEP_1)
	v_fmac_f64_e32 v[156:157], v[126:127], v[136:137]
	scratch_load_b128 v[134:137], off, off offset:384
	s_wait_dscnt 0x0
	v_fmac_f64_e32 v[156:157], v[128:129], v[138:139]
	scratch_load_b128 v[126:129], off, off offset:400
	s_wait_loadcnt 0x5
	v_fmac_f64_e32 v[156:157], v[144:145], v[140:141]
	ds_load_2addr_b64 v[138:141], v2 offset0:99 offset1:100
	ds_load_2addr_b64 v[142:145], v2 offset0:101 offset1:102
	s_wait_dscnt 0x1
	v_fmac_f64_e32 v[156:157], v[146:147], v[138:139]
	s_wait_loadcnt 0x4
	s_delay_alu instid0(VALU_DEP_1)
	v_fmac_f64_e32 v[156:157], v[130:131], v[140:141]
	scratch_load_b128 v[138:141], off, off offset:416
	s_wait_dscnt 0x0
	v_fmac_f64_e32 v[156:157], v[132:133], v[142:143]
	scratch_load_b128 v[130:133], off, off offset:432
	s_wait_loadcnt 0x5
	v_fmac_f64_e32 v[156:157], v[152:153], v[144:145]
	ds_load_2addr_b64 v[142:145], v2 offset0:103 offset1:104
	ds_load_2addr_b64 v[146:149], v2 offset0:105 offset1:106
	s_wait_dscnt 0x1
	v_fmac_f64_e32 v[156:157], v[154:155], v[142:143]
	s_wait_loadcnt 0x4
	s_delay_alu instid0(VALU_DEP_1) | instskip(SKIP_4) | instid1(VALU_DEP_1)
	v_fmac_f64_e32 v[156:157], v[122:123], v[144:145]
	scratch_load_b128 v[142:145], off, off offset:448
	s_wait_dscnt 0x0
	v_fmac_f64_e32 v[156:157], v[124:125], v[146:147]
	s_wait_loadcnt 0x4
	v_fmac_f64_e32 v[156:157], v[134:135], v[148:149]
	ds_load_2addr_b64 v[122:125], v2 offset0:107 offset1:108
	ds_load_2addr_b64 v[146:149], v2 offset0:109 offset1:110
	s_wait_dscnt 0x1
	v_fmac_f64_e32 v[156:157], v[136:137], v[122:123]
	s_wait_loadcnt 0x3
	s_delay_alu instid0(VALU_DEP_1) | instskip(SKIP_1) | instid1(VALU_DEP_1)
	v_fmac_f64_e32 v[156:157], v[126:127], v[124:125]
	s_wait_dscnt 0x0
	v_fmac_f64_e32 v[156:157], v[128:129], v[146:147]
	ds_load_2addr_b64 v[122:125], v2 offset0:111 offset1:112
	ds_load_2addr_b64 v[126:129], v2 offset0:113 offset1:114
	s_wait_loadcnt 0x2
	v_fmac_f64_e32 v[156:157], v[138:139], v[148:149]
	s_wait_dscnt 0x1
	s_delay_alu instid0(VALU_DEP_1) | instskip(SKIP_4) | instid1(VALU_DEP_1)
	v_fmac_f64_e32 v[156:157], v[140:141], v[122:123]
	ds_load_b64 v[122:123], v2 offset:920
	s_wait_loadcnt 0x1
	v_fmac_f64_e32 v[156:157], v[130:131], v[124:125]
	s_wait_dscnt 0x1
	v_fmac_f64_e32 v[156:157], v[132:133], v[126:127]
	s_wait_loadcnt 0x0
	s_delay_alu instid0(VALU_DEP_1) | instskip(SKIP_1) | instid1(VALU_DEP_1)
	v_fmac_f64_e32 v[156:157], v[142:143], v[128:129]
	s_wait_dscnt 0x0
	v_fmac_f64_e32 v[156:157], v[144:145], v[122:123]
	s_delay_alu instid0(VALU_DEP_1)
	v_add_f64_e64 v[120:121], v[120:121], -v[156:157]
	scratch_store_b64 off, v[120:121], off offset:160
	s_wait_xcnt 0x0
	v_cmpx_lt_u32_e32 19, v0
	s_cbranch_execz .LBB57_319
; %bb.318:
	scratch_load_b64 v[120:121], off, off offset:152
	v_mov_b64_e32 v[122:123], 0
	scratch_store_b64 off, v[122:123], off offset:152
	s_wait_loadcnt 0x0
	ds_store_b64 v1, v[120:121]
.LBB57_319:
	s_wait_xcnt 0x0
	s_or_b32 exec_lo, exec_lo, s0
	s_wait_storecnt_dscnt 0x0
	s_barrier_signal -1
	s_barrier_wait -1
	s_clause 0x5
	scratch_load_b128 v[120:123], off, off offset:152
	scratch_load_b128 v[124:127], off, off offset:168
	;; [unrolled: 1-line block ×6, first 2 shown]
	ds_load_b128 v[144:147], v2 offset:624
	ds_load_b128 v[148:151], v2 offset:640
	scratch_load_b128 v[152:155], off, off offset:248
	s_mov_b32 s0, exec_lo
	s_wait_loadcnt_dscnt 0x601
	v_fma_f64 v[156:157], v[122:123], v[144:145], 0
	s_wait_loadcnt 0x5
	s_delay_alu instid0(VALU_DEP_1) | instskip(SKIP_4) | instid1(VALU_DEP_1)
	v_fmac_f64_e32 v[156:157], v[124:125], v[146:147]
	scratch_load_b128 v[122:125], off, off offset:264
	s_wait_dscnt 0x0
	v_fmac_f64_e32 v[156:157], v[126:127], v[148:149]
	s_wait_loadcnt 0x5
	v_fmac_f64_e32 v[156:157], v[128:129], v[150:151]
	ds_load_b128 v[126:129], v2 offset:656
	ds_load_b128 v[144:147], v2 offset:672
	scratch_load_b128 v[148:151], off, off offset:280
	s_wait_dscnt 0x1
	v_fmac_f64_e32 v[156:157], v[130:131], v[126:127]
	s_wait_loadcnt 0x5
	s_delay_alu instid0(VALU_DEP_1) | instskip(SKIP_4) | instid1(VALU_DEP_1)
	v_fmac_f64_e32 v[156:157], v[132:133], v[128:129]
	scratch_load_b128 v[126:129], off, off offset:296
	s_wait_dscnt 0x0
	v_fmac_f64_e32 v[156:157], v[134:135], v[144:145]
	s_wait_loadcnt 0x5
	v_fmac_f64_e32 v[156:157], v[136:137], v[146:147]
	ds_load_b128 v[130:133], v2 offset:688
	ds_load_b128 v[134:137], v2 offset:704
	scratch_load_b128 v[144:147], off, off offset:312
	s_wait_dscnt 0x1
	v_fmac_f64_e32 v[156:157], v[138:139], v[130:131]
	s_wait_loadcnt 0x5
	s_delay_alu instid0(VALU_DEP_1) | instskip(SKIP_4) | instid1(VALU_DEP_1)
	v_fmac_f64_e32 v[156:157], v[140:141], v[132:133]
	scratch_load_b128 v[130:133], off, off offset:328
	s_wait_dscnt 0x0
	v_fmac_f64_e32 v[156:157], v[142:143], v[134:135]
	s_wait_loadcnt 0x5
	v_fmac_f64_e32 v[156:157], v[152:153], v[136:137]
	ds_load_b128 v[134:137], v2 offset:720
	ds_load_b128 v[138:141], v2 offset:736
	s_wait_dscnt 0x1
	v_fmac_f64_e32 v[156:157], v[154:155], v[134:135]
	scratch_load_b128 v[152:155], off, off offset:344
	s_wait_loadcnt 0x5
	v_fmac_f64_e32 v[156:157], v[122:123], v[136:137]
	s_wait_dscnt 0x0
	s_delay_alu instid0(VALU_DEP_1)
	v_fmac_f64_e32 v[156:157], v[124:125], v[138:139]
	scratch_load_b128 v[122:125], off, off offset:360
	s_wait_loadcnt 0x5
	v_fmac_f64_e32 v[156:157], v[148:149], v[140:141]
	ds_load_b128 v[134:137], v2 offset:752
	ds_load_b128 v[138:141], v2 offset:768
	s_wait_dscnt 0x1
	v_fmac_f64_e32 v[156:157], v[150:151], v[134:135]
	scratch_load_b128 v[148:151], off, off offset:376
	s_wait_loadcnt 0x5
	v_fmac_f64_e32 v[156:157], v[126:127], v[136:137]
	s_wait_dscnt 0x0
	s_delay_alu instid0(VALU_DEP_1)
	v_fmac_f64_e32 v[156:157], v[128:129], v[138:139]
	scratch_load_b128 v[126:129], off, off offset:392
	s_wait_loadcnt 0x5
	v_fmac_f64_e32 v[156:157], v[144:145], v[140:141]
	ds_load_b128 v[134:137], v2 offset:784
	ds_load_b128 v[138:141], v2 offset:800
	s_wait_dscnt 0x1
	v_fmac_f64_e32 v[156:157], v[146:147], v[134:135]
	s_wait_loadcnt 0x4
	s_delay_alu instid0(VALU_DEP_1)
	v_fmac_f64_e32 v[156:157], v[130:131], v[136:137]
	scratch_load_b128 v[134:137], off, off offset:408
	s_wait_dscnt 0x0
	v_fmac_f64_e32 v[156:157], v[132:133], v[138:139]
	scratch_load_b128 v[130:133], off, off offset:424
	s_wait_loadcnt 0x5
	v_fmac_f64_e32 v[156:157], v[152:153], v[140:141]
	ds_load_b128 v[138:141], v2 offset:816
	ds_load_b128 v[142:145], v2 offset:832
	scratch_load_b64 v[146:147], off, off offset:456
	s_wait_dscnt 0x1
	v_fmac_f64_e32 v[156:157], v[154:155], v[138:139]
	s_wait_loadcnt 0x5
	s_delay_alu instid0(VALU_DEP_1) | instskip(SKIP_4) | instid1(VALU_DEP_1)
	v_fmac_f64_e32 v[156:157], v[122:123], v[140:141]
	scratch_load_b128 v[138:141], off, off offset:440
	s_wait_dscnt 0x0
	v_fmac_f64_e32 v[156:157], v[124:125], v[142:143]
	s_wait_loadcnt 0x5
	v_fmac_f64_e32 v[156:157], v[148:149], v[144:145]
	ds_load_b128 v[122:125], v2 offset:848
	ds_load_b128 v[142:145], v2 offset:864
	s_wait_dscnt 0x1
	v_fmac_f64_e32 v[156:157], v[150:151], v[122:123]
	s_wait_loadcnt 0x4
	s_delay_alu instid0(VALU_DEP_1) | instskip(SKIP_1) | instid1(VALU_DEP_1)
	v_fmac_f64_e32 v[156:157], v[126:127], v[124:125]
	s_wait_dscnt 0x0
	v_fmac_f64_e32 v[156:157], v[128:129], v[142:143]
	ds_load_b128 v[122:125], v2 offset:880
	ds_load_b128 v[126:129], v2 offset:896
	s_wait_loadcnt 0x3
	v_fmac_f64_e32 v[156:157], v[134:135], v[144:145]
	s_wait_dscnt 0x1
	s_delay_alu instid0(VALU_DEP_1) | instskip(SKIP_1) | instid1(VALU_DEP_1)
	v_fmac_f64_e32 v[156:157], v[136:137], v[122:123]
	s_wait_loadcnt 0x2
	v_fmac_f64_e32 v[156:157], v[130:131], v[124:125]
	ds_load_b128 v[122:125], v2 offset:912
	s_wait_dscnt 0x1
	v_fmac_f64_e32 v[156:157], v[132:133], v[126:127]
	s_wait_loadcnt 0x0
	s_delay_alu instid0(VALU_DEP_1) | instskip(SKIP_1) | instid1(VALU_DEP_1)
	v_fmac_f64_e32 v[156:157], v[138:139], v[128:129]
	s_wait_dscnt 0x0
	v_fmac_f64_e32 v[156:157], v[140:141], v[122:123]
	s_delay_alu instid0(VALU_DEP_1) | instskip(NEXT) | instid1(VALU_DEP_1)
	v_fmac_f64_e32 v[156:157], v[146:147], v[124:125]
	v_add_f64_e64 v[2:3], v[120:121], -v[156:157]
	scratch_store_b64 off, v[2:3], off offset:152
	s_wait_xcnt 0x0
	v_cmpx_lt_u32_e32 18, v0
	s_cbranch_execz .LBB57_321
; %bb.320:
	scratch_load_b64 v[2:3], off, off offset:144
	v_mov_b64_e32 v[120:121], 0
	scratch_store_b64 off, v[120:121], off offset:144
	s_wait_loadcnt 0x0
	ds_store_b64 v1, v[2:3]
.LBB57_321:
	s_wait_xcnt 0x0
	s_or_b32 exec_lo, exec_lo, s0
	s_wait_storecnt_dscnt 0x0
	s_barrier_signal -1
	s_barrier_wait -1
	s_clause 0x5
	scratch_load_b128 v[120:123], off, off offset:144
	scratch_load_b128 v[124:127], off, off offset:160
	;; [unrolled: 1-line block ×6, first 2 shown]
	v_mov_b32_e32 v2, 0
	ds_load_2addr_b64 v[144:147], v2 offset0:77 offset1:78
	ds_load_2addr_b64 v[148:151], v2 offset0:79 offset1:80
	scratch_load_b128 v[152:155], off, off offset:240
	s_mov_b32 s0, exec_lo
	s_wait_loadcnt_dscnt 0x601
	v_fma_f64 v[156:157], v[122:123], v[144:145], 0
	s_wait_loadcnt 0x5
	s_delay_alu instid0(VALU_DEP_1) | instskip(SKIP_4) | instid1(VALU_DEP_1)
	v_fmac_f64_e32 v[156:157], v[124:125], v[146:147]
	scratch_load_b128 v[122:125], off, off offset:256
	s_wait_dscnt 0x0
	v_fmac_f64_e32 v[156:157], v[126:127], v[148:149]
	s_wait_loadcnt 0x5
	v_fmac_f64_e32 v[156:157], v[128:129], v[150:151]
	ds_load_2addr_b64 v[126:129], v2 offset0:81 offset1:82
	ds_load_2addr_b64 v[144:147], v2 offset0:83 offset1:84
	scratch_load_b128 v[148:151], off, off offset:272
	s_wait_dscnt 0x1
	v_fmac_f64_e32 v[156:157], v[130:131], v[126:127]
	s_wait_loadcnt 0x5
	s_delay_alu instid0(VALU_DEP_1) | instskip(SKIP_4) | instid1(VALU_DEP_1)
	v_fmac_f64_e32 v[156:157], v[132:133], v[128:129]
	scratch_load_b128 v[126:129], off, off offset:288
	s_wait_dscnt 0x0
	v_fmac_f64_e32 v[156:157], v[134:135], v[144:145]
	s_wait_loadcnt 0x5
	v_fmac_f64_e32 v[156:157], v[136:137], v[146:147]
	ds_load_2addr_b64 v[130:133], v2 offset0:85 offset1:86
	ds_load_2addr_b64 v[134:137], v2 offset0:87 offset1:88
	scratch_load_b128 v[144:147], off, off offset:304
	s_wait_dscnt 0x1
	v_fmac_f64_e32 v[156:157], v[138:139], v[130:131]
	s_wait_loadcnt 0x5
	s_delay_alu instid0(VALU_DEP_1) | instskip(SKIP_4) | instid1(VALU_DEP_1)
	v_fmac_f64_e32 v[156:157], v[140:141], v[132:133]
	scratch_load_b128 v[130:133], off, off offset:320
	s_wait_dscnt 0x0
	v_fmac_f64_e32 v[156:157], v[142:143], v[134:135]
	s_wait_loadcnt 0x5
	v_fmac_f64_e32 v[156:157], v[152:153], v[136:137]
	ds_load_2addr_b64 v[134:137], v2 offset0:89 offset1:90
	ds_load_2addr_b64 v[138:141], v2 offset0:91 offset1:92
	s_wait_dscnt 0x1
	v_fmac_f64_e32 v[156:157], v[154:155], v[134:135]
	scratch_load_b128 v[152:155], off, off offset:336
	s_wait_loadcnt 0x5
	v_fmac_f64_e32 v[156:157], v[122:123], v[136:137]
	s_wait_dscnt 0x0
	s_delay_alu instid0(VALU_DEP_1)
	v_fmac_f64_e32 v[156:157], v[124:125], v[138:139]
	scratch_load_b128 v[122:125], off, off offset:352
	s_wait_loadcnt 0x5
	v_fmac_f64_e32 v[156:157], v[148:149], v[140:141]
	ds_load_2addr_b64 v[134:137], v2 offset0:93 offset1:94
	ds_load_2addr_b64 v[138:141], v2 offset0:95 offset1:96
	s_wait_dscnt 0x1
	v_fmac_f64_e32 v[156:157], v[150:151], v[134:135]
	scratch_load_b128 v[148:151], off, off offset:368
	s_wait_loadcnt 0x5
	v_fmac_f64_e32 v[156:157], v[126:127], v[136:137]
	s_wait_dscnt 0x0
	s_delay_alu instid0(VALU_DEP_1)
	v_fmac_f64_e32 v[156:157], v[128:129], v[138:139]
	scratch_load_b128 v[126:129], off, off offset:384
	s_wait_loadcnt 0x5
	v_fmac_f64_e32 v[156:157], v[144:145], v[140:141]
	ds_load_2addr_b64 v[134:137], v2 offset0:97 offset1:98
	ds_load_2addr_b64 v[138:141], v2 offset0:99 offset1:100
	s_wait_dscnt 0x1
	v_fmac_f64_e32 v[156:157], v[146:147], v[134:135]
	s_wait_loadcnt 0x4
	s_delay_alu instid0(VALU_DEP_1)
	v_fmac_f64_e32 v[156:157], v[130:131], v[136:137]
	scratch_load_b128 v[134:137], off, off offset:400
	s_wait_dscnt 0x0
	v_fmac_f64_e32 v[156:157], v[132:133], v[138:139]
	scratch_load_b128 v[130:133], off, off offset:416
	s_wait_loadcnt 0x5
	v_fmac_f64_e32 v[156:157], v[152:153], v[140:141]
	ds_load_2addr_b64 v[138:141], v2 offset0:101 offset1:102
	ds_load_2addr_b64 v[142:145], v2 offset0:103 offset1:104
	s_wait_dscnt 0x1
	v_fmac_f64_e32 v[156:157], v[154:155], v[138:139]
	s_wait_loadcnt 0x4
	s_delay_alu instid0(VALU_DEP_1)
	v_fmac_f64_e32 v[156:157], v[122:123], v[140:141]
	scratch_load_b128 v[138:141], off, off offset:432
	s_wait_dscnt 0x0
	v_fmac_f64_e32 v[156:157], v[124:125], v[142:143]
	scratch_load_b128 v[122:125], off, off offset:448
	s_wait_loadcnt 0x5
	v_fmac_f64_e32 v[156:157], v[148:149], v[144:145]
	ds_load_2addr_b64 v[142:145], v2 offset0:105 offset1:106
	ds_load_2addr_b64 v[146:149], v2 offset0:107 offset1:108
	s_wait_dscnt 0x1
	v_fmac_f64_e32 v[156:157], v[150:151], v[142:143]
	s_wait_loadcnt 0x4
	s_delay_alu instid0(VALU_DEP_1) | instskip(SKIP_1) | instid1(VALU_DEP_1)
	v_fmac_f64_e32 v[156:157], v[126:127], v[144:145]
	s_wait_dscnt 0x0
	v_fmac_f64_e32 v[156:157], v[128:129], v[146:147]
	ds_load_2addr_b64 v[126:129], v2 offset0:109 offset1:110
	ds_load_2addr_b64 v[142:145], v2 offset0:111 offset1:112
	s_wait_loadcnt 0x3
	v_fmac_f64_e32 v[156:157], v[134:135], v[148:149]
	s_wait_dscnt 0x1
	s_delay_alu instid0(VALU_DEP_1) | instskip(SKIP_1) | instid1(VALU_DEP_1)
	v_fmac_f64_e32 v[156:157], v[136:137], v[126:127]
	s_wait_loadcnt 0x2
	v_fmac_f64_e32 v[156:157], v[130:131], v[128:129]
	ds_load_2addr_b64 v[126:129], v2 offset0:113 offset1:114
	ds_load_b64 v[130:131], v2 offset:920
	s_wait_dscnt 0x2
	v_fmac_f64_e32 v[156:157], v[132:133], v[142:143]
	s_wait_loadcnt 0x1
	s_delay_alu instid0(VALU_DEP_1) | instskip(SKIP_1) | instid1(VALU_DEP_1)
	v_fmac_f64_e32 v[156:157], v[138:139], v[144:145]
	s_wait_dscnt 0x1
	v_fmac_f64_e32 v[156:157], v[140:141], v[126:127]
	s_wait_loadcnt 0x0
	s_delay_alu instid0(VALU_DEP_1) | instskip(SKIP_1) | instid1(VALU_DEP_1)
	v_fmac_f64_e32 v[156:157], v[122:123], v[128:129]
	s_wait_dscnt 0x0
	v_fmac_f64_e32 v[156:157], v[124:125], v[130:131]
	s_delay_alu instid0(VALU_DEP_1)
	v_add_f64_e64 v[120:121], v[120:121], -v[156:157]
	scratch_store_b64 off, v[120:121], off offset:144
	s_wait_xcnt 0x0
	v_cmpx_lt_u32_e32 17, v0
	s_cbranch_execz .LBB57_323
; %bb.322:
	scratch_load_b64 v[120:121], off, off offset:136
	v_mov_b64_e32 v[122:123], 0
	scratch_store_b64 off, v[122:123], off offset:136
	s_wait_loadcnt 0x0
	ds_store_b64 v1, v[120:121]
.LBB57_323:
	s_wait_xcnt 0x0
	s_or_b32 exec_lo, exec_lo, s0
	s_wait_storecnt_dscnt 0x0
	s_barrier_signal -1
	s_barrier_wait -1
	s_clause 0x5
	scratch_load_b128 v[120:123], off, off offset:136
	scratch_load_b128 v[124:127], off, off offset:152
	;; [unrolled: 1-line block ×6, first 2 shown]
	ds_load_b128 v[144:147], v2 offset:608
	ds_load_b128 v[148:151], v2 offset:624
	scratch_load_b128 v[152:155], off, off offset:232
	s_mov_b32 s0, exec_lo
	s_wait_loadcnt_dscnt 0x601
	v_fma_f64 v[156:157], v[122:123], v[144:145], 0
	s_wait_loadcnt 0x5
	s_delay_alu instid0(VALU_DEP_1) | instskip(SKIP_4) | instid1(VALU_DEP_1)
	v_fmac_f64_e32 v[156:157], v[124:125], v[146:147]
	scratch_load_b128 v[122:125], off, off offset:248
	s_wait_dscnt 0x0
	v_fmac_f64_e32 v[156:157], v[126:127], v[148:149]
	s_wait_loadcnt 0x5
	v_fmac_f64_e32 v[156:157], v[128:129], v[150:151]
	ds_load_b128 v[126:129], v2 offset:640
	ds_load_b128 v[144:147], v2 offset:656
	scratch_load_b128 v[148:151], off, off offset:264
	s_wait_dscnt 0x1
	v_fmac_f64_e32 v[156:157], v[130:131], v[126:127]
	s_wait_loadcnt 0x5
	s_delay_alu instid0(VALU_DEP_1) | instskip(SKIP_4) | instid1(VALU_DEP_1)
	v_fmac_f64_e32 v[156:157], v[132:133], v[128:129]
	scratch_load_b128 v[126:129], off, off offset:280
	s_wait_dscnt 0x0
	v_fmac_f64_e32 v[156:157], v[134:135], v[144:145]
	s_wait_loadcnt 0x5
	v_fmac_f64_e32 v[156:157], v[136:137], v[146:147]
	ds_load_b128 v[130:133], v2 offset:672
	ds_load_b128 v[134:137], v2 offset:688
	scratch_load_b128 v[144:147], off, off offset:296
	s_wait_dscnt 0x1
	v_fmac_f64_e32 v[156:157], v[138:139], v[130:131]
	s_wait_loadcnt 0x5
	s_delay_alu instid0(VALU_DEP_1) | instskip(SKIP_4) | instid1(VALU_DEP_1)
	v_fmac_f64_e32 v[156:157], v[140:141], v[132:133]
	scratch_load_b128 v[130:133], off, off offset:312
	s_wait_dscnt 0x0
	v_fmac_f64_e32 v[156:157], v[142:143], v[134:135]
	s_wait_loadcnt 0x5
	v_fmac_f64_e32 v[156:157], v[152:153], v[136:137]
	ds_load_b128 v[134:137], v2 offset:704
	ds_load_b128 v[138:141], v2 offset:720
	s_wait_dscnt 0x1
	v_fmac_f64_e32 v[156:157], v[154:155], v[134:135]
	scratch_load_b128 v[152:155], off, off offset:328
	s_wait_loadcnt 0x5
	v_fmac_f64_e32 v[156:157], v[122:123], v[136:137]
	s_wait_dscnt 0x0
	s_delay_alu instid0(VALU_DEP_1)
	v_fmac_f64_e32 v[156:157], v[124:125], v[138:139]
	scratch_load_b128 v[122:125], off, off offset:344
	s_wait_loadcnt 0x5
	v_fmac_f64_e32 v[156:157], v[148:149], v[140:141]
	ds_load_b128 v[134:137], v2 offset:736
	ds_load_b128 v[138:141], v2 offset:752
	s_wait_dscnt 0x1
	v_fmac_f64_e32 v[156:157], v[150:151], v[134:135]
	scratch_load_b128 v[148:151], off, off offset:360
	s_wait_loadcnt 0x5
	v_fmac_f64_e32 v[156:157], v[126:127], v[136:137]
	s_wait_dscnt 0x0
	s_delay_alu instid0(VALU_DEP_1)
	v_fmac_f64_e32 v[156:157], v[128:129], v[138:139]
	scratch_load_b128 v[126:129], off, off offset:376
	s_wait_loadcnt 0x5
	v_fmac_f64_e32 v[156:157], v[144:145], v[140:141]
	ds_load_b128 v[134:137], v2 offset:768
	ds_load_b128 v[138:141], v2 offset:784
	s_wait_dscnt 0x1
	v_fmac_f64_e32 v[156:157], v[146:147], v[134:135]
	s_wait_loadcnt 0x4
	s_delay_alu instid0(VALU_DEP_1)
	v_fmac_f64_e32 v[156:157], v[130:131], v[136:137]
	scratch_load_b128 v[134:137], off, off offset:392
	s_wait_dscnt 0x0
	v_fmac_f64_e32 v[156:157], v[132:133], v[138:139]
	scratch_load_b128 v[130:133], off, off offset:408
	s_wait_loadcnt 0x5
	v_fmac_f64_e32 v[156:157], v[152:153], v[140:141]
	ds_load_b128 v[138:141], v2 offset:800
	ds_load_b128 v[142:145], v2 offset:816
	s_wait_dscnt 0x1
	v_fmac_f64_e32 v[156:157], v[154:155], v[138:139]
	s_wait_loadcnt 0x4
	s_delay_alu instid0(VALU_DEP_1)
	v_fmac_f64_e32 v[156:157], v[122:123], v[140:141]
	scratch_load_b128 v[138:141], off, off offset:424
	s_wait_dscnt 0x0
	v_fmac_f64_e32 v[156:157], v[124:125], v[142:143]
	scratch_load_b128 v[122:125], off, off offset:440
	s_wait_loadcnt 0x5
	v_fmac_f64_e32 v[156:157], v[148:149], v[144:145]
	ds_load_b128 v[142:145], v2 offset:832
	ds_load_b128 v[146:149], v2 offset:848
	s_wait_dscnt 0x1
	v_fmac_f64_e32 v[156:157], v[150:151], v[142:143]
	scratch_load_b64 v[150:151], off, off offset:456
	s_wait_loadcnt 0x5
	v_fmac_f64_e32 v[156:157], v[126:127], v[144:145]
	s_wait_dscnt 0x0
	s_delay_alu instid0(VALU_DEP_1)
	v_fmac_f64_e32 v[156:157], v[128:129], v[146:147]
	ds_load_b128 v[126:129], v2 offset:864
	ds_load_b128 v[142:145], v2 offset:880
	s_wait_loadcnt 0x4
	v_fmac_f64_e32 v[156:157], v[134:135], v[148:149]
	s_wait_dscnt 0x1
	s_delay_alu instid0(VALU_DEP_1) | instskip(SKIP_1) | instid1(VALU_DEP_1)
	v_fmac_f64_e32 v[156:157], v[136:137], v[126:127]
	s_wait_loadcnt 0x3
	v_fmac_f64_e32 v[156:157], v[130:131], v[128:129]
	s_wait_dscnt 0x0
	s_delay_alu instid0(VALU_DEP_1)
	v_fmac_f64_e32 v[156:157], v[132:133], v[142:143]
	ds_load_b128 v[126:129], v2 offset:896
	ds_load_b128 v[130:133], v2 offset:912
	s_wait_loadcnt 0x2
	v_fmac_f64_e32 v[156:157], v[138:139], v[144:145]
	s_wait_dscnt 0x1
	s_delay_alu instid0(VALU_DEP_1) | instskip(SKIP_1) | instid1(VALU_DEP_1)
	v_fmac_f64_e32 v[156:157], v[140:141], v[126:127]
	s_wait_loadcnt 0x1
	v_fmac_f64_e32 v[156:157], v[122:123], v[128:129]
	s_wait_dscnt 0x0
	s_delay_alu instid0(VALU_DEP_1) | instskip(SKIP_1) | instid1(VALU_DEP_1)
	v_fmac_f64_e32 v[156:157], v[124:125], v[130:131]
	s_wait_loadcnt 0x0
	v_fmac_f64_e32 v[156:157], v[150:151], v[132:133]
	s_delay_alu instid0(VALU_DEP_1)
	v_add_f64_e64 v[2:3], v[120:121], -v[156:157]
	scratch_store_b64 off, v[2:3], off offset:136
	s_wait_xcnt 0x0
	v_cmpx_lt_u32_e32 16, v0
	s_cbranch_execz .LBB57_325
; %bb.324:
	scratch_load_b64 v[2:3], off, off offset:128
	v_mov_b64_e32 v[120:121], 0
	scratch_store_b64 off, v[120:121], off offset:128
	s_wait_loadcnt 0x0
	ds_store_b64 v1, v[2:3]
.LBB57_325:
	s_wait_xcnt 0x0
	s_or_b32 exec_lo, exec_lo, s0
	s_wait_storecnt_dscnt 0x0
	s_barrier_signal -1
	s_barrier_wait -1
	s_clause 0x5
	scratch_load_b128 v[120:123], off, off offset:128
	scratch_load_b128 v[124:127], off, off offset:144
	;; [unrolled: 1-line block ×6, first 2 shown]
	v_mov_b32_e32 v2, 0
	ds_load_2addr_b64 v[144:147], v2 offset0:75 offset1:76
	ds_load_2addr_b64 v[148:151], v2 offset0:77 offset1:78
	scratch_load_b128 v[152:155], off, off offset:224
	s_mov_b32 s0, exec_lo
	s_wait_loadcnt_dscnt 0x601
	v_fma_f64 v[156:157], v[122:123], v[144:145], 0
	s_wait_loadcnt 0x5
	s_delay_alu instid0(VALU_DEP_1) | instskip(SKIP_4) | instid1(VALU_DEP_1)
	v_fmac_f64_e32 v[156:157], v[124:125], v[146:147]
	scratch_load_b128 v[122:125], off, off offset:240
	s_wait_dscnt 0x0
	v_fmac_f64_e32 v[156:157], v[126:127], v[148:149]
	s_wait_loadcnt 0x5
	v_fmac_f64_e32 v[156:157], v[128:129], v[150:151]
	ds_load_2addr_b64 v[126:129], v2 offset0:79 offset1:80
	ds_load_2addr_b64 v[144:147], v2 offset0:81 offset1:82
	scratch_load_b128 v[148:151], off, off offset:256
	s_wait_dscnt 0x1
	v_fmac_f64_e32 v[156:157], v[130:131], v[126:127]
	s_wait_loadcnt 0x5
	s_delay_alu instid0(VALU_DEP_1) | instskip(SKIP_4) | instid1(VALU_DEP_1)
	v_fmac_f64_e32 v[156:157], v[132:133], v[128:129]
	scratch_load_b128 v[126:129], off, off offset:272
	s_wait_dscnt 0x0
	v_fmac_f64_e32 v[156:157], v[134:135], v[144:145]
	s_wait_loadcnt 0x5
	v_fmac_f64_e32 v[156:157], v[136:137], v[146:147]
	ds_load_2addr_b64 v[130:133], v2 offset0:83 offset1:84
	ds_load_2addr_b64 v[134:137], v2 offset0:85 offset1:86
	scratch_load_b128 v[144:147], off, off offset:288
	s_wait_dscnt 0x1
	v_fmac_f64_e32 v[156:157], v[138:139], v[130:131]
	s_wait_loadcnt 0x5
	s_delay_alu instid0(VALU_DEP_1) | instskip(SKIP_4) | instid1(VALU_DEP_1)
	v_fmac_f64_e32 v[156:157], v[140:141], v[132:133]
	scratch_load_b128 v[130:133], off, off offset:304
	s_wait_dscnt 0x0
	v_fmac_f64_e32 v[156:157], v[142:143], v[134:135]
	s_wait_loadcnt 0x5
	v_fmac_f64_e32 v[156:157], v[152:153], v[136:137]
	ds_load_2addr_b64 v[134:137], v2 offset0:87 offset1:88
	ds_load_2addr_b64 v[138:141], v2 offset0:89 offset1:90
	s_wait_dscnt 0x1
	v_fmac_f64_e32 v[156:157], v[154:155], v[134:135]
	scratch_load_b128 v[152:155], off, off offset:320
	s_wait_loadcnt 0x5
	v_fmac_f64_e32 v[156:157], v[122:123], v[136:137]
	s_wait_dscnt 0x0
	s_delay_alu instid0(VALU_DEP_1)
	v_fmac_f64_e32 v[156:157], v[124:125], v[138:139]
	scratch_load_b128 v[122:125], off, off offset:336
	s_wait_loadcnt 0x5
	v_fmac_f64_e32 v[156:157], v[148:149], v[140:141]
	ds_load_2addr_b64 v[134:137], v2 offset0:91 offset1:92
	ds_load_2addr_b64 v[138:141], v2 offset0:93 offset1:94
	s_wait_dscnt 0x1
	v_fmac_f64_e32 v[156:157], v[150:151], v[134:135]
	scratch_load_b128 v[148:151], off, off offset:352
	s_wait_loadcnt 0x5
	v_fmac_f64_e32 v[156:157], v[126:127], v[136:137]
	s_wait_dscnt 0x0
	s_delay_alu instid0(VALU_DEP_1)
	v_fmac_f64_e32 v[156:157], v[128:129], v[138:139]
	scratch_load_b128 v[126:129], off, off offset:368
	s_wait_loadcnt 0x5
	v_fmac_f64_e32 v[156:157], v[144:145], v[140:141]
	ds_load_2addr_b64 v[134:137], v2 offset0:95 offset1:96
	ds_load_2addr_b64 v[138:141], v2 offset0:97 offset1:98
	s_wait_dscnt 0x1
	v_fmac_f64_e32 v[156:157], v[146:147], v[134:135]
	s_wait_loadcnt 0x4
	s_delay_alu instid0(VALU_DEP_1)
	v_fmac_f64_e32 v[156:157], v[130:131], v[136:137]
	scratch_load_b128 v[134:137], off, off offset:384
	s_wait_dscnt 0x0
	v_fmac_f64_e32 v[156:157], v[132:133], v[138:139]
	scratch_load_b128 v[130:133], off, off offset:400
	s_wait_loadcnt 0x5
	v_fmac_f64_e32 v[156:157], v[152:153], v[140:141]
	ds_load_2addr_b64 v[138:141], v2 offset0:99 offset1:100
	ds_load_2addr_b64 v[142:145], v2 offset0:101 offset1:102
	s_wait_dscnt 0x1
	v_fmac_f64_e32 v[156:157], v[154:155], v[138:139]
	s_wait_loadcnt 0x4
	s_delay_alu instid0(VALU_DEP_1)
	v_fmac_f64_e32 v[156:157], v[122:123], v[140:141]
	scratch_load_b128 v[138:141], off, off offset:416
	s_wait_dscnt 0x0
	v_fmac_f64_e32 v[156:157], v[124:125], v[142:143]
	scratch_load_b128 v[122:125], off, off offset:432
	s_wait_loadcnt 0x5
	v_fmac_f64_e32 v[156:157], v[148:149], v[144:145]
	ds_load_2addr_b64 v[142:145], v2 offset0:103 offset1:104
	ds_load_2addr_b64 v[146:149], v2 offset0:105 offset1:106
	s_wait_dscnt 0x1
	v_fmac_f64_e32 v[156:157], v[150:151], v[142:143]
	s_wait_loadcnt 0x4
	s_delay_alu instid0(VALU_DEP_1) | instskip(SKIP_4) | instid1(VALU_DEP_1)
	v_fmac_f64_e32 v[156:157], v[126:127], v[144:145]
	scratch_load_b128 v[142:145], off, off offset:448
	s_wait_dscnt 0x0
	v_fmac_f64_e32 v[156:157], v[128:129], v[146:147]
	s_wait_loadcnt 0x4
	v_fmac_f64_e32 v[156:157], v[134:135], v[148:149]
	ds_load_2addr_b64 v[126:129], v2 offset0:107 offset1:108
	ds_load_2addr_b64 v[146:149], v2 offset0:109 offset1:110
	s_wait_dscnt 0x1
	v_fmac_f64_e32 v[156:157], v[136:137], v[126:127]
	s_wait_loadcnt 0x3
	s_delay_alu instid0(VALU_DEP_1) | instskip(SKIP_1) | instid1(VALU_DEP_1)
	v_fmac_f64_e32 v[156:157], v[130:131], v[128:129]
	s_wait_dscnt 0x0
	v_fmac_f64_e32 v[156:157], v[132:133], v[146:147]
	ds_load_2addr_b64 v[126:129], v2 offset0:111 offset1:112
	ds_load_2addr_b64 v[130:133], v2 offset0:113 offset1:114
	s_wait_loadcnt 0x2
	v_fmac_f64_e32 v[156:157], v[138:139], v[148:149]
	s_wait_dscnt 0x1
	s_delay_alu instid0(VALU_DEP_1) | instskip(SKIP_1) | instid1(VALU_DEP_1)
	v_fmac_f64_e32 v[156:157], v[140:141], v[126:127]
	s_wait_loadcnt 0x1
	v_fmac_f64_e32 v[156:157], v[122:123], v[128:129]
	ds_load_b64 v[122:123], v2 offset:920
	s_wait_dscnt 0x1
	v_fmac_f64_e32 v[156:157], v[124:125], v[130:131]
	s_wait_loadcnt 0x0
	s_delay_alu instid0(VALU_DEP_1) | instskip(SKIP_1) | instid1(VALU_DEP_1)
	v_fmac_f64_e32 v[156:157], v[142:143], v[132:133]
	s_wait_dscnt 0x0
	v_fmac_f64_e32 v[156:157], v[144:145], v[122:123]
	s_delay_alu instid0(VALU_DEP_1)
	v_add_f64_e64 v[120:121], v[120:121], -v[156:157]
	scratch_store_b64 off, v[120:121], off offset:128
	s_wait_xcnt 0x0
	v_cmpx_lt_u32_e32 15, v0
	s_cbranch_execz .LBB57_327
; %bb.326:
	scratch_load_b64 v[120:121], off, off offset:120
	v_mov_b64_e32 v[122:123], 0
	scratch_store_b64 off, v[122:123], off offset:120
	s_wait_loadcnt 0x0
	ds_store_b64 v1, v[120:121]
.LBB57_327:
	s_wait_xcnt 0x0
	s_or_b32 exec_lo, exec_lo, s0
	s_wait_storecnt_dscnt 0x0
	s_barrier_signal -1
	s_barrier_wait -1
	s_clause 0x5
	scratch_load_b128 v[120:123], off, off offset:120
	scratch_load_b128 v[124:127], off, off offset:136
	;; [unrolled: 1-line block ×6, first 2 shown]
	ds_load_b128 v[144:147], v2 offset:592
	ds_load_b128 v[148:151], v2 offset:608
	scratch_load_b128 v[152:155], off, off offset:216
	s_mov_b32 s0, exec_lo
	s_wait_loadcnt_dscnt 0x601
	v_fma_f64 v[156:157], v[122:123], v[144:145], 0
	s_wait_loadcnt 0x5
	s_delay_alu instid0(VALU_DEP_1) | instskip(SKIP_4) | instid1(VALU_DEP_1)
	v_fmac_f64_e32 v[156:157], v[124:125], v[146:147]
	scratch_load_b128 v[122:125], off, off offset:232
	s_wait_dscnt 0x0
	v_fmac_f64_e32 v[156:157], v[126:127], v[148:149]
	s_wait_loadcnt 0x5
	v_fmac_f64_e32 v[156:157], v[128:129], v[150:151]
	ds_load_b128 v[126:129], v2 offset:624
	ds_load_b128 v[144:147], v2 offset:640
	scratch_load_b128 v[148:151], off, off offset:248
	s_wait_dscnt 0x1
	v_fmac_f64_e32 v[156:157], v[130:131], v[126:127]
	s_wait_loadcnt 0x5
	s_delay_alu instid0(VALU_DEP_1) | instskip(SKIP_4) | instid1(VALU_DEP_1)
	v_fmac_f64_e32 v[156:157], v[132:133], v[128:129]
	scratch_load_b128 v[126:129], off, off offset:264
	s_wait_dscnt 0x0
	v_fmac_f64_e32 v[156:157], v[134:135], v[144:145]
	s_wait_loadcnt 0x5
	v_fmac_f64_e32 v[156:157], v[136:137], v[146:147]
	ds_load_b128 v[130:133], v2 offset:656
	ds_load_b128 v[134:137], v2 offset:672
	scratch_load_b128 v[144:147], off, off offset:280
	s_wait_dscnt 0x1
	v_fmac_f64_e32 v[156:157], v[138:139], v[130:131]
	s_wait_loadcnt 0x5
	s_delay_alu instid0(VALU_DEP_1) | instskip(SKIP_4) | instid1(VALU_DEP_1)
	v_fmac_f64_e32 v[156:157], v[140:141], v[132:133]
	scratch_load_b128 v[130:133], off, off offset:296
	s_wait_dscnt 0x0
	v_fmac_f64_e32 v[156:157], v[142:143], v[134:135]
	s_wait_loadcnt 0x5
	v_fmac_f64_e32 v[156:157], v[152:153], v[136:137]
	ds_load_b128 v[134:137], v2 offset:688
	ds_load_b128 v[138:141], v2 offset:704
	s_wait_dscnt 0x1
	v_fmac_f64_e32 v[156:157], v[154:155], v[134:135]
	scratch_load_b128 v[152:155], off, off offset:312
	s_wait_loadcnt 0x5
	v_fmac_f64_e32 v[156:157], v[122:123], v[136:137]
	s_wait_dscnt 0x0
	s_delay_alu instid0(VALU_DEP_1)
	v_fmac_f64_e32 v[156:157], v[124:125], v[138:139]
	scratch_load_b128 v[122:125], off, off offset:328
	s_wait_loadcnt 0x5
	v_fmac_f64_e32 v[156:157], v[148:149], v[140:141]
	ds_load_b128 v[134:137], v2 offset:720
	ds_load_b128 v[138:141], v2 offset:736
	s_wait_dscnt 0x1
	v_fmac_f64_e32 v[156:157], v[150:151], v[134:135]
	scratch_load_b128 v[148:151], off, off offset:344
	s_wait_loadcnt 0x5
	v_fmac_f64_e32 v[156:157], v[126:127], v[136:137]
	s_wait_dscnt 0x0
	s_delay_alu instid0(VALU_DEP_1)
	v_fmac_f64_e32 v[156:157], v[128:129], v[138:139]
	scratch_load_b128 v[126:129], off, off offset:360
	s_wait_loadcnt 0x5
	v_fmac_f64_e32 v[156:157], v[144:145], v[140:141]
	ds_load_b128 v[134:137], v2 offset:752
	ds_load_b128 v[138:141], v2 offset:768
	scratch_load_b128 v[142:145], off, off offset:376
	s_wait_dscnt 0x1
	v_fmac_f64_e32 v[156:157], v[146:147], v[134:135]
	s_wait_loadcnt 0x5
	s_delay_alu instid0(VALU_DEP_1) | instskip(SKIP_1) | instid1(VALU_DEP_1)
	v_fmac_f64_e32 v[156:157], v[130:131], v[136:137]
	s_wait_dscnt 0x0
	v_fmac_f64_e32 v[156:157], v[132:133], v[138:139]
	scratch_load_b128 v[130:133], off, off offset:392
	s_wait_loadcnt 0x5
	v_fmac_f64_e32 v[156:157], v[152:153], v[140:141]
	ds_load_b128 v[134:137], v2 offset:784
	ds_load_b128 v[138:141], v2 offset:800
	s_wait_dscnt 0x1
	v_fmac_f64_e32 v[156:157], v[154:155], v[134:135]
	s_wait_loadcnt 0x4
	s_delay_alu instid0(VALU_DEP_1)
	v_fmac_f64_e32 v[156:157], v[122:123], v[136:137]
	scratch_load_b128 v[134:137], off, off offset:408
	s_wait_dscnt 0x0
	v_fmac_f64_e32 v[156:157], v[124:125], v[138:139]
	scratch_load_b128 v[122:125], off, off offset:424
	s_wait_loadcnt 0x5
	v_fmac_f64_e32 v[156:157], v[148:149], v[140:141]
	ds_load_b128 v[138:141], v2 offset:816
	ds_load_b128 v[146:149], v2 offset:832
	s_wait_dscnt 0x1
	v_fmac_f64_e32 v[156:157], v[150:151], v[138:139]
	s_wait_loadcnt 0x4
	s_delay_alu instid0(VALU_DEP_1) | instskip(SKIP_4) | instid1(VALU_DEP_1)
	v_fmac_f64_e32 v[156:157], v[126:127], v[140:141]
	scratch_load_b128 v[138:141], off, off offset:440
	s_wait_dscnt 0x0
	v_fmac_f64_e32 v[156:157], v[128:129], v[146:147]
	s_wait_loadcnt 0x4
	v_fmac_f64_e32 v[156:157], v[142:143], v[148:149]
	scratch_load_b64 v[142:143], off, off offset:456
	ds_load_b128 v[126:129], v2 offset:848
	ds_load_b128 v[146:149], v2 offset:864
	s_wait_dscnt 0x1
	v_fmac_f64_e32 v[156:157], v[144:145], v[126:127]
	s_wait_loadcnt 0x4
	s_delay_alu instid0(VALU_DEP_1) | instskip(SKIP_1) | instid1(VALU_DEP_1)
	v_fmac_f64_e32 v[156:157], v[130:131], v[128:129]
	s_wait_dscnt 0x0
	v_fmac_f64_e32 v[156:157], v[132:133], v[146:147]
	ds_load_b128 v[126:129], v2 offset:880
	ds_load_b128 v[130:133], v2 offset:896
	s_wait_loadcnt 0x3
	v_fmac_f64_e32 v[156:157], v[134:135], v[148:149]
	s_wait_dscnt 0x1
	s_delay_alu instid0(VALU_DEP_1) | instskip(SKIP_1) | instid1(VALU_DEP_1)
	v_fmac_f64_e32 v[156:157], v[136:137], v[126:127]
	s_wait_loadcnt 0x2
	v_fmac_f64_e32 v[156:157], v[122:123], v[128:129]
	s_wait_dscnt 0x0
	s_delay_alu instid0(VALU_DEP_1) | instskip(SKIP_4) | instid1(VALU_DEP_1)
	v_fmac_f64_e32 v[156:157], v[124:125], v[130:131]
	ds_load_b128 v[122:125], v2 offset:912
	s_wait_loadcnt 0x1
	v_fmac_f64_e32 v[156:157], v[138:139], v[132:133]
	s_wait_dscnt 0x0
	v_fmac_f64_e32 v[156:157], v[140:141], v[122:123]
	s_wait_loadcnt 0x0
	s_delay_alu instid0(VALU_DEP_1) | instskip(NEXT) | instid1(VALU_DEP_1)
	v_fmac_f64_e32 v[156:157], v[142:143], v[124:125]
	v_add_f64_e64 v[2:3], v[120:121], -v[156:157]
	scratch_store_b64 off, v[2:3], off offset:120
	s_wait_xcnt 0x0
	v_cmpx_lt_u32_e32 14, v0
	s_cbranch_execz .LBB57_329
; %bb.328:
	scratch_load_b64 v[2:3], off, off offset:112
	v_mov_b64_e32 v[120:121], 0
	scratch_store_b64 off, v[120:121], off offset:112
	s_wait_loadcnt 0x0
	ds_store_b64 v1, v[2:3]
.LBB57_329:
	s_wait_xcnt 0x0
	s_or_b32 exec_lo, exec_lo, s0
	s_wait_storecnt_dscnt 0x0
	s_barrier_signal -1
	s_barrier_wait -1
	s_clause 0x5
	scratch_load_b128 v[120:123], off, off offset:112
	scratch_load_b128 v[124:127], off, off offset:128
	;; [unrolled: 1-line block ×6, first 2 shown]
	v_mov_b32_e32 v2, 0
	ds_load_2addr_b64 v[144:147], v2 offset0:73 offset1:74
	ds_load_2addr_b64 v[148:151], v2 offset0:75 offset1:76
	scratch_load_b128 v[152:155], off, off offset:208
	s_mov_b32 s0, exec_lo
	s_wait_loadcnt_dscnt 0x601
	v_fma_f64 v[156:157], v[122:123], v[144:145], 0
	s_wait_loadcnt 0x5
	s_delay_alu instid0(VALU_DEP_1) | instskip(SKIP_4) | instid1(VALU_DEP_1)
	v_fmac_f64_e32 v[156:157], v[124:125], v[146:147]
	scratch_load_b128 v[122:125], off, off offset:224
	s_wait_dscnt 0x0
	v_fmac_f64_e32 v[156:157], v[126:127], v[148:149]
	s_wait_loadcnt 0x5
	v_fmac_f64_e32 v[156:157], v[128:129], v[150:151]
	ds_load_2addr_b64 v[126:129], v2 offset0:77 offset1:78
	ds_load_2addr_b64 v[144:147], v2 offset0:79 offset1:80
	scratch_load_b128 v[148:151], off, off offset:240
	s_wait_dscnt 0x1
	v_fmac_f64_e32 v[156:157], v[130:131], v[126:127]
	s_wait_loadcnt 0x5
	s_delay_alu instid0(VALU_DEP_1) | instskip(SKIP_4) | instid1(VALU_DEP_1)
	v_fmac_f64_e32 v[156:157], v[132:133], v[128:129]
	scratch_load_b128 v[126:129], off, off offset:256
	s_wait_dscnt 0x0
	v_fmac_f64_e32 v[156:157], v[134:135], v[144:145]
	s_wait_loadcnt 0x5
	v_fmac_f64_e32 v[156:157], v[136:137], v[146:147]
	ds_load_2addr_b64 v[130:133], v2 offset0:81 offset1:82
	ds_load_2addr_b64 v[134:137], v2 offset0:83 offset1:84
	scratch_load_b128 v[144:147], off, off offset:272
	s_wait_dscnt 0x1
	v_fmac_f64_e32 v[156:157], v[138:139], v[130:131]
	s_wait_loadcnt 0x5
	s_delay_alu instid0(VALU_DEP_1) | instskip(SKIP_4) | instid1(VALU_DEP_1)
	v_fmac_f64_e32 v[156:157], v[140:141], v[132:133]
	scratch_load_b128 v[130:133], off, off offset:288
	s_wait_dscnt 0x0
	v_fmac_f64_e32 v[156:157], v[142:143], v[134:135]
	s_wait_loadcnt 0x5
	v_fmac_f64_e32 v[156:157], v[152:153], v[136:137]
	ds_load_2addr_b64 v[134:137], v2 offset0:85 offset1:86
	ds_load_2addr_b64 v[138:141], v2 offset0:87 offset1:88
	s_wait_dscnt 0x1
	v_fmac_f64_e32 v[156:157], v[154:155], v[134:135]
	scratch_load_b128 v[152:155], off, off offset:304
	s_wait_loadcnt 0x5
	v_fmac_f64_e32 v[156:157], v[122:123], v[136:137]
	s_wait_dscnt 0x0
	s_delay_alu instid0(VALU_DEP_1)
	v_fmac_f64_e32 v[156:157], v[124:125], v[138:139]
	scratch_load_b128 v[122:125], off, off offset:320
	s_wait_loadcnt 0x5
	v_fmac_f64_e32 v[156:157], v[148:149], v[140:141]
	ds_load_2addr_b64 v[134:137], v2 offset0:89 offset1:90
	ds_load_2addr_b64 v[138:141], v2 offset0:91 offset1:92
	s_wait_dscnt 0x1
	v_fmac_f64_e32 v[156:157], v[150:151], v[134:135]
	scratch_load_b128 v[148:151], off, off offset:336
	s_wait_loadcnt 0x5
	v_fmac_f64_e32 v[156:157], v[126:127], v[136:137]
	s_wait_dscnt 0x0
	s_delay_alu instid0(VALU_DEP_1)
	v_fmac_f64_e32 v[156:157], v[128:129], v[138:139]
	scratch_load_b128 v[126:129], off, off offset:352
	s_wait_loadcnt 0x5
	v_fmac_f64_e32 v[156:157], v[144:145], v[140:141]
	ds_load_2addr_b64 v[134:137], v2 offset0:93 offset1:94
	ds_load_2addr_b64 v[138:141], v2 offset0:95 offset1:96
	scratch_load_b128 v[142:145], off, off offset:368
	s_wait_dscnt 0x1
	v_fmac_f64_e32 v[156:157], v[146:147], v[134:135]
	s_wait_loadcnt 0x5
	s_delay_alu instid0(VALU_DEP_1) | instskip(SKIP_1) | instid1(VALU_DEP_1)
	v_fmac_f64_e32 v[156:157], v[130:131], v[136:137]
	s_wait_dscnt 0x0
	v_fmac_f64_e32 v[156:157], v[132:133], v[138:139]
	scratch_load_b128 v[130:133], off, off offset:384
	s_wait_loadcnt 0x5
	v_fmac_f64_e32 v[156:157], v[152:153], v[140:141]
	ds_load_2addr_b64 v[134:137], v2 offset0:97 offset1:98
	ds_load_2addr_b64 v[138:141], v2 offset0:99 offset1:100
	s_wait_dscnt 0x1
	v_fmac_f64_e32 v[156:157], v[154:155], v[134:135]
	s_wait_loadcnt 0x4
	s_delay_alu instid0(VALU_DEP_1)
	v_fmac_f64_e32 v[156:157], v[122:123], v[136:137]
	scratch_load_b128 v[134:137], off, off offset:400
	s_wait_dscnt 0x0
	v_fmac_f64_e32 v[156:157], v[124:125], v[138:139]
	scratch_load_b128 v[122:125], off, off offset:416
	s_wait_loadcnt 0x5
	v_fmac_f64_e32 v[156:157], v[148:149], v[140:141]
	ds_load_2addr_b64 v[138:141], v2 offset0:101 offset1:102
	ds_load_2addr_b64 v[146:149], v2 offset0:103 offset1:104
	s_wait_dscnt 0x1
	v_fmac_f64_e32 v[156:157], v[150:151], v[138:139]
	s_wait_loadcnt 0x4
	s_delay_alu instid0(VALU_DEP_1)
	v_fmac_f64_e32 v[156:157], v[126:127], v[140:141]
	scratch_load_b128 v[138:141], off, off offset:432
	s_wait_dscnt 0x0
	v_fmac_f64_e32 v[156:157], v[128:129], v[146:147]
	scratch_load_b128 v[126:129], off, off offset:448
	s_wait_loadcnt 0x5
	v_fmac_f64_e32 v[156:157], v[142:143], v[148:149]
	ds_load_2addr_b64 v[146:149], v2 offset0:105 offset1:106
	ds_load_2addr_b64 v[150:153], v2 offset0:107 offset1:108
	s_wait_dscnt 0x1
	v_fmac_f64_e32 v[156:157], v[144:145], v[146:147]
	s_wait_loadcnt 0x4
	s_delay_alu instid0(VALU_DEP_1) | instskip(SKIP_1) | instid1(VALU_DEP_1)
	v_fmac_f64_e32 v[156:157], v[130:131], v[148:149]
	s_wait_dscnt 0x0
	v_fmac_f64_e32 v[156:157], v[132:133], v[150:151]
	ds_load_2addr_b64 v[130:133], v2 offset0:109 offset1:110
	ds_load_2addr_b64 v[142:145], v2 offset0:111 offset1:112
	s_wait_loadcnt 0x3
	v_fmac_f64_e32 v[156:157], v[134:135], v[152:153]
	s_wait_dscnt 0x1
	s_delay_alu instid0(VALU_DEP_1) | instskip(SKIP_1) | instid1(VALU_DEP_1)
	v_fmac_f64_e32 v[156:157], v[136:137], v[130:131]
	s_wait_loadcnt 0x2
	v_fmac_f64_e32 v[156:157], v[122:123], v[132:133]
	s_wait_dscnt 0x0
	s_delay_alu instid0(VALU_DEP_1)
	v_fmac_f64_e32 v[156:157], v[124:125], v[142:143]
	ds_load_2addr_b64 v[122:125], v2 offset0:113 offset1:114
	ds_load_b64 v[130:131], v2 offset:920
	s_wait_loadcnt 0x1
	v_fmac_f64_e32 v[156:157], v[138:139], v[144:145]
	s_wait_dscnt 0x1
	s_delay_alu instid0(VALU_DEP_1) | instskip(SKIP_1) | instid1(VALU_DEP_1)
	v_fmac_f64_e32 v[156:157], v[140:141], v[122:123]
	s_wait_loadcnt 0x0
	v_fmac_f64_e32 v[156:157], v[126:127], v[124:125]
	s_wait_dscnt 0x0
	s_delay_alu instid0(VALU_DEP_1) | instskip(NEXT) | instid1(VALU_DEP_1)
	v_fmac_f64_e32 v[156:157], v[128:129], v[130:131]
	v_add_f64_e64 v[120:121], v[120:121], -v[156:157]
	scratch_store_b64 off, v[120:121], off offset:112
	s_wait_xcnt 0x0
	v_cmpx_lt_u32_e32 13, v0
	s_cbranch_execz .LBB57_331
; %bb.330:
	scratch_load_b64 v[120:121], off, off offset:104
	v_mov_b64_e32 v[122:123], 0
	scratch_store_b64 off, v[122:123], off offset:104
	s_wait_loadcnt 0x0
	ds_store_b64 v1, v[120:121]
.LBB57_331:
	s_wait_xcnt 0x0
	s_or_b32 exec_lo, exec_lo, s0
	s_wait_storecnt_dscnt 0x0
	s_barrier_signal -1
	s_barrier_wait -1
	s_clause 0x5
	scratch_load_b128 v[120:123], off, off offset:104
	scratch_load_b128 v[124:127], off, off offset:120
	;; [unrolled: 1-line block ×6, first 2 shown]
	ds_load_b128 v[144:147], v2 offset:576
	ds_load_b128 v[148:151], v2 offset:592
	scratch_load_b128 v[152:155], off, off offset:200
	s_mov_b32 s0, exec_lo
	s_wait_loadcnt_dscnt 0x601
	v_fma_f64 v[156:157], v[122:123], v[144:145], 0
	s_wait_loadcnt 0x5
	s_delay_alu instid0(VALU_DEP_1) | instskip(SKIP_4) | instid1(VALU_DEP_1)
	v_fmac_f64_e32 v[156:157], v[124:125], v[146:147]
	scratch_load_b128 v[122:125], off, off offset:216
	s_wait_dscnt 0x0
	v_fmac_f64_e32 v[156:157], v[126:127], v[148:149]
	s_wait_loadcnt 0x5
	v_fmac_f64_e32 v[156:157], v[128:129], v[150:151]
	ds_load_b128 v[126:129], v2 offset:608
	ds_load_b128 v[144:147], v2 offset:624
	scratch_load_b128 v[148:151], off, off offset:232
	s_wait_dscnt 0x1
	v_fmac_f64_e32 v[156:157], v[130:131], v[126:127]
	s_wait_loadcnt 0x5
	s_delay_alu instid0(VALU_DEP_1) | instskip(SKIP_4) | instid1(VALU_DEP_1)
	v_fmac_f64_e32 v[156:157], v[132:133], v[128:129]
	scratch_load_b128 v[126:129], off, off offset:248
	s_wait_dscnt 0x0
	v_fmac_f64_e32 v[156:157], v[134:135], v[144:145]
	s_wait_loadcnt 0x5
	v_fmac_f64_e32 v[156:157], v[136:137], v[146:147]
	ds_load_b128 v[130:133], v2 offset:640
	ds_load_b128 v[134:137], v2 offset:656
	scratch_load_b128 v[144:147], off, off offset:264
	s_wait_dscnt 0x1
	v_fmac_f64_e32 v[156:157], v[138:139], v[130:131]
	s_wait_loadcnt 0x5
	s_delay_alu instid0(VALU_DEP_1) | instskip(SKIP_4) | instid1(VALU_DEP_1)
	v_fmac_f64_e32 v[156:157], v[140:141], v[132:133]
	scratch_load_b128 v[130:133], off, off offset:280
	s_wait_dscnt 0x0
	v_fmac_f64_e32 v[156:157], v[142:143], v[134:135]
	s_wait_loadcnt 0x5
	v_fmac_f64_e32 v[156:157], v[152:153], v[136:137]
	ds_load_b128 v[134:137], v2 offset:672
	ds_load_b128 v[138:141], v2 offset:688
	s_wait_dscnt 0x1
	v_fmac_f64_e32 v[156:157], v[154:155], v[134:135]
	scratch_load_b128 v[152:155], off, off offset:296
	s_wait_loadcnt 0x5
	v_fmac_f64_e32 v[156:157], v[122:123], v[136:137]
	s_wait_dscnt 0x0
	s_delay_alu instid0(VALU_DEP_1)
	v_fmac_f64_e32 v[156:157], v[124:125], v[138:139]
	scratch_load_b128 v[122:125], off, off offset:312
	s_wait_loadcnt 0x5
	v_fmac_f64_e32 v[156:157], v[148:149], v[140:141]
	ds_load_b128 v[134:137], v2 offset:704
	ds_load_b128 v[138:141], v2 offset:720
	s_wait_dscnt 0x1
	v_fmac_f64_e32 v[156:157], v[150:151], v[134:135]
	scratch_load_b128 v[148:151], off, off offset:328
	s_wait_loadcnt 0x5
	v_fmac_f64_e32 v[156:157], v[126:127], v[136:137]
	s_wait_dscnt 0x0
	s_delay_alu instid0(VALU_DEP_1)
	v_fmac_f64_e32 v[156:157], v[128:129], v[138:139]
	scratch_load_b128 v[126:129], off, off offset:344
	s_wait_loadcnt 0x5
	v_fmac_f64_e32 v[156:157], v[144:145], v[140:141]
	ds_load_b128 v[134:137], v2 offset:736
	ds_load_b128 v[138:141], v2 offset:752
	scratch_load_b128 v[142:145], off, off offset:360
	s_wait_dscnt 0x1
	v_fmac_f64_e32 v[156:157], v[146:147], v[134:135]
	s_wait_loadcnt 0x5
	s_delay_alu instid0(VALU_DEP_1) | instskip(SKIP_1) | instid1(VALU_DEP_1)
	v_fmac_f64_e32 v[156:157], v[130:131], v[136:137]
	s_wait_dscnt 0x0
	v_fmac_f64_e32 v[156:157], v[132:133], v[138:139]
	scratch_load_b128 v[130:133], off, off offset:376
	s_wait_loadcnt 0x5
	v_fmac_f64_e32 v[156:157], v[152:153], v[140:141]
	ds_load_b128 v[134:137], v2 offset:768
	ds_load_b128 v[138:141], v2 offset:784
	s_wait_dscnt 0x1
	v_fmac_f64_e32 v[156:157], v[154:155], v[134:135]
	s_wait_loadcnt 0x4
	s_delay_alu instid0(VALU_DEP_1)
	v_fmac_f64_e32 v[156:157], v[122:123], v[136:137]
	scratch_load_b128 v[134:137], off, off offset:392
	s_wait_dscnt 0x0
	v_fmac_f64_e32 v[156:157], v[124:125], v[138:139]
	scratch_load_b128 v[122:125], off, off offset:408
	s_wait_loadcnt 0x5
	v_fmac_f64_e32 v[156:157], v[148:149], v[140:141]
	ds_load_b128 v[138:141], v2 offset:800
	ds_load_b128 v[146:149], v2 offset:816
	s_wait_dscnt 0x1
	v_fmac_f64_e32 v[156:157], v[150:151], v[138:139]
	s_wait_loadcnt 0x4
	s_delay_alu instid0(VALU_DEP_1)
	v_fmac_f64_e32 v[156:157], v[126:127], v[140:141]
	scratch_load_b128 v[138:141], off, off offset:424
	s_wait_dscnt 0x0
	v_fmac_f64_e32 v[156:157], v[128:129], v[146:147]
	scratch_load_b128 v[126:129], off, off offset:440
	s_wait_loadcnt 0x5
	v_fmac_f64_e32 v[156:157], v[142:143], v[148:149]
	ds_load_b128 v[146:149], v2 offset:832
	ds_load_b128 v[150:153], v2 offset:848
	s_wait_dscnt 0x1
	v_fmac_f64_e32 v[156:157], v[144:145], v[146:147]
	scratch_load_b64 v[146:147], off, off offset:456
	s_wait_loadcnt 0x5
	v_fmac_f64_e32 v[156:157], v[130:131], v[148:149]
	s_wait_dscnt 0x0
	s_delay_alu instid0(VALU_DEP_1)
	v_fmac_f64_e32 v[156:157], v[132:133], v[150:151]
	ds_load_b128 v[130:133], v2 offset:864
	ds_load_b128 v[142:145], v2 offset:880
	s_wait_loadcnt 0x4
	v_fmac_f64_e32 v[156:157], v[134:135], v[152:153]
	s_wait_dscnt 0x1
	s_delay_alu instid0(VALU_DEP_1) | instskip(SKIP_1) | instid1(VALU_DEP_1)
	v_fmac_f64_e32 v[156:157], v[136:137], v[130:131]
	s_wait_loadcnt 0x3
	v_fmac_f64_e32 v[156:157], v[122:123], v[132:133]
	s_wait_dscnt 0x0
	s_delay_alu instid0(VALU_DEP_1)
	v_fmac_f64_e32 v[156:157], v[124:125], v[142:143]
	ds_load_b128 v[122:125], v2 offset:896
	ds_load_b128 v[130:133], v2 offset:912
	s_wait_loadcnt 0x2
	v_fmac_f64_e32 v[156:157], v[138:139], v[144:145]
	s_wait_dscnt 0x1
	s_delay_alu instid0(VALU_DEP_1) | instskip(SKIP_1) | instid1(VALU_DEP_1)
	v_fmac_f64_e32 v[156:157], v[140:141], v[122:123]
	s_wait_loadcnt 0x1
	v_fmac_f64_e32 v[156:157], v[126:127], v[124:125]
	s_wait_dscnt 0x0
	s_delay_alu instid0(VALU_DEP_1) | instskip(SKIP_1) | instid1(VALU_DEP_1)
	v_fmac_f64_e32 v[156:157], v[128:129], v[130:131]
	s_wait_loadcnt 0x0
	v_fmac_f64_e32 v[156:157], v[146:147], v[132:133]
	s_delay_alu instid0(VALU_DEP_1)
	v_add_f64_e64 v[2:3], v[120:121], -v[156:157]
	scratch_store_b64 off, v[2:3], off offset:104
	s_wait_xcnt 0x0
	v_cmpx_lt_u32_e32 12, v0
	s_cbranch_execz .LBB57_333
; %bb.332:
	scratch_load_b64 v[2:3], off, off offset:96
	v_mov_b64_e32 v[120:121], 0
	scratch_store_b64 off, v[120:121], off offset:96
	s_wait_loadcnt 0x0
	ds_store_b64 v1, v[2:3]
.LBB57_333:
	s_wait_xcnt 0x0
	s_or_b32 exec_lo, exec_lo, s0
	s_wait_storecnt_dscnt 0x0
	s_barrier_signal -1
	s_barrier_wait -1
	s_clause 0x5
	scratch_load_b128 v[120:123], off, off offset:96
	scratch_load_b128 v[124:127], off, off offset:112
	;; [unrolled: 1-line block ×6, first 2 shown]
	v_mov_b32_e32 v2, 0
	ds_load_2addr_b64 v[144:147], v2 offset0:71 offset1:72
	ds_load_2addr_b64 v[148:151], v2 offset0:73 offset1:74
	scratch_load_b128 v[152:155], off, off offset:192
	s_mov_b32 s0, exec_lo
	s_wait_loadcnt_dscnt 0x601
	v_fma_f64 v[156:157], v[122:123], v[144:145], 0
	s_wait_loadcnt 0x5
	s_delay_alu instid0(VALU_DEP_1) | instskip(SKIP_4) | instid1(VALU_DEP_1)
	v_fmac_f64_e32 v[156:157], v[124:125], v[146:147]
	scratch_load_b128 v[122:125], off, off offset:208
	s_wait_dscnt 0x0
	v_fmac_f64_e32 v[156:157], v[126:127], v[148:149]
	s_wait_loadcnt 0x5
	v_fmac_f64_e32 v[156:157], v[128:129], v[150:151]
	ds_load_2addr_b64 v[126:129], v2 offset0:75 offset1:76
	ds_load_2addr_b64 v[144:147], v2 offset0:77 offset1:78
	scratch_load_b128 v[148:151], off, off offset:224
	s_wait_dscnt 0x1
	v_fmac_f64_e32 v[156:157], v[130:131], v[126:127]
	s_wait_loadcnt 0x5
	s_delay_alu instid0(VALU_DEP_1) | instskip(SKIP_4) | instid1(VALU_DEP_1)
	v_fmac_f64_e32 v[156:157], v[132:133], v[128:129]
	scratch_load_b128 v[126:129], off, off offset:240
	s_wait_dscnt 0x0
	v_fmac_f64_e32 v[156:157], v[134:135], v[144:145]
	s_wait_loadcnt 0x5
	v_fmac_f64_e32 v[156:157], v[136:137], v[146:147]
	ds_load_2addr_b64 v[130:133], v2 offset0:79 offset1:80
	ds_load_2addr_b64 v[134:137], v2 offset0:81 offset1:82
	scratch_load_b128 v[144:147], off, off offset:256
	s_wait_dscnt 0x1
	v_fmac_f64_e32 v[156:157], v[138:139], v[130:131]
	s_wait_loadcnt 0x5
	s_delay_alu instid0(VALU_DEP_1) | instskip(SKIP_4) | instid1(VALU_DEP_1)
	v_fmac_f64_e32 v[156:157], v[140:141], v[132:133]
	scratch_load_b128 v[130:133], off, off offset:272
	s_wait_dscnt 0x0
	v_fmac_f64_e32 v[156:157], v[142:143], v[134:135]
	s_wait_loadcnt 0x5
	v_fmac_f64_e32 v[156:157], v[152:153], v[136:137]
	ds_load_2addr_b64 v[134:137], v2 offset0:83 offset1:84
	ds_load_2addr_b64 v[138:141], v2 offset0:85 offset1:86
	s_wait_dscnt 0x1
	v_fmac_f64_e32 v[156:157], v[154:155], v[134:135]
	scratch_load_b128 v[152:155], off, off offset:288
	s_wait_loadcnt 0x5
	v_fmac_f64_e32 v[156:157], v[122:123], v[136:137]
	s_wait_dscnt 0x0
	s_delay_alu instid0(VALU_DEP_1)
	v_fmac_f64_e32 v[156:157], v[124:125], v[138:139]
	scratch_load_b128 v[122:125], off, off offset:304
	s_wait_loadcnt 0x5
	v_fmac_f64_e32 v[156:157], v[148:149], v[140:141]
	ds_load_2addr_b64 v[134:137], v2 offset0:87 offset1:88
	ds_load_2addr_b64 v[138:141], v2 offset0:89 offset1:90
	s_wait_dscnt 0x1
	v_fmac_f64_e32 v[156:157], v[150:151], v[134:135]
	scratch_load_b128 v[148:151], off, off offset:320
	s_wait_loadcnt 0x5
	v_fmac_f64_e32 v[156:157], v[126:127], v[136:137]
	s_wait_dscnt 0x0
	s_delay_alu instid0(VALU_DEP_1)
	v_fmac_f64_e32 v[156:157], v[128:129], v[138:139]
	scratch_load_b128 v[126:129], off, off offset:336
	s_wait_loadcnt 0x5
	v_fmac_f64_e32 v[156:157], v[144:145], v[140:141]
	ds_load_2addr_b64 v[134:137], v2 offset0:91 offset1:92
	ds_load_2addr_b64 v[138:141], v2 offset0:93 offset1:94
	scratch_load_b128 v[142:145], off, off offset:352
	s_wait_dscnt 0x1
	v_fmac_f64_e32 v[156:157], v[146:147], v[134:135]
	s_wait_loadcnt 0x5
	s_delay_alu instid0(VALU_DEP_1) | instskip(SKIP_1) | instid1(VALU_DEP_1)
	v_fmac_f64_e32 v[156:157], v[130:131], v[136:137]
	s_wait_dscnt 0x0
	v_fmac_f64_e32 v[156:157], v[132:133], v[138:139]
	scratch_load_b128 v[130:133], off, off offset:368
	s_wait_loadcnt 0x5
	v_fmac_f64_e32 v[156:157], v[152:153], v[140:141]
	ds_load_2addr_b64 v[134:137], v2 offset0:95 offset1:96
	ds_load_2addr_b64 v[138:141], v2 offset0:97 offset1:98
	s_wait_dscnt 0x1
	v_fmac_f64_e32 v[156:157], v[154:155], v[134:135]
	s_wait_loadcnt 0x4
	s_delay_alu instid0(VALU_DEP_1)
	v_fmac_f64_e32 v[156:157], v[122:123], v[136:137]
	scratch_load_b128 v[134:137], off, off offset:384
	s_wait_dscnt 0x0
	v_fmac_f64_e32 v[156:157], v[124:125], v[138:139]
	scratch_load_b128 v[122:125], off, off offset:400
	s_wait_loadcnt 0x5
	v_fmac_f64_e32 v[156:157], v[148:149], v[140:141]
	ds_load_2addr_b64 v[138:141], v2 offset0:99 offset1:100
	ds_load_2addr_b64 v[146:149], v2 offset0:101 offset1:102
	s_wait_dscnt 0x1
	v_fmac_f64_e32 v[156:157], v[150:151], v[138:139]
	s_wait_loadcnt 0x4
	s_delay_alu instid0(VALU_DEP_1)
	v_fmac_f64_e32 v[156:157], v[126:127], v[140:141]
	scratch_load_b128 v[138:141], off, off offset:416
	s_wait_dscnt 0x0
	v_fmac_f64_e32 v[156:157], v[128:129], v[146:147]
	scratch_load_b128 v[126:129], off, off offset:432
	s_wait_loadcnt 0x5
	v_fmac_f64_e32 v[156:157], v[142:143], v[148:149]
	ds_load_2addr_b64 v[146:149], v2 offset0:103 offset1:104
	ds_load_2addr_b64 v[150:153], v2 offset0:105 offset1:106
	s_wait_dscnt 0x1
	v_fmac_f64_e32 v[156:157], v[144:145], v[146:147]
	scratch_load_b128 v[142:145], off, off offset:448
	s_wait_loadcnt 0x5
	v_fmac_f64_e32 v[156:157], v[130:131], v[148:149]
	s_wait_dscnt 0x0
	s_delay_alu instid0(VALU_DEP_1)
	v_fmac_f64_e32 v[156:157], v[132:133], v[150:151]
	ds_load_2addr_b64 v[130:133], v2 offset0:107 offset1:108
	ds_load_2addr_b64 v[146:149], v2 offset0:109 offset1:110
	s_wait_loadcnt 0x4
	v_fmac_f64_e32 v[156:157], v[134:135], v[152:153]
	s_wait_dscnt 0x1
	s_delay_alu instid0(VALU_DEP_1) | instskip(SKIP_1) | instid1(VALU_DEP_1)
	v_fmac_f64_e32 v[156:157], v[136:137], v[130:131]
	s_wait_loadcnt 0x3
	v_fmac_f64_e32 v[156:157], v[122:123], v[132:133]
	s_wait_dscnt 0x0
	s_delay_alu instid0(VALU_DEP_1)
	v_fmac_f64_e32 v[156:157], v[124:125], v[146:147]
	ds_load_2addr_b64 v[122:125], v2 offset0:111 offset1:112
	ds_load_2addr_b64 v[130:133], v2 offset0:113 offset1:114
	s_wait_loadcnt 0x2
	v_fmac_f64_e32 v[156:157], v[138:139], v[148:149]
	s_wait_dscnt 0x1
	s_delay_alu instid0(VALU_DEP_1) | instskip(SKIP_4) | instid1(VALU_DEP_1)
	v_fmac_f64_e32 v[156:157], v[140:141], v[122:123]
	ds_load_b64 v[122:123], v2 offset:920
	s_wait_loadcnt 0x1
	v_fmac_f64_e32 v[156:157], v[126:127], v[124:125]
	s_wait_dscnt 0x1
	v_fmac_f64_e32 v[156:157], v[128:129], v[130:131]
	s_wait_loadcnt 0x0
	s_delay_alu instid0(VALU_DEP_1) | instskip(SKIP_1) | instid1(VALU_DEP_1)
	v_fmac_f64_e32 v[156:157], v[142:143], v[132:133]
	s_wait_dscnt 0x0
	v_fmac_f64_e32 v[156:157], v[144:145], v[122:123]
	s_delay_alu instid0(VALU_DEP_1)
	v_add_f64_e64 v[120:121], v[120:121], -v[156:157]
	scratch_store_b64 off, v[120:121], off offset:96
	s_wait_xcnt 0x0
	v_cmpx_lt_u32_e32 11, v0
	s_cbranch_execz .LBB57_335
; %bb.334:
	scratch_load_b64 v[120:121], off, off offset:88
	v_mov_b64_e32 v[122:123], 0
	scratch_store_b64 off, v[122:123], off offset:88
	s_wait_loadcnt 0x0
	ds_store_b64 v1, v[120:121]
.LBB57_335:
	s_wait_xcnt 0x0
	s_or_b32 exec_lo, exec_lo, s0
	s_wait_storecnt_dscnt 0x0
	s_barrier_signal -1
	s_barrier_wait -1
	s_clause 0x5
	scratch_load_b128 v[120:123], off, off offset:88
	scratch_load_b128 v[124:127], off, off offset:104
	;; [unrolled: 1-line block ×6, first 2 shown]
	ds_load_b128 v[144:147], v2 offset:560
	ds_load_b128 v[148:151], v2 offset:576
	scratch_load_b128 v[152:155], off, off offset:184
	s_mov_b32 s0, exec_lo
	s_wait_loadcnt_dscnt 0x601
	v_fma_f64 v[156:157], v[122:123], v[144:145], 0
	s_wait_loadcnt 0x5
	s_delay_alu instid0(VALU_DEP_1) | instskip(SKIP_4) | instid1(VALU_DEP_1)
	v_fmac_f64_e32 v[156:157], v[124:125], v[146:147]
	scratch_load_b128 v[122:125], off, off offset:200
	s_wait_dscnt 0x0
	v_fmac_f64_e32 v[156:157], v[126:127], v[148:149]
	s_wait_loadcnt 0x5
	v_fmac_f64_e32 v[156:157], v[128:129], v[150:151]
	ds_load_b128 v[126:129], v2 offset:592
	ds_load_b128 v[144:147], v2 offset:608
	scratch_load_b128 v[148:151], off, off offset:216
	s_wait_dscnt 0x1
	v_fmac_f64_e32 v[156:157], v[130:131], v[126:127]
	s_wait_loadcnt 0x5
	s_delay_alu instid0(VALU_DEP_1) | instskip(SKIP_4) | instid1(VALU_DEP_1)
	v_fmac_f64_e32 v[156:157], v[132:133], v[128:129]
	scratch_load_b128 v[126:129], off, off offset:232
	s_wait_dscnt 0x0
	v_fmac_f64_e32 v[156:157], v[134:135], v[144:145]
	s_wait_loadcnt 0x5
	v_fmac_f64_e32 v[156:157], v[136:137], v[146:147]
	ds_load_b128 v[130:133], v2 offset:624
	ds_load_b128 v[134:137], v2 offset:640
	scratch_load_b128 v[144:147], off, off offset:248
	s_wait_dscnt 0x1
	v_fmac_f64_e32 v[156:157], v[138:139], v[130:131]
	s_wait_loadcnt 0x5
	s_delay_alu instid0(VALU_DEP_1) | instskip(SKIP_4) | instid1(VALU_DEP_1)
	v_fmac_f64_e32 v[156:157], v[140:141], v[132:133]
	scratch_load_b128 v[130:133], off, off offset:264
	s_wait_dscnt 0x0
	v_fmac_f64_e32 v[156:157], v[142:143], v[134:135]
	s_wait_loadcnt 0x5
	v_fmac_f64_e32 v[156:157], v[152:153], v[136:137]
	ds_load_b128 v[134:137], v2 offset:656
	ds_load_b128 v[138:141], v2 offset:672
	s_wait_dscnt 0x1
	v_fmac_f64_e32 v[156:157], v[154:155], v[134:135]
	scratch_load_b128 v[152:155], off, off offset:280
	s_wait_loadcnt 0x5
	v_fmac_f64_e32 v[156:157], v[122:123], v[136:137]
	s_wait_dscnt 0x0
	s_delay_alu instid0(VALU_DEP_1)
	v_fmac_f64_e32 v[156:157], v[124:125], v[138:139]
	scratch_load_b128 v[122:125], off, off offset:296
	s_wait_loadcnt 0x5
	v_fmac_f64_e32 v[156:157], v[148:149], v[140:141]
	ds_load_b128 v[134:137], v2 offset:688
	ds_load_b128 v[138:141], v2 offset:704
	s_wait_dscnt 0x1
	v_fmac_f64_e32 v[156:157], v[150:151], v[134:135]
	scratch_load_b128 v[148:151], off, off offset:312
	s_wait_loadcnt 0x5
	v_fmac_f64_e32 v[156:157], v[126:127], v[136:137]
	s_wait_dscnt 0x0
	s_delay_alu instid0(VALU_DEP_1)
	v_fmac_f64_e32 v[156:157], v[128:129], v[138:139]
	scratch_load_b128 v[126:129], off, off offset:328
	s_wait_loadcnt 0x5
	v_fmac_f64_e32 v[156:157], v[144:145], v[140:141]
	ds_load_b128 v[134:137], v2 offset:720
	ds_load_b128 v[138:141], v2 offset:736
	scratch_load_b128 v[142:145], off, off offset:344
	s_wait_dscnt 0x1
	v_fmac_f64_e32 v[156:157], v[146:147], v[134:135]
	s_wait_loadcnt 0x5
	s_delay_alu instid0(VALU_DEP_1) | instskip(SKIP_1) | instid1(VALU_DEP_1)
	v_fmac_f64_e32 v[156:157], v[130:131], v[136:137]
	s_wait_dscnt 0x0
	v_fmac_f64_e32 v[156:157], v[132:133], v[138:139]
	scratch_load_b128 v[130:133], off, off offset:360
	s_wait_loadcnt 0x5
	v_fmac_f64_e32 v[156:157], v[152:153], v[140:141]
	ds_load_b128 v[134:137], v2 offset:752
	ds_load_b128 v[138:141], v2 offset:768
	s_wait_dscnt 0x1
	v_fmac_f64_e32 v[156:157], v[154:155], v[134:135]
	scratch_load_b128 v[152:155], off, off offset:376
	s_wait_loadcnt 0x5
	v_fmac_f64_e32 v[156:157], v[122:123], v[136:137]
	s_wait_dscnt 0x0
	s_delay_alu instid0(VALU_DEP_1)
	v_fmac_f64_e32 v[156:157], v[124:125], v[138:139]
	scratch_load_b128 v[122:125], off, off offset:392
	s_wait_loadcnt 0x5
	v_fmac_f64_e32 v[156:157], v[148:149], v[140:141]
	ds_load_b128 v[134:137], v2 offset:784
	ds_load_b128 v[138:141], v2 offset:800
	s_wait_dscnt 0x1
	v_fmac_f64_e32 v[156:157], v[150:151], v[134:135]
	s_wait_loadcnt 0x4
	s_delay_alu instid0(VALU_DEP_1)
	v_fmac_f64_e32 v[156:157], v[126:127], v[136:137]
	scratch_load_b128 v[134:137], off, off offset:408
	s_wait_dscnt 0x0
	v_fmac_f64_e32 v[156:157], v[128:129], v[138:139]
	scratch_load_b128 v[126:129], off, off offset:424
	s_wait_loadcnt 0x5
	v_fmac_f64_e32 v[156:157], v[142:143], v[140:141]
	ds_load_b128 v[138:141], v2 offset:816
	ds_load_b128 v[146:149], v2 offset:832
	s_wait_dscnt 0x1
	v_fmac_f64_e32 v[156:157], v[144:145], v[138:139]
	s_wait_loadcnt 0x4
	s_delay_alu instid0(VALU_DEP_1)
	v_fmac_f64_e32 v[156:157], v[130:131], v[140:141]
	scratch_load_b128 v[138:141], off, off offset:440
	s_wait_dscnt 0x0
	v_fmac_f64_e32 v[156:157], v[132:133], v[146:147]
	scratch_load_b64 v[146:147], off, off offset:456
	ds_load_b128 v[130:133], v2 offset:848
	ds_load_b128 v[142:145], v2 offset:864
	s_wait_loadcnt 0x5
	v_fmac_f64_e32 v[156:157], v[152:153], v[148:149]
	s_wait_dscnt 0x1
	s_delay_alu instid0(VALU_DEP_1) | instskip(SKIP_1) | instid1(VALU_DEP_1)
	v_fmac_f64_e32 v[156:157], v[154:155], v[130:131]
	s_wait_loadcnt 0x4
	v_fmac_f64_e32 v[156:157], v[122:123], v[132:133]
	s_wait_dscnt 0x0
	s_delay_alu instid0(VALU_DEP_1)
	v_fmac_f64_e32 v[156:157], v[124:125], v[142:143]
	ds_load_b128 v[122:125], v2 offset:880
	ds_load_b128 v[130:133], v2 offset:896
	s_wait_loadcnt 0x3
	v_fmac_f64_e32 v[156:157], v[134:135], v[144:145]
	s_wait_dscnt 0x1
	s_delay_alu instid0(VALU_DEP_1) | instskip(SKIP_1) | instid1(VALU_DEP_1)
	v_fmac_f64_e32 v[156:157], v[136:137], v[122:123]
	s_wait_loadcnt 0x2
	v_fmac_f64_e32 v[156:157], v[126:127], v[124:125]
	ds_load_b128 v[122:125], v2 offset:912
	s_wait_dscnt 0x1
	v_fmac_f64_e32 v[156:157], v[128:129], v[130:131]
	s_wait_loadcnt 0x1
	s_delay_alu instid0(VALU_DEP_1) | instskip(SKIP_1) | instid1(VALU_DEP_1)
	v_fmac_f64_e32 v[156:157], v[138:139], v[132:133]
	s_wait_dscnt 0x0
	v_fmac_f64_e32 v[156:157], v[140:141], v[122:123]
	s_wait_loadcnt 0x0
	s_delay_alu instid0(VALU_DEP_1) | instskip(NEXT) | instid1(VALU_DEP_1)
	v_fmac_f64_e32 v[156:157], v[146:147], v[124:125]
	v_add_f64_e64 v[2:3], v[120:121], -v[156:157]
	scratch_store_b64 off, v[2:3], off offset:88
	s_wait_xcnt 0x0
	v_cmpx_lt_u32_e32 10, v0
	s_cbranch_execz .LBB57_337
; %bb.336:
	scratch_load_b64 v[2:3], off, off offset:80
	v_mov_b64_e32 v[120:121], 0
	scratch_store_b64 off, v[120:121], off offset:80
	s_wait_loadcnt 0x0
	ds_store_b64 v1, v[2:3]
.LBB57_337:
	s_wait_xcnt 0x0
	s_or_b32 exec_lo, exec_lo, s0
	s_wait_storecnt_dscnt 0x0
	s_barrier_signal -1
	s_barrier_wait -1
	s_clause 0x5
	scratch_load_b128 v[120:123], off, off offset:80
	scratch_load_b128 v[124:127], off, off offset:96
	;; [unrolled: 1-line block ×6, first 2 shown]
	v_mov_b32_e32 v2, 0
	ds_load_2addr_b64 v[144:147], v2 offset0:69 offset1:70
	ds_load_2addr_b64 v[148:151], v2 offset0:71 offset1:72
	scratch_load_b128 v[152:155], off, off offset:176
	s_mov_b32 s0, exec_lo
	s_wait_loadcnt_dscnt 0x601
	v_fma_f64 v[156:157], v[122:123], v[144:145], 0
	s_wait_loadcnt 0x5
	s_delay_alu instid0(VALU_DEP_1) | instskip(SKIP_4) | instid1(VALU_DEP_1)
	v_fmac_f64_e32 v[156:157], v[124:125], v[146:147]
	scratch_load_b128 v[122:125], off, off offset:192
	s_wait_dscnt 0x0
	v_fmac_f64_e32 v[156:157], v[126:127], v[148:149]
	s_wait_loadcnt 0x5
	v_fmac_f64_e32 v[156:157], v[128:129], v[150:151]
	ds_load_2addr_b64 v[126:129], v2 offset0:73 offset1:74
	ds_load_2addr_b64 v[144:147], v2 offset0:75 offset1:76
	scratch_load_b128 v[148:151], off, off offset:208
	s_wait_dscnt 0x1
	v_fmac_f64_e32 v[156:157], v[130:131], v[126:127]
	s_wait_loadcnt 0x5
	s_delay_alu instid0(VALU_DEP_1) | instskip(SKIP_4) | instid1(VALU_DEP_1)
	v_fmac_f64_e32 v[156:157], v[132:133], v[128:129]
	scratch_load_b128 v[126:129], off, off offset:224
	s_wait_dscnt 0x0
	v_fmac_f64_e32 v[156:157], v[134:135], v[144:145]
	s_wait_loadcnt 0x5
	v_fmac_f64_e32 v[156:157], v[136:137], v[146:147]
	ds_load_2addr_b64 v[130:133], v2 offset0:77 offset1:78
	ds_load_2addr_b64 v[134:137], v2 offset0:79 offset1:80
	scratch_load_b128 v[144:147], off, off offset:240
	s_wait_dscnt 0x1
	v_fmac_f64_e32 v[156:157], v[138:139], v[130:131]
	s_wait_loadcnt 0x5
	s_delay_alu instid0(VALU_DEP_1) | instskip(SKIP_4) | instid1(VALU_DEP_1)
	v_fmac_f64_e32 v[156:157], v[140:141], v[132:133]
	scratch_load_b128 v[130:133], off, off offset:256
	s_wait_dscnt 0x0
	v_fmac_f64_e32 v[156:157], v[142:143], v[134:135]
	s_wait_loadcnt 0x5
	v_fmac_f64_e32 v[156:157], v[152:153], v[136:137]
	ds_load_2addr_b64 v[134:137], v2 offset0:81 offset1:82
	ds_load_2addr_b64 v[138:141], v2 offset0:83 offset1:84
	s_wait_dscnt 0x1
	v_fmac_f64_e32 v[156:157], v[154:155], v[134:135]
	scratch_load_b128 v[152:155], off, off offset:272
	s_wait_loadcnt 0x5
	v_fmac_f64_e32 v[156:157], v[122:123], v[136:137]
	s_wait_dscnt 0x0
	s_delay_alu instid0(VALU_DEP_1)
	v_fmac_f64_e32 v[156:157], v[124:125], v[138:139]
	scratch_load_b128 v[122:125], off, off offset:288
	s_wait_loadcnt 0x5
	v_fmac_f64_e32 v[156:157], v[148:149], v[140:141]
	ds_load_2addr_b64 v[134:137], v2 offset0:85 offset1:86
	ds_load_2addr_b64 v[138:141], v2 offset0:87 offset1:88
	s_wait_dscnt 0x1
	v_fmac_f64_e32 v[156:157], v[150:151], v[134:135]
	scratch_load_b128 v[148:151], off, off offset:304
	s_wait_loadcnt 0x5
	v_fmac_f64_e32 v[156:157], v[126:127], v[136:137]
	s_wait_dscnt 0x0
	s_delay_alu instid0(VALU_DEP_1)
	v_fmac_f64_e32 v[156:157], v[128:129], v[138:139]
	scratch_load_b128 v[126:129], off, off offset:320
	s_wait_loadcnt 0x5
	v_fmac_f64_e32 v[156:157], v[144:145], v[140:141]
	ds_load_2addr_b64 v[134:137], v2 offset0:89 offset1:90
	ds_load_2addr_b64 v[138:141], v2 offset0:91 offset1:92
	scratch_load_b128 v[142:145], off, off offset:336
	s_wait_dscnt 0x1
	v_fmac_f64_e32 v[156:157], v[146:147], v[134:135]
	s_wait_loadcnt 0x5
	s_delay_alu instid0(VALU_DEP_1) | instskip(SKIP_1) | instid1(VALU_DEP_1)
	v_fmac_f64_e32 v[156:157], v[130:131], v[136:137]
	s_wait_dscnt 0x0
	v_fmac_f64_e32 v[156:157], v[132:133], v[138:139]
	scratch_load_b128 v[130:133], off, off offset:352
	s_wait_loadcnt 0x5
	v_fmac_f64_e32 v[156:157], v[152:153], v[140:141]
	ds_load_2addr_b64 v[134:137], v2 offset0:93 offset1:94
	ds_load_2addr_b64 v[138:141], v2 offset0:95 offset1:96
	s_wait_dscnt 0x1
	v_fmac_f64_e32 v[156:157], v[154:155], v[134:135]
	scratch_load_b128 v[152:155], off, off offset:368
	s_wait_loadcnt 0x5
	v_fmac_f64_e32 v[156:157], v[122:123], v[136:137]
	s_wait_dscnt 0x0
	s_delay_alu instid0(VALU_DEP_1)
	v_fmac_f64_e32 v[156:157], v[124:125], v[138:139]
	scratch_load_b128 v[122:125], off, off offset:384
	s_wait_loadcnt 0x5
	v_fmac_f64_e32 v[156:157], v[148:149], v[140:141]
	ds_load_2addr_b64 v[134:137], v2 offset0:97 offset1:98
	ds_load_2addr_b64 v[138:141], v2 offset0:99 offset1:100
	s_wait_dscnt 0x1
	v_fmac_f64_e32 v[156:157], v[150:151], v[134:135]
	s_wait_loadcnt 0x4
	s_delay_alu instid0(VALU_DEP_1)
	v_fmac_f64_e32 v[156:157], v[126:127], v[136:137]
	scratch_load_b128 v[134:137], off, off offset:400
	s_wait_dscnt 0x0
	v_fmac_f64_e32 v[156:157], v[128:129], v[138:139]
	scratch_load_b128 v[126:129], off, off offset:416
	s_wait_loadcnt 0x5
	v_fmac_f64_e32 v[156:157], v[142:143], v[140:141]
	ds_load_2addr_b64 v[138:141], v2 offset0:101 offset1:102
	ds_load_2addr_b64 v[146:149], v2 offset0:103 offset1:104
	s_wait_dscnt 0x1
	v_fmac_f64_e32 v[156:157], v[144:145], v[138:139]
	s_wait_loadcnt 0x4
	s_delay_alu instid0(VALU_DEP_1)
	v_fmac_f64_e32 v[156:157], v[130:131], v[140:141]
	scratch_load_b128 v[138:141], off, off offset:432
	s_wait_dscnt 0x0
	v_fmac_f64_e32 v[156:157], v[132:133], v[146:147]
	scratch_load_b128 v[130:133], off, off offset:448
	s_wait_loadcnt 0x5
	v_fmac_f64_e32 v[156:157], v[152:153], v[148:149]
	ds_load_2addr_b64 v[142:145], v2 offset0:105 offset1:106
	ds_load_2addr_b64 v[146:149], v2 offset0:107 offset1:108
	s_wait_dscnt 0x1
	v_fmac_f64_e32 v[156:157], v[154:155], v[142:143]
	s_wait_loadcnt 0x4
	s_delay_alu instid0(VALU_DEP_1) | instskip(SKIP_1) | instid1(VALU_DEP_1)
	v_fmac_f64_e32 v[156:157], v[122:123], v[144:145]
	s_wait_dscnt 0x0
	v_fmac_f64_e32 v[156:157], v[124:125], v[146:147]
	ds_load_2addr_b64 v[122:125], v2 offset0:109 offset1:110
	ds_load_2addr_b64 v[142:145], v2 offset0:111 offset1:112
	s_wait_loadcnt 0x3
	v_fmac_f64_e32 v[156:157], v[134:135], v[148:149]
	s_wait_dscnt 0x1
	s_delay_alu instid0(VALU_DEP_1) | instskip(SKIP_1) | instid1(VALU_DEP_1)
	v_fmac_f64_e32 v[156:157], v[136:137], v[122:123]
	s_wait_loadcnt 0x2
	v_fmac_f64_e32 v[156:157], v[126:127], v[124:125]
	ds_load_2addr_b64 v[122:125], v2 offset0:113 offset1:114
	ds_load_b64 v[126:127], v2 offset:920
	s_wait_dscnt 0x2
	v_fmac_f64_e32 v[156:157], v[128:129], v[142:143]
	s_wait_loadcnt 0x1
	s_delay_alu instid0(VALU_DEP_1) | instskip(SKIP_1) | instid1(VALU_DEP_1)
	v_fmac_f64_e32 v[156:157], v[138:139], v[144:145]
	s_wait_dscnt 0x1
	v_fmac_f64_e32 v[156:157], v[140:141], v[122:123]
	s_wait_loadcnt 0x0
	s_delay_alu instid0(VALU_DEP_1) | instskip(SKIP_1) | instid1(VALU_DEP_1)
	v_fmac_f64_e32 v[156:157], v[130:131], v[124:125]
	s_wait_dscnt 0x0
	v_fmac_f64_e32 v[156:157], v[132:133], v[126:127]
	s_delay_alu instid0(VALU_DEP_1)
	v_add_f64_e64 v[120:121], v[120:121], -v[156:157]
	scratch_store_b64 off, v[120:121], off offset:80
	s_wait_xcnt 0x0
	v_cmpx_lt_u32_e32 9, v0
	s_cbranch_execz .LBB57_339
; %bb.338:
	scratch_load_b64 v[120:121], off, off offset:72
	v_mov_b64_e32 v[122:123], 0
	scratch_store_b64 off, v[122:123], off offset:72
	s_wait_loadcnt 0x0
	ds_store_b64 v1, v[120:121]
.LBB57_339:
	s_wait_xcnt 0x0
	s_or_b32 exec_lo, exec_lo, s0
	s_wait_storecnt_dscnt 0x0
	s_barrier_signal -1
	s_barrier_wait -1
	s_clause 0x5
	scratch_load_b128 v[120:123], off, off offset:72
	scratch_load_b128 v[124:127], off, off offset:88
	;; [unrolled: 1-line block ×6, first 2 shown]
	ds_load_b128 v[144:147], v2 offset:544
	ds_load_b128 v[148:151], v2 offset:560
	scratch_load_b128 v[152:155], off, off offset:168
	s_mov_b32 s0, exec_lo
	s_wait_loadcnt_dscnt 0x601
	v_fma_f64 v[156:157], v[122:123], v[144:145], 0
	s_wait_loadcnt 0x5
	s_delay_alu instid0(VALU_DEP_1) | instskip(SKIP_4) | instid1(VALU_DEP_1)
	v_fmac_f64_e32 v[156:157], v[124:125], v[146:147]
	scratch_load_b128 v[122:125], off, off offset:184
	s_wait_dscnt 0x0
	v_fmac_f64_e32 v[156:157], v[126:127], v[148:149]
	s_wait_loadcnt 0x5
	v_fmac_f64_e32 v[156:157], v[128:129], v[150:151]
	ds_load_b128 v[126:129], v2 offset:576
	ds_load_b128 v[144:147], v2 offset:592
	scratch_load_b128 v[148:151], off, off offset:200
	s_wait_dscnt 0x1
	v_fmac_f64_e32 v[156:157], v[130:131], v[126:127]
	s_wait_loadcnt 0x5
	s_delay_alu instid0(VALU_DEP_1) | instskip(SKIP_4) | instid1(VALU_DEP_1)
	v_fmac_f64_e32 v[156:157], v[132:133], v[128:129]
	scratch_load_b128 v[126:129], off, off offset:216
	s_wait_dscnt 0x0
	v_fmac_f64_e32 v[156:157], v[134:135], v[144:145]
	s_wait_loadcnt 0x5
	v_fmac_f64_e32 v[156:157], v[136:137], v[146:147]
	ds_load_b128 v[130:133], v2 offset:608
	ds_load_b128 v[134:137], v2 offset:624
	scratch_load_b128 v[144:147], off, off offset:232
	s_wait_dscnt 0x1
	v_fmac_f64_e32 v[156:157], v[138:139], v[130:131]
	s_wait_loadcnt 0x5
	s_delay_alu instid0(VALU_DEP_1) | instskip(SKIP_4) | instid1(VALU_DEP_1)
	v_fmac_f64_e32 v[156:157], v[140:141], v[132:133]
	scratch_load_b128 v[130:133], off, off offset:248
	s_wait_dscnt 0x0
	v_fmac_f64_e32 v[156:157], v[142:143], v[134:135]
	s_wait_loadcnt 0x5
	v_fmac_f64_e32 v[156:157], v[152:153], v[136:137]
	ds_load_b128 v[134:137], v2 offset:640
	ds_load_b128 v[138:141], v2 offset:656
	s_wait_dscnt 0x1
	v_fmac_f64_e32 v[156:157], v[154:155], v[134:135]
	scratch_load_b128 v[152:155], off, off offset:264
	s_wait_loadcnt 0x5
	v_fmac_f64_e32 v[156:157], v[122:123], v[136:137]
	s_wait_dscnt 0x0
	s_delay_alu instid0(VALU_DEP_1)
	v_fmac_f64_e32 v[156:157], v[124:125], v[138:139]
	scratch_load_b128 v[122:125], off, off offset:280
	s_wait_loadcnt 0x5
	v_fmac_f64_e32 v[156:157], v[148:149], v[140:141]
	ds_load_b128 v[134:137], v2 offset:672
	ds_load_b128 v[138:141], v2 offset:688
	s_wait_dscnt 0x1
	v_fmac_f64_e32 v[156:157], v[150:151], v[134:135]
	scratch_load_b128 v[148:151], off, off offset:296
	s_wait_loadcnt 0x5
	v_fmac_f64_e32 v[156:157], v[126:127], v[136:137]
	s_wait_dscnt 0x0
	s_delay_alu instid0(VALU_DEP_1)
	v_fmac_f64_e32 v[156:157], v[128:129], v[138:139]
	scratch_load_b128 v[126:129], off, off offset:312
	s_wait_loadcnt 0x5
	v_fmac_f64_e32 v[156:157], v[144:145], v[140:141]
	ds_load_b128 v[134:137], v2 offset:704
	ds_load_b128 v[138:141], v2 offset:720
	scratch_load_b128 v[142:145], off, off offset:328
	s_wait_dscnt 0x1
	v_fmac_f64_e32 v[156:157], v[146:147], v[134:135]
	s_wait_loadcnt 0x5
	s_delay_alu instid0(VALU_DEP_1) | instskip(SKIP_1) | instid1(VALU_DEP_1)
	v_fmac_f64_e32 v[156:157], v[130:131], v[136:137]
	s_wait_dscnt 0x0
	v_fmac_f64_e32 v[156:157], v[132:133], v[138:139]
	scratch_load_b128 v[130:133], off, off offset:344
	s_wait_loadcnt 0x5
	v_fmac_f64_e32 v[156:157], v[152:153], v[140:141]
	ds_load_b128 v[134:137], v2 offset:736
	ds_load_b128 v[138:141], v2 offset:752
	s_wait_dscnt 0x1
	v_fmac_f64_e32 v[156:157], v[154:155], v[134:135]
	scratch_load_b128 v[152:155], off, off offset:360
	s_wait_loadcnt 0x5
	v_fmac_f64_e32 v[156:157], v[122:123], v[136:137]
	s_wait_dscnt 0x0
	s_delay_alu instid0(VALU_DEP_1)
	v_fmac_f64_e32 v[156:157], v[124:125], v[138:139]
	scratch_load_b128 v[122:125], off, off offset:376
	s_wait_loadcnt 0x5
	v_fmac_f64_e32 v[156:157], v[148:149], v[140:141]
	ds_load_b128 v[134:137], v2 offset:768
	ds_load_b128 v[138:141], v2 offset:784
	s_wait_dscnt 0x1
	v_fmac_f64_e32 v[156:157], v[150:151], v[134:135]
	s_wait_loadcnt 0x4
	s_delay_alu instid0(VALU_DEP_1)
	v_fmac_f64_e32 v[156:157], v[126:127], v[136:137]
	scratch_load_b128 v[134:137], off, off offset:392
	s_wait_dscnt 0x0
	v_fmac_f64_e32 v[156:157], v[128:129], v[138:139]
	scratch_load_b128 v[126:129], off, off offset:408
	s_wait_loadcnt 0x5
	v_fmac_f64_e32 v[156:157], v[142:143], v[140:141]
	ds_load_b128 v[138:141], v2 offset:800
	ds_load_b128 v[146:149], v2 offset:816
	s_wait_dscnt 0x1
	v_fmac_f64_e32 v[156:157], v[144:145], v[138:139]
	s_wait_loadcnt 0x4
	s_delay_alu instid0(VALU_DEP_1)
	v_fmac_f64_e32 v[156:157], v[130:131], v[140:141]
	scratch_load_b128 v[138:141], off, off offset:424
	s_wait_dscnt 0x0
	v_fmac_f64_e32 v[156:157], v[132:133], v[146:147]
	scratch_load_b128 v[130:133], off, off offset:440
	s_wait_loadcnt 0x5
	v_fmac_f64_e32 v[156:157], v[152:153], v[148:149]
	ds_load_b128 v[142:145], v2 offset:832
	ds_load_b128 v[146:149], v2 offset:848
	scratch_load_b64 v[150:151], off, off offset:456
	s_wait_dscnt 0x1
	v_fmac_f64_e32 v[156:157], v[154:155], v[142:143]
	s_wait_loadcnt 0x5
	s_delay_alu instid0(VALU_DEP_1) | instskip(SKIP_1) | instid1(VALU_DEP_1)
	v_fmac_f64_e32 v[156:157], v[122:123], v[144:145]
	s_wait_dscnt 0x0
	v_fmac_f64_e32 v[156:157], v[124:125], v[146:147]
	ds_load_b128 v[122:125], v2 offset:864
	ds_load_b128 v[142:145], v2 offset:880
	s_wait_loadcnt 0x4
	v_fmac_f64_e32 v[156:157], v[134:135], v[148:149]
	s_wait_dscnt 0x1
	s_delay_alu instid0(VALU_DEP_1) | instskip(SKIP_1) | instid1(VALU_DEP_1)
	v_fmac_f64_e32 v[156:157], v[136:137], v[122:123]
	s_wait_loadcnt 0x3
	v_fmac_f64_e32 v[156:157], v[126:127], v[124:125]
	s_wait_dscnt 0x0
	s_delay_alu instid0(VALU_DEP_1)
	v_fmac_f64_e32 v[156:157], v[128:129], v[142:143]
	ds_load_b128 v[122:125], v2 offset:896
	ds_load_b128 v[126:129], v2 offset:912
	s_wait_loadcnt 0x2
	v_fmac_f64_e32 v[156:157], v[138:139], v[144:145]
	s_wait_dscnt 0x1
	s_delay_alu instid0(VALU_DEP_1) | instskip(SKIP_1) | instid1(VALU_DEP_1)
	v_fmac_f64_e32 v[156:157], v[140:141], v[122:123]
	s_wait_loadcnt 0x1
	v_fmac_f64_e32 v[156:157], v[130:131], v[124:125]
	s_wait_dscnt 0x0
	s_delay_alu instid0(VALU_DEP_1) | instskip(SKIP_1) | instid1(VALU_DEP_1)
	v_fmac_f64_e32 v[156:157], v[132:133], v[126:127]
	s_wait_loadcnt 0x0
	v_fmac_f64_e32 v[156:157], v[150:151], v[128:129]
	s_delay_alu instid0(VALU_DEP_1)
	v_add_f64_e64 v[2:3], v[120:121], -v[156:157]
	scratch_store_b64 off, v[2:3], off offset:72
	s_wait_xcnt 0x0
	v_cmpx_lt_u32_e32 8, v0
	s_cbranch_execz .LBB57_341
; %bb.340:
	scratch_load_b64 v[2:3], off, off offset:64
	v_mov_b64_e32 v[120:121], 0
	scratch_store_b64 off, v[120:121], off offset:64
	s_wait_loadcnt 0x0
	ds_store_b64 v1, v[2:3]
.LBB57_341:
	s_wait_xcnt 0x0
	s_or_b32 exec_lo, exec_lo, s0
	s_wait_storecnt_dscnt 0x0
	s_barrier_signal -1
	s_barrier_wait -1
	s_clause 0x5
	scratch_load_b128 v[120:123], off, off offset:64
	scratch_load_b128 v[124:127], off, off offset:80
	;; [unrolled: 1-line block ×6, first 2 shown]
	v_mov_b32_e32 v2, 0
	ds_load_2addr_b64 v[144:147], v2 offset0:67 offset1:68
	ds_load_2addr_b64 v[148:151], v2 offset0:69 offset1:70
	scratch_load_b128 v[152:155], off, off offset:160
	s_mov_b32 s0, exec_lo
	s_wait_loadcnt_dscnt 0x601
	v_fma_f64 v[156:157], v[122:123], v[144:145], 0
	s_wait_loadcnt 0x5
	s_delay_alu instid0(VALU_DEP_1) | instskip(SKIP_4) | instid1(VALU_DEP_1)
	v_fmac_f64_e32 v[156:157], v[124:125], v[146:147]
	scratch_load_b128 v[122:125], off, off offset:176
	s_wait_dscnt 0x0
	v_fmac_f64_e32 v[156:157], v[126:127], v[148:149]
	s_wait_loadcnt 0x5
	v_fmac_f64_e32 v[156:157], v[128:129], v[150:151]
	ds_load_2addr_b64 v[126:129], v2 offset0:71 offset1:72
	ds_load_2addr_b64 v[144:147], v2 offset0:73 offset1:74
	scratch_load_b128 v[148:151], off, off offset:192
	s_wait_dscnt 0x1
	v_fmac_f64_e32 v[156:157], v[130:131], v[126:127]
	s_wait_loadcnt 0x5
	s_delay_alu instid0(VALU_DEP_1) | instskip(SKIP_4) | instid1(VALU_DEP_1)
	v_fmac_f64_e32 v[156:157], v[132:133], v[128:129]
	scratch_load_b128 v[126:129], off, off offset:208
	s_wait_dscnt 0x0
	v_fmac_f64_e32 v[156:157], v[134:135], v[144:145]
	s_wait_loadcnt 0x5
	v_fmac_f64_e32 v[156:157], v[136:137], v[146:147]
	ds_load_2addr_b64 v[130:133], v2 offset0:75 offset1:76
	ds_load_2addr_b64 v[134:137], v2 offset0:77 offset1:78
	scratch_load_b128 v[144:147], off, off offset:224
	s_wait_dscnt 0x1
	v_fmac_f64_e32 v[156:157], v[138:139], v[130:131]
	s_wait_loadcnt 0x5
	s_delay_alu instid0(VALU_DEP_1) | instskip(SKIP_4) | instid1(VALU_DEP_1)
	v_fmac_f64_e32 v[156:157], v[140:141], v[132:133]
	scratch_load_b128 v[130:133], off, off offset:240
	s_wait_dscnt 0x0
	v_fmac_f64_e32 v[156:157], v[142:143], v[134:135]
	s_wait_loadcnt 0x5
	v_fmac_f64_e32 v[156:157], v[152:153], v[136:137]
	ds_load_2addr_b64 v[134:137], v2 offset0:79 offset1:80
	ds_load_2addr_b64 v[138:141], v2 offset0:81 offset1:82
	s_wait_dscnt 0x1
	v_fmac_f64_e32 v[156:157], v[154:155], v[134:135]
	scratch_load_b128 v[152:155], off, off offset:256
	s_wait_loadcnt 0x5
	v_fmac_f64_e32 v[156:157], v[122:123], v[136:137]
	s_wait_dscnt 0x0
	s_delay_alu instid0(VALU_DEP_1)
	v_fmac_f64_e32 v[156:157], v[124:125], v[138:139]
	scratch_load_b128 v[122:125], off, off offset:272
	s_wait_loadcnt 0x5
	v_fmac_f64_e32 v[156:157], v[148:149], v[140:141]
	ds_load_2addr_b64 v[134:137], v2 offset0:83 offset1:84
	ds_load_2addr_b64 v[138:141], v2 offset0:85 offset1:86
	s_wait_dscnt 0x1
	v_fmac_f64_e32 v[156:157], v[150:151], v[134:135]
	scratch_load_b128 v[148:151], off, off offset:288
	s_wait_loadcnt 0x5
	v_fmac_f64_e32 v[156:157], v[126:127], v[136:137]
	s_wait_dscnt 0x0
	s_delay_alu instid0(VALU_DEP_1)
	v_fmac_f64_e32 v[156:157], v[128:129], v[138:139]
	scratch_load_b128 v[126:129], off, off offset:304
	s_wait_loadcnt 0x5
	v_fmac_f64_e32 v[156:157], v[144:145], v[140:141]
	ds_load_2addr_b64 v[134:137], v2 offset0:87 offset1:88
	ds_load_2addr_b64 v[138:141], v2 offset0:89 offset1:90
	scratch_load_b128 v[142:145], off, off offset:320
	s_wait_dscnt 0x1
	v_fmac_f64_e32 v[156:157], v[146:147], v[134:135]
	s_wait_loadcnt 0x5
	s_delay_alu instid0(VALU_DEP_1) | instskip(SKIP_1) | instid1(VALU_DEP_1)
	v_fmac_f64_e32 v[156:157], v[130:131], v[136:137]
	s_wait_dscnt 0x0
	v_fmac_f64_e32 v[156:157], v[132:133], v[138:139]
	scratch_load_b128 v[130:133], off, off offset:336
	s_wait_loadcnt 0x5
	v_fmac_f64_e32 v[156:157], v[152:153], v[140:141]
	ds_load_2addr_b64 v[134:137], v2 offset0:91 offset1:92
	ds_load_2addr_b64 v[138:141], v2 offset0:93 offset1:94
	s_wait_dscnt 0x1
	v_fmac_f64_e32 v[156:157], v[154:155], v[134:135]
	scratch_load_b128 v[152:155], off, off offset:352
	s_wait_loadcnt 0x5
	v_fmac_f64_e32 v[156:157], v[122:123], v[136:137]
	s_wait_dscnt 0x0
	s_delay_alu instid0(VALU_DEP_1)
	v_fmac_f64_e32 v[156:157], v[124:125], v[138:139]
	scratch_load_b128 v[122:125], off, off offset:368
	s_wait_loadcnt 0x5
	v_fmac_f64_e32 v[156:157], v[148:149], v[140:141]
	ds_load_2addr_b64 v[134:137], v2 offset0:95 offset1:96
	ds_load_2addr_b64 v[138:141], v2 offset0:97 offset1:98
	s_wait_dscnt 0x1
	v_fmac_f64_e32 v[156:157], v[150:151], v[134:135]
	s_wait_loadcnt 0x4
	s_delay_alu instid0(VALU_DEP_1)
	v_fmac_f64_e32 v[156:157], v[126:127], v[136:137]
	scratch_load_b128 v[134:137], off, off offset:384
	s_wait_dscnt 0x0
	v_fmac_f64_e32 v[156:157], v[128:129], v[138:139]
	scratch_load_b128 v[126:129], off, off offset:400
	s_wait_loadcnt 0x5
	v_fmac_f64_e32 v[156:157], v[142:143], v[140:141]
	ds_load_2addr_b64 v[138:141], v2 offset0:99 offset1:100
	ds_load_2addr_b64 v[146:149], v2 offset0:101 offset1:102
	s_wait_dscnt 0x1
	v_fmac_f64_e32 v[156:157], v[144:145], v[138:139]
	s_wait_loadcnt 0x4
	s_delay_alu instid0(VALU_DEP_1)
	v_fmac_f64_e32 v[156:157], v[130:131], v[140:141]
	scratch_load_b128 v[138:141], off, off offset:416
	s_wait_dscnt 0x0
	v_fmac_f64_e32 v[156:157], v[132:133], v[146:147]
	scratch_load_b128 v[130:133], off, off offset:432
	s_wait_loadcnt 0x5
	v_fmac_f64_e32 v[156:157], v[152:153], v[148:149]
	ds_load_2addr_b64 v[142:145], v2 offset0:103 offset1:104
	ds_load_2addr_b64 v[146:149], v2 offset0:105 offset1:106
	s_wait_dscnt 0x1
	v_fmac_f64_e32 v[156:157], v[154:155], v[142:143]
	s_wait_loadcnt 0x4
	s_delay_alu instid0(VALU_DEP_1) | instskip(SKIP_4) | instid1(VALU_DEP_1)
	v_fmac_f64_e32 v[156:157], v[122:123], v[144:145]
	scratch_load_b128 v[142:145], off, off offset:448
	s_wait_dscnt 0x0
	v_fmac_f64_e32 v[156:157], v[124:125], v[146:147]
	s_wait_loadcnt 0x4
	v_fmac_f64_e32 v[156:157], v[134:135], v[148:149]
	ds_load_2addr_b64 v[122:125], v2 offset0:107 offset1:108
	ds_load_2addr_b64 v[146:149], v2 offset0:109 offset1:110
	s_wait_dscnt 0x1
	v_fmac_f64_e32 v[156:157], v[136:137], v[122:123]
	s_wait_loadcnt 0x3
	s_delay_alu instid0(VALU_DEP_1) | instskip(SKIP_1) | instid1(VALU_DEP_1)
	v_fmac_f64_e32 v[156:157], v[126:127], v[124:125]
	s_wait_dscnt 0x0
	v_fmac_f64_e32 v[156:157], v[128:129], v[146:147]
	ds_load_2addr_b64 v[122:125], v2 offset0:111 offset1:112
	ds_load_2addr_b64 v[126:129], v2 offset0:113 offset1:114
	s_wait_loadcnt 0x2
	v_fmac_f64_e32 v[156:157], v[138:139], v[148:149]
	s_wait_dscnt 0x1
	s_delay_alu instid0(VALU_DEP_1) | instskip(SKIP_4) | instid1(VALU_DEP_1)
	v_fmac_f64_e32 v[156:157], v[140:141], v[122:123]
	ds_load_b64 v[122:123], v2 offset:920
	s_wait_loadcnt 0x1
	v_fmac_f64_e32 v[156:157], v[130:131], v[124:125]
	s_wait_dscnt 0x1
	v_fmac_f64_e32 v[156:157], v[132:133], v[126:127]
	s_wait_loadcnt 0x0
	s_delay_alu instid0(VALU_DEP_1) | instskip(SKIP_1) | instid1(VALU_DEP_1)
	v_fmac_f64_e32 v[156:157], v[142:143], v[128:129]
	s_wait_dscnt 0x0
	v_fmac_f64_e32 v[156:157], v[144:145], v[122:123]
	s_delay_alu instid0(VALU_DEP_1)
	v_add_f64_e64 v[120:121], v[120:121], -v[156:157]
	scratch_store_b64 off, v[120:121], off offset:64
	s_wait_xcnt 0x0
	v_cmpx_lt_u32_e32 7, v0
	s_cbranch_execz .LBB57_343
; %bb.342:
	scratch_load_b64 v[120:121], off, off offset:56
	v_mov_b64_e32 v[122:123], 0
	scratch_store_b64 off, v[122:123], off offset:56
	s_wait_loadcnt 0x0
	ds_store_b64 v1, v[120:121]
.LBB57_343:
	s_wait_xcnt 0x0
	s_or_b32 exec_lo, exec_lo, s0
	s_wait_storecnt_dscnt 0x0
	s_barrier_signal -1
	s_barrier_wait -1
	s_clause 0x5
	scratch_load_b128 v[120:123], off, off offset:56
	scratch_load_b128 v[124:127], off, off offset:72
	;; [unrolled: 1-line block ×6, first 2 shown]
	ds_load_b128 v[144:147], v2 offset:528
	ds_load_b128 v[148:151], v2 offset:544
	scratch_load_b128 v[152:155], off, off offset:152
	s_mov_b32 s0, exec_lo
	s_wait_loadcnt_dscnt 0x601
	v_fma_f64 v[156:157], v[122:123], v[144:145], 0
	s_wait_loadcnt 0x5
	s_delay_alu instid0(VALU_DEP_1) | instskip(SKIP_4) | instid1(VALU_DEP_1)
	v_fmac_f64_e32 v[156:157], v[124:125], v[146:147]
	scratch_load_b128 v[122:125], off, off offset:168
	s_wait_dscnt 0x0
	v_fmac_f64_e32 v[156:157], v[126:127], v[148:149]
	s_wait_loadcnt 0x5
	v_fmac_f64_e32 v[156:157], v[128:129], v[150:151]
	ds_load_b128 v[126:129], v2 offset:560
	ds_load_b128 v[144:147], v2 offset:576
	scratch_load_b128 v[148:151], off, off offset:184
	s_wait_dscnt 0x1
	v_fmac_f64_e32 v[156:157], v[130:131], v[126:127]
	s_wait_loadcnt 0x5
	s_delay_alu instid0(VALU_DEP_1) | instskip(SKIP_4) | instid1(VALU_DEP_1)
	v_fmac_f64_e32 v[156:157], v[132:133], v[128:129]
	scratch_load_b128 v[126:129], off, off offset:200
	s_wait_dscnt 0x0
	v_fmac_f64_e32 v[156:157], v[134:135], v[144:145]
	s_wait_loadcnt 0x5
	v_fmac_f64_e32 v[156:157], v[136:137], v[146:147]
	ds_load_b128 v[130:133], v2 offset:592
	ds_load_b128 v[134:137], v2 offset:608
	scratch_load_b128 v[144:147], off, off offset:216
	s_wait_dscnt 0x1
	v_fmac_f64_e32 v[156:157], v[138:139], v[130:131]
	s_wait_loadcnt 0x5
	s_delay_alu instid0(VALU_DEP_1) | instskip(SKIP_4) | instid1(VALU_DEP_1)
	v_fmac_f64_e32 v[156:157], v[140:141], v[132:133]
	scratch_load_b128 v[130:133], off, off offset:232
	s_wait_dscnt 0x0
	v_fmac_f64_e32 v[156:157], v[142:143], v[134:135]
	s_wait_loadcnt 0x5
	v_fmac_f64_e32 v[156:157], v[152:153], v[136:137]
	ds_load_b128 v[134:137], v2 offset:624
	ds_load_b128 v[138:141], v2 offset:640
	s_wait_dscnt 0x1
	v_fmac_f64_e32 v[156:157], v[154:155], v[134:135]
	scratch_load_b128 v[152:155], off, off offset:248
	s_wait_loadcnt 0x5
	v_fmac_f64_e32 v[156:157], v[122:123], v[136:137]
	s_wait_dscnt 0x0
	s_delay_alu instid0(VALU_DEP_1)
	v_fmac_f64_e32 v[156:157], v[124:125], v[138:139]
	scratch_load_b128 v[122:125], off, off offset:264
	s_wait_loadcnt 0x5
	v_fmac_f64_e32 v[156:157], v[148:149], v[140:141]
	ds_load_b128 v[134:137], v2 offset:656
	ds_load_b128 v[138:141], v2 offset:672
	s_wait_dscnt 0x1
	v_fmac_f64_e32 v[156:157], v[150:151], v[134:135]
	scratch_load_b128 v[148:151], off, off offset:280
	s_wait_loadcnt 0x5
	v_fmac_f64_e32 v[156:157], v[126:127], v[136:137]
	s_wait_dscnt 0x0
	s_delay_alu instid0(VALU_DEP_1)
	v_fmac_f64_e32 v[156:157], v[128:129], v[138:139]
	scratch_load_b128 v[126:129], off, off offset:296
	s_wait_loadcnt 0x5
	v_fmac_f64_e32 v[156:157], v[144:145], v[140:141]
	ds_load_b128 v[134:137], v2 offset:688
	ds_load_b128 v[138:141], v2 offset:704
	scratch_load_b128 v[142:145], off, off offset:312
	s_wait_dscnt 0x1
	v_fmac_f64_e32 v[156:157], v[146:147], v[134:135]
	s_wait_loadcnt 0x5
	s_delay_alu instid0(VALU_DEP_1) | instskip(SKIP_1) | instid1(VALU_DEP_1)
	v_fmac_f64_e32 v[156:157], v[130:131], v[136:137]
	s_wait_dscnt 0x0
	v_fmac_f64_e32 v[156:157], v[132:133], v[138:139]
	scratch_load_b128 v[130:133], off, off offset:328
	s_wait_loadcnt 0x5
	v_fmac_f64_e32 v[156:157], v[152:153], v[140:141]
	ds_load_b128 v[134:137], v2 offset:720
	ds_load_b128 v[138:141], v2 offset:736
	s_wait_dscnt 0x1
	v_fmac_f64_e32 v[156:157], v[154:155], v[134:135]
	scratch_load_b128 v[152:155], off, off offset:344
	s_wait_loadcnt 0x5
	v_fmac_f64_e32 v[156:157], v[122:123], v[136:137]
	s_wait_dscnt 0x0
	s_delay_alu instid0(VALU_DEP_1)
	v_fmac_f64_e32 v[156:157], v[124:125], v[138:139]
	scratch_load_b128 v[122:125], off, off offset:360
	s_wait_loadcnt 0x5
	v_fmac_f64_e32 v[156:157], v[148:149], v[140:141]
	ds_load_b128 v[134:137], v2 offset:752
	ds_load_b128 v[138:141], v2 offset:768
	scratch_load_b128 v[146:149], off, off offset:376
	s_wait_dscnt 0x1
	v_fmac_f64_e32 v[156:157], v[150:151], v[134:135]
	s_wait_loadcnt 0x5
	s_delay_alu instid0(VALU_DEP_1) | instskip(SKIP_1) | instid1(VALU_DEP_1)
	v_fmac_f64_e32 v[156:157], v[126:127], v[136:137]
	s_wait_dscnt 0x0
	v_fmac_f64_e32 v[156:157], v[128:129], v[138:139]
	scratch_load_b128 v[126:129], off, off offset:392
	s_wait_loadcnt 0x5
	v_fmac_f64_e32 v[156:157], v[142:143], v[140:141]
	ds_load_b128 v[134:137], v2 offset:784
	ds_load_b128 v[138:141], v2 offset:800
	s_wait_dscnt 0x1
	v_fmac_f64_e32 v[156:157], v[144:145], v[134:135]
	s_wait_loadcnt 0x4
	s_delay_alu instid0(VALU_DEP_1)
	v_fmac_f64_e32 v[156:157], v[130:131], v[136:137]
	scratch_load_b128 v[134:137], off, off offset:408
	s_wait_dscnt 0x0
	v_fmac_f64_e32 v[156:157], v[132:133], v[138:139]
	scratch_load_b128 v[130:133], off, off offset:424
	s_wait_loadcnt 0x5
	v_fmac_f64_e32 v[156:157], v[152:153], v[140:141]
	ds_load_b128 v[138:141], v2 offset:816
	ds_load_b128 v[142:145], v2 offset:832
	s_wait_dscnt 0x1
	v_fmac_f64_e32 v[156:157], v[154:155], v[138:139]
	s_wait_loadcnt 0x4
	s_delay_alu instid0(VALU_DEP_1) | instskip(SKIP_4) | instid1(VALU_DEP_1)
	v_fmac_f64_e32 v[156:157], v[122:123], v[140:141]
	scratch_load_b128 v[138:141], off, off offset:440
	s_wait_dscnt 0x0
	v_fmac_f64_e32 v[156:157], v[124:125], v[142:143]
	s_wait_loadcnt 0x4
	v_fmac_f64_e32 v[156:157], v[146:147], v[144:145]
	scratch_load_b64 v[146:147], off, off offset:456
	ds_load_b128 v[122:125], v2 offset:848
	ds_load_b128 v[142:145], v2 offset:864
	s_wait_dscnt 0x1
	v_fmac_f64_e32 v[156:157], v[148:149], v[122:123]
	s_wait_loadcnt 0x4
	s_delay_alu instid0(VALU_DEP_1) | instskip(SKIP_1) | instid1(VALU_DEP_1)
	v_fmac_f64_e32 v[156:157], v[126:127], v[124:125]
	s_wait_dscnt 0x0
	v_fmac_f64_e32 v[156:157], v[128:129], v[142:143]
	ds_load_b128 v[122:125], v2 offset:880
	ds_load_b128 v[126:129], v2 offset:896
	s_wait_loadcnt 0x3
	v_fmac_f64_e32 v[156:157], v[134:135], v[144:145]
	s_wait_dscnt 0x1
	s_delay_alu instid0(VALU_DEP_1) | instskip(SKIP_1) | instid1(VALU_DEP_1)
	v_fmac_f64_e32 v[156:157], v[136:137], v[122:123]
	s_wait_loadcnt 0x2
	v_fmac_f64_e32 v[156:157], v[130:131], v[124:125]
	ds_load_b128 v[122:125], v2 offset:912
	s_wait_dscnt 0x1
	v_fmac_f64_e32 v[156:157], v[132:133], v[126:127]
	s_wait_loadcnt 0x1
	s_delay_alu instid0(VALU_DEP_1) | instskip(SKIP_1) | instid1(VALU_DEP_1)
	v_fmac_f64_e32 v[156:157], v[138:139], v[128:129]
	s_wait_dscnt 0x0
	v_fmac_f64_e32 v[156:157], v[140:141], v[122:123]
	s_wait_loadcnt 0x0
	s_delay_alu instid0(VALU_DEP_1) | instskip(NEXT) | instid1(VALU_DEP_1)
	v_fmac_f64_e32 v[156:157], v[146:147], v[124:125]
	v_add_f64_e64 v[2:3], v[120:121], -v[156:157]
	scratch_store_b64 off, v[2:3], off offset:56
	s_wait_xcnt 0x0
	v_cmpx_lt_u32_e32 6, v0
	s_cbranch_execz .LBB57_345
; %bb.344:
	scratch_load_b64 v[2:3], off, off offset:48
	v_mov_b64_e32 v[120:121], 0
	scratch_store_b64 off, v[120:121], off offset:48
	s_wait_loadcnt 0x0
	ds_store_b64 v1, v[2:3]
.LBB57_345:
	s_wait_xcnt 0x0
	s_or_b32 exec_lo, exec_lo, s0
	s_wait_storecnt_dscnt 0x0
	s_barrier_signal -1
	s_barrier_wait -1
	s_clause 0x5
	scratch_load_b128 v[120:123], off, off offset:48
	scratch_load_b128 v[124:127], off, off offset:64
	;; [unrolled: 1-line block ×6, first 2 shown]
	v_mov_b32_e32 v2, 0
	ds_load_2addr_b64 v[144:147], v2 offset0:65 offset1:66
	ds_load_2addr_b64 v[148:151], v2 offset0:67 offset1:68
	scratch_load_b128 v[152:155], off, off offset:144
	s_mov_b32 s0, exec_lo
	s_wait_loadcnt_dscnt 0x601
	v_fma_f64 v[156:157], v[122:123], v[144:145], 0
	s_wait_loadcnt 0x5
	s_delay_alu instid0(VALU_DEP_1) | instskip(SKIP_4) | instid1(VALU_DEP_1)
	v_fmac_f64_e32 v[156:157], v[124:125], v[146:147]
	scratch_load_b128 v[122:125], off, off offset:160
	s_wait_dscnt 0x0
	v_fmac_f64_e32 v[156:157], v[126:127], v[148:149]
	s_wait_loadcnt 0x5
	v_fmac_f64_e32 v[156:157], v[128:129], v[150:151]
	ds_load_2addr_b64 v[126:129], v2 offset0:69 offset1:70
	ds_load_2addr_b64 v[144:147], v2 offset0:71 offset1:72
	scratch_load_b128 v[148:151], off, off offset:176
	s_wait_dscnt 0x1
	v_fmac_f64_e32 v[156:157], v[130:131], v[126:127]
	s_wait_loadcnt 0x5
	s_delay_alu instid0(VALU_DEP_1) | instskip(SKIP_4) | instid1(VALU_DEP_1)
	v_fmac_f64_e32 v[156:157], v[132:133], v[128:129]
	scratch_load_b128 v[126:129], off, off offset:192
	s_wait_dscnt 0x0
	v_fmac_f64_e32 v[156:157], v[134:135], v[144:145]
	s_wait_loadcnt 0x5
	v_fmac_f64_e32 v[156:157], v[136:137], v[146:147]
	ds_load_2addr_b64 v[130:133], v2 offset0:73 offset1:74
	ds_load_2addr_b64 v[134:137], v2 offset0:75 offset1:76
	scratch_load_b128 v[144:147], off, off offset:208
	s_wait_dscnt 0x1
	v_fmac_f64_e32 v[156:157], v[138:139], v[130:131]
	s_wait_loadcnt 0x5
	s_delay_alu instid0(VALU_DEP_1) | instskip(SKIP_4) | instid1(VALU_DEP_1)
	v_fmac_f64_e32 v[156:157], v[140:141], v[132:133]
	scratch_load_b128 v[130:133], off, off offset:224
	s_wait_dscnt 0x0
	v_fmac_f64_e32 v[156:157], v[142:143], v[134:135]
	s_wait_loadcnt 0x5
	v_fmac_f64_e32 v[156:157], v[152:153], v[136:137]
	ds_load_2addr_b64 v[134:137], v2 offset0:77 offset1:78
	ds_load_2addr_b64 v[138:141], v2 offset0:79 offset1:80
	s_wait_dscnt 0x1
	v_fmac_f64_e32 v[156:157], v[154:155], v[134:135]
	scratch_load_b128 v[152:155], off, off offset:240
	s_wait_loadcnt 0x5
	v_fmac_f64_e32 v[156:157], v[122:123], v[136:137]
	s_wait_dscnt 0x0
	s_delay_alu instid0(VALU_DEP_1)
	v_fmac_f64_e32 v[156:157], v[124:125], v[138:139]
	scratch_load_b128 v[122:125], off, off offset:256
	s_wait_loadcnt 0x5
	v_fmac_f64_e32 v[156:157], v[148:149], v[140:141]
	ds_load_2addr_b64 v[134:137], v2 offset0:81 offset1:82
	ds_load_2addr_b64 v[138:141], v2 offset0:83 offset1:84
	s_wait_dscnt 0x1
	v_fmac_f64_e32 v[156:157], v[150:151], v[134:135]
	scratch_load_b128 v[148:151], off, off offset:272
	s_wait_loadcnt 0x5
	v_fmac_f64_e32 v[156:157], v[126:127], v[136:137]
	s_wait_dscnt 0x0
	s_delay_alu instid0(VALU_DEP_1)
	v_fmac_f64_e32 v[156:157], v[128:129], v[138:139]
	scratch_load_b128 v[126:129], off, off offset:288
	s_wait_loadcnt 0x5
	v_fmac_f64_e32 v[156:157], v[144:145], v[140:141]
	ds_load_2addr_b64 v[134:137], v2 offset0:85 offset1:86
	ds_load_2addr_b64 v[138:141], v2 offset0:87 offset1:88
	scratch_load_b128 v[142:145], off, off offset:304
	s_wait_dscnt 0x1
	v_fmac_f64_e32 v[156:157], v[146:147], v[134:135]
	s_wait_loadcnt 0x5
	s_delay_alu instid0(VALU_DEP_1) | instskip(SKIP_1) | instid1(VALU_DEP_1)
	v_fmac_f64_e32 v[156:157], v[130:131], v[136:137]
	s_wait_dscnt 0x0
	v_fmac_f64_e32 v[156:157], v[132:133], v[138:139]
	scratch_load_b128 v[130:133], off, off offset:320
	s_wait_loadcnt 0x5
	v_fmac_f64_e32 v[156:157], v[152:153], v[140:141]
	ds_load_2addr_b64 v[134:137], v2 offset0:89 offset1:90
	ds_load_2addr_b64 v[138:141], v2 offset0:91 offset1:92
	s_wait_dscnt 0x1
	v_fmac_f64_e32 v[156:157], v[154:155], v[134:135]
	scratch_load_b128 v[152:155], off, off offset:336
	s_wait_loadcnt 0x5
	v_fmac_f64_e32 v[156:157], v[122:123], v[136:137]
	s_wait_dscnt 0x0
	s_delay_alu instid0(VALU_DEP_1)
	v_fmac_f64_e32 v[156:157], v[124:125], v[138:139]
	scratch_load_b128 v[122:125], off, off offset:352
	s_wait_loadcnt 0x5
	v_fmac_f64_e32 v[156:157], v[148:149], v[140:141]
	ds_load_2addr_b64 v[134:137], v2 offset0:93 offset1:94
	ds_load_2addr_b64 v[138:141], v2 offset0:95 offset1:96
	scratch_load_b128 v[146:149], off, off offset:368
	s_wait_dscnt 0x1
	v_fmac_f64_e32 v[156:157], v[150:151], v[134:135]
	s_wait_loadcnt 0x5
	s_delay_alu instid0(VALU_DEP_1) | instskip(SKIP_1) | instid1(VALU_DEP_1)
	v_fmac_f64_e32 v[156:157], v[126:127], v[136:137]
	s_wait_dscnt 0x0
	v_fmac_f64_e32 v[156:157], v[128:129], v[138:139]
	scratch_load_b128 v[126:129], off, off offset:384
	s_wait_loadcnt 0x5
	v_fmac_f64_e32 v[156:157], v[142:143], v[140:141]
	ds_load_2addr_b64 v[134:137], v2 offset0:97 offset1:98
	ds_load_2addr_b64 v[138:141], v2 offset0:99 offset1:100
	s_wait_dscnt 0x1
	v_fmac_f64_e32 v[156:157], v[144:145], v[134:135]
	s_wait_loadcnt 0x4
	s_delay_alu instid0(VALU_DEP_1)
	v_fmac_f64_e32 v[156:157], v[130:131], v[136:137]
	scratch_load_b128 v[134:137], off, off offset:400
	s_wait_dscnt 0x0
	v_fmac_f64_e32 v[156:157], v[132:133], v[138:139]
	scratch_load_b128 v[130:133], off, off offset:416
	s_wait_loadcnt 0x5
	v_fmac_f64_e32 v[156:157], v[152:153], v[140:141]
	ds_load_2addr_b64 v[138:141], v2 offset0:101 offset1:102
	ds_load_2addr_b64 v[142:145], v2 offset0:103 offset1:104
	s_wait_dscnt 0x1
	v_fmac_f64_e32 v[156:157], v[154:155], v[138:139]
	s_wait_loadcnt 0x4
	s_delay_alu instid0(VALU_DEP_1)
	v_fmac_f64_e32 v[156:157], v[122:123], v[140:141]
	scratch_load_b128 v[138:141], off, off offset:432
	s_wait_dscnt 0x0
	v_fmac_f64_e32 v[156:157], v[124:125], v[142:143]
	scratch_load_b128 v[122:125], off, off offset:448
	s_wait_loadcnt 0x5
	v_fmac_f64_e32 v[156:157], v[146:147], v[144:145]
	ds_load_2addr_b64 v[142:145], v2 offset0:105 offset1:106
	ds_load_2addr_b64 v[150:153], v2 offset0:107 offset1:108
	s_wait_dscnt 0x1
	v_fmac_f64_e32 v[156:157], v[148:149], v[142:143]
	s_wait_loadcnt 0x4
	s_delay_alu instid0(VALU_DEP_1) | instskip(SKIP_1) | instid1(VALU_DEP_1)
	v_fmac_f64_e32 v[156:157], v[126:127], v[144:145]
	s_wait_dscnt 0x0
	v_fmac_f64_e32 v[156:157], v[128:129], v[150:151]
	ds_load_2addr_b64 v[126:129], v2 offset0:109 offset1:110
	ds_load_2addr_b64 v[142:145], v2 offset0:111 offset1:112
	s_wait_loadcnt 0x3
	v_fmac_f64_e32 v[156:157], v[134:135], v[152:153]
	s_wait_dscnt 0x1
	s_delay_alu instid0(VALU_DEP_1) | instskip(SKIP_1) | instid1(VALU_DEP_1)
	v_fmac_f64_e32 v[156:157], v[136:137], v[126:127]
	s_wait_loadcnt 0x2
	v_fmac_f64_e32 v[156:157], v[130:131], v[128:129]
	ds_load_2addr_b64 v[126:129], v2 offset0:113 offset1:114
	ds_load_b64 v[130:131], v2 offset:920
	s_wait_dscnt 0x2
	v_fmac_f64_e32 v[156:157], v[132:133], v[142:143]
	s_wait_loadcnt 0x1
	s_delay_alu instid0(VALU_DEP_1) | instskip(SKIP_1) | instid1(VALU_DEP_1)
	v_fmac_f64_e32 v[156:157], v[138:139], v[144:145]
	s_wait_dscnt 0x1
	v_fmac_f64_e32 v[156:157], v[140:141], v[126:127]
	s_wait_loadcnt 0x0
	s_delay_alu instid0(VALU_DEP_1) | instskip(SKIP_1) | instid1(VALU_DEP_1)
	v_fmac_f64_e32 v[156:157], v[122:123], v[128:129]
	s_wait_dscnt 0x0
	v_fmac_f64_e32 v[156:157], v[124:125], v[130:131]
	s_delay_alu instid0(VALU_DEP_1)
	v_add_f64_e64 v[120:121], v[120:121], -v[156:157]
	scratch_store_b64 off, v[120:121], off offset:48
	s_wait_xcnt 0x0
	v_cmpx_lt_u32_e32 5, v0
	s_cbranch_execz .LBB57_347
; %bb.346:
	scratch_load_b64 v[120:121], off, off offset:40
	v_mov_b64_e32 v[122:123], 0
	scratch_store_b64 off, v[122:123], off offset:40
	s_wait_loadcnt 0x0
	ds_store_b64 v1, v[120:121]
.LBB57_347:
	s_wait_xcnt 0x0
	s_or_b32 exec_lo, exec_lo, s0
	s_wait_storecnt_dscnt 0x0
	s_barrier_signal -1
	s_barrier_wait -1
	s_clause 0x5
	scratch_load_b128 v[120:123], off, off offset:40
	scratch_load_b128 v[124:127], off, off offset:56
	;; [unrolled: 1-line block ×6, first 2 shown]
	ds_load_b128 v[144:147], v2 offset:512
	ds_load_b128 v[148:151], v2 offset:528
	scratch_load_b128 v[152:155], off, off offset:136
	s_mov_b32 s0, exec_lo
	s_wait_loadcnt_dscnt 0x601
	v_fma_f64 v[156:157], v[122:123], v[144:145], 0
	s_wait_loadcnt 0x5
	s_delay_alu instid0(VALU_DEP_1) | instskip(SKIP_4) | instid1(VALU_DEP_1)
	v_fmac_f64_e32 v[156:157], v[124:125], v[146:147]
	scratch_load_b128 v[122:125], off, off offset:152
	s_wait_dscnt 0x0
	v_fmac_f64_e32 v[156:157], v[126:127], v[148:149]
	s_wait_loadcnt 0x5
	v_fmac_f64_e32 v[156:157], v[128:129], v[150:151]
	ds_load_b128 v[126:129], v2 offset:544
	ds_load_b128 v[144:147], v2 offset:560
	scratch_load_b128 v[148:151], off, off offset:168
	s_wait_dscnt 0x1
	v_fmac_f64_e32 v[156:157], v[130:131], v[126:127]
	s_wait_loadcnt 0x5
	s_delay_alu instid0(VALU_DEP_1) | instskip(SKIP_4) | instid1(VALU_DEP_1)
	v_fmac_f64_e32 v[156:157], v[132:133], v[128:129]
	scratch_load_b128 v[126:129], off, off offset:184
	s_wait_dscnt 0x0
	v_fmac_f64_e32 v[156:157], v[134:135], v[144:145]
	s_wait_loadcnt 0x5
	v_fmac_f64_e32 v[156:157], v[136:137], v[146:147]
	ds_load_b128 v[130:133], v2 offset:576
	ds_load_b128 v[134:137], v2 offset:592
	scratch_load_b128 v[144:147], off, off offset:200
	s_wait_dscnt 0x1
	v_fmac_f64_e32 v[156:157], v[138:139], v[130:131]
	s_wait_loadcnt 0x5
	s_delay_alu instid0(VALU_DEP_1) | instskip(SKIP_4) | instid1(VALU_DEP_1)
	v_fmac_f64_e32 v[156:157], v[140:141], v[132:133]
	scratch_load_b128 v[130:133], off, off offset:216
	s_wait_dscnt 0x0
	v_fmac_f64_e32 v[156:157], v[142:143], v[134:135]
	s_wait_loadcnt 0x5
	v_fmac_f64_e32 v[156:157], v[152:153], v[136:137]
	ds_load_b128 v[134:137], v2 offset:608
	ds_load_b128 v[138:141], v2 offset:624
	s_wait_dscnt 0x1
	v_fmac_f64_e32 v[156:157], v[154:155], v[134:135]
	scratch_load_b128 v[152:155], off, off offset:232
	s_wait_loadcnt 0x5
	v_fmac_f64_e32 v[156:157], v[122:123], v[136:137]
	s_wait_dscnt 0x0
	s_delay_alu instid0(VALU_DEP_1)
	v_fmac_f64_e32 v[156:157], v[124:125], v[138:139]
	scratch_load_b128 v[122:125], off, off offset:248
	s_wait_loadcnt 0x5
	v_fmac_f64_e32 v[156:157], v[148:149], v[140:141]
	ds_load_b128 v[134:137], v2 offset:640
	ds_load_b128 v[138:141], v2 offset:656
	s_wait_dscnt 0x1
	v_fmac_f64_e32 v[156:157], v[150:151], v[134:135]
	scratch_load_b128 v[148:151], off, off offset:264
	s_wait_loadcnt 0x5
	v_fmac_f64_e32 v[156:157], v[126:127], v[136:137]
	s_wait_dscnt 0x0
	s_delay_alu instid0(VALU_DEP_1)
	v_fmac_f64_e32 v[156:157], v[128:129], v[138:139]
	scratch_load_b128 v[126:129], off, off offset:280
	s_wait_loadcnt 0x5
	v_fmac_f64_e32 v[156:157], v[144:145], v[140:141]
	ds_load_b128 v[134:137], v2 offset:672
	ds_load_b128 v[138:141], v2 offset:688
	scratch_load_b128 v[142:145], off, off offset:296
	s_wait_dscnt 0x1
	v_fmac_f64_e32 v[156:157], v[146:147], v[134:135]
	s_wait_loadcnt 0x5
	s_delay_alu instid0(VALU_DEP_1) | instskip(SKIP_1) | instid1(VALU_DEP_1)
	v_fmac_f64_e32 v[156:157], v[130:131], v[136:137]
	s_wait_dscnt 0x0
	v_fmac_f64_e32 v[156:157], v[132:133], v[138:139]
	scratch_load_b128 v[130:133], off, off offset:312
	s_wait_loadcnt 0x5
	v_fmac_f64_e32 v[156:157], v[152:153], v[140:141]
	ds_load_b128 v[134:137], v2 offset:704
	ds_load_b128 v[138:141], v2 offset:720
	s_wait_dscnt 0x1
	v_fmac_f64_e32 v[156:157], v[154:155], v[134:135]
	scratch_load_b128 v[152:155], off, off offset:328
	s_wait_loadcnt 0x5
	v_fmac_f64_e32 v[156:157], v[122:123], v[136:137]
	s_wait_dscnt 0x0
	s_delay_alu instid0(VALU_DEP_1)
	v_fmac_f64_e32 v[156:157], v[124:125], v[138:139]
	scratch_load_b128 v[122:125], off, off offset:344
	s_wait_loadcnt 0x5
	v_fmac_f64_e32 v[156:157], v[148:149], v[140:141]
	ds_load_b128 v[134:137], v2 offset:736
	ds_load_b128 v[138:141], v2 offset:752
	scratch_load_b128 v[146:149], off, off offset:360
	s_wait_dscnt 0x1
	v_fmac_f64_e32 v[156:157], v[150:151], v[134:135]
	s_wait_loadcnt 0x5
	s_delay_alu instid0(VALU_DEP_1) | instskip(SKIP_1) | instid1(VALU_DEP_1)
	v_fmac_f64_e32 v[156:157], v[126:127], v[136:137]
	s_wait_dscnt 0x0
	v_fmac_f64_e32 v[156:157], v[128:129], v[138:139]
	scratch_load_b128 v[126:129], off, off offset:376
	s_wait_loadcnt 0x5
	v_fmac_f64_e32 v[156:157], v[142:143], v[140:141]
	ds_load_b128 v[134:137], v2 offset:768
	ds_load_b128 v[138:141], v2 offset:784
	s_wait_dscnt 0x1
	v_fmac_f64_e32 v[156:157], v[144:145], v[134:135]
	s_wait_loadcnt 0x4
	s_delay_alu instid0(VALU_DEP_1)
	v_fmac_f64_e32 v[156:157], v[130:131], v[136:137]
	scratch_load_b128 v[134:137], off, off offset:392
	s_wait_dscnt 0x0
	v_fmac_f64_e32 v[156:157], v[132:133], v[138:139]
	scratch_load_b128 v[130:133], off, off offset:408
	s_wait_loadcnt 0x5
	v_fmac_f64_e32 v[156:157], v[152:153], v[140:141]
	ds_load_b128 v[138:141], v2 offset:800
	ds_load_b128 v[142:145], v2 offset:816
	s_wait_dscnt 0x1
	v_fmac_f64_e32 v[156:157], v[154:155], v[138:139]
	s_wait_loadcnt 0x4
	s_delay_alu instid0(VALU_DEP_1)
	v_fmac_f64_e32 v[156:157], v[122:123], v[140:141]
	scratch_load_b128 v[138:141], off, off offset:424
	s_wait_dscnt 0x0
	v_fmac_f64_e32 v[156:157], v[124:125], v[142:143]
	scratch_load_b128 v[122:125], off, off offset:440
	s_wait_loadcnt 0x5
	v_fmac_f64_e32 v[156:157], v[146:147], v[144:145]
	ds_load_b128 v[142:145], v2 offset:832
	ds_load_b128 v[150:153], v2 offset:848
	scratch_load_b64 v[146:147], off, off offset:456
	s_wait_dscnt 0x1
	v_fmac_f64_e32 v[156:157], v[148:149], v[142:143]
	s_wait_loadcnt 0x5
	s_delay_alu instid0(VALU_DEP_1) | instskip(SKIP_1) | instid1(VALU_DEP_1)
	v_fmac_f64_e32 v[156:157], v[126:127], v[144:145]
	s_wait_dscnt 0x0
	v_fmac_f64_e32 v[156:157], v[128:129], v[150:151]
	ds_load_b128 v[126:129], v2 offset:864
	ds_load_b128 v[142:145], v2 offset:880
	s_wait_loadcnt 0x4
	v_fmac_f64_e32 v[156:157], v[134:135], v[152:153]
	s_wait_dscnt 0x1
	s_delay_alu instid0(VALU_DEP_1) | instskip(SKIP_1) | instid1(VALU_DEP_1)
	v_fmac_f64_e32 v[156:157], v[136:137], v[126:127]
	s_wait_loadcnt 0x3
	v_fmac_f64_e32 v[156:157], v[130:131], v[128:129]
	s_wait_dscnt 0x0
	s_delay_alu instid0(VALU_DEP_1)
	v_fmac_f64_e32 v[156:157], v[132:133], v[142:143]
	ds_load_b128 v[126:129], v2 offset:896
	ds_load_b128 v[130:133], v2 offset:912
	s_wait_loadcnt 0x2
	v_fmac_f64_e32 v[156:157], v[138:139], v[144:145]
	s_wait_dscnt 0x1
	s_delay_alu instid0(VALU_DEP_1) | instskip(SKIP_1) | instid1(VALU_DEP_1)
	v_fmac_f64_e32 v[156:157], v[140:141], v[126:127]
	s_wait_loadcnt 0x1
	v_fmac_f64_e32 v[156:157], v[122:123], v[128:129]
	s_wait_dscnt 0x0
	s_delay_alu instid0(VALU_DEP_1) | instskip(SKIP_1) | instid1(VALU_DEP_1)
	v_fmac_f64_e32 v[156:157], v[124:125], v[130:131]
	s_wait_loadcnt 0x0
	v_fmac_f64_e32 v[156:157], v[146:147], v[132:133]
	s_delay_alu instid0(VALU_DEP_1)
	v_add_f64_e64 v[2:3], v[120:121], -v[156:157]
	scratch_store_b64 off, v[2:3], off offset:40
	s_wait_xcnt 0x0
	v_cmpx_lt_u32_e32 4, v0
	s_cbranch_execz .LBB57_349
; %bb.348:
	scratch_load_b64 v[2:3], off, off offset:32
	v_mov_b64_e32 v[120:121], 0
	scratch_store_b64 off, v[120:121], off offset:32
	s_wait_loadcnt 0x0
	ds_store_b64 v1, v[2:3]
.LBB57_349:
	s_wait_xcnt 0x0
	s_or_b32 exec_lo, exec_lo, s0
	s_wait_storecnt_dscnt 0x0
	s_barrier_signal -1
	s_barrier_wait -1
	s_clause 0x5
	scratch_load_b128 v[120:123], off, off offset:32
	scratch_load_b128 v[124:127], off, off offset:48
	;; [unrolled: 1-line block ×6, first 2 shown]
	v_mov_b32_e32 v2, 0
	ds_load_2addr_b64 v[144:147], v2 offset0:63 offset1:64
	ds_load_2addr_b64 v[148:151], v2 offset0:65 offset1:66
	scratch_load_b128 v[152:155], off, off offset:128
	s_mov_b32 s0, exec_lo
	s_wait_loadcnt_dscnt 0x601
	v_fma_f64 v[156:157], v[122:123], v[144:145], 0
	s_wait_loadcnt 0x5
	s_delay_alu instid0(VALU_DEP_1) | instskip(SKIP_4) | instid1(VALU_DEP_1)
	v_fmac_f64_e32 v[156:157], v[124:125], v[146:147]
	scratch_load_b128 v[122:125], off, off offset:144
	s_wait_dscnt 0x0
	v_fmac_f64_e32 v[156:157], v[126:127], v[148:149]
	s_wait_loadcnt 0x5
	v_fmac_f64_e32 v[156:157], v[128:129], v[150:151]
	ds_load_2addr_b64 v[126:129], v2 offset0:67 offset1:68
	ds_load_2addr_b64 v[144:147], v2 offset0:69 offset1:70
	scratch_load_b128 v[148:151], off, off offset:160
	s_wait_dscnt 0x1
	v_fmac_f64_e32 v[156:157], v[130:131], v[126:127]
	s_wait_loadcnt 0x5
	s_delay_alu instid0(VALU_DEP_1) | instskip(SKIP_4) | instid1(VALU_DEP_1)
	v_fmac_f64_e32 v[156:157], v[132:133], v[128:129]
	scratch_load_b128 v[126:129], off, off offset:176
	s_wait_dscnt 0x0
	v_fmac_f64_e32 v[156:157], v[134:135], v[144:145]
	s_wait_loadcnt 0x5
	v_fmac_f64_e32 v[156:157], v[136:137], v[146:147]
	ds_load_2addr_b64 v[130:133], v2 offset0:71 offset1:72
	ds_load_2addr_b64 v[134:137], v2 offset0:73 offset1:74
	scratch_load_b128 v[144:147], off, off offset:192
	s_wait_dscnt 0x1
	v_fmac_f64_e32 v[156:157], v[138:139], v[130:131]
	s_wait_loadcnt 0x5
	s_delay_alu instid0(VALU_DEP_1) | instskip(SKIP_4) | instid1(VALU_DEP_1)
	v_fmac_f64_e32 v[156:157], v[140:141], v[132:133]
	scratch_load_b128 v[130:133], off, off offset:208
	s_wait_dscnt 0x0
	v_fmac_f64_e32 v[156:157], v[142:143], v[134:135]
	s_wait_loadcnt 0x5
	v_fmac_f64_e32 v[156:157], v[152:153], v[136:137]
	ds_load_2addr_b64 v[134:137], v2 offset0:75 offset1:76
	ds_load_2addr_b64 v[138:141], v2 offset0:77 offset1:78
	s_wait_dscnt 0x1
	v_fmac_f64_e32 v[156:157], v[154:155], v[134:135]
	scratch_load_b128 v[152:155], off, off offset:224
	s_wait_loadcnt 0x5
	v_fmac_f64_e32 v[156:157], v[122:123], v[136:137]
	s_wait_dscnt 0x0
	s_delay_alu instid0(VALU_DEP_1)
	v_fmac_f64_e32 v[156:157], v[124:125], v[138:139]
	scratch_load_b128 v[122:125], off, off offset:240
	s_wait_loadcnt 0x5
	v_fmac_f64_e32 v[156:157], v[148:149], v[140:141]
	ds_load_2addr_b64 v[134:137], v2 offset0:79 offset1:80
	ds_load_2addr_b64 v[138:141], v2 offset0:81 offset1:82
	s_wait_dscnt 0x1
	v_fmac_f64_e32 v[156:157], v[150:151], v[134:135]
	scratch_load_b128 v[148:151], off, off offset:256
	s_wait_loadcnt 0x5
	v_fmac_f64_e32 v[156:157], v[126:127], v[136:137]
	s_wait_dscnt 0x0
	s_delay_alu instid0(VALU_DEP_1)
	v_fmac_f64_e32 v[156:157], v[128:129], v[138:139]
	scratch_load_b128 v[126:129], off, off offset:272
	s_wait_loadcnt 0x5
	v_fmac_f64_e32 v[156:157], v[144:145], v[140:141]
	ds_load_2addr_b64 v[134:137], v2 offset0:83 offset1:84
	ds_load_2addr_b64 v[138:141], v2 offset0:85 offset1:86
	scratch_load_b128 v[142:145], off, off offset:288
	s_wait_dscnt 0x1
	v_fmac_f64_e32 v[156:157], v[146:147], v[134:135]
	s_wait_loadcnt 0x5
	s_delay_alu instid0(VALU_DEP_1) | instskip(SKIP_1) | instid1(VALU_DEP_1)
	v_fmac_f64_e32 v[156:157], v[130:131], v[136:137]
	s_wait_dscnt 0x0
	v_fmac_f64_e32 v[156:157], v[132:133], v[138:139]
	scratch_load_b128 v[130:133], off, off offset:304
	s_wait_loadcnt 0x5
	v_fmac_f64_e32 v[156:157], v[152:153], v[140:141]
	ds_load_2addr_b64 v[134:137], v2 offset0:87 offset1:88
	ds_load_2addr_b64 v[138:141], v2 offset0:89 offset1:90
	s_wait_dscnt 0x1
	v_fmac_f64_e32 v[156:157], v[154:155], v[134:135]
	scratch_load_b128 v[152:155], off, off offset:320
	s_wait_loadcnt 0x5
	v_fmac_f64_e32 v[156:157], v[122:123], v[136:137]
	s_wait_dscnt 0x0
	s_delay_alu instid0(VALU_DEP_1)
	v_fmac_f64_e32 v[156:157], v[124:125], v[138:139]
	scratch_load_b128 v[122:125], off, off offset:336
	s_wait_loadcnt 0x5
	v_fmac_f64_e32 v[156:157], v[148:149], v[140:141]
	ds_load_2addr_b64 v[134:137], v2 offset0:91 offset1:92
	ds_load_2addr_b64 v[138:141], v2 offset0:93 offset1:94
	scratch_load_b128 v[146:149], off, off offset:352
	s_wait_dscnt 0x1
	v_fmac_f64_e32 v[156:157], v[150:151], v[134:135]
	s_wait_loadcnt 0x5
	s_delay_alu instid0(VALU_DEP_1) | instskip(SKIP_1) | instid1(VALU_DEP_1)
	v_fmac_f64_e32 v[156:157], v[126:127], v[136:137]
	s_wait_dscnt 0x0
	v_fmac_f64_e32 v[156:157], v[128:129], v[138:139]
	scratch_load_b128 v[126:129], off, off offset:368
	s_wait_loadcnt 0x5
	v_fmac_f64_e32 v[156:157], v[142:143], v[140:141]
	ds_load_2addr_b64 v[134:137], v2 offset0:95 offset1:96
	ds_load_2addr_b64 v[138:141], v2 offset0:97 offset1:98
	s_wait_dscnt 0x1
	v_fmac_f64_e32 v[156:157], v[144:145], v[134:135]
	s_wait_loadcnt 0x4
	s_delay_alu instid0(VALU_DEP_1)
	v_fmac_f64_e32 v[156:157], v[130:131], v[136:137]
	scratch_load_b128 v[134:137], off, off offset:384
	s_wait_dscnt 0x0
	v_fmac_f64_e32 v[156:157], v[132:133], v[138:139]
	scratch_load_b128 v[130:133], off, off offset:400
	s_wait_loadcnt 0x5
	v_fmac_f64_e32 v[156:157], v[152:153], v[140:141]
	ds_load_2addr_b64 v[138:141], v2 offset0:99 offset1:100
	ds_load_2addr_b64 v[142:145], v2 offset0:101 offset1:102
	s_wait_dscnt 0x1
	v_fmac_f64_e32 v[156:157], v[154:155], v[138:139]
	s_wait_loadcnt 0x4
	s_delay_alu instid0(VALU_DEP_1)
	v_fmac_f64_e32 v[156:157], v[122:123], v[140:141]
	scratch_load_b128 v[138:141], off, off offset:416
	;; [unrolled: 13-line block ×3, first 2 shown]
	s_wait_dscnt 0x0
	v_fmac_f64_e32 v[156:157], v[128:129], v[150:151]
	ds_load_2addr_b64 v[126:129], v2 offset0:107 offset1:108
	ds_load_2addr_b64 v[146:149], v2 offset0:109 offset1:110
	s_wait_loadcnt 0x4
	v_fmac_f64_e32 v[156:157], v[134:135], v[152:153]
	s_wait_dscnt 0x1
	s_delay_alu instid0(VALU_DEP_1) | instskip(SKIP_1) | instid1(VALU_DEP_1)
	v_fmac_f64_e32 v[156:157], v[136:137], v[126:127]
	s_wait_loadcnt 0x3
	v_fmac_f64_e32 v[156:157], v[130:131], v[128:129]
	s_wait_dscnt 0x0
	s_delay_alu instid0(VALU_DEP_1)
	v_fmac_f64_e32 v[156:157], v[132:133], v[146:147]
	ds_load_2addr_b64 v[126:129], v2 offset0:111 offset1:112
	ds_load_2addr_b64 v[130:133], v2 offset0:113 offset1:114
	s_wait_loadcnt 0x2
	v_fmac_f64_e32 v[156:157], v[138:139], v[148:149]
	s_wait_dscnt 0x1
	s_delay_alu instid0(VALU_DEP_1) | instskip(SKIP_1) | instid1(VALU_DEP_1)
	v_fmac_f64_e32 v[156:157], v[140:141], v[126:127]
	s_wait_loadcnt 0x1
	v_fmac_f64_e32 v[156:157], v[122:123], v[128:129]
	ds_load_b64 v[122:123], v2 offset:920
	s_wait_dscnt 0x1
	v_fmac_f64_e32 v[156:157], v[124:125], v[130:131]
	s_wait_loadcnt 0x0
	s_delay_alu instid0(VALU_DEP_1) | instskip(SKIP_1) | instid1(VALU_DEP_1)
	v_fmac_f64_e32 v[156:157], v[142:143], v[132:133]
	s_wait_dscnt 0x0
	v_fmac_f64_e32 v[156:157], v[144:145], v[122:123]
	s_delay_alu instid0(VALU_DEP_1)
	v_add_f64_e64 v[120:121], v[120:121], -v[156:157]
	scratch_store_b64 off, v[120:121], off offset:32
	s_wait_xcnt 0x0
	v_cmpx_lt_u32_e32 3, v0
	s_cbranch_execz .LBB57_351
; %bb.350:
	scratch_load_b64 v[120:121], off, off offset:24
	v_mov_b64_e32 v[122:123], 0
	scratch_store_b64 off, v[122:123], off offset:24
	s_wait_loadcnt 0x0
	ds_store_b64 v1, v[120:121]
.LBB57_351:
	s_wait_xcnt 0x0
	s_or_b32 exec_lo, exec_lo, s0
	s_wait_storecnt_dscnt 0x0
	s_barrier_signal -1
	s_barrier_wait -1
	s_clause 0x5
	scratch_load_b128 v[120:123], off, off offset:24
	scratch_load_b128 v[124:127], off, off offset:40
	scratch_load_b128 v[128:131], off, off offset:56
	scratch_load_b128 v[132:135], off, off offset:72
	scratch_load_b128 v[136:139], off, off offset:88
	scratch_load_b128 v[140:143], off, off offset:104
	ds_load_b128 v[144:147], v2 offset:496
	ds_load_b128 v[148:151], v2 offset:512
	scratch_load_b128 v[152:155], off, off offset:120
	s_mov_b32 s0, exec_lo
	s_wait_loadcnt_dscnt 0x601
	v_fma_f64 v[156:157], v[122:123], v[144:145], 0
	s_wait_loadcnt 0x5
	s_delay_alu instid0(VALU_DEP_1) | instskip(SKIP_4) | instid1(VALU_DEP_1)
	v_fmac_f64_e32 v[156:157], v[124:125], v[146:147]
	scratch_load_b128 v[122:125], off, off offset:136
	s_wait_dscnt 0x0
	v_fmac_f64_e32 v[156:157], v[126:127], v[148:149]
	s_wait_loadcnt 0x5
	v_fmac_f64_e32 v[156:157], v[128:129], v[150:151]
	ds_load_b128 v[126:129], v2 offset:528
	ds_load_b128 v[144:147], v2 offset:544
	scratch_load_b128 v[148:151], off, off offset:152
	s_wait_dscnt 0x1
	v_fmac_f64_e32 v[156:157], v[130:131], v[126:127]
	s_wait_loadcnt 0x5
	s_delay_alu instid0(VALU_DEP_1) | instskip(SKIP_4) | instid1(VALU_DEP_1)
	v_fmac_f64_e32 v[156:157], v[132:133], v[128:129]
	scratch_load_b128 v[126:129], off, off offset:168
	s_wait_dscnt 0x0
	v_fmac_f64_e32 v[156:157], v[134:135], v[144:145]
	s_wait_loadcnt 0x5
	v_fmac_f64_e32 v[156:157], v[136:137], v[146:147]
	ds_load_b128 v[130:133], v2 offset:560
	ds_load_b128 v[134:137], v2 offset:576
	scratch_load_b128 v[144:147], off, off offset:184
	s_wait_dscnt 0x1
	v_fmac_f64_e32 v[156:157], v[138:139], v[130:131]
	s_wait_loadcnt 0x5
	s_delay_alu instid0(VALU_DEP_1) | instskip(SKIP_4) | instid1(VALU_DEP_1)
	v_fmac_f64_e32 v[156:157], v[140:141], v[132:133]
	scratch_load_b128 v[130:133], off, off offset:200
	s_wait_dscnt 0x0
	v_fmac_f64_e32 v[156:157], v[142:143], v[134:135]
	s_wait_loadcnt 0x5
	v_fmac_f64_e32 v[156:157], v[152:153], v[136:137]
	ds_load_b128 v[134:137], v2 offset:592
	ds_load_b128 v[138:141], v2 offset:608
	s_wait_dscnt 0x1
	v_fmac_f64_e32 v[156:157], v[154:155], v[134:135]
	scratch_load_b128 v[152:155], off, off offset:216
	s_wait_loadcnt 0x5
	v_fmac_f64_e32 v[156:157], v[122:123], v[136:137]
	s_wait_dscnt 0x0
	s_delay_alu instid0(VALU_DEP_1)
	v_fmac_f64_e32 v[156:157], v[124:125], v[138:139]
	scratch_load_b128 v[122:125], off, off offset:232
	s_wait_loadcnt 0x5
	v_fmac_f64_e32 v[156:157], v[148:149], v[140:141]
	ds_load_b128 v[134:137], v2 offset:624
	ds_load_b128 v[138:141], v2 offset:640
	s_wait_dscnt 0x1
	v_fmac_f64_e32 v[156:157], v[150:151], v[134:135]
	scratch_load_b128 v[148:151], off, off offset:248
	s_wait_loadcnt 0x5
	v_fmac_f64_e32 v[156:157], v[126:127], v[136:137]
	s_wait_dscnt 0x0
	s_delay_alu instid0(VALU_DEP_1)
	v_fmac_f64_e32 v[156:157], v[128:129], v[138:139]
	scratch_load_b128 v[126:129], off, off offset:264
	s_wait_loadcnt 0x5
	v_fmac_f64_e32 v[156:157], v[144:145], v[140:141]
	ds_load_b128 v[134:137], v2 offset:656
	ds_load_b128 v[138:141], v2 offset:672
	scratch_load_b128 v[142:145], off, off offset:280
	s_wait_dscnt 0x1
	v_fmac_f64_e32 v[156:157], v[146:147], v[134:135]
	s_wait_loadcnt 0x5
	s_delay_alu instid0(VALU_DEP_1) | instskip(SKIP_1) | instid1(VALU_DEP_1)
	v_fmac_f64_e32 v[156:157], v[130:131], v[136:137]
	s_wait_dscnt 0x0
	v_fmac_f64_e32 v[156:157], v[132:133], v[138:139]
	scratch_load_b128 v[130:133], off, off offset:296
	s_wait_loadcnt 0x5
	v_fmac_f64_e32 v[156:157], v[152:153], v[140:141]
	ds_load_b128 v[134:137], v2 offset:688
	ds_load_b128 v[138:141], v2 offset:704
	s_wait_dscnt 0x1
	v_fmac_f64_e32 v[156:157], v[154:155], v[134:135]
	scratch_load_b128 v[152:155], off, off offset:312
	s_wait_loadcnt 0x5
	v_fmac_f64_e32 v[156:157], v[122:123], v[136:137]
	s_wait_dscnt 0x0
	s_delay_alu instid0(VALU_DEP_1)
	v_fmac_f64_e32 v[156:157], v[124:125], v[138:139]
	scratch_load_b128 v[122:125], off, off offset:328
	s_wait_loadcnt 0x5
	v_fmac_f64_e32 v[156:157], v[148:149], v[140:141]
	ds_load_b128 v[134:137], v2 offset:720
	ds_load_b128 v[138:141], v2 offset:736
	scratch_load_b128 v[146:149], off, off offset:344
	s_wait_dscnt 0x1
	v_fmac_f64_e32 v[156:157], v[150:151], v[134:135]
	s_wait_loadcnt 0x5
	s_delay_alu instid0(VALU_DEP_1) | instskip(SKIP_1) | instid1(VALU_DEP_1)
	v_fmac_f64_e32 v[156:157], v[126:127], v[136:137]
	s_wait_dscnt 0x0
	v_fmac_f64_e32 v[156:157], v[128:129], v[138:139]
	scratch_load_b128 v[126:129], off, off offset:360
	s_wait_loadcnt 0x5
	v_fmac_f64_e32 v[156:157], v[142:143], v[140:141]
	ds_load_b128 v[134:137], v2 offset:752
	ds_load_b128 v[138:141], v2 offset:768
	s_wait_dscnt 0x1
	v_fmac_f64_e32 v[156:157], v[144:145], v[134:135]
	scratch_load_b128 v[142:145], off, off offset:376
	s_wait_loadcnt 0x5
	v_fmac_f64_e32 v[156:157], v[130:131], v[136:137]
	s_wait_dscnt 0x0
	s_delay_alu instid0(VALU_DEP_1)
	v_fmac_f64_e32 v[156:157], v[132:133], v[138:139]
	scratch_load_b128 v[130:133], off, off offset:392
	s_wait_loadcnt 0x5
	v_fmac_f64_e32 v[156:157], v[152:153], v[140:141]
	ds_load_b128 v[134:137], v2 offset:784
	ds_load_b128 v[138:141], v2 offset:800
	s_wait_dscnt 0x1
	v_fmac_f64_e32 v[156:157], v[154:155], v[134:135]
	s_wait_loadcnt 0x4
	s_delay_alu instid0(VALU_DEP_1)
	v_fmac_f64_e32 v[156:157], v[122:123], v[136:137]
	scratch_load_b128 v[134:137], off, off offset:408
	s_wait_dscnt 0x0
	v_fmac_f64_e32 v[156:157], v[124:125], v[138:139]
	scratch_load_b128 v[122:125], off, off offset:424
	s_wait_loadcnt 0x5
	v_fmac_f64_e32 v[156:157], v[146:147], v[140:141]
	ds_load_b128 v[138:141], v2 offset:816
	ds_load_b128 v[150:153], v2 offset:832
	s_wait_dscnt 0x1
	v_fmac_f64_e32 v[156:157], v[148:149], v[138:139]
	s_wait_loadcnt 0x4
	s_delay_alu instid0(VALU_DEP_1) | instskip(SKIP_4) | instid1(VALU_DEP_1)
	v_fmac_f64_e32 v[156:157], v[126:127], v[140:141]
	scratch_load_b128 v[138:141], off, off offset:440
	s_wait_dscnt 0x0
	v_fmac_f64_e32 v[156:157], v[128:129], v[150:151]
	s_wait_loadcnt 0x4
	v_fmac_f64_e32 v[156:157], v[142:143], v[152:153]
	scratch_load_b64 v[142:143], off, off offset:456
	ds_load_b128 v[126:129], v2 offset:848
	ds_load_b128 v[146:149], v2 offset:864
	s_wait_dscnt 0x1
	v_fmac_f64_e32 v[156:157], v[144:145], v[126:127]
	s_wait_loadcnt 0x4
	s_delay_alu instid0(VALU_DEP_1) | instskip(SKIP_1) | instid1(VALU_DEP_1)
	v_fmac_f64_e32 v[156:157], v[130:131], v[128:129]
	s_wait_dscnt 0x0
	v_fmac_f64_e32 v[156:157], v[132:133], v[146:147]
	ds_load_b128 v[126:129], v2 offset:880
	ds_load_b128 v[130:133], v2 offset:896
	s_wait_loadcnt 0x3
	v_fmac_f64_e32 v[156:157], v[134:135], v[148:149]
	s_wait_dscnt 0x1
	s_delay_alu instid0(VALU_DEP_1) | instskip(SKIP_1) | instid1(VALU_DEP_1)
	v_fmac_f64_e32 v[156:157], v[136:137], v[126:127]
	s_wait_loadcnt 0x2
	v_fmac_f64_e32 v[156:157], v[122:123], v[128:129]
	s_wait_dscnt 0x0
	s_delay_alu instid0(VALU_DEP_1) | instskip(SKIP_4) | instid1(VALU_DEP_1)
	v_fmac_f64_e32 v[156:157], v[124:125], v[130:131]
	ds_load_b128 v[122:125], v2 offset:912
	s_wait_loadcnt 0x1
	v_fmac_f64_e32 v[156:157], v[138:139], v[132:133]
	s_wait_dscnt 0x0
	v_fmac_f64_e32 v[156:157], v[140:141], v[122:123]
	s_wait_loadcnt 0x0
	s_delay_alu instid0(VALU_DEP_1) | instskip(NEXT) | instid1(VALU_DEP_1)
	v_fmac_f64_e32 v[156:157], v[142:143], v[124:125]
	v_add_f64_e64 v[2:3], v[120:121], -v[156:157]
	scratch_store_b64 off, v[2:3], off offset:24
	s_wait_xcnt 0x0
	v_cmpx_lt_u32_e32 2, v0
	s_cbranch_execz .LBB57_353
; %bb.352:
	scratch_load_b64 v[2:3], off, off offset:16
	v_mov_b64_e32 v[120:121], 0
	scratch_store_b64 off, v[120:121], off offset:16
	s_wait_loadcnt 0x0
	ds_store_b64 v1, v[2:3]
.LBB57_353:
	s_wait_xcnt 0x0
	s_or_b32 exec_lo, exec_lo, s0
	s_wait_storecnt_dscnt 0x0
	s_barrier_signal -1
	s_barrier_wait -1
	s_clause 0x5
	scratch_load_b128 v[120:123], off, off offset:16
	scratch_load_b128 v[124:127], off, off offset:32
	;; [unrolled: 1-line block ×6, first 2 shown]
	v_mov_b32_e32 v2, 0
	ds_load_2addr_b64 v[144:147], v2 offset0:61 offset1:62
	ds_load_2addr_b64 v[148:151], v2 offset0:63 offset1:64
	scratch_load_b128 v[152:155], off, off offset:112
	s_mov_b32 s0, exec_lo
	s_wait_loadcnt_dscnt 0x601
	v_fma_f64 v[156:157], v[122:123], v[144:145], 0
	s_wait_loadcnt 0x5
	s_delay_alu instid0(VALU_DEP_1) | instskip(SKIP_4) | instid1(VALU_DEP_1)
	v_fmac_f64_e32 v[156:157], v[124:125], v[146:147]
	scratch_load_b128 v[122:125], off, off offset:128
	s_wait_dscnt 0x0
	v_fmac_f64_e32 v[156:157], v[126:127], v[148:149]
	s_wait_loadcnt 0x5
	v_fmac_f64_e32 v[156:157], v[128:129], v[150:151]
	ds_load_2addr_b64 v[126:129], v2 offset0:65 offset1:66
	ds_load_2addr_b64 v[144:147], v2 offset0:67 offset1:68
	scratch_load_b128 v[148:151], off, off offset:144
	s_wait_dscnt 0x1
	v_fmac_f64_e32 v[156:157], v[130:131], v[126:127]
	s_wait_loadcnt 0x5
	s_delay_alu instid0(VALU_DEP_1) | instskip(SKIP_4) | instid1(VALU_DEP_1)
	v_fmac_f64_e32 v[156:157], v[132:133], v[128:129]
	scratch_load_b128 v[126:129], off, off offset:160
	s_wait_dscnt 0x0
	v_fmac_f64_e32 v[156:157], v[134:135], v[144:145]
	s_wait_loadcnt 0x5
	v_fmac_f64_e32 v[156:157], v[136:137], v[146:147]
	ds_load_2addr_b64 v[130:133], v2 offset0:69 offset1:70
	ds_load_2addr_b64 v[134:137], v2 offset0:71 offset1:72
	scratch_load_b128 v[144:147], off, off offset:176
	s_wait_dscnt 0x1
	v_fmac_f64_e32 v[156:157], v[138:139], v[130:131]
	s_wait_loadcnt 0x5
	s_delay_alu instid0(VALU_DEP_1) | instskip(SKIP_4) | instid1(VALU_DEP_1)
	v_fmac_f64_e32 v[156:157], v[140:141], v[132:133]
	scratch_load_b128 v[130:133], off, off offset:192
	s_wait_dscnt 0x0
	v_fmac_f64_e32 v[156:157], v[142:143], v[134:135]
	s_wait_loadcnt 0x5
	v_fmac_f64_e32 v[156:157], v[152:153], v[136:137]
	ds_load_2addr_b64 v[134:137], v2 offset0:73 offset1:74
	ds_load_2addr_b64 v[138:141], v2 offset0:75 offset1:76
	s_wait_dscnt 0x1
	v_fmac_f64_e32 v[156:157], v[154:155], v[134:135]
	scratch_load_b128 v[152:155], off, off offset:208
	s_wait_loadcnt 0x5
	v_fmac_f64_e32 v[156:157], v[122:123], v[136:137]
	s_wait_dscnt 0x0
	s_delay_alu instid0(VALU_DEP_1)
	v_fmac_f64_e32 v[156:157], v[124:125], v[138:139]
	scratch_load_b128 v[122:125], off, off offset:224
	s_wait_loadcnt 0x5
	v_fmac_f64_e32 v[156:157], v[148:149], v[140:141]
	ds_load_2addr_b64 v[134:137], v2 offset0:77 offset1:78
	ds_load_2addr_b64 v[138:141], v2 offset0:79 offset1:80
	s_wait_dscnt 0x1
	v_fmac_f64_e32 v[156:157], v[150:151], v[134:135]
	scratch_load_b128 v[148:151], off, off offset:240
	s_wait_loadcnt 0x5
	v_fmac_f64_e32 v[156:157], v[126:127], v[136:137]
	s_wait_dscnt 0x0
	s_delay_alu instid0(VALU_DEP_1)
	v_fmac_f64_e32 v[156:157], v[128:129], v[138:139]
	scratch_load_b128 v[126:129], off, off offset:256
	s_wait_loadcnt 0x5
	v_fmac_f64_e32 v[156:157], v[144:145], v[140:141]
	ds_load_2addr_b64 v[134:137], v2 offset0:81 offset1:82
	ds_load_2addr_b64 v[138:141], v2 offset0:83 offset1:84
	scratch_load_b128 v[142:145], off, off offset:272
	s_wait_dscnt 0x1
	v_fmac_f64_e32 v[156:157], v[146:147], v[134:135]
	s_wait_loadcnt 0x5
	s_delay_alu instid0(VALU_DEP_1) | instskip(SKIP_1) | instid1(VALU_DEP_1)
	v_fmac_f64_e32 v[156:157], v[130:131], v[136:137]
	s_wait_dscnt 0x0
	v_fmac_f64_e32 v[156:157], v[132:133], v[138:139]
	scratch_load_b128 v[130:133], off, off offset:288
	s_wait_loadcnt 0x5
	v_fmac_f64_e32 v[156:157], v[152:153], v[140:141]
	ds_load_2addr_b64 v[134:137], v2 offset0:85 offset1:86
	ds_load_2addr_b64 v[138:141], v2 offset0:87 offset1:88
	s_wait_dscnt 0x1
	v_fmac_f64_e32 v[156:157], v[154:155], v[134:135]
	scratch_load_b128 v[152:155], off, off offset:304
	s_wait_loadcnt 0x5
	v_fmac_f64_e32 v[156:157], v[122:123], v[136:137]
	s_wait_dscnt 0x0
	s_delay_alu instid0(VALU_DEP_1)
	v_fmac_f64_e32 v[156:157], v[124:125], v[138:139]
	scratch_load_b128 v[122:125], off, off offset:320
	s_wait_loadcnt 0x5
	v_fmac_f64_e32 v[156:157], v[148:149], v[140:141]
	ds_load_2addr_b64 v[134:137], v2 offset0:89 offset1:90
	ds_load_2addr_b64 v[138:141], v2 offset0:91 offset1:92
	scratch_load_b128 v[146:149], off, off offset:336
	s_wait_dscnt 0x1
	v_fmac_f64_e32 v[156:157], v[150:151], v[134:135]
	s_wait_loadcnt 0x5
	s_delay_alu instid0(VALU_DEP_1) | instskip(SKIP_1) | instid1(VALU_DEP_1)
	v_fmac_f64_e32 v[156:157], v[126:127], v[136:137]
	s_wait_dscnt 0x0
	v_fmac_f64_e32 v[156:157], v[128:129], v[138:139]
	scratch_load_b128 v[126:129], off, off offset:352
	s_wait_loadcnt 0x5
	v_fmac_f64_e32 v[156:157], v[142:143], v[140:141]
	ds_load_2addr_b64 v[134:137], v2 offset0:93 offset1:94
	ds_load_2addr_b64 v[138:141], v2 offset0:95 offset1:96
	s_wait_dscnt 0x1
	v_fmac_f64_e32 v[156:157], v[144:145], v[134:135]
	scratch_load_b128 v[142:145], off, off offset:368
	s_wait_loadcnt 0x5
	v_fmac_f64_e32 v[156:157], v[130:131], v[136:137]
	s_wait_dscnt 0x0
	s_delay_alu instid0(VALU_DEP_1)
	v_fmac_f64_e32 v[156:157], v[132:133], v[138:139]
	scratch_load_b128 v[130:133], off, off offset:384
	s_wait_loadcnt 0x5
	v_fmac_f64_e32 v[156:157], v[152:153], v[140:141]
	ds_load_2addr_b64 v[134:137], v2 offset0:97 offset1:98
	ds_load_2addr_b64 v[138:141], v2 offset0:99 offset1:100
	s_wait_dscnt 0x1
	v_fmac_f64_e32 v[156:157], v[154:155], v[134:135]
	s_wait_loadcnt 0x4
	s_delay_alu instid0(VALU_DEP_1)
	v_fmac_f64_e32 v[156:157], v[122:123], v[136:137]
	scratch_load_b128 v[134:137], off, off offset:400
	s_wait_dscnt 0x0
	v_fmac_f64_e32 v[156:157], v[124:125], v[138:139]
	scratch_load_b128 v[122:125], off, off offset:416
	s_wait_loadcnt 0x5
	v_fmac_f64_e32 v[156:157], v[146:147], v[140:141]
	ds_load_2addr_b64 v[138:141], v2 offset0:101 offset1:102
	ds_load_2addr_b64 v[150:153], v2 offset0:103 offset1:104
	s_wait_dscnt 0x1
	v_fmac_f64_e32 v[156:157], v[148:149], v[138:139]
	s_wait_loadcnt 0x4
	s_delay_alu instid0(VALU_DEP_1)
	v_fmac_f64_e32 v[156:157], v[126:127], v[140:141]
	scratch_load_b128 v[138:141], off, off offset:432
	s_wait_dscnt 0x0
	v_fmac_f64_e32 v[156:157], v[128:129], v[150:151]
	scratch_load_b128 v[126:129], off, off offset:448
	s_wait_loadcnt 0x5
	v_fmac_f64_e32 v[156:157], v[142:143], v[152:153]
	ds_load_2addr_b64 v[146:149], v2 offset0:105 offset1:106
	ds_load_2addr_b64 v[150:153], v2 offset0:107 offset1:108
	s_wait_dscnt 0x1
	v_fmac_f64_e32 v[156:157], v[144:145], v[146:147]
	s_wait_loadcnt 0x4
	s_delay_alu instid0(VALU_DEP_1) | instskip(SKIP_1) | instid1(VALU_DEP_1)
	v_fmac_f64_e32 v[156:157], v[130:131], v[148:149]
	s_wait_dscnt 0x0
	v_fmac_f64_e32 v[156:157], v[132:133], v[150:151]
	ds_load_2addr_b64 v[130:133], v2 offset0:109 offset1:110
	ds_load_2addr_b64 v[142:145], v2 offset0:111 offset1:112
	s_wait_loadcnt 0x3
	v_fmac_f64_e32 v[156:157], v[134:135], v[152:153]
	s_wait_dscnt 0x1
	s_delay_alu instid0(VALU_DEP_1) | instskip(SKIP_1) | instid1(VALU_DEP_1)
	v_fmac_f64_e32 v[156:157], v[136:137], v[130:131]
	s_wait_loadcnt 0x2
	v_fmac_f64_e32 v[156:157], v[122:123], v[132:133]
	s_wait_dscnt 0x0
	s_delay_alu instid0(VALU_DEP_1)
	v_fmac_f64_e32 v[156:157], v[124:125], v[142:143]
	ds_load_2addr_b64 v[122:125], v2 offset0:113 offset1:114
	ds_load_b64 v[130:131], v2 offset:920
	s_wait_loadcnt 0x1
	v_fmac_f64_e32 v[156:157], v[138:139], v[144:145]
	s_wait_dscnt 0x1
	s_delay_alu instid0(VALU_DEP_1) | instskip(SKIP_1) | instid1(VALU_DEP_1)
	v_fmac_f64_e32 v[156:157], v[140:141], v[122:123]
	s_wait_loadcnt 0x0
	v_fmac_f64_e32 v[156:157], v[126:127], v[124:125]
	s_wait_dscnt 0x0
	s_delay_alu instid0(VALU_DEP_1) | instskip(NEXT) | instid1(VALU_DEP_1)
	v_fmac_f64_e32 v[156:157], v[128:129], v[130:131]
	v_add_f64_e64 v[120:121], v[120:121], -v[156:157]
	scratch_store_b64 off, v[120:121], off offset:16
	s_wait_xcnt 0x0
	v_cmpx_lt_u32_e32 1, v0
	s_cbranch_execz .LBB57_355
; %bb.354:
	scratch_load_b64 v[120:121], off, off offset:8
	v_mov_b64_e32 v[122:123], 0
	scratch_store_b64 off, v[122:123], off offset:8
	s_wait_loadcnt 0x0
	ds_store_b64 v1, v[120:121]
.LBB57_355:
	s_wait_xcnt 0x0
	s_or_b32 exec_lo, exec_lo, s0
	s_wait_storecnt_dscnt 0x0
	s_barrier_signal -1
	s_barrier_wait -1
	s_clause 0x5
	scratch_load_b128 v[120:123], off, off offset:8
	scratch_load_b128 v[124:127], off, off offset:24
	;; [unrolled: 1-line block ×6, first 2 shown]
	ds_load_b128 v[144:147], v2 offset:480
	ds_load_b128 v[148:151], v2 offset:496
	scratch_load_b128 v[152:155], off, off offset:104
	v_dual_ashrrev_i32 v9, 31, v8 :: v_dual_ashrrev_i32 v11, 31, v10
	v_dual_ashrrev_i32 v13, 31, v12 :: v_dual_ashrrev_i32 v15, 31, v14
	;; [unrolled: 1-line block ×27, first 2 shown]
	v_ashrrev_i32_e32 v117, 31, v116
	s_mov_b32 s0, exec_lo
	v_ashrrev_i32_e32 v71, 31, v70
	s_wait_loadcnt_dscnt 0x601
	v_fma_f64 v[156:157], v[122:123], v[144:145], 0
	s_wait_loadcnt 0x5
	s_delay_alu instid0(VALU_DEP_1) | instskip(SKIP_4) | instid1(VALU_DEP_1)
	v_fmac_f64_e32 v[156:157], v[124:125], v[146:147]
	scratch_load_b128 v[122:125], off, off offset:120
	s_wait_dscnt 0x0
	v_fmac_f64_e32 v[156:157], v[126:127], v[148:149]
	s_wait_loadcnt 0x5
	v_fmac_f64_e32 v[156:157], v[128:129], v[150:151]
	ds_load_b128 v[126:129], v2 offset:512
	ds_load_b128 v[144:147], v2 offset:528
	scratch_load_b128 v[148:151], off, off offset:136
	s_wait_dscnt 0x1
	v_fmac_f64_e32 v[156:157], v[130:131], v[126:127]
	s_wait_loadcnt 0x5
	s_delay_alu instid0(VALU_DEP_1) | instskip(SKIP_4) | instid1(VALU_DEP_1)
	v_fmac_f64_e32 v[156:157], v[132:133], v[128:129]
	scratch_load_b128 v[126:129], off, off offset:152
	s_wait_dscnt 0x0
	v_fmac_f64_e32 v[156:157], v[134:135], v[144:145]
	s_wait_loadcnt 0x5
	v_fmac_f64_e32 v[156:157], v[136:137], v[146:147]
	ds_load_b128 v[130:133], v2 offset:544
	ds_load_b128 v[134:137], v2 offset:560
	scratch_load_b128 v[144:147], off, off offset:168
	s_wait_dscnt 0x1
	v_fmac_f64_e32 v[156:157], v[138:139], v[130:131]
	s_wait_loadcnt 0x5
	s_delay_alu instid0(VALU_DEP_1) | instskip(SKIP_4) | instid1(VALU_DEP_1)
	v_fmac_f64_e32 v[156:157], v[140:141], v[132:133]
	scratch_load_b128 v[130:133], off, off offset:184
	s_wait_dscnt 0x0
	v_fmac_f64_e32 v[156:157], v[142:143], v[134:135]
	s_wait_loadcnt 0x5
	v_fmac_f64_e32 v[156:157], v[152:153], v[136:137]
	ds_load_b128 v[134:137], v2 offset:576
	ds_load_b128 v[138:141], v2 offset:592
	s_wait_dscnt 0x1
	v_fmac_f64_e32 v[156:157], v[154:155], v[134:135]
	scratch_load_b128 v[152:155], off, off offset:200
	s_wait_loadcnt 0x5
	v_fmac_f64_e32 v[156:157], v[122:123], v[136:137]
	s_wait_dscnt 0x0
	s_delay_alu instid0(VALU_DEP_1)
	v_fmac_f64_e32 v[156:157], v[124:125], v[138:139]
	scratch_load_b128 v[122:125], off, off offset:216
	s_wait_loadcnt 0x5
	v_fmac_f64_e32 v[156:157], v[148:149], v[140:141]
	ds_load_b128 v[134:137], v2 offset:608
	ds_load_b128 v[138:141], v2 offset:624
	s_wait_dscnt 0x1
	v_fmac_f64_e32 v[156:157], v[150:151], v[134:135]
	scratch_load_b128 v[148:151], off, off offset:232
	s_wait_loadcnt 0x5
	v_fmac_f64_e32 v[156:157], v[126:127], v[136:137]
	s_wait_dscnt 0x0
	s_delay_alu instid0(VALU_DEP_1)
	v_fmac_f64_e32 v[156:157], v[128:129], v[138:139]
	scratch_load_b128 v[126:129], off, off offset:248
	s_wait_loadcnt 0x5
	v_fmac_f64_e32 v[156:157], v[144:145], v[140:141]
	ds_load_b128 v[134:137], v2 offset:640
	ds_load_b128 v[138:141], v2 offset:656
	scratch_load_b128 v[142:145], off, off offset:264
	s_wait_dscnt 0x1
	v_fmac_f64_e32 v[156:157], v[146:147], v[134:135]
	s_wait_loadcnt 0x5
	s_delay_alu instid0(VALU_DEP_1) | instskip(SKIP_1) | instid1(VALU_DEP_1)
	v_fmac_f64_e32 v[156:157], v[130:131], v[136:137]
	s_wait_dscnt 0x0
	v_fmac_f64_e32 v[156:157], v[132:133], v[138:139]
	scratch_load_b128 v[130:133], off, off offset:280
	s_wait_loadcnt 0x5
	v_fmac_f64_e32 v[156:157], v[152:153], v[140:141]
	ds_load_b128 v[134:137], v2 offset:672
	ds_load_b128 v[138:141], v2 offset:688
	s_wait_dscnt 0x1
	v_fmac_f64_e32 v[156:157], v[154:155], v[134:135]
	scratch_load_b128 v[152:155], off, off offset:296
	s_wait_loadcnt 0x5
	v_fmac_f64_e32 v[156:157], v[122:123], v[136:137]
	s_wait_dscnt 0x0
	s_delay_alu instid0(VALU_DEP_1)
	v_fmac_f64_e32 v[156:157], v[124:125], v[138:139]
	scratch_load_b128 v[122:125], off, off offset:312
	s_wait_loadcnt 0x5
	v_fmac_f64_e32 v[156:157], v[148:149], v[140:141]
	ds_load_b128 v[134:137], v2 offset:704
	ds_load_b128 v[138:141], v2 offset:720
	scratch_load_b128 v[146:149], off, off offset:328
	s_wait_dscnt 0x1
	v_fmac_f64_e32 v[156:157], v[150:151], v[134:135]
	s_wait_loadcnt 0x5
	s_delay_alu instid0(VALU_DEP_1) | instskip(SKIP_1) | instid1(VALU_DEP_1)
	v_fmac_f64_e32 v[156:157], v[126:127], v[136:137]
	s_wait_dscnt 0x0
	v_fmac_f64_e32 v[156:157], v[128:129], v[138:139]
	scratch_load_b128 v[126:129], off, off offset:344
	s_wait_loadcnt 0x5
	v_fmac_f64_e32 v[156:157], v[142:143], v[140:141]
	ds_load_b128 v[134:137], v2 offset:736
	ds_load_b128 v[138:141], v2 offset:752
	s_wait_dscnt 0x1
	v_fmac_f64_e32 v[156:157], v[144:145], v[134:135]
	scratch_load_b128 v[142:145], off, off offset:360
	s_wait_loadcnt 0x5
	v_fmac_f64_e32 v[156:157], v[130:131], v[136:137]
	s_wait_dscnt 0x0
	s_delay_alu instid0(VALU_DEP_1)
	v_fmac_f64_e32 v[156:157], v[132:133], v[138:139]
	scratch_load_b128 v[130:133], off, off offset:376
	s_wait_loadcnt 0x5
	v_fmac_f64_e32 v[156:157], v[152:153], v[140:141]
	ds_load_b128 v[134:137], v2 offset:768
	ds_load_b128 v[138:141], v2 offset:784
	s_wait_dscnt 0x1
	v_fmac_f64_e32 v[156:157], v[154:155], v[134:135]
	s_wait_loadcnt 0x4
	s_delay_alu instid0(VALU_DEP_1)
	v_fmac_f64_e32 v[156:157], v[122:123], v[136:137]
	scratch_load_b128 v[134:137], off, off offset:392
	s_wait_dscnt 0x0
	v_fmac_f64_e32 v[156:157], v[124:125], v[138:139]
	scratch_load_b128 v[122:125], off, off offset:408
	s_wait_loadcnt 0x5
	v_fmac_f64_e32 v[156:157], v[146:147], v[140:141]
	ds_load_b128 v[138:141], v2 offset:800
	ds_load_b128 v[150:153], v2 offset:816
	s_wait_dscnt 0x1
	v_fmac_f64_e32 v[156:157], v[148:149], v[138:139]
	s_wait_loadcnt 0x4
	s_delay_alu instid0(VALU_DEP_1)
	v_fmac_f64_e32 v[156:157], v[126:127], v[140:141]
	scratch_load_b128 v[138:141], off, off offset:424
	s_wait_dscnt 0x0
	v_fmac_f64_e32 v[156:157], v[128:129], v[150:151]
	scratch_load_b128 v[126:129], off, off offset:440
	s_wait_loadcnt 0x5
	v_fmac_f64_e32 v[156:157], v[142:143], v[152:153]
	ds_load_b128 v[146:149], v2 offset:832
	ds_load_b128 v[150:153], v2 offset:848
	s_wait_dscnt 0x1
	v_fmac_f64_e32 v[156:157], v[144:145], v[146:147]
	scratch_load_b64 v[146:147], off, off offset:456
	s_wait_loadcnt 0x5
	v_fmac_f64_e32 v[156:157], v[130:131], v[148:149]
	s_wait_dscnt 0x0
	s_delay_alu instid0(VALU_DEP_1)
	v_fmac_f64_e32 v[156:157], v[132:133], v[150:151]
	ds_load_b128 v[130:133], v2 offset:864
	ds_load_b128 v[142:145], v2 offset:880
	s_wait_loadcnt 0x4
	v_fmac_f64_e32 v[156:157], v[134:135], v[152:153]
	s_wait_dscnt 0x1
	s_delay_alu instid0(VALU_DEP_1) | instskip(SKIP_1) | instid1(VALU_DEP_1)
	v_fmac_f64_e32 v[156:157], v[136:137], v[130:131]
	s_wait_loadcnt 0x3
	v_fmac_f64_e32 v[156:157], v[122:123], v[132:133]
	s_wait_dscnt 0x0
	s_delay_alu instid0(VALU_DEP_1)
	v_fmac_f64_e32 v[156:157], v[124:125], v[142:143]
	ds_load_b128 v[122:125], v2 offset:896
	ds_load_b128 v[130:133], v2 offset:912
	s_wait_loadcnt 0x2
	v_fmac_f64_e32 v[156:157], v[138:139], v[144:145]
	s_wait_dscnt 0x1
	s_delay_alu instid0(VALU_DEP_1) | instskip(SKIP_1) | instid1(VALU_DEP_1)
	v_fmac_f64_e32 v[156:157], v[140:141], v[122:123]
	s_wait_loadcnt 0x1
	v_fmac_f64_e32 v[156:157], v[126:127], v[124:125]
	s_wait_dscnt 0x0
	s_delay_alu instid0(VALU_DEP_1) | instskip(SKIP_1) | instid1(VALU_DEP_1)
	v_fmac_f64_e32 v[156:157], v[128:129], v[130:131]
	s_wait_loadcnt 0x0
	v_fmac_f64_e32 v[156:157], v[146:147], v[132:133]
	s_delay_alu instid0(VALU_DEP_1)
	v_add_f64_e64 v[2:3], v[120:121], -v[156:157]
	scratch_store_b64 off, v[2:3], off offset:8
	s_wait_xcnt 0x0
	v_cmpx_ne_u32_e32 0, v0
	s_cbranch_execz .LBB57_357
; %bb.356:
	scratch_load_b64 v[2:3], off, off
	v_mov_b64_e32 v[120:121], 0
	scratch_store_b64 off, v[120:121], off
	s_wait_loadcnt 0x0
	ds_store_b64 v1, v[2:3]
.LBB57_357:
	s_wait_xcnt 0x0
	s_or_b32 exec_lo, exec_lo, s0
	s_wait_storecnt_dscnt 0x0
	s_barrier_signal -1
	s_barrier_wait -1
	s_clause 0x5
	scratch_load_b128 v[122:125], off, off
	scratch_load_b128 v[0:3], off, off offset:16
	scratch_load_b128 v[126:129], off, off offset:32
	;; [unrolled: 1-line block ×5, first 2 shown]
	v_mov_b32_e32 v120, 0
	scratch_load_b128 v[146:149], off, off offset:96
	s_and_b32 vcc_lo, exec_lo, s20
	ds_load_2addr_b64 v[142:145], v120 offset0:59 offset1:60
	s_wait_loadcnt_dscnt 0x600
	v_fma_f64 v[152:153], v[124:125], v[142:143], 0
	s_wait_loadcnt 0x5
	s_delay_alu instid0(VALU_DEP_1)
	v_fmac_f64_e32 v[152:153], v[0:1], v[144:145]
	ds_load_2addr_b64 v[142:145], v120 offset0:61 offset1:62
	s_wait_dscnt 0x0
	v_fmac_f64_e32 v[152:153], v[2:3], v[142:143]
	scratch_load_b128 v[0:3], off, off offset:112
	s_wait_loadcnt 0x5
	v_fmac_f64_e32 v[152:153], v[126:127], v[144:145]
	ds_load_2addr_b64 v[124:127], v120 offset0:63 offset1:64
	scratch_load_b128 v[142:145], off, off offset:128
	s_wait_dscnt 0x0
	v_fmac_f64_e32 v[152:153], v[128:129], v[124:125]
	s_wait_loadcnt 0x5
	s_delay_alu instid0(VALU_DEP_1)
	v_fmac_f64_e32 v[152:153], v[130:131], v[126:127]
	ds_load_2addr_b64 v[124:127], v120 offset0:65 offset1:66
	scratch_load_b128 v[128:131], off, off offset:144
	s_wait_dscnt 0x0
	v_fmac_f64_e32 v[152:153], v[132:133], v[124:125]
	s_wait_loadcnt 0x5
	s_delay_alu instid0(VALU_DEP_1)
	;; [unrolled: 7-line block ×4, first 2 shown]
	v_fmac_f64_e32 v[152:153], v[146:147], v[126:127]
	ds_load_2addr_b64 v[124:127], v120 offset0:71 offset1:72
	s_wait_dscnt 0x0
	v_fmac_f64_e32 v[152:153], v[148:149], v[124:125]
	scratch_load_b128 v[146:149], off, off offset:192
	s_wait_loadcnt 0x5
	v_fmac_f64_e32 v[152:153], v[0:1], v[126:127]
	ds_load_2addr_b64 v[124:127], v120 offset0:73 offset1:74
	s_wait_dscnt 0x0
	v_fmac_f64_e32 v[152:153], v[2:3], v[124:125]
	scratch_load_b128 v[0:3], off, off offset:208
	s_wait_loadcnt 0x5
	v_fmac_f64_e32 v[152:153], v[142:143], v[126:127]
	ds_load_2addr_b64 v[124:127], v120 offset0:75 offset1:76
	scratch_load_b128 v[140:143], off, off offset:224
	s_wait_dscnt 0x0
	v_fmac_f64_e32 v[152:153], v[144:145], v[124:125]
	s_wait_loadcnt 0x5
	s_delay_alu instid0(VALU_DEP_1)
	v_fmac_f64_e32 v[152:153], v[128:129], v[126:127]
	ds_load_2addr_b64 v[124:127], v120 offset0:77 offset1:78
	s_wait_dscnt 0x0
	v_fmac_f64_e32 v[152:153], v[130:131], v[124:125]
	scratch_load_b128 v[128:131], off, off offset:240
	s_wait_loadcnt 0x5
	v_fmac_f64_e32 v[152:153], v[132:133], v[126:127]
	ds_load_2addr_b64 v[124:127], v120 offset0:79 offset1:80
	s_wait_dscnt 0x0
	v_fmac_f64_e32 v[152:153], v[134:135], v[124:125]
	scratch_load_b128 v[132:135], off, off offset:256
	s_wait_loadcnt 0x5
	;; [unrolled: 6-line block ×3, first 2 shown]
	v_fmac_f64_e32 v[152:153], v[146:147], v[126:127]
	ds_load_2addr_b64 v[124:127], v120 offset0:83 offset1:84
	scratch_load_b128 v[144:147], off, off offset:288
	s_wait_dscnt 0x0
	v_fmac_f64_e32 v[152:153], v[148:149], v[124:125]
	scratch_load_b128 v[148:151], off, off offset:400
	s_wait_loadcnt 0x6
	v_fmac_f64_e32 v[152:153], v[0:1], v[126:127]
	ds_load_2addr_b64 v[124:127], v120 offset0:85 offset1:86
	s_wait_dscnt 0x0
	v_fmac_f64_e32 v[152:153], v[2:3], v[124:125]
	scratch_load_b128 v[0:3], off, off offset:304
	s_wait_loadcnt 0x6
	v_fmac_f64_e32 v[152:153], v[140:141], v[126:127]
	ds_load_2addr_b64 v[124:127], v120 offset0:87 offset1:88
	;; [unrolled: 6-line block ×7, first 2 shown]
	s_wait_dscnt 0x0
	v_fmac_f64_e32 v[152:153], v[2:3], v[124:125]
	ds_load_2addr_b64 v[0:3], v120 offset0:99 offset1:100
	s_wait_loadcnt 0x4
	v_fmac_f64_e32 v[152:153], v[140:141], v[126:127]
	scratch_load_b128 v[124:127], off, off offset:416
	s_wait_dscnt 0x0
	v_fmac_f64_e32 v[152:153], v[142:143], v[0:1]
	ds_load_2addr_b64 v[140:143], v120 offset0:103 offset1:104
	s_wait_loadcnt 0x4
	v_fmac_f64_e32 v[152:153], v[128:129], v[2:3]
	ds_load_2addr_b64 v[0:3], v120 offset0:101 offset1:102
	s_wait_dscnt 0x0
	v_fmac_f64_e32 v[152:153], v[130:131], v[0:1]
	scratch_load_b128 v[128:131], off, off offset:432
	s_wait_loadcnt 0x4
	v_fmac_f64_e32 v[152:153], v[132:133], v[2:3]
	scratch_load_b128 v[0:3], off, off offset:448
	v_fmac_f64_e32 v[152:153], v[134:135], v[140:141]
	ds_load_2addr_b64 v[132:135], v120 offset0:105 offset1:106
	s_wait_loadcnt 0x4
	v_fmac_f64_e32 v[152:153], v[136:137], v[142:143]
	s_wait_dscnt 0x0
	s_delay_alu instid0(VALU_DEP_1) | instskip(SKIP_1) | instid1(VALU_DEP_1)
	v_fmac_f64_e32 v[152:153], v[138:139], v[132:133]
	s_wait_loadcnt 0x3
	v_fmac_f64_e32 v[152:153], v[144:145], v[134:135]
	ds_load_2addr_b64 v[132:135], v120 offset0:107 offset1:108
	s_wait_dscnt 0x0
	v_fmac_f64_e32 v[152:153], v[146:147], v[132:133]
	s_delay_alu instid0(VALU_DEP_1) | instskip(SKIP_4) | instid1(VALU_DEP_1)
	v_fmac_f64_e32 v[152:153], v[148:149], v[134:135]
	ds_load_2addr_b64 v[132:135], v120 offset0:109 offset1:110
	s_wait_dscnt 0x0
	v_fmac_f64_e32 v[152:153], v[150:151], v[132:133]
	s_wait_loadcnt 0x2
	v_fmac_f64_e32 v[152:153], v[124:125], v[134:135]
	ds_load_2addr_b64 v[132:135], v120 offset0:111 offset1:112
	s_wait_dscnt 0x0
	v_fmac_f64_e32 v[152:153], v[126:127], v[132:133]
	ds_load_2addr_b64 v[124:127], v120 offset0:113 offset1:114
	s_wait_loadcnt 0x1
	v_fmac_f64_e32 v[152:153], v[128:129], v[134:135]
	s_wait_dscnt 0x0
	s_delay_alu instid0(VALU_DEP_1) | instskip(SKIP_4) | instid1(VALU_DEP_1)
	v_fmac_f64_e32 v[152:153], v[130:131], v[124:125]
	ds_load_b64 v[124:125], v120 offset:920
	s_wait_loadcnt 0x0
	v_fmac_f64_e32 v[152:153], v[0:1], v[126:127]
	s_wait_dscnt 0x0
	v_fmac_f64_e32 v[152:153], v[2:3], v[124:125]
	s_delay_alu instid0(VALU_DEP_1)
	v_add_f64_e64 v[150:151], v[122:123], -v[152:153]
	scratch_store_b64 off, v[150:151], off
	s_cbranch_vccz .LBB57_472
; %bb.358:
	global_load_b32 v2, v120, s[16:17] offset:224
	s_wait_loadcnt 0x0
	v_cmp_ne_u32_e32 vcc_lo, 57, v2
	s_cbranch_vccz .LBB57_360
; %bb.359:
	v_lshlrev_b32_e32 v2, 3, v2
	s_wait_xcnt 0x0
	s_delay_alu instid0(VALU_DEP_1)
	v_mov_b32_e32 v120, v2
	scratch_load_b64 v[2:3], v120, off offset:-8
	s_wait_loadcnt 0x0
	scratch_store_b64 off, v[2:3], off offset:448
	scratch_store_b64 v120, v[0:1], off offset:-8
.LBB57_360:
	s_wait_xcnt 0x0
	v_mov_b32_e32 v0, 0
	global_load_b32 v1, v0, s[16:17] offset:220
	s_wait_loadcnt 0x0
	v_cmp_eq_u32_e32 vcc_lo, 56, v1
	s_cbranch_vccnz .LBB57_362
; %bb.361:
	v_lshlrev_b32_e32 v1, 3, v1
	scratch_load_b64 v[2:3], v1, off offset:-8
	scratch_load_b64 v[120:121], off, off offset:440
	s_wait_loadcnt 0x1
	scratch_store_b64 off, v[2:3], off offset:440
	s_wait_loadcnt 0x0
	scratch_store_b64 v1, v[120:121], off offset:-8
.LBB57_362:
	global_load_b32 v0, v0, s[16:17] offset:216
	s_wait_loadcnt 0x0
	v_cmp_eq_u32_e32 vcc_lo, 55, v0
	s_cbranch_vccnz .LBB57_364
; %bb.363:
	s_wait_xcnt 0x0
	v_lshlrev_b32_e32 v0, 3, v0
	s_delay_alu instid0(VALU_DEP_1)
	v_mov_b32_e32 v120, v0
	scratch_load_b64 v[0:1], v120, off offset:-8
	scratch_load_b64 v[2:3], off, off offset:432
	s_wait_loadcnt 0x1
	scratch_store_b64 off, v[0:1], off offset:432
	s_wait_loadcnt 0x0
	scratch_store_b64 v120, v[2:3], off offset:-8
.LBB57_364:
	s_wait_xcnt 0x0
	v_mov_b32_e32 v0, 0
	global_load_b32 v1, v0, s[16:17] offset:212
	s_wait_loadcnt 0x0
	v_cmp_eq_u32_e32 vcc_lo, 54, v1
	s_cbranch_vccnz .LBB57_366
; %bb.365:
	v_lshlrev_b32_e32 v1, 3, v1
	scratch_load_b64 v[2:3], v1, off offset:-8
	scratch_load_b64 v[120:121], off, off offset:424
	s_wait_loadcnt 0x1
	scratch_store_b64 off, v[2:3], off offset:424
	s_wait_loadcnt 0x0
	scratch_store_b64 v1, v[120:121], off offset:-8
.LBB57_366:
	global_load_b32 v0, v0, s[16:17] offset:208
	s_wait_loadcnt 0x0
	v_cmp_eq_u32_e32 vcc_lo, 53, v0
	s_cbranch_vccnz .LBB57_368
; %bb.367:
	s_wait_xcnt 0x0
	v_lshlrev_b32_e32 v0, 3, v0
	s_delay_alu instid0(VALU_DEP_1)
	v_mov_b32_e32 v120, v0
	scratch_load_b64 v[0:1], v120, off offset:-8
	scratch_load_b64 v[2:3], off, off offset:416
	s_wait_loadcnt 0x1
	scratch_store_b64 off, v[0:1], off offset:416
	s_wait_loadcnt 0x0
	scratch_store_b64 v120, v[2:3], off offset:-8
.LBB57_368:
	;; [unrolled: 31-line block ×27, first 2 shown]
	s_wait_xcnt 0x0
	v_mov_b32_e32 v0, 0
	global_load_b32 v1, v0, s[16:17] offset:4
	s_wait_loadcnt 0x0
	v_cmp_eq_u32_e32 vcc_lo, 2, v1
	s_cbranch_vccnz .LBB57_470
; %bb.469:
	v_lshlrev_b32_e32 v1, 3, v1
	scratch_load_b64 v[2:3], v1, off offset:-8
	scratch_load_b64 v[120:121], off, off offset:8
	s_wait_loadcnt 0x1
	scratch_store_b64 off, v[2:3], off offset:8
	s_wait_loadcnt 0x0
	scratch_store_b64 v1, v[120:121], off offset:-8
.LBB57_470:
	global_load_b32 v0, v0, s[16:17]
	scratch_load_b64 v[150:151], off, off
	s_wait_loadcnt 0x1
	v_cmp_eq_u32_e32 vcc_lo, 1, v0
	s_cbranch_vccnz .LBB57_472
; %bb.471:
	s_wait_xcnt 0x1
	v_lshlrev_b32_e32 v0, 3, v0
	s_delay_alu instid0(VALU_DEP_1)
	v_mov_b32_e32 v2, v0
	scratch_load_b64 v[0:1], v2, off offset:-8
	s_wait_loadcnt 0x0
	scratch_store_b64 off, v[0:1], off
	scratch_store_b64 v2, v[150:151], off offset:-8
	scratch_load_b64 v[150:151], off, off
.LBB57_472:
	v_lshl_add_u64 v[154:155], v[8:9], 3, s[2:3]
	v_lshl_add_u64 v[152:153], v[10:11], 3, s[2:3]
	;; [unrolled: 1-line block ×53, first 2 shown]
	s_clause 0x8
	scratch_load_b128 v[82:85], off, off offset:8
	scratch_load_b128 v[86:89], off, off offset:24
	;; [unrolled: 1-line block ×9, first 2 shown]
	s_wait_loadcnt 0x9
	global_store_b64 v[4:5], v[150:151], off
	s_wait_xcnt 0xb
	v_lshl_add_u64 v[0:1], v[42:43], 3, s[2:3]
	v_lshl_add_u64 v[42:43], v[80:81], 3, s[2:3]
	;; [unrolled: 1-line block ×3, first 2 shown]
	scratch_load_b128 v[156:159], off, off offset:152
	s_wait_loadcnt 0x9
	s_clause 0x1
	global_store_b64 v[6:7], v[82:83], off
	global_store_b64 v[154:155], v[84:85], off
	s_wait_loadcnt 0x8
	s_clause 0x1
	global_store_b64 v[152:153], v[86:87], off
	global_store_b64 v[148:149], v[88:89], off
	;; [unrolled: 4-line block ×9, first 2 shown]
	s_clause 0x12
	scratch_load_b128 v[4:7], off, off offset:168
	scratch_load_b128 v[82:85], off, off offset:184
	;; [unrolled: 1-line block ×18, first 2 shown]
	scratch_load_b64 v[118:119], off, off offset:456
	s_wait_loadcnt 0x13
	s_clause 0x1
	global_store_b64 v[0:1], v[156:157], off
	global_store_b64 v[2:3], v[158:159], off
	s_wait_loadcnt 0x12
	s_clause 0x1
	global_store_b64 v[8:9], v[4:5], off
	global_store_b64 v[10:11], v[6:7], off
	;; [unrolled: 4-line block ×19, first 2 shown]
	s_wait_loadcnt 0x0
	global_store_b64 v[80:81], v[118:119], off
	s_sendmsg sendmsg(MSG_DEALLOC_VGPRS)
	s_endpgm
	.section	.rodata,"a",@progbits
	.p2align	6, 0x0
	.amdhsa_kernel _ZN9rocsolver6v33100L18getri_kernel_smallILi58EdPdEEvT1_iilPiilS4_bb
		.amdhsa_group_segment_fixed_size 936
		.amdhsa_private_segment_fixed_size 480
		.amdhsa_kernarg_size 60
		.amdhsa_user_sgpr_count 2
		.amdhsa_user_sgpr_dispatch_ptr 0
		.amdhsa_user_sgpr_queue_ptr 0
		.amdhsa_user_sgpr_kernarg_segment_ptr 1
		.amdhsa_user_sgpr_dispatch_id 0
		.amdhsa_user_sgpr_kernarg_preload_length 0
		.amdhsa_user_sgpr_kernarg_preload_offset 0
		.amdhsa_user_sgpr_private_segment_size 0
		.amdhsa_wavefront_size32 1
		.amdhsa_uses_dynamic_stack 0
		.amdhsa_enable_private_segment 1
		.amdhsa_system_sgpr_workgroup_id_x 1
		.amdhsa_system_sgpr_workgroup_id_y 0
		.amdhsa_system_sgpr_workgroup_id_z 0
		.amdhsa_system_sgpr_workgroup_info 0
		.amdhsa_system_vgpr_workitem_id 0
		.amdhsa_next_free_vgpr 164
		.amdhsa_next_free_sgpr 21
		.amdhsa_named_barrier_count 0
		.amdhsa_reserve_vcc 1
		.amdhsa_float_round_mode_32 0
		.amdhsa_float_round_mode_16_64 0
		.amdhsa_float_denorm_mode_32 3
		.amdhsa_float_denorm_mode_16_64 3
		.amdhsa_fp16_overflow 0
		.amdhsa_memory_ordered 1
		.amdhsa_forward_progress 1
		.amdhsa_inst_pref_size 255
		.amdhsa_round_robin_scheduling 0
		.amdhsa_exception_fp_ieee_invalid_op 0
		.amdhsa_exception_fp_denorm_src 0
		.amdhsa_exception_fp_ieee_div_zero 0
		.amdhsa_exception_fp_ieee_overflow 0
		.amdhsa_exception_fp_ieee_underflow 0
		.amdhsa_exception_fp_ieee_inexact 0
		.amdhsa_exception_int_div_zero 0
	.end_amdhsa_kernel
	.section	.text._ZN9rocsolver6v33100L18getri_kernel_smallILi58EdPdEEvT1_iilPiilS4_bb,"axG",@progbits,_ZN9rocsolver6v33100L18getri_kernel_smallILi58EdPdEEvT1_iilPiilS4_bb,comdat
.Lfunc_end57:
	.size	_ZN9rocsolver6v33100L18getri_kernel_smallILi58EdPdEEvT1_iilPiilS4_bb, .Lfunc_end57-_ZN9rocsolver6v33100L18getri_kernel_smallILi58EdPdEEvT1_iilPiilS4_bb
                                        ; -- End function
	.set _ZN9rocsolver6v33100L18getri_kernel_smallILi58EdPdEEvT1_iilPiilS4_bb.num_vgpr, 164
	.set _ZN9rocsolver6v33100L18getri_kernel_smallILi58EdPdEEvT1_iilPiilS4_bb.num_agpr, 0
	.set _ZN9rocsolver6v33100L18getri_kernel_smallILi58EdPdEEvT1_iilPiilS4_bb.numbered_sgpr, 21
	.set _ZN9rocsolver6v33100L18getri_kernel_smallILi58EdPdEEvT1_iilPiilS4_bb.num_named_barrier, 0
	.set _ZN9rocsolver6v33100L18getri_kernel_smallILi58EdPdEEvT1_iilPiilS4_bb.private_seg_size, 480
	.set _ZN9rocsolver6v33100L18getri_kernel_smallILi58EdPdEEvT1_iilPiilS4_bb.uses_vcc, 1
	.set _ZN9rocsolver6v33100L18getri_kernel_smallILi58EdPdEEvT1_iilPiilS4_bb.uses_flat_scratch, 1
	.set _ZN9rocsolver6v33100L18getri_kernel_smallILi58EdPdEEvT1_iilPiilS4_bb.has_dyn_sized_stack, 0
	.set _ZN9rocsolver6v33100L18getri_kernel_smallILi58EdPdEEvT1_iilPiilS4_bb.has_recursion, 0
	.set _ZN9rocsolver6v33100L18getri_kernel_smallILi58EdPdEEvT1_iilPiilS4_bb.has_indirect_call, 0
	.section	.AMDGPU.csdata,"",@progbits
; Kernel info:
; codeLenInByte = 59616
; TotalNumSgprs: 23
; NumVgprs: 164
; ScratchSize: 480
; MemoryBound: 0
; FloatMode: 240
; IeeeMode: 1
; LDSByteSize: 936 bytes/workgroup (compile time only)
; SGPRBlocks: 0
; VGPRBlocks: 10
; NumSGPRsForWavesPerEU: 23
; NumVGPRsForWavesPerEU: 164
; NamedBarCnt: 0
; Occupancy: 5
; WaveLimiterHint : 1
; COMPUTE_PGM_RSRC2:SCRATCH_EN: 1
; COMPUTE_PGM_RSRC2:USER_SGPR: 2
; COMPUTE_PGM_RSRC2:TRAP_HANDLER: 0
; COMPUTE_PGM_RSRC2:TGID_X_EN: 1
; COMPUTE_PGM_RSRC2:TGID_Y_EN: 0
; COMPUTE_PGM_RSRC2:TGID_Z_EN: 0
; COMPUTE_PGM_RSRC2:TIDIG_COMP_CNT: 0
	.section	.text._ZN9rocsolver6v33100L18getri_kernel_smallILi59EdPdEEvT1_iilPiilS4_bb,"axG",@progbits,_ZN9rocsolver6v33100L18getri_kernel_smallILi59EdPdEEvT1_iilPiilS4_bb,comdat
	.globl	_ZN9rocsolver6v33100L18getri_kernel_smallILi59EdPdEEvT1_iilPiilS4_bb ; -- Begin function _ZN9rocsolver6v33100L18getri_kernel_smallILi59EdPdEEvT1_iilPiilS4_bb
	.p2align	8
	.type	_ZN9rocsolver6v33100L18getri_kernel_smallILi59EdPdEEvT1_iilPiilS4_bb,@function
_ZN9rocsolver6v33100L18getri_kernel_smallILi59EdPdEEvT1_iilPiilS4_bb: ; @_ZN9rocsolver6v33100L18getri_kernel_smallILi59EdPdEEvT1_iilPiilS4_bb
; %bb.0:
	s_mov_b32 s2, exec_lo
	v_cmpx_gt_u32_e32 59, v0
	s_cbranch_execz .LBB58_246
; %bb.1:
	s_clause 0x2
	s_load_b32 s2, s[0:1], 0x38
	s_load_b128 s[12:15], s[0:1], 0x10
	s_load_b128 s[4:7], s[0:1], 0x28
	s_getreg_b32 s9, hwreg(HW_REG_IB_STS2, 6, 4)
                                        ; implicit-def: $sgpr16_sgpr17
	s_wait_kmcnt 0x0
	s_bitcmp1_b32 s2, 8
	s_cselect_b32 s20, -1, 0
	s_bfe_u32 s3, ttmp6, 0x4000c
	s_and_b32 s8, ttmp6, 15
	s_add_co_i32 s3, s3, 1
	s_delay_alu instid0(SALU_CYCLE_1) | instskip(NEXT) | instid1(SALU_CYCLE_1)
	s_mul_i32 s3, ttmp9, s3
	s_add_co_i32 s8, s8, s3
	s_cmp_eq_u32 s9, 0
	s_cselect_b32 s18, ttmp9, s8
	s_bfe_u32 s2, s2, 0x10008
	s_ashr_i32 s19, s18, 31
	s_cmp_eq_u32 s2, 0
	s_cbranch_scc1 .LBB58_3
; %bb.2:
	s_load_b32 s2, s[0:1], 0x20
	s_mul_u64 s[4:5], s[4:5], s[18:19]
	s_delay_alu instid0(SALU_CYCLE_1) | instskip(NEXT) | instid1(SALU_CYCLE_1)
	s_lshl_b64 s[4:5], s[4:5], 2
	s_add_nc_u64 s[4:5], s[14:15], s[4:5]
	s_wait_kmcnt 0x0
	s_ashr_i32 s3, s2, 31
	s_delay_alu instid0(SALU_CYCLE_1) | instskip(NEXT) | instid1(SALU_CYCLE_1)
	s_lshl_b64 s[2:3], s[2:3], 2
	s_add_nc_u64 s[16:17], s[4:5], s[2:3]
.LBB58_3:
	s_clause 0x1
	s_load_b128 s[8:11], s[0:1], 0x0
	s_load_b32 s4, s[0:1], 0x38
	s_wait_xcnt 0x0
	s_mul_u64 s[0:1], s[12:13], s[18:19]
	v_dual_mov_b32 v3, 0 :: v_dual_lshlrev_b32 v2, 3, v0
	s_lshl_b64 s[0:1], s[0:1], 3
	s_wait_kmcnt 0x0
	s_ashr_i32 s3, s10, 31
	s_mov_b32 s2, s10
	v_add3_u32 v8, s11, s11, v0
	s_add_nc_u64 s[0:1], s[8:9], s[0:1]
	s_lshl_b64 s[2:3], s[2:3], 3
	s_delay_alu instid0(SALU_CYCLE_1) | instskip(NEXT) | instid1(VALU_DEP_1)
	s_add_nc_u64 s[2:3], s[0:1], s[2:3]
	v_add_nc_u32_e32 v10, s11, v8
	v_add_nc_u64_e32 v[4:5], s[2:3], v[2:3]
	s_ashr_i32 s1, s11, 31
	s_mov_b32 s0, s11
	s_bitcmp0_b32 s4, 0
	v_add_nc_u32_e32 v12, s11, v10
	s_delay_alu instid0(VALU_DEP_2) | instskip(SKIP_1) | instid1(VALU_DEP_2)
	v_lshl_add_u64 v[6:7], s[0:1], 3, v[4:5]
	s_mov_b32 s1, -1
	v_add_nc_u32_e32 v14, s11, v12
	s_clause 0x1
	global_load_b64 v[86:87], v0, s[2:3] scale_offset
	global_load_b64 v[88:89], v[6:7], off
	v_add_nc_u32_e32 v16, s11, v14
	s_clause 0x1
	global_load_b64 v[90:91], v8, s[2:3] scale_offset
	global_load_b64 v[92:93], v10, s[2:3] scale_offset
	v_add_nc_u32_e32 v18, s11, v16
	s_delay_alu instid0(VALU_DEP_1)
	v_add_nc_u32_e32 v20, s11, v18
	s_clause 0x3
	global_load_b64 v[94:95], v12, s[2:3] scale_offset
	global_load_b64 v[96:97], v14, s[2:3] scale_offset
	global_load_b64 v[98:99], v16, s[2:3] scale_offset
	global_load_b64 v[100:101], v18, s[2:3] scale_offset
	v_add_nc_u32_e32 v22, s11, v20
	s_delay_alu instid0(VALU_DEP_1) | instskip(NEXT) | instid1(VALU_DEP_1)
	v_add_nc_u32_e32 v24, s11, v22
	v_add_nc_u32_e32 v26, s11, v24
	s_delay_alu instid0(VALU_DEP_1) | instskip(SKIP_4) | instid1(VALU_DEP_1)
	v_add_nc_u32_e32 v28, s11, v26
	s_clause 0x1
	global_load_b64 v[102:103], v20, s[2:3] scale_offset
	global_load_b64 v[104:105], v22, s[2:3] scale_offset
	v_add_nc_u32_e32 v30, s11, v28
	v_add_nc_u32_e32 v32, s11, v30
	s_clause 0x3
	global_load_b64 v[106:107], v24, s[2:3] scale_offset
	global_load_b64 v[108:109], v26, s[2:3] scale_offset
	global_load_b64 v[110:111], v28, s[2:3] scale_offset
	global_load_b64 v[112:113], v30, s[2:3] scale_offset
	v_add_nc_u32_e32 v34, s11, v32
	s_delay_alu instid0(VALU_DEP_1) | instskip(NEXT) | instid1(VALU_DEP_1)
	v_add_nc_u32_e32 v36, s11, v34
	v_add_nc_u32_e32 v38, s11, v36
	s_delay_alu instid0(VALU_DEP_1) | instskip(SKIP_4) | instid1(VALU_DEP_1)
	v_add_nc_u32_e32 v40, s11, v38
	s_clause 0x1
	global_load_b64 v[114:115], v32, s[2:3] scale_offset
	global_load_b64 v[116:117], v34, s[2:3] scale_offset
	v_add_nc_u32_e32 v42, s11, v40
	;; [unrolled: 16-line block ×3, first 2 shown]
	v_add_nc_u32_e32 v56, s11, v54
	s_clause 0x3
	global_load_b64 v[130:131], v48, s[2:3] scale_offset
	global_load_b64 v[132:133], v50, s[2:3] scale_offset
	;; [unrolled: 1-line block ×4, first 2 shown]
	v_add_nc_u32_e32 v58, s11, v56
	s_delay_alu instid0(VALU_DEP_1) | instskip(NEXT) | instid1(VALU_DEP_1)
	v_add_nc_u32_e32 v60, s11, v58
	v_add_nc_u32_e32 v62, s11, v60
	s_delay_alu instid0(VALU_DEP_1) | instskip(NEXT) | instid1(VALU_DEP_1)
	v_add_nc_u32_e32 v64, s11, v62
	v_add_nc_u32_e32 v66, s11, v64
	s_delay_alu instid0(VALU_DEP_1)
	v_add_nc_u32_e32 v68, s11, v66
	s_clause 0x3
	global_load_b64 v[138:139], v56, s[2:3] scale_offset
	global_load_b64 v[140:141], v58, s[2:3] scale_offset
	;; [unrolled: 1-line block ×4, first 2 shown]
	v_add_nc_u32_e32 v70, s11, v68
	s_delay_alu instid0(VALU_DEP_1) | instskip(NEXT) | instid1(VALU_DEP_1)
	v_add_nc_u32_e32 v72, s11, v70
	v_add_nc_u32_e32 v74, s11, v72
	s_delay_alu instid0(VALU_DEP_1)
	v_add_nc_u32_e32 v76, s11, v74
	s_clause 0x3
	global_load_b64 v[146:147], v64, s[2:3] scale_offset
	global_load_b64 v[148:149], v66, s[2:3] scale_offset
	;; [unrolled: 1-line block ×4, first 2 shown]
	v_add_nc_u32_e32 v78, s11, v76
	s_delay_alu instid0(VALU_DEP_1) | instskip(NEXT) | instid1(VALU_DEP_1)
	v_add_nc_u32_e32 v80, s11, v78
	v_add_nc_u32_e32 v82, s11, v80
	s_delay_alu instid0(VALU_DEP_1)
	v_add_nc_u32_e32 v84, s11, v82
	s_wait_loadcnt 0x20
	scratch_store_b128 off, v[86:89], off
	s_wait_xcnt 0x0
	v_add_nc_u32_e32 v86, s11, v84
	s_clause 0x1
	global_load_b64 v[154:155], v72, s[2:3] scale_offset
	global_load_b64 v[156:157], v74, s[2:3] scale_offset
	s_wait_loadcnt 0x20
	scratch_store_b128 off, v[90:93], off offset:16
	s_clause 0x1
	global_load_b64 v[158:159], v76, s[2:3] scale_offset
	global_load_b64 v[160:161], v78, s[2:3] scale_offset
	v_add_nc_u32_e32 v88, s11, v86
	s_wait_xcnt 0x2
	s_delay_alu instid0(VALU_DEP_1)
	v_add_nc_u32_e32 v90, s11, v88
	s_wait_loadcnt 0x20
	scratch_store_b128 off, v[94:97], off offset:32
	s_clause 0x1
	global_load_b64 v[162:163], v80, s[2:3] scale_offset
	global_load_b64 v[164:165], v82, s[2:3] scale_offset
	s_wait_loadcnt 0x20
	scratch_store_b128 off, v[98:101], off offset:48
	v_add_nc_u32_e32 v92, s11, v90
	s_clause 0x1
	global_load_b64 v[166:167], v84, s[2:3] scale_offset
	global_load_b64 v[168:169], v86, s[2:3] scale_offset
	s_wait_xcnt 0x5
	v_add_nc_u32_e32 v94, s11, v92
	s_delay_alu instid0(VALU_DEP_1) | instskip(SKIP_1) | instid1(VALU_DEP_1)
	v_add_nc_u32_e32 v96, s11, v94
	s_wait_xcnt 0x2
	v_add_nc_u32_e32 v98, s11, v96
	s_wait_loadcnt 0x20
	scratch_store_b128 off, v[102:105], off offset:64
	v_add_nc_u32_e32 v100, s11, v98
	s_wait_xcnt 0x0
	s_delay_alu instid0(VALU_DEP_1)
	v_add_nc_u32_e32 v102, s11, v100
	s_wait_loadcnt 0x1e
	scratch_store_b128 off, v[106:109], off offset:80
	s_wait_loadcnt 0x1c
	scratch_store_b128 off, v[110:113], off offset:96
	v_add_nc_u32_e32 v104, s11, v102
	s_wait_xcnt 0x1
	s_delay_alu instid0(VALU_DEP_1) | instskip(NEXT) | instid1(VALU_DEP_1)
	v_add_nc_u32_e32 v106, s11, v104
	v_add_nc_u32_e32 v108, s11, v106
	s_wait_xcnt 0x0
	s_delay_alu instid0(VALU_DEP_1) | instskip(SKIP_4) | instid1(VALU_DEP_1)
	v_add_nc_u32_e32 v110, s11, v108
	s_wait_loadcnt 0x1a
	scratch_store_b128 off, v[114:117], off offset:112
	v_add_nc_u32_e32 v112, s11, v110
	s_wait_xcnt 0x0
	v_add_nc_u32_e32 v114, s11, v112
	s_wait_loadcnt 0x18
	scratch_store_b128 off, v[118:121], off offset:128
	s_wait_loadcnt 0x16
	scratch_store_b128 off, v[122:125], off offset:144
	v_add_nc_u32_e32 v116, s11, v114
	s_wait_xcnt 0x1
	s_delay_alu instid0(VALU_DEP_1) | instskip(NEXT) | instid1(VALU_DEP_1)
	v_add_nc_u32_e32 v118, s11, v116
	v_add_nc_u32_e32 v120, s11, v118
	s_wait_loadcnt 0x14
	scratch_store_b128 off, v[126:129], off offset:160
	s_wait_loadcnt 0x12
	scratch_store_b128 off, v[130:133], off offset:176
	;; [unrolled: 2-line block ×3, first 2 shown]
	s_clause 0x3
	global_load_b64 v[122:123], v88, s[2:3] scale_offset
	global_load_b64 v[124:125], v90, s[2:3] scale_offset
	;; [unrolled: 1-line block ×4, first 2 shown]
	s_wait_loadcnt 0x12
	scratch_store_b128 off, v[138:141], off offset:208
	s_wait_loadcnt 0x10
	scratch_store_b128 off, v[142:145], off offset:224
	;; [unrolled: 2-line block ×3, first 2 shown]
	s_clause 0x3
	global_load_b64 v[130:131], v96, s[2:3] scale_offset
	global_load_b64 v[132:133], v98, s[2:3] scale_offset
	;; [unrolled: 1-line block ×4, first 2 shown]
	s_wait_loadcnt 0x10
	scratch_store_b128 off, v[150:153], off offset:256
	s_wait_loadcnt 0xe
	scratch_store_b128 off, v[154:157], off offset:272
	s_clause 0x3
	global_load_b64 v[138:139], v104, s[2:3] scale_offset
	global_load_b64 v[140:141], v106, s[2:3] scale_offset
	;; [unrolled: 1-line block ×4, first 2 shown]
	s_wait_loadcnt 0x10
	scratch_store_b128 off, v[158:161], off offset:288
	s_wait_loadcnt 0xe
	scratch_store_b128 off, v[162:165], off offset:304
	s_clause 0x1
	global_load_b64 v[146:147], v112, s[2:3] scale_offset
	global_load_b64 v[148:149], v114, s[2:3] scale_offset
	s_wait_loadcnt 0xe
	scratch_store_b128 off, v[166:169], off offset:320
	s_clause 0x2
	global_load_b64 v[150:151], v116, s[2:3] scale_offset
	global_load_b64 v[152:153], v118, s[2:3] scale_offset
	global_load_b64 v[154:155], v120, s[2:3] scale_offset
	s_wait_loadcnt 0xf
	scratch_store_b128 off, v[122:125], off offset:336
	s_wait_loadcnt 0xd
	scratch_store_b128 off, v[126:129], off offset:352
	;; [unrolled: 2-line block ×8, first 2 shown]
	s_wait_loadcnt 0x0
	scratch_store_b64 off, v[154:155], off offset:464
	s_cbranch_scc1 .LBB58_244
; %bb.4:
	v_cmp_eq_u32_e64 s0, 0, v0
	s_wait_xcnt 0x0
	s_and_saveexec_b32 s1, s0
; %bb.5:
	v_mov_b32_e32 v1, 0
	ds_store_b32 v1, v1 offset:472
; %bb.6:
	s_or_b32 exec_lo, exec_lo, s1
	s_wait_storecnt_dscnt 0x0
	s_barrier_signal -1
	s_barrier_wait -1
	scratch_load_b64 v[122:123], v0, off scale_offset
	s_mov_b32 s4, exec_lo
	s_wait_loadcnt 0x0
	v_cmpx_eq_f64_e32 0, v[122:123]
	s_cbranch_execz .LBB58_10
; %bb.7:
	v_mov_b32_e32 v1, 0
	s_mov_b32 s5, 0
	ds_load_b32 v3, v1 offset:472
	s_wait_dscnt 0x0
	v_readfirstlane_b32 s1, v3
	v_add_nc_u32_e32 v3, 1, v0
	s_cmp_eq_u32 s1, 0
	s_delay_alu instid0(VALU_DEP_1) | instskip(SKIP_1) | instid1(SALU_CYCLE_1)
	v_cmp_gt_i32_e32 vcc_lo, s1, v3
	s_cselect_b32 s8, -1, 0
	s_or_b32 s8, s8, vcc_lo
	s_delay_alu instid0(SALU_CYCLE_1)
	s_and_b32 exec_lo, exec_lo, s8
	s_cbranch_execz .LBB58_10
; %bb.8:
	v_mov_b32_e32 v9, s1
.LBB58_9:                               ; =>This Inner Loop Header: Depth=1
	ds_cmpstore_rtn_b32 v9, v1, v3, v9 offset:472
	s_wait_dscnt 0x0
	v_cmp_ne_u32_e32 vcc_lo, 0, v9
	v_cmp_le_i32_e64 s1, v9, v3
	s_and_b32 s1, vcc_lo, s1
	s_delay_alu instid0(SALU_CYCLE_1) | instskip(NEXT) | instid1(SALU_CYCLE_1)
	s_and_b32 s1, exec_lo, s1
	s_or_b32 s5, s1, s5
	s_delay_alu instid0(SALU_CYCLE_1)
	s_and_not1_b32 exec_lo, exec_lo, s5
	s_cbranch_execnz .LBB58_9
.LBB58_10:
	s_or_b32 exec_lo, exec_lo, s4
	v_mov_b32_e32 v1, 0
	s_barrier_signal -1
	s_barrier_wait -1
	ds_load_b32 v3, v1 offset:472
	s_and_saveexec_b32 s1, s0
	s_cbranch_execz .LBB58_12
; %bb.11:
	s_lshl_b64 s[4:5], s[18:19], 2
	s_delay_alu instid0(SALU_CYCLE_1)
	s_add_nc_u64 s[4:5], s[6:7], s[4:5]
	s_wait_dscnt 0x0
	global_store_b32 v1, v3, s[4:5]
.LBB58_12:
	s_wait_xcnt 0x0
	s_or_b32 exec_lo, exec_lo, s1
	s_wait_dscnt 0x0
	v_cmp_ne_u32_e32 vcc_lo, 0, v3
	s_mov_b32 s1, 0
	s_cbranch_vccnz .LBB58_244
; %bb.13:
	v_lshl_add_u32 v3, v0, 3, 0
	v_add_nc_u32_e32 v1, 0x1e0, v2
	scratch_load_b64 v[122:123], v3, off
	s_wait_loadcnt 0x0
	v_div_scale_f64 v[124:125], null, v[122:123], v[122:123], 1.0
	v_div_scale_f64 v[130:131], vcc_lo, 1.0, v[122:123], 1.0
	s_delay_alu instid0(VALU_DEP_2) | instskip(SKIP_1) | instid1(TRANS32_DEP_1)
	v_rcp_f64_e32 v[126:127], v[124:125]
	v_nop
	v_fma_f64 v[128:129], -v[124:125], v[126:127], 1.0
	s_delay_alu instid0(VALU_DEP_1) | instskip(NEXT) | instid1(VALU_DEP_1)
	v_fmac_f64_e32 v[126:127], v[126:127], v[128:129]
	v_fma_f64 v[128:129], -v[124:125], v[126:127], 1.0
	s_delay_alu instid0(VALU_DEP_1) | instskip(NEXT) | instid1(VALU_DEP_1)
	v_fmac_f64_e32 v[126:127], v[126:127], v[128:129]
	v_mul_f64_e32 v[128:129], v[130:131], v[126:127]
	s_delay_alu instid0(VALU_DEP_1) | instskip(NEXT) | instid1(VALU_DEP_1)
	v_fma_f64 v[124:125], -v[124:125], v[128:129], v[130:131]
	v_div_fmas_f64 v[124:125], v[124:125], v[126:127], v[128:129]
	s_delay_alu instid0(VALU_DEP_1)
	v_div_fixup_f64 v[122:123], v[124:125], v[122:123], 1.0
	scratch_store_b64 v3, v[122:123], off
	scratch_load_b64 v[124:125], off, off offset:8
	s_wait_xcnt 0x1
	v_xor_b32_e32 v123, 0x80000000, v123
	s_wait_loadcnt 0x0
	ds_store_2addr_b64 v2, v[122:123], v[124:125] offset1:60
	s_wait_storecnt_dscnt 0x0
	s_barrier_signal -1
	s_barrier_wait -1
	s_wait_xcnt 0x0
	s_and_saveexec_b32 s1, s0
	s_cbranch_execz .LBB58_15
; %bb.14:
	scratch_load_b64 v[122:123], v3, off
	ds_load_b64 v[124:125], v1
	s_wait_loadcnt_dscnt 0x0
	v_fma_f64 v[122:123], v[122:123], v[124:125], 0
	v_mov_b32_e32 v9, 0
	ds_load_b64 v[126:127], v9 offset:8
	s_wait_dscnt 0x0
	v_mul_f64_e32 v[122:123], v[122:123], v[126:127]
	scratch_store_b64 off, v[122:123], off offset:8
.LBB58_15:
	s_wait_xcnt 0x0
	s_or_b32 exec_lo, exec_lo, s1
	s_wait_storecnt 0x0
	s_barrier_signal -1
	s_barrier_wait -1
	scratch_load_b64 v[122:123], off, off offset:16
	s_mov_b32 s1, exec_lo
	s_wait_loadcnt 0x0
	ds_store_b64 v1, v[122:123]
	s_wait_dscnt 0x0
	s_barrier_signal -1
	s_barrier_wait -1
	v_cmpx_gt_u32_e32 2, v0
	s_cbranch_execz .LBB58_19
; %bb.16:
	scratch_load_b64 v[122:123], v3, off
	ds_load_b64 v[124:125], v1
	s_wait_loadcnt_dscnt 0x0
	v_fma_f64 v[122:123], v[122:123], v[124:125], 0
	s_and_saveexec_b32 s4, s0
	s_cbranch_execz .LBB58_18
; %bb.17:
	scratch_load_b64 v[124:125], off, off offset:8
	v_mov_b32_e32 v3, 0
	ds_load_b64 v[126:127], v3 offset:488
	s_wait_loadcnt_dscnt 0x0
	v_fmac_f64_e32 v[122:123], v[124:125], v[126:127]
.LBB58_18:
	s_or_b32 exec_lo, exec_lo, s4
	v_mov_b32_e32 v3, 0
	ds_load_b64 v[124:125], v3 offset:16
	s_wait_dscnt 0x0
	v_mul_f64_e32 v[122:123], v[122:123], v[124:125]
	scratch_store_b64 off, v[122:123], off offset:16
.LBB58_19:
	s_wait_xcnt 0x0
	s_or_b32 exec_lo, exec_lo, s1
	s_wait_storecnt 0x0
	s_barrier_signal -1
	s_barrier_wait -1
	scratch_load_b64 v[122:123], off, off offset:24
	v_add_nc_u32_e32 v3, -1, v0
	s_mov_b32 s0, exec_lo
	s_wait_loadcnt 0x0
	ds_store_b64 v1, v[122:123]
	s_wait_dscnt 0x0
	s_barrier_signal -1
	s_barrier_wait -1
	v_cmpx_gt_u32_e32 3, v0
	s_cbranch_execz .LBB58_23
; %bb.20:
	v_mov_b64_e32 v[122:123], 0
	v_dual_add_nc_u32 v9, -1, v0 :: v_dual_mov_b32 v13, v2
	v_add_nc_u32_e32 v11, 0x1e0, v2
	s_mov_b32 s1, 0
.LBB58_21:                              ; =>This Inner Loop Header: Depth=1
	scratch_load_b64 v[124:125], v13, off
	ds_load_b64 v[126:127], v11
	v_dual_add_nc_u32 v9, 1, v9 :: v_dual_add_nc_u32 v11, 8, v11
	s_wait_xcnt 0x0
	v_add_nc_u32_e32 v13, 8, v13
	s_delay_alu instid0(VALU_DEP_2)
	v_cmp_lt_u32_e32 vcc_lo, 1, v9
	s_or_b32 s1, vcc_lo, s1
	s_wait_loadcnt_dscnt 0x0
	v_fmac_f64_e32 v[122:123], v[124:125], v[126:127]
	s_and_not1_b32 exec_lo, exec_lo, s1
	s_cbranch_execnz .LBB58_21
; %bb.22:
	s_or_b32 exec_lo, exec_lo, s1
	v_mov_b32_e32 v9, 0
	ds_load_b64 v[124:125], v9 offset:24
	s_wait_dscnt 0x0
	v_mul_f64_e32 v[122:123], v[122:123], v[124:125]
	scratch_store_b64 off, v[122:123], off offset:24
.LBB58_23:
	s_wait_xcnt 0x0
	s_or_b32 exec_lo, exec_lo, s0
	s_wait_storecnt 0x0
	s_barrier_signal -1
	s_barrier_wait -1
	scratch_load_b64 v[122:123], off, off offset:32
	s_mov_b32 s0, exec_lo
	s_wait_loadcnt 0x0
	ds_store_b64 v1, v[122:123]
	s_wait_dscnt 0x0
	s_barrier_signal -1
	s_barrier_wait -1
	v_cmpx_gt_u32_e32 4, v0
	s_cbranch_execz .LBB58_27
; %bb.24:
	v_mov_b64_e32 v[122:123], 0
	v_dual_add_nc_u32 v9, -1, v0 :: v_dual_mov_b32 v13, v2
	v_add_nc_u32_e32 v11, 0x1e0, v2
	s_mov_b32 s1, 0
.LBB58_25:                              ; =>This Inner Loop Header: Depth=1
	scratch_load_b64 v[124:125], v13, off
	ds_load_b64 v[126:127], v11
	v_dual_add_nc_u32 v9, 1, v9 :: v_dual_add_nc_u32 v11, 8, v11
	s_wait_xcnt 0x0
	v_add_nc_u32_e32 v13, 8, v13
	s_delay_alu instid0(VALU_DEP_2)
	v_cmp_lt_u32_e32 vcc_lo, 2, v9
	s_or_b32 s1, vcc_lo, s1
	s_wait_loadcnt_dscnt 0x0
	v_fmac_f64_e32 v[122:123], v[124:125], v[126:127]
	s_and_not1_b32 exec_lo, exec_lo, s1
	s_cbranch_execnz .LBB58_25
; %bb.26:
	s_or_b32 exec_lo, exec_lo, s1
	v_mov_b32_e32 v9, 0
	ds_load_b64 v[124:125], v9 offset:32
	s_wait_dscnt 0x0
	v_mul_f64_e32 v[122:123], v[122:123], v[124:125]
	scratch_store_b64 off, v[122:123], off offset:32
.LBB58_27:
	s_wait_xcnt 0x0
	s_or_b32 exec_lo, exec_lo, s0
	s_wait_storecnt 0x0
	s_barrier_signal -1
	s_barrier_wait -1
	scratch_load_b64 v[122:123], off, off offset:40
	;; [unrolled: 40-line block ×20, first 2 shown]
	s_mov_b32 s0, exec_lo
	s_wait_loadcnt 0x0
	ds_store_b64 v1, v[122:123]
	s_wait_dscnt 0x0
	s_barrier_signal -1
	s_barrier_wait -1
	v_cmpx_gt_u32_e32 23, v0
	s_cbranch_execz .LBB58_103
; %bb.100:
	v_mov_b64_e32 v[122:123], 0
	v_dual_add_nc_u32 v9, -1, v0 :: v_dual_mov_b32 v13, v2
	v_add_nc_u32_e32 v11, 0x1e0, v2
	s_mov_b32 s1, 0
.LBB58_101:                             ; =>This Inner Loop Header: Depth=1
	scratch_load_b64 v[124:125], v13, off
	ds_load_b64 v[126:127], v11
	v_dual_add_nc_u32 v9, 1, v9 :: v_dual_add_nc_u32 v11, 8, v11
	s_wait_xcnt 0x0
	v_add_nc_u32_e32 v13, 8, v13
	s_delay_alu instid0(VALU_DEP_2)
	v_cmp_lt_u32_e32 vcc_lo, 21, v9
	s_or_b32 s1, vcc_lo, s1
	s_wait_loadcnt_dscnt 0x0
	v_fmac_f64_e32 v[122:123], v[124:125], v[126:127]
	s_and_not1_b32 exec_lo, exec_lo, s1
	s_cbranch_execnz .LBB58_101
; %bb.102:
	s_or_b32 exec_lo, exec_lo, s1
	v_mov_b32_e32 v9, 0
	ds_load_b64 v[124:125], v9 offset:184
	s_wait_dscnt 0x0
	v_mul_f64_e32 v[122:123], v[122:123], v[124:125]
	scratch_store_b64 off, v[122:123], off offset:184
.LBB58_103:
	s_wait_xcnt 0x0
	s_or_b32 exec_lo, exec_lo, s0
	s_wait_storecnt 0x0
	s_barrier_signal -1
	s_barrier_wait -1
	scratch_load_b64 v[122:123], off, off offset:192
	s_mov_b32 s0, exec_lo
	s_wait_loadcnt 0x0
	ds_store_b64 v1, v[122:123]
	s_wait_dscnt 0x0
	s_barrier_signal -1
	s_barrier_wait -1
	v_cmpx_gt_u32_e32 24, v0
	s_cbranch_execz .LBB58_107
; %bb.104:
	v_mov_b64_e32 v[122:123], 0
	v_dual_add_nc_u32 v9, -1, v0 :: v_dual_mov_b32 v13, v2
	v_add_nc_u32_e32 v11, 0x1e0, v2
	s_mov_b32 s1, 0
.LBB58_105:                             ; =>This Inner Loop Header: Depth=1
	scratch_load_b64 v[124:125], v13, off
	ds_load_b64 v[126:127], v11
	v_dual_add_nc_u32 v9, 1, v9 :: v_dual_add_nc_u32 v11, 8, v11
	s_wait_xcnt 0x0
	v_add_nc_u32_e32 v13, 8, v13
	s_delay_alu instid0(VALU_DEP_2)
	v_cmp_lt_u32_e32 vcc_lo, 22, v9
	s_or_b32 s1, vcc_lo, s1
	s_wait_loadcnt_dscnt 0x0
	v_fmac_f64_e32 v[122:123], v[124:125], v[126:127]
	s_and_not1_b32 exec_lo, exec_lo, s1
	s_cbranch_execnz .LBB58_105
; %bb.106:
	s_or_b32 exec_lo, exec_lo, s1
	v_mov_b32_e32 v9, 0
	ds_load_b64 v[124:125], v9 offset:192
	s_wait_dscnt 0x0
	v_mul_f64_e32 v[122:123], v[122:123], v[124:125]
	scratch_store_b64 off, v[122:123], off offset:192
.LBB58_107:
	s_wait_xcnt 0x0
	s_or_b32 exec_lo, exec_lo, s0
	s_wait_storecnt 0x0
	s_barrier_signal -1
	s_barrier_wait -1
	scratch_load_b64 v[122:123], off, off offset:200
	;; [unrolled: 40-line block ×35, first 2 shown]
	s_mov_b32 s0, exec_lo
	s_wait_loadcnt 0x0
	ds_store_b64 v1, v[122:123]
	s_wait_dscnt 0x0
	s_barrier_signal -1
	s_barrier_wait -1
	v_cmpx_ne_u32_e32 58, v0
	s_cbranch_execz .LBB58_243
; %bb.240:
	v_mov_b64_e32 v[122:123], 0
	s_mov_b32 s1, 0
.LBB58_241:                             ; =>This Inner Loop Header: Depth=1
	scratch_load_b64 v[124:125], v2, off
	ds_load_b64 v[126:127], v1
	v_dual_add_nc_u32 v3, 1, v3 :: v_dual_add_nc_u32 v1, 8, v1
	s_wait_xcnt 0x0
	v_add_nc_u32_e32 v2, 8, v2
	s_delay_alu instid0(VALU_DEP_2)
	v_cmp_lt_u32_e32 vcc_lo, 56, v3
	s_or_b32 s1, vcc_lo, s1
	s_wait_loadcnt_dscnt 0x0
	v_fmac_f64_e32 v[122:123], v[124:125], v[126:127]
	s_and_not1_b32 exec_lo, exec_lo, s1
	s_cbranch_execnz .LBB58_241
; %bb.242:
	s_or_b32 exec_lo, exec_lo, s1
	v_mov_b32_e32 v1, 0
	ds_load_b64 v[2:3], v1 offset:464
	s_wait_dscnt 0x0
	v_mul_f64_e32 v[2:3], v[122:123], v[2:3]
	scratch_store_b64 off, v[2:3], off offset:464
.LBB58_243:
	s_wait_xcnt 0x0
	s_or_b32 exec_lo, exec_lo, s0
	s_mov_b32 s1, -1
	s_wait_storecnt 0x0
	s_barrier_signal -1
	s_barrier_wait -1
.LBB58_244:
	s_and_b32 vcc_lo, exec_lo, s1
	s_cbranch_vccz .LBB58_246
; %bb.245:
	v_mov_b32_e32 v1, 0
	s_lshl_b64 s[0:1], s[18:19], 2
	s_delay_alu instid0(SALU_CYCLE_1)
	s_add_nc_u64 s[0:1], s[6:7], s[0:1]
	global_load_b32 v1, v1, s[0:1]
	s_wait_loadcnt 0x0
	v_cmp_ne_u32_e32 vcc_lo, 0, v1
	s_cbranch_vccz .LBB58_247
.LBB58_246:
	s_sendmsg sendmsg(MSG_DEALLOC_VGPRS)
	s_endpgm
.LBB58_247:
	s_wait_xcnt 0x0
	v_lshl_add_u32 v1, v0, 3, 0x1e0
	s_mov_b32 s0, exec_lo
	v_cmpx_eq_u32_e32 58, v0
	s_cbranch_execz .LBB58_249
; %bb.248:
	scratch_load_b64 v[2:3], off, off offset:456
	v_mov_b64_e32 v[122:123], 0
	scratch_store_b64 off, v[122:123], off offset:456
	s_wait_loadcnt 0x0
	ds_store_b64 v1, v[2:3]
.LBB58_249:
	s_wait_xcnt 0x0
	s_or_b32 exec_lo, exec_lo, s0
	s_wait_storecnt_dscnt 0x0
	s_barrier_signal -1
	s_barrier_wait -1
	scratch_load_b128 v[122:125], off, off offset:456
	v_mov_b32_e32 v2, 0
	s_mov_b32 s0, exec_lo
	ds_load_b64 v[126:127], v2 offset:944
	s_wait_loadcnt_dscnt 0x0
	v_fma_f64 v[124:125], v[124:125], v[126:127], 0
	s_delay_alu instid0(VALU_DEP_1)
	v_add_f64_e64 v[122:123], v[122:123], -v[124:125]
	scratch_store_b64 off, v[122:123], off offset:456
	s_wait_xcnt 0x0
	v_cmpx_lt_u32_e32 56, v0
	s_cbranch_execz .LBB58_251
; %bb.250:
	scratch_load_b64 v[122:123], off, off offset:448
	v_mov_b64_e32 v[124:125], 0
	scratch_store_b64 off, v[124:125], off offset:448
	s_wait_loadcnt 0x0
	ds_store_b64 v1, v[122:123]
.LBB58_251:
	s_wait_xcnt 0x0
	s_or_b32 exec_lo, exec_lo, s0
	s_wait_storecnt_dscnt 0x0
	s_barrier_signal -1
	s_barrier_wait -1
	s_clause 0x1
	scratch_load_b128 v[122:125], off, off offset:448
	scratch_load_b64 v[130:131], off, off offset:464
	ds_load_2addr_b64 v[126:129], v2 offset0:117 offset1:118
	s_mov_b32 s0, exec_lo
	s_wait_loadcnt_dscnt 0x100
	v_fma_f64 v[2:3], v[124:125], v[126:127], 0
	s_wait_loadcnt 0x0
	s_delay_alu instid0(VALU_DEP_1) | instskip(NEXT) | instid1(VALU_DEP_1)
	v_fmac_f64_e32 v[2:3], v[130:131], v[128:129]
	v_add_f64_e64 v[2:3], v[122:123], -v[2:3]
	scratch_store_b64 off, v[2:3], off offset:448
	s_wait_xcnt 0x0
	v_cmpx_lt_u32_e32 55, v0
	s_cbranch_execz .LBB58_253
; %bb.252:
	scratch_load_b64 v[2:3], off, off offset:440
	v_mov_b64_e32 v[122:123], 0
	scratch_store_b64 off, v[122:123], off offset:440
	s_wait_loadcnt 0x0
	ds_store_b64 v1, v[2:3]
.LBB58_253:
	s_wait_xcnt 0x0
	s_or_b32 exec_lo, exec_lo, s0
	s_wait_storecnt_dscnt 0x0
	s_barrier_signal -1
	s_barrier_wait -1
	s_clause 0x1
	scratch_load_b128 v[122:125], off, off offset:440
	scratch_load_b128 v[126:129], off, off offset:456
	v_mov_b32_e32 v2, 0
	ds_load_b128 v[130:133], v2 offset:928
	ds_load_b64 v[134:135], v2 offset:944
	s_mov_b32 s0, exec_lo
	s_wait_loadcnt_dscnt 0x101
	v_fma_f64 v[124:125], v[124:125], v[130:131], 0
	s_wait_loadcnt 0x0
	s_delay_alu instid0(VALU_DEP_1) | instskip(SKIP_1) | instid1(VALU_DEP_1)
	v_fmac_f64_e32 v[124:125], v[126:127], v[132:133]
	s_wait_dscnt 0x0
	v_fmac_f64_e32 v[124:125], v[128:129], v[134:135]
	s_delay_alu instid0(VALU_DEP_1)
	v_add_f64_e64 v[122:123], v[122:123], -v[124:125]
	scratch_store_b64 off, v[122:123], off offset:440
	s_wait_xcnt 0x0
	v_cmpx_lt_u32_e32 54, v0
	s_cbranch_execz .LBB58_255
; %bb.254:
	scratch_load_b64 v[122:123], off, off offset:432
	v_mov_b64_e32 v[124:125], 0
	scratch_store_b64 off, v[124:125], off offset:432
	s_wait_loadcnt 0x0
	ds_store_b64 v1, v[122:123]
.LBB58_255:
	s_wait_xcnt 0x0
	s_or_b32 exec_lo, exec_lo, s0
	s_wait_storecnt_dscnt 0x0
	s_barrier_signal -1
	s_barrier_wait -1
	s_clause 0x2
	scratch_load_b128 v[122:125], off, off offset:432
	scratch_load_b128 v[126:129], off, off offset:448
	scratch_load_b64 v[138:139], off, off offset:464
	ds_load_2addr_b64 v[130:133], v2 offset0:115 offset1:116
	ds_load_2addr_b64 v[134:137], v2 offset0:117 offset1:118
	s_mov_b32 s0, exec_lo
	s_wait_loadcnt_dscnt 0x201
	v_fma_f64 v[2:3], v[124:125], v[130:131], 0
	s_wait_loadcnt 0x1
	s_delay_alu instid0(VALU_DEP_1) | instskip(SKIP_1) | instid1(VALU_DEP_1)
	v_fmac_f64_e32 v[2:3], v[126:127], v[132:133]
	s_wait_dscnt 0x0
	v_fmac_f64_e32 v[2:3], v[128:129], v[134:135]
	s_wait_loadcnt 0x0
	s_delay_alu instid0(VALU_DEP_1) | instskip(NEXT) | instid1(VALU_DEP_1)
	v_fmac_f64_e32 v[2:3], v[138:139], v[136:137]
	v_add_f64_e64 v[2:3], v[122:123], -v[2:3]
	scratch_store_b64 off, v[2:3], off offset:432
	s_wait_xcnt 0x0
	v_cmpx_lt_u32_e32 53, v0
	s_cbranch_execz .LBB58_257
; %bb.256:
	scratch_load_b64 v[2:3], off, off offset:424
	v_mov_b64_e32 v[122:123], 0
	scratch_store_b64 off, v[122:123], off offset:424
	s_wait_loadcnt 0x0
	ds_store_b64 v1, v[2:3]
.LBB58_257:
	s_wait_xcnt 0x0
	s_or_b32 exec_lo, exec_lo, s0
	s_wait_storecnt_dscnt 0x0
	s_barrier_signal -1
	s_barrier_wait -1
	s_clause 0x2
	scratch_load_b128 v[122:125], off, off offset:424
	scratch_load_b128 v[126:129], off, off offset:440
	scratch_load_b128 v[130:133], off, off offset:456
	v_mov_b32_e32 v2, 0
	ds_load_b128 v[134:137], v2 offset:912
	ds_load_b128 v[138:141], v2 offset:928
	s_mov_b32 s0, exec_lo
	s_wait_loadcnt_dscnt 0x201
	v_fma_f64 v[124:125], v[124:125], v[134:135], 0
	s_wait_loadcnt 0x1
	s_delay_alu instid0(VALU_DEP_1) | instskip(SKIP_4) | instid1(VALU_DEP_1)
	v_fmac_f64_e32 v[124:125], v[126:127], v[136:137]
	ds_load_b64 v[126:127], v2 offset:944
	s_wait_dscnt 0x1
	v_fmac_f64_e32 v[124:125], v[128:129], v[138:139]
	s_wait_loadcnt 0x0
	v_fmac_f64_e32 v[124:125], v[130:131], v[140:141]
	s_wait_dscnt 0x0
	s_delay_alu instid0(VALU_DEP_1) | instskip(NEXT) | instid1(VALU_DEP_1)
	v_fmac_f64_e32 v[124:125], v[132:133], v[126:127]
	v_add_f64_e64 v[122:123], v[122:123], -v[124:125]
	scratch_store_b64 off, v[122:123], off offset:424
	s_wait_xcnt 0x0
	v_cmpx_lt_u32_e32 52, v0
	s_cbranch_execz .LBB58_259
; %bb.258:
	scratch_load_b64 v[122:123], off, off offset:416
	v_mov_b64_e32 v[124:125], 0
	scratch_store_b64 off, v[124:125], off offset:416
	s_wait_loadcnt 0x0
	ds_store_b64 v1, v[122:123]
.LBB58_259:
	s_wait_xcnt 0x0
	s_or_b32 exec_lo, exec_lo, s0
	s_wait_storecnt_dscnt 0x0
	s_barrier_signal -1
	s_barrier_wait -1
	s_clause 0x3
	scratch_load_b128 v[122:125], off, off offset:416
	scratch_load_b128 v[126:129], off, off offset:432
	;; [unrolled: 1-line block ×3, first 2 shown]
	scratch_load_b64 v[142:143], off, off offset:464
	ds_load_2addr_b64 v[134:137], v2 offset0:113 offset1:114
	ds_load_2addr_b64 v[138:141], v2 offset0:115 offset1:116
	s_mov_b32 s0, exec_lo
	s_wait_loadcnt_dscnt 0x301
	v_fma_f64 v[134:135], v[124:125], v[134:135], 0
	s_wait_loadcnt 0x2
	s_delay_alu instid0(VALU_DEP_1) | instskip(SKIP_4) | instid1(VALU_DEP_1)
	v_fmac_f64_e32 v[134:135], v[126:127], v[136:137]
	ds_load_2addr_b64 v[124:127], v2 offset0:117 offset1:118
	s_wait_dscnt 0x1
	v_fmac_f64_e32 v[134:135], v[128:129], v[138:139]
	s_wait_loadcnt 0x1
	v_fmac_f64_e32 v[134:135], v[130:131], v[140:141]
	s_wait_dscnt 0x0
	s_delay_alu instid0(VALU_DEP_1) | instskip(SKIP_1) | instid1(VALU_DEP_1)
	v_fmac_f64_e32 v[134:135], v[132:133], v[124:125]
	s_wait_loadcnt 0x0
	v_fmac_f64_e32 v[134:135], v[142:143], v[126:127]
	s_delay_alu instid0(VALU_DEP_1)
	v_add_f64_e64 v[2:3], v[122:123], -v[134:135]
	scratch_store_b64 off, v[2:3], off offset:416
	s_wait_xcnt 0x0
	v_cmpx_lt_u32_e32 51, v0
	s_cbranch_execz .LBB58_261
; %bb.260:
	scratch_load_b64 v[2:3], off, off offset:408
	v_mov_b64_e32 v[122:123], 0
	scratch_store_b64 off, v[122:123], off offset:408
	s_wait_loadcnt 0x0
	ds_store_b64 v1, v[2:3]
.LBB58_261:
	s_wait_xcnt 0x0
	s_or_b32 exec_lo, exec_lo, s0
	s_wait_storecnt_dscnt 0x0
	s_barrier_signal -1
	s_barrier_wait -1
	s_clause 0x3
	scratch_load_b128 v[122:125], off, off offset:408
	scratch_load_b128 v[126:129], off, off offset:424
	scratch_load_b128 v[130:133], off, off offset:440
	scratch_load_b128 v[134:137], off, off offset:456
	v_mov_b32_e32 v2, 0
	ds_load_b128 v[138:141], v2 offset:896
	ds_load_b128 v[142:145], v2 offset:912
	s_mov_b32 s0, exec_lo
	s_wait_loadcnt_dscnt 0x301
	v_fma_f64 v[138:139], v[124:125], v[138:139], 0
	s_wait_loadcnt 0x2
	s_delay_alu instid0(VALU_DEP_1) | instskip(SKIP_1) | instid1(VALU_DEP_1)
	v_fmac_f64_e32 v[138:139], v[126:127], v[140:141]
	s_wait_dscnt 0x0
	v_fmac_f64_e32 v[138:139], v[128:129], v[142:143]
	ds_load_b128 v[124:127], v2 offset:928
	ds_load_b64 v[128:129], v2 offset:944
	s_wait_loadcnt 0x1
	v_fmac_f64_e32 v[138:139], v[130:131], v[144:145]
	s_wait_dscnt 0x1
	s_delay_alu instid0(VALU_DEP_1) | instskip(SKIP_1) | instid1(VALU_DEP_1)
	v_fmac_f64_e32 v[138:139], v[132:133], v[124:125]
	s_wait_loadcnt 0x0
	v_fmac_f64_e32 v[138:139], v[134:135], v[126:127]
	s_wait_dscnt 0x0
	s_delay_alu instid0(VALU_DEP_1) | instskip(NEXT) | instid1(VALU_DEP_1)
	v_fmac_f64_e32 v[138:139], v[136:137], v[128:129]
	v_add_f64_e64 v[122:123], v[122:123], -v[138:139]
	scratch_store_b64 off, v[122:123], off offset:408
	s_wait_xcnt 0x0
	v_cmpx_lt_u32_e32 50, v0
	s_cbranch_execz .LBB58_263
; %bb.262:
	scratch_load_b64 v[122:123], off, off offset:400
	v_mov_b64_e32 v[124:125], 0
	scratch_store_b64 off, v[124:125], off offset:400
	s_wait_loadcnt 0x0
	ds_store_b64 v1, v[122:123]
.LBB58_263:
	s_wait_xcnt 0x0
	s_or_b32 exec_lo, exec_lo, s0
	s_wait_storecnt_dscnt 0x0
	s_barrier_signal -1
	s_barrier_wait -1
	s_clause 0x4
	scratch_load_b128 v[122:125], off, off offset:400
	scratch_load_b128 v[126:129], off, off offset:416
	;; [unrolled: 1-line block ×4, first 2 shown]
	scratch_load_b64 v[146:147], off, off offset:464
	ds_load_2addr_b64 v[138:141], v2 offset0:111 offset1:112
	ds_load_2addr_b64 v[142:145], v2 offset0:113 offset1:114
	s_mov_b32 s0, exec_lo
	s_wait_loadcnt_dscnt 0x401
	v_fma_f64 v[138:139], v[124:125], v[138:139], 0
	s_wait_loadcnt 0x3
	s_delay_alu instid0(VALU_DEP_1) | instskip(SKIP_1) | instid1(VALU_DEP_1)
	v_fmac_f64_e32 v[138:139], v[126:127], v[140:141]
	s_wait_dscnt 0x0
	v_fmac_f64_e32 v[138:139], v[128:129], v[142:143]
	s_wait_loadcnt 0x2
	s_delay_alu instid0(VALU_DEP_1)
	v_fmac_f64_e32 v[138:139], v[130:131], v[144:145]
	ds_load_2addr_b64 v[124:127], v2 offset0:115 offset1:116
	ds_load_2addr_b64 v[128:131], v2 offset0:117 offset1:118
	s_wait_dscnt 0x1
	v_fmac_f64_e32 v[138:139], v[132:133], v[124:125]
	s_wait_loadcnt 0x1
	s_delay_alu instid0(VALU_DEP_1) | instskip(SKIP_1) | instid1(VALU_DEP_1)
	v_fmac_f64_e32 v[138:139], v[134:135], v[126:127]
	s_wait_dscnt 0x0
	v_fmac_f64_e32 v[138:139], v[136:137], v[128:129]
	s_wait_loadcnt 0x0
	s_delay_alu instid0(VALU_DEP_1) | instskip(NEXT) | instid1(VALU_DEP_1)
	v_fmac_f64_e32 v[138:139], v[146:147], v[130:131]
	v_add_f64_e64 v[2:3], v[122:123], -v[138:139]
	scratch_store_b64 off, v[2:3], off offset:400
	s_wait_xcnt 0x0
	v_cmpx_lt_u32_e32 49, v0
	s_cbranch_execz .LBB58_265
; %bb.264:
	scratch_load_b64 v[2:3], off, off offset:392
	v_mov_b64_e32 v[122:123], 0
	scratch_store_b64 off, v[122:123], off offset:392
	s_wait_loadcnt 0x0
	ds_store_b64 v1, v[2:3]
.LBB58_265:
	s_wait_xcnt 0x0
	s_or_b32 exec_lo, exec_lo, s0
	s_wait_storecnt_dscnt 0x0
	s_barrier_signal -1
	s_barrier_wait -1
	s_clause 0x4
	scratch_load_b128 v[122:125], off, off offset:392
	scratch_load_b128 v[126:129], off, off offset:408
	;; [unrolled: 1-line block ×5, first 2 shown]
	v_mov_b32_e32 v2, 0
	ds_load_b128 v[142:145], v2 offset:880
	ds_load_b128 v[146:149], v2 offset:896
	s_mov_b32 s0, exec_lo
	s_wait_loadcnt_dscnt 0x401
	v_fma_f64 v[142:143], v[124:125], v[142:143], 0
	s_wait_loadcnt 0x3
	s_delay_alu instid0(VALU_DEP_1) | instskip(SKIP_1) | instid1(VALU_DEP_1)
	v_fmac_f64_e32 v[142:143], v[126:127], v[144:145]
	s_wait_dscnt 0x0
	v_fmac_f64_e32 v[142:143], v[128:129], v[146:147]
	s_wait_loadcnt 0x2
	s_delay_alu instid0(VALU_DEP_1)
	v_fmac_f64_e32 v[142:143], v[130:131], v[148:149]
	ds_load_b128 v[124:127], v2 offset:912
	ds_load_b128 v[128:131], v2 offset:928
	s_wait_dscnt 0x1
	v_fmac_f64_e32 v[142:143], v[132:133], v[124:125]
	ds_load_b64 v[124:125], v2 offset:944
	s_wait_loadcnt 0x1
	v_fmac_f64_e32 v[142:143], v[134:135], v[126:127]
	s_wait_dscnt 0x1
	s_delay_alu instid0(VALU_DEP_1) | instskip(SKIP_1) | instid1(VALU_DEP_1)
	v_fmac_f64_e32 v[142:143], v[136:137], v[128:129]
	s_wait_loadcnt 0x0
	v_fmac_f64_e32 v[142:143], v[138:139], v[130:131]
	s_wait_dscnt 0x0
	s_delay_alu instid0(VALU_DEP_1) | instskip(NEXT) | instid1(VALU_DEP_1)
	v_fmac_f64_e32 v[142:143], v[140:141], v[124:125]
	v_add_f64_e64 v[122:123], v[122:123], -v[142:143]
	scratch_store_b64 off, v[122:123], off offset:392
	s_wait_xcnt 0x0
	v_cmpx_lt_u32_e32 48, v0
	s_cbranch_execz .LBB58_267
; %bb.266:
	scratch_load_b64 v[122:123], off, off offset:384
	v_mov_b64_e32 v[124:125], 0
	scratch_store_b64 off, v[124:125], off offset:384
	s_wait_loadcnt 0x0
	ds_store_b64 v1, v[122:123]
.LBB58_267:
	s_wait_xcnt 0x0
	s_or_b32 exec_lo, exec_lo, s0
	s_wait_storecnt_dscnt 0x0
	s_barrier_signal -1
	s_barrier_wait -1
	s_clause 0x5
	scratch_load_b128 v[122:125], off, off offset:384
	scratch_load_b128 v[126:129], off, off offset:400
	;; [unrolled: 1-line block ×5, first 2 shown]
	scratch_load_b64 v[150:151], off, off offset:464
	ds_load_2addr_b64 v[142:145], v2 offset0:109 offset1:110
	ds_load_2addr_b64 v[146:149], v2 offset0:111 offset1:112
	s_mov_b32 s0, exec_lo
	s_wait_loadcnt_dscnt 0x501
	v_fma_f64 v[142:143], v[124:125], v[142:143], 0
	s_wait_loadcnt 0x4
	s_delay_alu instid0(VALU_DEP_1) | instskip(SKIP_1) | instid1(VALU_DEP_1)
	v_fmac_f64_e32 v[142:143], v[126:127], v[144:145]
	s_wait_dscnt 0x0
	v_fmac_f64_e32 v[142:143], v[128:129], v[146:147]
	s_wait_loadcnt 0x3
	s_delay_alu instid0(VALU_DEP_1)
	v_fmac_f64_e32 v[142:143], v[130:131], v[148:149]
	ds_load_2addr_b64 v[124:127], v2 offset0:113 offset1:114
	ds_load_2addr_b64 v[128:131], v2 offset0:115 offset1:116
	s_wait_dscnt 0x1
	v_fmac_f64_e32 v[142:143], v[132:133], v[124:125]
	s_wait_loadcnt 0x2
	s_delay_alu instid0(VALU_DEP_1) | instskip(SKIP_4) | instid1(VALU_DEP_1)
	v_fmac_f64_e32 v[142:143], v[134:135], v[126:127]
	ds_load_2addr_b64 v[124:127], v2 offset0:117 offset1:118
	s_wait_dscnt 0x1
	v_fmac_f64_e32 v[142:143], v[136:137], v[128:129]
	s_wait_loadcnt 0x1
	v_fmac_f64_e32 v[142:143], v[138:139], v[130:131]
	s_wait_dscnt 0x0
	s_delay_alu instid0(VALU_DEP_1) | instskip(SKIP_1) | instid1(VALU_DEP_1)
	v_fmac_f64_e32 v[142:143], v[140:141], v[124:125]
	s_wait_loadcnt 0x0
	v_fmac_f64_e32 v[142:143], v[150:151], v[126:127]
	s_delay_alu instid0(VALU_DEP_1)
	v_add_f64_e64 v[2:3], v[122:123], -v[142:143]
	scratch_store_b64 off, v[2:3], off offset:384
	s_wait_xcnt 0x0
	v_cmpx_lt_u32_e32 47, v0
	s_cbranch_execz .LBB58_269
; %bb.268:
	scratch_load_b64 v[2:3], off, off offset:376
	v_mov_b64_e32 v[122:123], 0
	scratch_store_b64 off, v[122:123], off offset:376
	s_wait_loadcnt 0x0
	ds_store_b64 v1, v[2:3]
.LBB58_269:
	s_wait_xcnt 0x0
	s_or_b32 exec_lo, exec_lo, s0
	s_wait_storecnt_dscnt 0x0
	s_barrier_signal -1
	s_barrier_wait -1
	s_clause 0x5
	scratch_load_b128 v[122:125], off, off offset:376
	scratch_load_b128 v[126:129], off, off offset:392
	;; [unrolled: 1-line block ×6, first 2 shown]
	v_mov_b32_e32 v2, 0
	ds_load_b128 v[146:149], v2 offset:864
	ds_load_b128 v[150:153], v2 offset:880
	s_mov_b32 s0, exec_lo
	s_wait_loadcnt_dscnt 0x501
	v_fma_f64 v[146:147], v[124:125], v[146:147], 0
	s_wait_loadcnt 0x4
	s_delay_alu instid0(VALU_DEP_1) | instskip(SKIP_1) | instid1(VALU_DEP_1)
	v_fmac_f64_e32 v[146:147], v[126:127], v[148:149]
	s_wait_dscnt 0x0
	v_fmac_f64_e32 v[146:147], v[128:129], v[150:151]
	s_wait_loadcnt 0x3
	s_delay_alu instid0(VALU_DEP_1)
	v_fmac_f64_e32 v[146:147], v[130:131], v[152:153]
	ds_load_b128 v[124:127], v2 offset:896
	ds_load_b128 v[128:131], v2 offset:912
	s_wait_dscnt 0x1
	v_fmac_f64_e32 v[146:147], v[132:133], v[124:125]
	s_wait_loadcnt 0x2
	s_delay_alu instid0(VALU_DEP_1) | instskip(SKIP_1) | instid1(VALU_DEP_1)
	v_fmac_f64_e32 v[146:147], v[134:135], v[126:127]
	s_wait_dscnt 0x0
	v_fmac_f64_e32 v[146:147], v[136:137], v[128:129]
	ds_load_b128 v[124:127], v2 offset:928
	ds_load_b64 v[128:129], v2 offset:944
	s_wait_loadcnt 0x1
	v_fmac_f64_e32 v[146:147], v[138:139], v[130:131]
	s_wait_dscnt 0x1
	s_delay_alu instid0(VALU_DEP_1) | instskip(SKIP_1) | instid1(VALU_DEP_1)
	v_fmac_f64_e32 v[146:147], v[140:141], v[124:125]
	s_wait_loadcnt 0x0
	v_fmac_f64_e32 v[146:147], v[142:143], v[126:127]
	s_wait_dscnt 0x0
	s_delay_alu instid0(VALU_DEP_1) | instskip(NEXT) | instid1(VALU_DEP_1)
	v_fmac_f64_e32 v[146:147], v[144:145], v[128:129]
	v_add_f64_e64 v[122:123], v[122:123], -v[146:147]
	scratch_store_b64 off, v[122:123], off offset:376
	s_wait_xcnt 0x0
	v_cmpx_lt_u32_e32 46, v0
	s_cbranch_execz .LBB58_271
; %bb.270:
	scratch_load_b64 v[122:123], off, off offset:368
	v_mov_b64_e32 v[124:125], 0
	scratch_store_b64 off, v[124:125], off offset:368
	s_wait_loadcnt 0x0
	ds_store_b64 v1, v[122:123]
.LBB58_271:
	s_wait_xcnt 0x0
	s_or_b32 exec_lo, exec_lo, s0
	s_wait_storecnt_dscnt 0x0
	s_barrier_signal -1
	s_barrier_wait -1
	s_clause 0x5
	scratch_load_b128 v[122:125], off, off offset:368
	scratch_load_b128 v[126:129], off, off offset:384
	;; [unrolled: 1-line block ×6, first 2 shown]
	ds_load_2addr_b64 v[146:149], v2 offset0:107 offset1:108
	ds_load_2addr_b64 v[150:153], v2 offset0:109 offset1:110
	s_mov_b32 s0, exec_lo
	s_wait_loadcnt_dscnt 0x501
	v_fma_f64 v[146:147], v[124:125], v[146:147], 0
	s_wait_loadcnt 0x4
	s_delay_alu instid0(VALU_DEP_1) | instskip(SKIP_4) | instid1(VALU_DEP_1)
	v_fmac_f64_e32 v[146:147], v[126:127], v[148:149]
	scratch_load_b64 v[148:149], off, off offset:464
	s_wait_dscnt 0x0
	v_fmac_f64_e32 v[146:147], v[128:129], v[150:151]
	s_wait_loadcnt 0x4
	v_fmac_f64_e32 v[146:147], v[130:131], v[152:153]
	ds_load_2addr_b64 v[124:127], v2 offset0:111 offset1:112
	ds_load_2addr_b64 v[128:131], v2 offset0:113 offset1:114
	s_wait_dscnt 0x1
	v_fmac_f64_e32 v[146:147], v[132:133], v[124:125]
	s_wait_loadcnt 0x3
	s_delay_alu instid0(VALU_DEP_1) | instskip(SKIP_1) | instid1(VALU_DEP_1)
	v_fmac_f64_e32 v[146:147], v[134:135], v[126:127]
	s_wait_dscnt 0x0
	v_fmac_f64_e32 v[146:147], v[136:137], v[128:129]
	s_wait_loadcnt 0x2
	s_delay_alu instid0(VALU_DEP_1)
	v_fmac_f64_e32 v[146:147], v[138:139], v[130:131]
	ds_load_2addr_b64 v[124:127], v2 offset0:115 offset1:116
	ds_load_2addr_b64 v[128:131], v2 offset0:117 offset1:118
	s_wait_dscnt 0x1
	v_fmac_f64_e32 v[146:147], v[140:141], v[124:125]
	s_wait_loadcnt 0x1
	s_delay_alu instid0(VALU_DEP_1) | instskip(SKIP_1) | instid1(VALU_DEP_1)
	v_fmac_f64_e32 v[146:147], v[142:143], v[126:127]
	s_wait_dscnt 0x0
	v_fmac_f64_e32 v[146:147], v[144:145], v[128:129]
	s_wait_loadcnt 0x0
	s_delay_alu instid0(VALU_DEP_1) | instskip(NEXT) | instid1(VALU_DEP_1)
	v_fmac_f64_e32 v[146:147], v[148:149], v[130:131]
	v_add_f64_e64 v[2:3], v[122:123], -v[146:147]
	scratch_store_b64 off, v[2:3], off offset:368
	s_wait_xcnt 0x0
	v_cmpx_lt_u32_e32 45, v0
	s_cbranch_execz .LBB58_273
; %bb.272:
	scratch_load_b64 v[2:3], off, off offset:360
	v_mov_b64_e32 v[122:123], 0
	scratch_store_b64 off, v[122:123], off offset:360
	s_wait_loadcnt 0x0
	ds_store_b64 v1, v[2:3]
.LBB58_273:
	s_wait_xcnt 0x0
	s_or_b32 exec_lo, exec_lo, s0
	s_wait_storecnt_dscnt 0x0
	s_barrier_signal -1
	s_barrier_wait -1
	s_clause 0x5
	scratch_load_b128 v[122:125], off, off offset:360
	scratch_load_b128 v[126:129], off, off offset:376
	;; [unrolled: 1-line block ×6, first 2 shown]
	v_mov_b32_e32 v2, 0
	ds_load_b128 v[146:149], v2 offset:848
	ds_load_b128 v[150:153], v2 offset:864
	s_mov_b32 s0, exec_lo
	s_wait_loadcnt_dscnt 0x501
	v_fma_f64 v[154:155], v[124:125], v[146:147], 0
	s_wait_loadcnt 0x4
	s_delay_alu instid0(VALU_DEP_1) | instskip(SKIP_4) | instid1(VALU_DEP_1)
	v_fmac_f64_e32 v[154:155], v[126:127], v[148:149]
	scratch_load_b128 v[124:127], off, off offset:456
	s_wait_dscnt 0x0
	v_fmac_f64_e32 v[154:155], v[128:129], v[150:151]
	s_wait_loadcnt 0x4
	v_fmac_f64_e32 v[154:155], v[130:131], v[152:153]
	ds_load_b128 v[128:131], v2 offset:880
	ds_load_b128 v[146:149], v2 offset:896
	s_wait_dscnt 0x1
	v_fmac_f64_e32 v[154:155], v[132:133], v[128:129]
	s_wait_loadcnt 0x3
	s_delay_alu instid0(VALU_DEP_1)
	v_fmac_f64_e32 v[154:155], v[134:135], v[130:131]
	ds_load_b128 v[128:131], v2 offset:912
	ds_load_b128 v[132:135], v2 offset:928
	s_wait_dscnt 0x2
	v_fmac_f64_e32 v[154:155], v[136:137], v[146:147]
	s_wait_loadcnt 0x2
	s_delay_alu instid0(VALU_DEP_1) | instskip(SKIP_1) | instid1(VALU_DEP_1)
	v_fmac_f64_e32 v[154:155], v[138:139], v[148:149]
	s_wait_dscnt 0x1
	v_fmac_f64_e32 v[154:155], v[140:141], v[128:129]
	s_wait_loadcnt 0x1
	s_delay_alu instid0(VALU_DEP_1) | instskip(SKIP_1) | instid1(VALU_DEP_1)
	v_fmac_f64_e32 v[154:155], v[142:143], v[130:131]
	s_wait_dscnt 0x0
	v_fmac_f64_e32 v[154:155], v[144:145], v[132:133]
	s_wait_loadcnt 0x0
	s_delay_alu instid0(VALU_DEP_1) | instskip(SKIP_3) | instid1(VALU_DEP_1)
	v_fmac_f64_e32 v[154:155], v[124:125], v[134:135]
	ds_load_b64 v[124:125], v2 offset:944
	s_wait_dscnt 0x0
	v_fmac_f64_e32 v[154:155], v[126:127], v[124:125]
	v_add_f64_e64 v[122:123], v[122:123], -v[154:155]
	scratch_store_b64 off, v[122:123], off offset:360
	s_wait_xcnt 0x0
	v_cmpx_lt_u32_e32 44, v0
	s_cbranch_execz .LBB58_275
; %bb.274:
	scratch_load_b64 v[122:123], off, off offset:352
	v_mov_b64_e32 v[124:125], 0
	scratch_store_b64 off, v[124:125], off offset:352
	s_wait_loadcnt 0x0
	ds_store_b64 v1, v[122:123]
.LBB58_275:
	s_wait_xcnt 0x0
	s_or_b32 exec_lo, exec_lo, s0
	s_wait_storecnt_dscnt 0x0
	s_barrier_signal -1
	s_barrier_wait -1
	s_clause 0x5
	scratch_load_b128 v[122:125], off, off offset:352
	scratch_load_b128 v[126:129], off, off offset:368
	;; [unrolled: 1-line block ×6, first 2 shown]
	ds_load_2addr_b64 v[146:149], v2 offset0:105 offset1:106
	ds_load_2addr_b64 v[150:153], v2 offset0:107 offset1:108
	s_mov_b32 s0, exec_lo
	s_wait_loadcnt_dscnt 0x501
	v_fma_f64 v[154:155], v[124:125], v[146:147], 0
	s_wait_loadcnt 0x4
	s_delay_alu instid0(VALU_DEP_1)
	v_fmac_f64_e32 v[154:155], v[126:127], v[148:149]
	scratch_load_b128 v[124:127], off, off offset:448
	s_wait_dscnt 0x0
	v_fmac_f64_e32 v[154:155], v[128:129], v[150:151]
	scratch_load_b64 v[150:151], off, off offset:464
	s_wait_loadcnt 0x5
	v_fmac_f64_e32 v[154:155], v[130:131], v[152:153]
	ds_load_2addr_b64 v[128:131], v2 offset0:109 offset1:110
	ds_load_2addr_b64 v[146:149], v2 offset0:111 offset1:112
	s_wait_dscnt 0x1
	v_fmac_f64_e32 v[154:155], v[132:133], v[128:129]
	s_wait_loadcnt 0x4
	s_delay_alu instid0(VALU_DEP_1)
	v_fmac_f64_e32 v[154:155], v[134:135], v[130:131]
	ds_load_2addr_b64 v[128:131], v2 offset0:113 offset1:114
	ds_load_2addr_b64 v[132:135], v2 offset0:115 offset1:116
	s_wait_dscnt 0x2
	v_fmac_f64_e32 v[154:155], v[136:137], v[146:147]
	s_wait_loadcnt 0x3
	s_delay_alu instid0(VALU_DEP_1) | instskip(SKIP_1) | instid1(VALU_DEP_1)
	v_fmac_f64_e32 v[154:155], v[138:139], v[148:149]
	s_wait_dscnt 0x1
	v_fmac_f64_e32 v[154:155], v[140:141], v[128:129]
	s_wait_loadcnt 0x2
	s_delay_alu instid0(VALU_DEP_1) | instskip(SKIP_4) | instid1(VALU_DEP_1)
	v_fmac_f64_e32 v[154:155], v[142:143], v[130:131]
	ds_load_2addr_b64 v[128:131], v2 offset0:117 offset1:118
	s_wait_dscnt 0x1
	v_fmac_f64_e32 v[154:155], v[144:145], v[132:133]
	s_wait_loadcnt 0x1
	v_fmac_f64_e32 v[154:155], v[124:125], v[134:135]
	s_wait_dscnt 0x0
	s_delay_alu instid0(VALU_DEP_1) | instskip(SKIP_1) | instid1(VALU_DEP_1)
	v_fmac_f64_e32 v[154:155], v[126:127], v[128:129]
	s_wait_loadcnt 0x0
	v_fmac_f64_e32 v[154:155], v[150:151], v[130:131]
	s_delay_alu instid0(VALU_DEP_1)
	v_add_f64_e64 v[2:3], v[122:123], -v[154:155]
	scratch_store_b64 off, v[2:3], off offset:352
	s_wait_xcnt 0x0
	v_cmpx_lt_u32_e32 43, v0
	s_cbranch_execz .LBB58_277
; %bb.276:
	scratch_load_b64 v[2:3], off, off offset:344
	v_mov_b64_e32 v[122:123], 0
	scratch_store_b64 off, v[122:123], off offset:344
	s_wait_loadcnt 0x0
	ds_store_b64 v1, v[2:3]
.LBB58_277:
	s_wait_xcnt 0x0
	s_or_b32 exec_lo, exec_lo, s0
	s_wait_storecnt_dscnt 0x0
	s_barrier_signal -1
	s_barrier_wait -1
	s_clause 0x5
	scratch_load_b128 v[122:125], off, off offset:344
	scratch_load_b128 v[126:129], off, off offset:360
	;; [unrolled: 1-line block ×6, first 2 shown]
	v_mov_b32_e32 v2, 0
	ds_load_b128 v[146:149], v2 offset:832
	ds_load_b128 v[150:153], v2 offset:848
	s_mov_b32 s0, exec_lo
	s_wait_loadcnt_dscnt 0x501
	v_fma_f64 v[154:155], v[124:125], v[146:147], 0
	s_wait_loadcnt 0x4
	s_delay_alu instid0(VALU_DEP_1) | instskip(SKIP_4) | instid1(VALU_DEP_1)
	v_fmac_f64_e32 v[154:155], v[126:127], v[148:149]
	scratch_load_b128 v[124:127], off, off offset:440
	s_wait_dscnt 0x0
	v_fmac_f64_e32 v[154:155], v[128:129], v[150:151]
	s_wait_loadcnt 0x4
	v_fmac_f64_e32 v[154:155], v[130:131], v[152:153]
	scratch_load_b128 v[128:131], off, off offset:456
	ds_load_b128 v[146:149], v2 offset:864
	ds_load_b128 v[150:153], v2 offset:880
	s_wait_dscnt 0x1
	v_fmac_f64_e32 v[154:155], v[132:133], v[146:147]
	s_wait_loadcnt 0x4
	s_delay_alu instid0(VALU_DEP_1) | instskip(SKIP_1) | instid1(VALU_DEP_1)
	v_fmac_f64_e32 v[154:155], v[134:135], v[148:149]
	s_wait_dscnt 0x0
	v_fmac_f64_e32 v[154:155], v[136:137], v[150:151]
	s_wait_loadcnt 0x3
	s_delay_alu instid0(VALU_DEP_1)
	v_fmac_f64_e32 v[154:155], v[138:139], v[152:153]
	ds_load_b128 v[132:135], v2 offset:896
	ds_load_b128 v[136:139], v2 offset:912
	s_wait_dscnt 0x1
	v_fmac_f64_e32 v[154:155], v[140:141], v[132:133]
	s_wait_loadcnt 0x2
	s_delay_alu instid0(VALU_DEP_1) | instskip(SKIP_1) | instid1(VALU_DEP_1)
	v_fmac_f64_e32 v[154:155], v[142:143], v[134:135]
	s_wait_dscnt 0x0
	v_fmac_f64_e32 v[154:155], v[144:145], v[136:137]
	s_wait_loadcnt 0x1
	s_delay_alu instid0(VALU_DEP_1)
	v_fmac_f64_e32 v[154:155], v[124:125], v[138:139]
	ds_load_b128 v[132:135], v2 offset:928
	ds_load_b64 v[124:125], v2 offset:944
	s_wait_dscnt 0x1
	v_fmac_f64_e32 v[154:155], v[126:127], v[132:133]
	s_wait_loadcnt 0x0
	s_delay_alu instid0(VALU_DEP_1) | instskip(SKIP_1) | instid1(VALU_DEP_1)
	v_fmac_f64_e32 v[154:155], v[128:129], v[134:135]
	s_wait_dscnt 0x0
	v_fmac_f64_e32 v[154:155], v[130:131], v[124:125]
	s_delay_alu instid0(VALU_DEP_1)
	v_add_f64_e64 v[122:123], v[122:123], -v[154:155]
	scratch_store_b64 off, v[122:123], off offset:344
	s_wait_xcnt 0x0
	v_cmpx_lt_u32_e32 42, v0
	s_cbranch_execz .LBB58_279
; %bb.278:
	scratch_load_b64 v[122:123], off, off offset:336
	v_mov_b64_e32 v[124:125], 0
	scratch_store_b64 off, v[124:125], off offset:336
	s_wait_loadcnt 0x0
	ds_store_b64 v1, v[122:123]
.LBB58_279:
	s_wait_xcnt 0x0
	s_or_b32 exec_lo, exec_lo, s0
	s_wait_storecnt_dscnt 0x0
	s_barrier_signal -1
	s_barrier_wait -1
	s_clause 0x5
	scratch_load_b128 v[122:125], off, off offset:336
	scratch_load_b128 v[126:129], off, off offset:352
	;; [unrolled: 1-line block ×6, first 2 shown]
	ds_load_2addr_b64 v[146:149], v2 offset0:103 offset1:104
	ds_load_2addr_b64 v[150:153], v2 offset0:105 offset1:106
	s_mov_b32 s0, exec_lo
	s_wait_loadcnt_dscnt 0x501
	v_fma_f64 v[154:155], v[124:125], v[146:147], 0
	s_wait_loadcnt 0x4
	s_delay_alu instid0(VALU_DEP_1) | instskip(SKIP_4) | instid1(VALU_DEP_1)
	v_fmac_f64_e32 v[154:155], v[126:127], v[148:149]
	scratch_load_b128 v[124:127], off, off offset:432
	s_wait_dscnt 0x0
	v_fmac_f64_e32 v[154:155], v[128:129], v[150:151]
	s_wait_loadcnt 0x4
	v_fmac_f64_e32 v[154:155], v[130:131], v[152:153]
	scratch_load_b128 v[128:131], off, off offset:448
	ds_load_2addr_b64 v[146:149], v2 offset0:107 offset1:108
	ds_load_2addr_b64 v[150:153], v2 offset0:109 offset1:110
	s_wait_dscnt 0x1
	v_fmac_f64_e32 v[154:155], v[132:133], v[146:147]
	scratch_load_b64 v[146:147], off, off offset:464
	s_wait_loadcnt 0x5
	v_fmac_f64_e32 v[154:155], v[134:135], v[148:149]
	s_wait_dscnt 0x0
	s_delay_alu instid0(VALU_DEP_1) | instskip(SKIP_1) | instid1(VALU_DEP_1)
	v_fmac_f64_e32 v[154:155], v[136:137], v[150:151]
	s_wait_loadcnt 0x4
	v_fmac_f64_e32 v[154:155], v[138:139], v[152:153]
	ds_load_2addr_b64 v[132:135], v2 offset0:111 offset1:112
	ds_load_2addr_b64 v[136:139], v2 offset0:113 offset1:114
	s_wait_dscnt 0x1
	v_fmac_f64_e32 v[154:155], v[140:141], v[132:133]
	s_wait_loadcnt 0x3
	s_delay_alu instid0(VALU_DEP_1) | instskip(SKIP_1) | instid1(VALU_DEP_1)
	v_fmac_f64_e32 v[154:155], v[142:143], v[134:135]
	s_wait_dscnt 0x0
	v_fmac_f64_e32 v[154:155], v[144:145], v[136:137]
	s_wait_loadcnt 0x2
	s_delay_alu instid0(VALU_DEP_1)
	v_fmac_f64_e32 v[154:155], v[124:125], v[138:139]
	ds_load_2addr_b64 v[132:135], v2 offset0:115 offset1:116
	ds_load_2addr_b64 v[136:139], v2 offset0:117 offset1:118
	s_wait_dscnt 0x1
	v_fmac_f64_e32 v[154:155], v[126:127], v[132:133]
	s_wait_loadcnt 0x1
	s_delay_alu instid0(VALU_DEP_1) | instskip(SKIP_1) | instid1(VALU_DEP_1)
	v_fmac_f64_e32 v[154:155], v[128:129], v[134:135]
	s_wait_dscnt 0x0
	v_fmac_f64_e32 v[154:155], v[130:131], v[136:137]
	s_wait_loadcnt 0x0
	s_delay_alu instid0(VALU_DEP_1) | instskip(NEXT) | instid1(VALU_DEP_1)
	v_fmac_f64_e32 v[154:155], v[146:147], v[138:139]
	v_add_f64_e64 v[2:3], v[122:123], -v[154:155]
	scratch_store_b64 off, v[2:3], off offset:336
	s_wait_xcnt 0x0
	v_cmpx_lt_u32_e32 41, v0
	s_cbranch_execz .LBB58_281
; %bb.280:
	scratch_load_b64 v[2:3], off, off offset:328
	v_mov_b64_e32 v[122:123], 0
	scratch_store_b64 off, v[122:123], off offset:328
	s_wait_loadcnt 0x0
	ds_store_b64 v1, v[2:3]
.LBB58_281:
	s_wait_xcnt 0x0
	s_or_b32 exec_lo, exec_lo, s0
	s_wait_storecnt_dscnt 0x0
	s_barrier_signal -1
	s_barrier_wait -1
	s_clause 0x5
	scratch_load_b128 v[122:125], off, off offset:328
	scratch_load_b128 v[126:129], off, off offset:344
	;; [unrolled: 1-line block ×6, first 2 shown]
	v_mov_b32_e32 v2, 0
	ds_load_b128 v[146:149], v2 offset:816
	ds_load_b128 v[150:153], v2 offset:832
	s_mov_b32 s0, exec_lo
	s_wait_loadcnt_dscnt 0x501
	v_fma_f64 v[154:155], v[124:125], v[146:147], 0
	s_wait_loadcnt 0x4
	s_delay_alu instid0(VALU_DEP_1) | instskip(SKIP_4) | instid1(VALU_DEP_1)
	v_fmac_f64_e32 v[154:155], v[126:127], v[148:149]
	scratch_load_b128 v[124:127], off, off offset:424
	s_wait_dscnt 0x0
	v_fmac_f64_e32 v[154:155], v[128:129], v[150:151]
	s_wait_loadcnt 0x4
	v_fmac_f64_e32 v[154:155], v[130:131], v[152:153]
	scratch_load_b128 v[128:131], off, off offset:440
	ds_load_b128 v[146:149], v2 offset:848
	ds_load_b128 v[150:153], v2 offset:864
	s_wait_dscnt 0x1
	v_fmac_f64_e32 v[154:155], v[132:133], v[146:147]
	s_wait_loadcnt 0x4
	s_delay_alu instid0(VALU_DEP_1) | instskip(SKIP_4) | instid1(VALU_DEP_1)
	v_fmac_f64_e32 v[154:155], v[134:135], v[148:149]
	scratch_load_b128 v[132:135], off, off offset:456
	s_wait_dscnt 0x0
	v_fmac_f64_e32 v[154:155], v[136:137], v[150:151]
	s_wait_loadcnt 0x4
	v_fmac_f64_e32 v[154:155], v[138:139], v[152:153]
	ds_load_b128 v[136:139], v2 offset:880
	ds_load_b128 v[146:149], v2 offset:896
	s_wait_dscnt 0x1
	v_fmac_f64_e32 v[154:155], v[140:141], v[136:137]
	s_wait_loadcnt 0x3
	s_delay_alu instid0(VALU_DEP_1)
	v_fmac_f64_e32 v[154:155], v[142:143], v[138:139]
	ds_load_b128 v[136:139], v2 offset:912
	ds_load_b128 v[140:143], v2 offset:928
	s_wait_dscnt 0x2
	v_fmac_f64_e32 v[154:155], v[144:145], v[146:147]
	s_wait_loadcnt 0x2
	s_delay_alu instid0(VALU_DEP_1) | instskip(SKIP_4) | instid1(VALU_DEP_1)
	v_fmac_f64_e32 v[154:155], v[124:125], v[148:149]
	ds_load_b64 v[124:125], v2 offset:944
	s_wait_dscnt 0x2
	v_fmac_f64_e32 v[154:155], v[126:127], v[136:137]
	s_wait_loadcnt 0x1
	v_fmac_f64_e32 v[154:155], v[128:129], v[138:139]
	s_wait_dscnt 0x1
	s_delay_alu instid0(VALU_DEP_1) | instskip(SKIP_1) | instid1(VALU_DEP_1)
	v_fmac_f64_e32 v[154:155], v[130:131], v[140:141]
	s_wait_loadcnt 0x0
	v_fmac_f64_e32 v[154:155], v[132:133], v[142:143]
	s_wait_dscnt 0x0
	s_delay_alu instid0(VALU_DEP_1) | instskip(NEXT) | instid1(VALU_DEP_1)
	v_fmac_f64_e32 v[154:155], v[134:135], v[124:125]
	v_add_f64_e64 v[122:123], v[122:123], -v[154:155]
	scratch_store_b64 off, v[122:123], off offset:328
	s_wait_xcnt 0x0
	v_cmpx_lt_u32_e32 40, v0
	s_cbranch_execz .LBB58_283
; %bb.282:
	scratch_load_b64 v[122:123], off, off offset:320
	v_mov_b64_e32 v[124:125], 0
	scratch_store_b64 off, v[124:125], off offset:320
	s_wait_loadcnt 0x0
	ds_store_b64 v1, v[122:123]
.LBB58_283:
	s_wait_xcnt 0x0
	s_or_b32 exec_lo, exec_lo, s0
	s_wait_storecnt_dscnt 0x0
	s_barrier_signal -1
	s_barrier_wait -1
	s_clause 0x5
	scratch_load_b128 v[122:125], off, off offset:320
	scratch_load_b128 v[126:129], off, off offset:336
	;; [unrolled: 1-line block ×6, first 2 shown]
	ds_load_2addr_b64 v[146:149], v2 offset0:101 offset1:102
	ds_load_2addr_b64 v[150:153], v2 offset0:103 offset1:104
	s_mov_b32 s0, exec_lo
	s_wait_loadcnt_dscnt 0x501
	v_fma_f64 v[154:155], v[124:125], v[146:147], 0
	s_wait_loadcnt 0x4
	s_delay_alu instid0(VALU_DEP_1) | instskip(SKIP_4) | instid1(VALU_DEP_1)
	v_fmac_f64_e32 v[154:155], v[126:127], v[148:149]
	scratch_load_b128 v[124:127], off, off offset:416
	s_wait_dscnt 0x0
	v_fmac_f64_e32 v[154:155], v[128:129], v[150:151]
	s_wait_loadcnt 0x4
	v_fmac_f64_e32 v[154:155], v[130:131], v[152:153]
	scratch_load_b128 v[128:131], off, off offset:432
	ds_load_2addr_b64 v[146:149], v2 offset0:105 offset1:106
	ds_load_2addr_b64 v[150:153], v2 offset0:107 offset1:108
	s_wait_dscnt 0x1
	v_fmac_f64_e32 v[154:155], v[132:133], v[146:147]
	s_wait_loadcnt 0x4
	s_delay_alu instid0(VALU_DEP_1)
	v_fmac_f64_e32 v[154:155], v[134:135], v[148:149]
	scratch_load_b128 v[132:135], off, off offset:448
	s_wait_dscnt 0x0
	v_fmac_f64_e32 v[154:155], v[136:137], v[150:151]
	scratch_load_b64 v[150:151], off, off offset:464
	s_wait_loadcnt 0x5
	v_fmac_f64_e32 v[154:155], v[138:139], v[152:153]
	ds_load_2addr_b64 v[136:139], v2 offset0:109 offset1:110
	ds_load_2addr_b64 v[146:149], v2 offset0:111 offset1:112
	s_wait_dscnt 0x1
	v_fmac_f64_e32 v[154:155], v[140:141], v[136:137]
	s_wait_loadcnt 0x4
	s_delay_alu instid0(VALU_DEP_1)
	v_fmac_f64_e32 v[154:155], v[142:143], v[138:139]
	ds_load_2addr_b64 v[136:139], v2 offset0:113 offset1:114
	ds_load_2addr_b64 v[140:143], v2 offset0:115 offset1:116
	s_wait_dscnt 0x2
	v_fmac_f64_e32 v[154:155], v[144:145], v[146:147]
	s_wait_loadcnt 0x3
	s_delay_alu instid0(VALU_DEP_1) | instskip(SKIP_1) | instid1(VALU_DEP_1)
	v_fmac_f64_e32 v[154:155], v[124:125], v[148:149]
	s_wait_dscnt 0x1
	v_fmac_f64_e32 v[154:155], v[126:127], v[136:137]
	ds_load_2addr_b64 v[124:127], v2 offset0:117 offset1:118
	s_wait_loadcnt 0x2
	v_fmac_f64_e32 v[154:155], v[128:129], v[138:139]
	s_wait_dscnt 0x1
	s_delay_alu instid0(VALU_DEP_1) | instskip(SKIP_1) | instid1(VALU_DEP_1)
	v_fmac_f64_e32 v[154:155], v[130:131], v[140:141]
	s_wait_loadcnt 0x1
	v_fmac_f64_e32 v[154:155], v[132:133], v[142:143]
	s_wait_dscnt 0x0
	s_delay_alu instid0(VALU_DEP_1) | instskip(SKIP_1) | instid1(VALU_DEP_1)
	v_fmac_f64_e32 v[154:155], v[134:135], v[124:125]
	s_wait_loadcnt 0x0
	v_fmac_f64_e32 v[154:155], v[150:151], v[126:127]
	s_delay_alu instid0(VALU_DEP_1)
	v_add_f64_e64 v[2:3], v[122:123], -v[154:155]
	scratch_store_b64 off, v[2:3], off offset:320
	s_wait_xcnt 0x0
	v_cmpx_lt_u32_e32 39, v0
	s_cbranch_execz .LBB58_285
; %bb.284:
	scratch_load_b64 v[2:3], off, off offset:312
	v_mov_b64_e32 v[122:123], 0
	scratch_store_b64 off, v[122:123], off offset:312
	s_wait_loadcnt 0x0
	ds_store_b64 v1, v[2:3]
.LBB58_285:
	s_wait_xcnt 0x0
	s_or_b32 exec_lo, exec_lo, s0
	s_wait_storecnt_dscnt 0x0
	s_barrier_signal -1
	s_barrier_wait -1
	s_clause 0x5
	scratch_load_b128 v[122:125], off, off offset:312
	scratch_load_b128 v[126:129], off, off offset:328
	;; [unrolled: 1-line block ×6, first 2 shown]
	v_mov_b32_e32 v2, 0
	ds_load_b128 v[146:149], v2 offset:800
	ds_load_b128 v[150:153], v2 offset:816
	s_mov_b32 s0, exec_lo
	s_wait_loadcnt_dscnt 0x501
	v_fma_f64 v[154:155], v[124:125], v[146:147], 0
	s_wait_loadcnt 0x4
	s_delay_alu instid0(VALU_DEP_1) | instskip(SKIP_4) | instid1(VALU_DEP_1)
	v_fmac_f64_e32 v[154:155], v[126:127], v[148:149]
	scratch_load_b128 v[124:127], off, off offset:408
	s_wait_dscnt 0x0
	v_fmac_f64_e32 v[154:155], v[128:129], v[150:151]
	s_wait_loadcnt 0x4
	v_fmac_f64_e32 v[154:155], v[130:131], v[152:153]
	scratch_load_b128 v[128:131], off, off offset:424
	ds_load_b128 v[146:149], v2 offset:832
	ds_load_b128 v[150:153], v2 offset:848
	s_wait_dscnt 0x1
	v_fmac_f64_e32 v[154:155], v[132:133], v[146:147]
	s_wait_loadcnt 0x4
	s_delay_alu instid0(VALU_DEP_1) | instskip(SKIP_4) | instid1(VALU_DEP_1)
	v_fmac_f64_e32 v[154:155], v[134:135], v[148:149]
	scratch_load_b128 v[132:135], off, off offset:440
	s_wait_dscnt 0x0
	v_fmac_f64_e32 v[154:155], v[136:137], v[150:151]
	s_wait_loadcnt 0x4
	v_fmac_f64_e32 v[154:155], v[138:139], v[152:153]
	scratch_load_b128 v[136:139], off, off offset:456
	ds_load_b128 v[146:149], v2 offset:864
	ds_load_b128 v[150:153], v2 offset:880
	s_wait_dscnt 0x1
	v_fmac_f64_e32 v[154:155], v[140:141], v[146:147]
	s_wait_loadcnt 0x4
	s_delay_alu instid0(VALU_DEP_1) | instskip(SKIP_1) | instid1(VALU_DEP_1)
	v_fmac_f64_e32 v[154:155], v[142:143], v[148:149]
	s_wait_dscnt 0x0
	v_fmac_f64_e32 v[154:155], v[144:145], v[150:151]
	ds_load_b128 v[140:143], v2 offset:896
	ds_load_b128 v[144:147], v2 offset:912
	s_wait_loadcnt 0x3
	v_fmac_f64_e32 v[154:155], v[124:125], v[152:153]
	s_wait_dscnt 0x1
	s_delay_alu instid0(VALU_DEP_1) | instskip(SKIP_1) | instid1(VALU_DEP_1)
	v_fmac_f64_e32 v[154:155], v[126:127], v[140:141]
	s_wait_loadcnt 0x2
	v_fmac_f64_e32 v[154:155], v[128:129], v[142:143]
	ds_load_b128 v[124:127], v2 offset:928
	ds_load_b64 v[128:129], v2 offset:944
	s_wait_dscnt 0x2
	v_fmac_f64_e32 v[154:155], v[130:131], v[144:145]
	s_wait_loadcnt 0x1
	s_delay_alu instid0(VALU_DEP_1) | instskip(SKIP_1) | instid1(VALU_DEP_1)
	v_fmac_f64_e32 v[154:155], v[132:133], v[146:147]
	s_wait_dscnt 0x1
	v_fmac_f64_e32 v[154:155], v[134:135], v[124:125]
	s_wait_loadcnt 0x0
	s_delay_alu instid0(VALU_DEP_1) | instskip(SKIP_1) | instid1(VALU_DEP_1)
	v_fmac_f64_e32 v[154:155], v[136:137], v[126:127]
	s_wait_dscnt 0x0
	v_fmac_f64_e32 v[154:155], v[138:139], v[128:129]
	s_delay_alu instid0(VALU_DEP_1)
	v_add_f64_e64 v[122:123], v[122:123], -v[154:155]
	scratch_store_b64 off, v[122:123], off offset:312
	s_wait_xcnt 0x0
	v_cmpx_lt_u32_e32 38, v0
	s_cbranch_execz .LBB58_287
; %bb.286:
	scratch_load_b64 v[122:123], off, off offset:304
	v_mov_b64_e32 v[124:125], 0
	scratch_store_b64 off, v[124:125], off offset:304
	s_wait_loadcnt 0x0
	ds_store_b64 v1, v[122:123]
.LBB58_287:
	s_wait_xcnt 0x0
	s_or_b32 exec_lo, exec_lo, s0
	s_wait_storecnt_dscnt 0x0
	s_barrier_signal -1
	s_barrier_wait -1
	s_clause 0x5
	scratch_load_b128 v[122:125], off, off offset:304
	scratch_load_b128 v[126:129], off, off offset:320
	scratch_load_b128 v[130:133], off, off offset:336
	scratch_load_b128 v[134:137], off, off offset:352
	scratch_load_b128 v[138:141], off, off offset:368
	scratch_load_b128 v[142:145], off, off offset:384
	ds_load_2addr_b64 v[146:149], v2 offset0:99 offset1:100
	ds_load_2addr_b64 v[150:153], v2 offset0:101 offset1:102
	s_mov_b32 s0, exec_lo
	s_wait_loadcnt_dscnt 0x501
	v_fma_f64 v[154:155], v[124:125], v[146:147], 0
	s_wait_loadcnt 0x4
	s_delay_alu instid0(VALU_DEP_1) | instskip(SKIP_4) | instid1(VALU_DEP_1)
	v_fmac_f64_e32 v[154:155], v[126:127], v[148:149]
	scratch_load_b128 v[124:127], off, off offset:400
	s_wait_dscnt 0x0
	v_fmac_f64_e32 v[154:155], v[128:129], v[150:151]
	s_wait_loadcnt 0x4
	v_fmac_f64_e32 v[154:155], v[130:131], v[152:153]
	scratch_load_b128 v[128:131], off, off offset:416
	ds_load_2addr_b64 v[146:149], v2 offset0:103 offset1:104
	ds_load_2addr_b64 v[150:153], v2 offset0:105 offset1:106
	s_wait_dscnt 0x1
	v_fmac_f64_e32 v[154:155], v[132:133], v[146:147]
	s_wait_loadcnt 0x4
	s_delay_alu instid0(VALU_DEP_1) | instskip(SKIP_4) | instid1(VALU_DEP_1)
	v_fmac_f64_e32 v[154:155], v[134:135], v[148:149]
	scratch_load_b128 v[132:135], off, off offset:432
	s_wait_dscnt 0x0
	v_fmac_f64_e32 v[154:155], v[136:137], v[150:151]
	s_wait_loadcnt 0x4
	v_fmac_f64_e32 v[154:155], v[138:139], v[152:153]
	scratch_load_b128 v[136:139], off, off offset:448
	ds_load_2addr_b64 v[146:149], v2 offset0:107 offset1:108
	ds_load_2addr_b64 v[150:153], v2 offset0:109 offset1:110
	s_wait_dscnt 0x1
	v_fmac_f64_e32 v[154:155], v[140:141], v[146:147]
	s_wait_loadcnt 0x4
	s_delay_alu instid0(VALU_DEP_1)
	v_fmac_f64_e32 v[154:155], v[142:143], v[148:149]
	scratch_load_b64 v[148:149], off, off offset:464
	s_wait_dscnt 0x0
	v_fmac_f64_e32 v[154:155], v[144:145], v[150:151]
	ds_load_2addr_b64 v[140:143], v2 offset0:111 offset1:112
	ds_load_2addr_b64 v[144:147], v2 offset0:113 offset1:114
	s_wait_loadcnt 0x4
	v_fmac_f64_e32 v[154:155], v[124:125], v[152:153]
	s_wait_dscnt 0x1
	s_delay_alu instid0(VALU_DEP_1) | instskip(SKIP_1) | instid1(VALU_DEP_1)
	v_fmac_f64_e32 v[154:155], v[126:127], v[140:141]
	s_wait_loadcnt 0x3
	v_fmac_f64_e32 v[154:155], v[128:129], v[142:143]
	s_wait_dscnt 0x0
	s_delay_alu instid0(VALU_DEP_1)
	v_fmac_f64_e32 v[154:155], v[130:131], v[144:145]
	ds_load_2addr_b64 v[124:127], v2 offset0:115 offset1:116
	ds_load_2addr_b64 v[128:131], v2 offset0:117 offset1:118
	s_wait_loadcnt 0x2
	v_fmac_f64_e32 v[154:155], v[132:133], v[146:147]
	s_wait_dscnt 0x1
	s_delay_alu instid0(VALU_DEP_1) | instskip(SKIP_1) | instid1(VALU_DEP_1)
	v_fmac_f64_e32 v[154:155], v[134:135], v[124:125]
	s_wait_loadcnt 0x1
	v_fmac_f64_e32 v[154:155], v[136:137], v[126:127]
	s_wait_dscnt 0x0
	s_delay_alu instid0(VALU_DEP_1) | instskip(SKIP_1) | instid1(VALU_DEP_1)
	v_fmac_f64_e32 v[154:155], v[138:139], v[128:129]
	s_wait_loadcnt 0x0
	v_fmac_f64_e32 v[154:155], v[148:149], v[130:131]
	s_delay_alu instid0(VALU_DEP_1)
	v_add_f64_e64 v[2:3], v[122:123], -v[154:155]
	scratch_store_b64 off, v[2:3], off offset:304
	s_wait_xcnt 0x0
	v_cmpx_lt_u32_e32 37, v0
	s_cbranch_execz .LBB58_289
; %bb.288:
	scratch_load_b64 v[2:3], off, off offset:296
	v_mov_b64_e32 v[122:123], 0
	scratch_store_b64 off, v[122:123], off offset:296
	s_wait_loadcnt 0x0
	ds_store_b64 v1, v[2:3]
.LBB58_289:
	s_wait_xcnt 0x0
	s_or_b32 exec_lo, exec_lo, s0
	s_wait_storecnt_dscnt 0x0
	s_barrier_signal -1
	s_barrier_wait -1
	s_clause 0x5
	scratch_load_b128 v[122:125], off, off offset:296
	scratch_load_b128 v[126:129], off, off offset:312
	;; [unrolled: 1-line block ×6, first 2 shown]
	v_mov_b32_e32 v2, 0
	ds_load_b128 v[146:149], v2 offset:784
	ds_load_b128 v[150:153], v2 offset:800
	s_mov_b32 s0, exec_lo
	s_wait_loadcnt_dscnt 0x501
	v_fma_f64 v[154:155], v[124:125], v[146:147], 0
	s_wait_loadcnt 0x4
	s_delay_alu instid0(VALU_DEP_1) | instskip(SKIP_4) | instid1(VALU_DEP_1)
	v_fmac_f64_e32 v[154:155], v[126:127], v[148:149]
	scratch_load_b128 v[124:127], off, off offset:392
	s_wait_dscnt 0x0
	v_fmac_f64_e32 v[154:155], v[128:129], v[150:151]
	s_wait_loadcnt 0x4
	v_fmac_f64_e32 v[154:155], v[130:131], v[152:153]
	scratch_load_b128 v[128:131], off, off offset:408
	ds_load_b128 v[146:149], v2 offset:816
	ds_load_b128 v[150:153], v2 offset:832
	s_wait_dscnt 0x1
	v_fmac_f64_e32 v[154:155], v[132:133], v[146:147]
	s_wait_loadcnt 0x4
	s_delay_alu instid0(VALU_DEP_1) | instskip(SKIP_4) | instid1(VALU_DEP_1)
	v_fmac_f64_e32 v[154:155], v[134:135], v[148:149]
	scratch_load_b128 v[132:135], off, off offset:424
	s_wait_dscnt 0x0
	v_fmac_f64_e32 v[154:155], v[136:137], v[150:151]
	s_wait_loadcnt 0x4
	v_fmac_f64_e32 v[154:155], v[138:139], v[152:153]
	scratch_load_b128 v[136:139], off, off offset:440
	ds_load_b128 v[146:149], v2 offset:848
	ds_load_b128 v[150:153], v2 offset:864
	s_wait_dscnt 0x1
	v_fmac_f64_e32 v[154:155], v[140:141], v[146:147]
	s_wait_loadcnt 0x4
	s_delay_alu instid0(VALU_DEP_1)
	v_fmac_f64_e32 v[154:155], v[142:143], v[148:149]
	scratch_load_b128 v[140:143], off, off offset:456
	s_wait_dscnt 0x0
	v_fmac_f64_e32 v[154:155], v[144:145], v[150:151]
	ds_load_b128 v[144:147], v2 offset:880
	ds_load_b128 v[148:151], v2 offset:896
	s_wait_loadcnt 0x4
	v_fmac_f64_e32 v[154:155], v[124:125], v[152:153]
	s_wait_dscnt 0x1
	s_delay_alu instid0(VALU_DEP_1) | instskip(SKIP_1) | instid1(VALU_DEP_1)
	v_fmac_f64_e32 v[154:155], v[126:127], v[144:145]
	s_wait_loadcnt 0x3
	v_fmac_f64_e32 v[154:155], v[128:129], v[146:147]
	s_wait_dscnt 0x0
	s_delay_alu instid0(VALU_DEP_1)
	v_fmac_f64_e32 v[154:155], v[130:131], v[148:149]
	ds_load_b128 v[124:127], v2 offset:912
	ds_load_b128 v[128:131], v2 offset:928
	s_wait_loadcnt 0x2
	v_fmac_f64_e32 v[154:155], v[132:133], v[150:151]
	s_wait_dscnt 0x1
	s_delay_alu instid0(VALU_DEP_1) | instskip(SKIP_4) | instid1(VALU_DEP_1)
	v_fmac_f64_e32 v[154:155], v[134:135], v[124:125]
	ds_load_b64 v[124:125], v2 offset:944
	s_wait_loadcnt 0x1
	v_fmac_f64_e32 v[154:155], v[136:137], v[126:127]
	s_wait_dscnt 0x1
	v_fmac_f64_e32 v[154:155], v[138:139], v[128:129]
	s_wait_loadcnt 0x0
	s_delay_alu instid0(VALU_DEP_1) | instskip(SKIP_1) | instid1(VALU_DEP_1)
	v_fmac_f64_e32 v[154:155], v[140:141], v[130:131]
	s_wait_dscnt 0x0
	v_fmac_f64_e32 v[154:155], v[142:143], v[124:125]
	s_delay_alu instid0(VALU_DEP_1)
	v_add_f64_e64 v[122:123], v[122:123], -v[154:155]
	scratch_store_b64 off, v[122:123], off offset:296
	s_wait_xcnt 0x0
	v_cmpx_lt_u32_e32 36, v0
	s_cbranch_execz .LBB58_291
; %bb.290:
	scratch_load_b64 v[122:123], off, off offset:288
	v_mov_b64_e32 v[124:125], 0
	scratch_store_b64 off, v[124:125], off offset:288
	s_wait_loadcnt 0x0
	ds_store_b64 v1, v[122:123]
.LBB58_291:
	s_wait_xcnt 0x0
	s_or_b32 exec_lo, exec_lo, s0
	s_wait_storecnt_dscnt 0x0
	s_barrier_signal -1
	s_barrier_wait -1
	s_clause 0x5
	scratch_load_b128 v[122:125], off, off offset:288
	scratch_load_b128 v[126:129], off, off offset:304
	;; [unrolled: 1-line block ×6, first 2 shown]
	ds_load_2addr_b64 v[146:149], v2 offset0:97 offset1:98
	ds_load_2addr_b64 v[150:153], v2 offset0:99 offset1:100
	scratch_load_b128 v[154:157], off, off offset:384
	s_mov_b32 s0, exec_lo
	s_wait_loadcnt_dscnt 0x601
	v_fma_f64 v[158:159], v[124:125], v[146:147], 0
	s_wait_loadcnt 0x5
	s_delay_alu instid0(VALU_DEP_1) | instskip(SKIP_4) | instid1(VALU_DEP_1)
	v_fmac_f64_e32 v[158:159], v[126:127], v[148:149]
	scratch_load_b128 v[124:127], off, off offset:400
	s_wait_dscnt 0x0
	v_fmac_f64_e32 v[158:159], v[128:129], v[150:151]
	s_wait_loadcnt 0x5
	v_fmac_f64_e32 v[158:159], v[130:131], v[152:153]
	ds_load_2addr_b64 v[128:131], v2 offset0:101 offset1:102
	ds_load_2addr_b64 v[146:149], v2 offset0:103 offset1:104
	s_wait_dscnt 0x1
	v_fmac_f64_e32 v[158:159], v[132:133], v[128:129]
	s_wait_loadcnt 0x4
	s_delay_alu instid0(VALU_DEP_1)
	v_fmac_f64_e32 v[158:159], v[134:135], v[130:131]
	s_clause 0x1
	scratch_load_b128 v[128:131], off, off offset:416
	scratch_load_b128 v[132:135], off, off offset:432
	s_wait_dscnt 0x0
	v_fmac_f64_e32 v[158:159], v[136:137], v[146:147]
	s_wait_loadcnt 0x5
	s_delay_alu instid0(VALU_DEP_1)
	v_fmac_f64_e32 v[158:159], v[138:139], v[148:149]
	ds_load_2addr_b64 v[136:139], v2 offset0:105 offset1:106
	ds_load_2addr_b64 v[146:149], v2 offset0:107 offset1:108
	s_wait_dscnt 0x1
	v_fmac_f64_e32 v[158:159], v[140:141], v[136:137]
	s_wait_loadcnt 0x4
	s_delay_alu instid0(VALU_DEP_1) | instskip(SKIP_4) | instid1(VALU_DEP_1)
	v_fmac_f64_e32 v[158:159], v[142:143], v[138:139]
	scratch_load_b128 v[136:139], off, off offset:448
	s_wait_dscnt 0x0
	v_fmac_f64_e32 v[158:159], v[144:145], v[146:147]
	s_wait_loadcnt 0x4
	v_fmac_f64_e32 v[158:159], v[154:155], v[148:149]
	scratch_load_b64 v[148:149], off, off offset:464
	ds_load_2addr_b64 v[140:143], v2 offset0:109 offset1:110
	ds_load_2addr_b64 v[144:147], v2 offset0:111 offset1:112
	s_wait_dscnt 0x1
	v_fmac_f64_e32 v[158:159], v[156:157], v[140:141]
	s_wait_loadcnt 0x4
	s_delay_alu instid0(VALU_DEP_1) | instskip(SKIP_1) | instid1(VALU_DEP_1)
	v_fmac_f64_e32 v[158:159], v[124:125], v[142:143]
	s_wait_dscnt 0x0
	v_fmac_f64_e32 v[158:159], v[126:127], v[144:145]
	ds_load_2addr_b64 v[124:127], v2 offset0:113 offset1:114
	ds_load_2addr_b64 v[140:143], v2 offset0:115 offset1:116
	s_wait_loadcnt 0x3
	v_fmac_f64_e32 v[158:159], v[128:129], v[146:147]
	s_wait_dscnt 0x1
	s_delay_alu instid0(VALU_DEP_1) | instskip(SKIP_1) | instid1(VALU_DEP_1)
	v_fmac_f64_e32 v[158:159], v[130:131], v[124:125]
	s_wait_loadcnt 0x2
	v_fmac_f64_e32 v[158:159], v[132:133], v[126:127]
	ds_load_2addr_b64 v[124:127], v2 offset0:117 offset1:118
	s_wait_dscnt 0x1
	v_fmac_f64_e32 v[158:159], v[134:135], v[140:141]
	s_wait_loadcnt 0x1
	s_delay_alu instid0(VALU_DEP_1) | instskip(SKIP_1) | instid1(VALU_DEP_1)
	v_fmac_f64_e32 v[158:159], v[136:137], v[142:143]
	s_wait_dscnt 0x0
	v_fmac_f64_e32 v[158:159], v[138:139], v[124:125]
	s_wait_loadcnt 0x0
	s_delay_alu instid0(VALU_DEP_1) | instskip(NEXT) | instid1(VALU_DEP_1)
	v_fmac_f64_e32 v[158:159], v[148:149], v[126:127]
	v_add_f64_e64 v[2:3], v[122:123], -v[158:159]
	scratch_store_b64 off, v[2:3], off offset:288
	s_wait_xcnt 0x0
	v_cmpx_lt_u32_e32 35, v0
	s_cbranch_execz .LBB58_293
; %bb.292:
	scratch_load_b64 v[2:3], off, off offset:280
	v_mov_b64_e32 v[122:123], 0
	scratch_store_b64 off, v[122:123], off offset:280
	s_wait_loadcnt 0x0
	ds_store_b64 v1, v[2:3]
.LBB58_293:
	s_wait_xcnt 0x0
	s_or_b32 exec_lo, exec_lo, s0
	s_wait_storecnt_dscnt 0x0
	s_barrier_signal -1
	s_barrier_wait -1
	s_clause 0x5
	scratch_load_b128 v[122:125], off, off offset:280
	scratch_load_b128 v[126:129], off, off offset:296
	;; [unrolled: 1-line block ×6, first 2 shown]
	v_mov_b32_e32 v2, 0
	ds_load_b128 v[146:149], v2 offset:768
	ds_load_b128 v[150:153], v2 offset:784
	scratch_load_b128 v[154:157], off, off offset:376
	s_mov_b32 s0, exec_lo
	s_wait_loadcnt_dscnt 0x601
	v_fma_f64 v[158:159], v[124:125], v[146:147], 0
	s_wait_loadcnt 0x5
	s_delay_alu instid0(VALU_DEP_1) | instskip(SKIP_4) | instid1(VALU_DEP_1)
	v_fmac_f64_e32 v[158:159], v[126:127], v[148:149]
	scratch_load_b128 v[124:127], off, off offset:392
	s_wait_dscnt 0x0
	v_fmac_f64_e32 v[158:159], v[128:129], v[150:151]
	s_wait_loadcnt 0x5
	v_fmac_f64_e32 v[158:159], v[130:131], v[152:153]
	ds_load_b128 v[128:131], v2 offset:800
	ds_load_b128 v[146:149], v2 offset:816
	s_wait_dscnt 0x1
	v_fmac_f64_e32 v[158:159], v[132:133], v[128:129]
	s_wait_loadcnt 0x4
	s_delay_alu instid0(VALU_DEP_1)
	v_fmac_f64_e32 v[158:159], v[134:135], v[130:131]
	s_clause 0x1
	scratch_load_b128 v[128:131], off, off offset:408
	scratch_load_b128 v[132:135], off, off offset:424
	s_wait_dscnt 0x0
	v_fmac_f64_e32 v[158:159], v[136:137], v[146:147]
	s_wait_loadcnt 0x5
	s_delay_alu instid0(VALU_DEP_1)
	v_fmac_f64_e32 v[158:159], v[138:139], v[148:149]
	ds_load_b128 v[136:139], v2 offset:832
	ds_load_b128 v[146:149], v2 offset:848
	s_wait_dscnt 0x1
	v_fmac_f64_e32 v[158:159], v[140:141], v[136:137]
	s_wait_loadcnt 0x4
	s_delay_alu instid0(VALU_DEP_1)
	v_fmac_f64_e32 v[158:159], v[142:143], v[138:139]
	s_clause 0x1
	scratch_load_b128 v[136:139], off, off offset:440
	scratch_load_b128 v[140:143], off, off offset:456
	s_wait_dscnt 0x0
	v_fmac_f64_e32 v[158:159], v[144:145], v[146:147]
	s_wait_loadcnt 0x5
	s_delay_alu instid0(VALU_DEP_1)
	v_fmac_f64_e32 v[158:159], v[154:155], v[148:149]
	ds_load_b128 v[144:147], v2 offset:864
	ds_load_b128 v[148:151], v2 offset:880
	s_wait_dscnt 0x1
	v_fmac_f64_e32 v[158:159], v[156:157], v[144:145]
	s_wait_loadcnt 0x4
	s_delay_alu instid0(VALU_DEP_1) | instskip(SKIP_1) | instid1(VALU_DEP_1)
	v_fmac_f64_e32 v[158:159], v[124:125], v[146:147]
	s_wait_dscnt 0x0
	v_fmac_f64_e32 v[158:159], v[126:127], v[148:149]
	ds_load_b128 v[124:127], v2 offset:896
	ds_load_b128 v[144:147], v2 offset:912
	s_wait_loadcnt 0x3
	v_fmac_f64_e32 v[158:159], v[128:129], v[150:151]
	s_wait_dscnt 0x1
	s_delay_alu instid0(VALU_DEP_1) | instskip(SKIP_1) | instid1(VALU_DEP_1)
	v_fmac_f64_e32 v[158:159], v[130:131], v[124:125]
	s_wait_loadcnt 0x2
	v_fmac_f64_e32 v[158:159], v[132:133], v[126:127]
	ds_load_b128 v[124:127], v2 offset:928
	ds_load_b64 v[128:129], v2 offset:944
	s_wait_dscnt 0x2
	v_fmac_f64_e32 v[158:159], v[134:135], v[144:145]
	s_wait_loadcnt 0x1
	s_delay_alu instid0(VALU_DEP_1) | instskip(SKIP_1) | instid1(VALU_DEP_1)
	v_fmac_f64_e32 v[158:159], v[136:137], v[146:147]
	s_wait_dscnt 0x1
	v_fmac_f64_e32 v[158:159], v[138:139], v[124:125]
	s_wait_loadcnt 0x0
	s_delay_alu instid0(VALU_DEP_1) | instskip(SKIP_1) | instid1(VALU_DEP_1)
	v_fmac_f64_e32 v[158:159], v[140:141], v[126:127]
	s_wait_dscnt 0x0
	v_fmac_f64_e32 v[158:159], v[142:143], v[128:129]
	s_delay_alu instid0(VALU_DEP_1)
	v_add_f64_e64 v[122:123], v[122:123], -v[158:159]
	scratch_store_b64 off, v[122:123], off offset:280
	s_wait_xcnt 0x0
	v_cmpx_lt_u32_e32 34, v0
	s_cbranch_execz .LBB58_295
; %bb.294:
	scratch_load_b64 v[122:123], off, off offset:272
	v_mov_b64_e32 v[124:125], 0
	scratch_store_b64 off, v[124:125], off offset:272
	s_wait_loadcnt 0x0
	ds_store_b64 v1, v[122:123]
.LBB58_295:
	s_wait_xcnt 0x0
	s_or_b32 exec_lo, exec_lo, s0
	s_wait_storecnt_dscnt 0x0
	s_barrier_signal -1
	s_barrier_wait -1
	s_clause 0x5
	scratch_load_b128 v[122:125], off, off offset:272
	scratch_load_b128 v[126:129], off, off offset:288
	;; [unrolled: 1-line block ×6, first 2 shown]
	ds_load_2addr_b64 v[146:149], v2 offset0:95 offset1:96
	ds_load_2addr_b64 v[150:153], v2 offset0:97 offset1:98
	scratch_load_b128 v[154:157], off, off offset:368
	s_mov_b32 s0, exec_lo
	s_wait_loadcnt_dscnt 0x601
	v_fma_f64 v[158:159], v[124:125], v[146:147], 0
	s_wait_loadcnt 0x5
	s_delay_alu instid0(VALU_DEP_1) | instskip(SKIP_4) | instid1(VALU_DEP_1)
	v_fmac_f64_e32 v[158:159], v[126:127], v[148:149]
	scratch_load_b128 v[124:127], off, off offset:384
	s_wait_dscnt 0x0
	v_fmac_f64_e32 v[158:159], v[128:129], v[150:151]
	s_wait_loadcnt 0x5
	v_fmac_f64_e32 v[158:159], v[130:131], v[152:153]
	ds_load_2addr_b64 v[128:131], v2 offset0:99 offset1:100
	ds_load_2addr_b64 v[146:149], v2 offset0:101 offset1:102
	s_wait_dscnt 0x1
	v_fmac_f64_e32 v[158:159], v[132:133], v[128:129]
	s_wait_loadcnt 0x4
	s_delay_alu instid0(VALU_DEP_1)
	v_fmac_f64_e32 v[158:159], v[134:135], v[130:131]
	s_clause 0x1
	scratch_load_b128 v[128:131], off, off offset:400
	scratch_load_b128 v[132:135], off, off offset:416
	s_wait_dscnt 0x0
	v_fmac_f64_e32 v[158:159], v[136:137], v[146:147]
	s_wait_loadcnt 0x5
	s_delay_alu instid0(VALU_DEP_1)
	v_fmac_f64_e32 v[158:159], v[138:139], v[148:149]
	ds_load_2addr_b64 v[136:139], v2 offset0:103 offset1:104
	ds_load_2addr_b64 v[146:149], v2 offset0:105 offset1:106
	s_wait_dscnt 0x1
	v_fmac_f64_e32 v[158:159], v[140:141], v[136:137]
	s_wait_loadcnt 0x4
	s_delay_alu instid0(VALU_DEP_1)
	v_fmac_f64_e32 v[158:159], v[142:143], v[138:139]
	s_clause 0x1
	scratch_load_b128 v[136:139], off, off offset:432
	scratch_load_b128 v[140:143], off, off offset:448
	s_wait_dscnt 0x0
	v_fmac_f64_e32 v[158:159], v[144:145], v[146:147]
	s_wait_loadcnt 0x5
	s_delay_alu instid0(VALU_DEP_1)
	v_fmac_f64_e32 v[158:159], v[154:155], v[148:149]
	ds_load_2addr_b64 v[144:147], v2 offset0:107 offset1:108
	ds_load_2addr_b64 v[148:151], v2 offset0:109 offset1:110
	scratch_load_b64 v[152:153], off, off offset:464
	s_wait_dscnt 0x1
	v_fmac_f64_e32 v[158:159], v[156:157], v[144:145]
	s_wait_loadcnt 0x5
	s_delay_alu instid0(VALU_DEP_1) | instskip(SKIP_1) | instid1(VALU_DEP_1)
	v_fmac_f64_e32 v[158:159], v[124:125], v[146:147]
	s_wait_dscnt 0x0
	v_fmac_f64_e32 v[158:159], v[126:127], v[148:149]
	ds_load_2addr_b64 v[124:127], v2 offset0:111 offset1:112
	ds_load_2addr_b64 v[144:147], v2 offset0:113 offset1:114
	s_wait_loadcnt 0x4
	v_fmac_f64_e32 v[158:159], v[128:129], v[150:151]
	s_wait_dscnt 0x1
	s_delay_alu instid0(VALU_DEP_1) | instskip(SKIP_1) | instid1(VALU_DEP_1)
	v_fmac_f64_e32 v[158:159], v[130:131], v[124:125]
	s_wait_loadcnt 0x3
	v_fmac_f64_e32 v[158:159], v[132:133], v[126:127]
	ds_load_2addr_b64 v[124:127], v2 offset0:115 offset1:116
	ds_load_2addr_b64 v[128:131], v2 offset0:117 offset1:118
	s_wait_dscnt 0x2
	v_fmac_f64_e32 v[158:159], v[134:135], v[144:145]
	s_wait_loadcnt 0x2
	s_delay_alu instid0(VALU_DEP_1) | instskip(SKIP_1) | instid1(VALU_DEP_1)
	v_fmac_f64_e32 v[158:159], v[136:137], v[146:147]
	s_wait_dscnt 0x1
	v_fmac_f64_e32 v[158:159], v[138:139], v[124:125]
	s_wait_loadcnt 0x1
	s_delay_alu instid0(VALU_DEP_1) | instskip(SKIP_1) | instid1(VALU_DEP_1)
	v_fmac_f64_e32 v[158:159], v[140:141], v[126:127]
	s_wait_dscnt 0x0
	v_fmac_f64_e32 v[158:159], v[142:143], v[128:129]
	s_wait_loadcnt 0x0
	s_delay_alu instid0(VALU_DEP_1) | instskip(NEXT) | instid1(VALU_DEP_1)
	v_fmac_f64_e32 v[158:159], v[152:153], v[130:131]
	v_add_f64_e64 v[2:3], v[122:123], -v[158:159]
	scratch_store_b64 off, v[2:3], off offset:272
	s_wait_xcnt 0x0
	v_cmpx_lt_u32_e32 33, v0
	s_cbranch_execz .LBB58_297
; %bb.296:
	scratch_load_b64 v[2:3], off, off offset:264
	v_mov_b64_e32 v[122:123], 0
	scratch_store_b64 off, v[122:123], off offset:264
	s_wait_loadcnt 0x0
	ds_store_b64 v1, v[2:3]
.LBB58_297:
	s_wait_xcnt 0x0
	s_or_b32 exec_lo, exec_lo, s0
	s_wait_storecnt_dscnt 0x0
	s_barrier_signal -1
	s_barrier_wait -1
	s_clause 0x5
	scratch_load_b128 v[122:125], off, off offset:264
	scratch_load_b128 v[126:129], off, off offset:280
	;; [unrolled: 1-line block ×6, first 2 shown]
	v_mov_b32_e32 v2, 0
	ds_load_b128 v[146:149], v2 offset:752
	ds_load_b128 v[150:153], v2 offset:768
	scratch_load_b128 v[154:157], off, off offset:360
	s_mov_b32 s0, exec_lo
	s_wait_loadcnt_dscnt 0x601
	v_fma_f64 v[158:159], v[124:125], v[146:147], 0
	s_wait_loadcnt 0x5
	s_delay_alu instid0(VALU_DEP_1) | instskip(SKIP_4) | instid1(VALU_DEP_1)
	v_fmac_f64_e32 v[158:159], v[126:127], v[148:149]
	scratch_load_b128 v[124:127], off, off offset:376
	s_wait_dscnt 0x0
	v_fmac_f64_e32 v[158:159], v[128:129], v[150:151]
	s_wait_loadcnt 0x5
	v_fmac_f64_e32 v[158:159], v[130:131], v[152:153]
	ds_load_b128 v[128:131], v2 offset:784
	ds_load_b128 v[146:149], v2 offset:800
	s_wait_dscnt 0x1
	v_fmac_f64_e32 v[158:159], v[132:133], v[128:129]
	s_wait_loadcnt 0x4
	s_delay_alu instid0(VALU_DEP_1)
	v_fmac_f64_e32 v[158:159], v[134:135], v[130:131]
	s_clause 0x1
	scratch_load_b128 v[128:131], off, off offset:392
	scratch_load_b128 v[132:135], off, off offset:408
	s_wait_dscnt 0x0
	v_fmac_f64_e32 v[158:159], v[136:137], v[146:147]
	s_wait_loadcnt 0x5
	s_delay_alu instid0(VALU_DEP_1)
	v_fmac_f64_e32 v[158:159], v[138:139], v[148:149]
	ds_load_b128 v[136:139], v2 offset:816
	ds_load_b128 v[146:149], v2 offset:832
	s_wait_dscnt 0x1
	v_fmac_f64_e32 v[158:159], v[140:141], v[136:137]
	s_wait_loadcnt 0x4
	s_delay_alu instid0(VALU_DEP_1)
	v_fmac_f64_e32 v[158:159], v[142:143], v[138:139]
	s_clause 0x1
	scratch_load_b128 v[136:139], off, off offset:424
	scratch_load_b128 v[140:143], off, off offset:440
	s_wait_dscnt 0x0
	v_fmac_f64_e32 v[158:159], v[144:145], v[146:147]
	s_wait_loadcnt 0x5
	s_delay_alu instid0(VALU_DEP_1)
	v_fmac_f64_e32 v[158:159], v[154:155], v[148:149]
	ds_load_b128 v[144:147], v2 offset:848
	ds_load_b128 v[148:151], v2 offset:864
	s_wait_dscnt 0x1
	v_fmac_f64_e32 v[158:159], v[156:157], v[144:145]
	s_wait_loadcnt 0x4
	s_delay_alu instid0(VALU_DEP_1) | instskip(SKIP_4) | instid1(VALU_DEP_1)
	v_fmac_f64_e32 v[158:159], v[124:125], v[146:147]
	scratch_load_b128 v[144:147], off, off offset:456
	s_wait_dscnt 0x0
	v_fmac_f64_e32 v[158:159], v[126:127], v[148:149]
	s_wait_loadcnt 0x4
	v_fmac_f64_e32 v[158:159], v[128:129], v[150:151]
	ds_load_b128 v[124:127], v2 offset:880
	ds_load_b128 v[148:151], v2 offset:896
	s_wait_dscnt 0x1
	v_fmac_f64_e32 v[158:159], v[130:131], v[124:125]
	s_wait_loadcnt 0x3
	s_delay_alu instid0(VALU_DEP_1)
	v_fmac_f64_e32 v[158:159], v[132:133], v[126:127]
	ds_load_b128 v[124:127], v2 offset:912
	ds_load_b128 v[128:131], v2 offset:928
	s_wait_dscnt 0x2
	v_fmac_f64_e32 v[158:159], v[134:135], v[148:149]
	s_wait_loadcnt 0x2
	s_delay_alu instid0(VALU_DEP_1) | instskip(SKIP_1) | instid1(VALU_DEP_1)
	v_fmac_f64_e32 v[158:159], v[136:137], v[150:151]
	s_wait_dscnt 0x1
	v_fmac_f64_e32 v[158:159], v[138:139], v[124:125]
	ds_load_b64 v[124:125], v2 offset:944
	s_wait_loadcnt 0x1
	v_fmac_f64_e32 v[158:159], v[140:141], v[126:127]
	s_wait_dscnt 0x1
	s_delay_alu instid0(VALU_DEP_1) | instskip(SKIP_1) | instid1(VALU_DEP_1)
	v_fmac_f64_e32 v[158:159], v[142:143], v[128:129]
	s_wait_loadcnt 0x0
	v_fmac_f64_e32 v[158:159], v[144:145], v[130:131]
	s_wait_dscnt 0x0
	s_delay_alu instid0(VALU_DEP_1) | instskip(NEXT) | instid1(VALU_DEP_1)
	v_fmac_f64_e32 v[158:159], v[146:147], v[124:125]
	v_add_f64_e64 v[122:123], v[122:123], -v[158:159]
	scratch_store_b64 off, v[122:123], off offset:264
	s_wait_xcnt 0x0
	v_cmpx_lt_u32_e32 32, v0
	s_cbranch_execz .LBB58_299
; %bb.298:
	scratch_load_b64 v[122:123], off, off offset:256
	v_mov_b64_e32 v[124:125], 0
	scratch_store_b64 off, v[124:125], off offset:256
	s_wait_loadcnt 0x0
	ds_store_b64 v1, v[122:123]
.LBB58_299:
	s_wait_xcnt 0x0
	s_or_b32 exec_lo, exec_lo, s0
	s_wait_storecnt_dscnt 0x0
	s_barrier_signal -1
	s_barrier_wait -1
	s_clause 0x5
	scratch_load_b128 v[122:125], off, off offset:256
	scratch_load_b128 v[126:129], off, off offset:272
	scratch_load_b128 v[130:133], off, off offset:288
	scratch_load_b128 v[134:137], off, off offset:304
	scratch_load_b128 v[138:141], off, off offset:320
	scratch_load_b128 v[142:145], off, off offset:336
	ds_load_2addr_b64 v[146:149], v2 offset0:93 offset1:94
	ds_load_2addr_b64 v[150:153], v2 offset0:95 offset1:96
	scratch_load_b128 v[154:157], off, off offset:352
	s_mov_b32 s0, exec_lo
	s_wait_loadcnt_dscnt 0x601
	v_fma_f64 v[158:159], v[124:125], v[146:147], 0
	s_wait_loadcnt 0x5
	s_delay_alu instid0(VALU_DEP_1) | instskip(SKIP_4) | instid1(VALU_DEP_1)
	v_fmac_f64_e32 v[158:159], v[126:127], v[148:149]
	scratch_load_b128 v[124:127], off, off offset:368
	s_wait_dscnt 0x0
	v_fmac_f64_e32 v[158:159], v[128:129], v[150:151]
	s_wait_loadcnt 0x5
	v_fmac_f64_e32 v[158:159], v[130:131], v[152:153]
	ds_load_2addr_b64 v[128:131], v2 offset0:97 offset1:98
	ds_load_2addr_b64 v[146:149], v2 offset0:99 offset1:100
	scratch_load_b128 v[150:153], off, off offset:384
	s_wait_dscnt 0x1
	v_fmac_f64_e32 v[158:159], v[132:133], v[128:129]
	s_wait_loadcnt 0x5
	s_delay_alu instid0(VALU_DEP_1) | instskip(SKIP_4) | instid1(VALU_DEP_1)
	v_fmac_f64_e32 v[158:159], v[134:135], v[130:131]
	scratch_load_b128 v[128:131], off, off offset:400
	s_wait_dscnt 0x0
	v_fmac_f64_e32 v[158:159], v[136:137], v[146:147]
	s_wait_loadcnt 0x5
	v_fmac_f64_e32 v[158:159], v[138:139], v[148:149]
	ds_load_2addr_b64 v[132:135], v2 offset0:101 offset1:102
	ds_load_2addr_b64 v[136:139], v2 offset0:103 offset1:104
	s_wait_dscnt 0x1
	v_fmac_f64_e32 v[158:159], v[140:141], v[132:133]
	s_wait_loadcnt 0x4
	s_delay_alu instid0(VALU_DEP_1) | instskip(SKIP_4) | instid1(VALU_DEP_1)
	v_fmac_f64_e32 v[158:159], v[142:143], v[134:135]
	scratch_load_b128 v[132:135], off, off offset:416
	s_wait_dscnt 0x0
	v_fmac_f64_e32 v[158:159], v[144:145], v[136:137]
	s_wait_loadcnt 0x4
	v_fmac_f64_e32 v[158:159], v[154:155], v[138:139]
	scratch_load_b128 v[136:139], off, off offset:432
	ds_load_2addr_b64 v[140:143], v2 offset0:105 offset1:106
	ds_load_2addr_b64 v[144:147], v2 offset0:107 offset1:108
	scratch_load_b64 v[148:149], off, off offset:464
	s_wait_dscnt 0x1
	v_fmac_f64_e32 v[158:159], v[156:157], v[140:141]
	s_wait_loadcnt 0x5
	s_delay_alu instid0(VALU_DEP_1) | instskip(SKIP_4) | instid1(VALU_DEP_1)
	v_fmac_f64_e32 v[158:159], v[124:125], v[142:143]
	scratch_load_b128 v[140:143], off, off offset:448
	s_wait_dscnt 0x0
	v_fmac_f64_e32 v[158:159], v[126:127], v[144:145]
	s_wait_loadcnt 0x5
	v_fmac_f64_e32 v[158:159], v[150:151], v[146:147]
	ds_load_2addr_b64 v[124:127], v2 offset0:109 offset1:110
	ds_load_2addr_b64 v[144:147], v2 offset0:111 offset1:112
	s_wait_dscnt 0x1
	v_fmac_f64_e32 v[158:159], v[152:153], v[124:125]
	s_wait_loadcnt 0x4
	s_delay_alu instid0(VALU_DEP_1) | instskip(SKIP_1) | instid1(VALU_DEP_1)
	v_fmac_f64_e32 v[158:159], v[128:129], v[126:127]
	s_wait_dscnt 0x0
	v_fmac_f64_e32 v[158:159], v[130:131], v[144:145]
	ds_load_2addr_b64 v[124:127], v2 offset0:113 offset1:114
	ds_load_2addr_b64 v[128:131], v2 offset0:115 offset1:116
	s_wait_loadcnt 0x3
	v_fmac_f64_e32 v[158:159], v[132:133], v[146:147]
	s_wait_dscnt 0x1
	s_delay_alu instid0(VALU_DEP_1) | instskip(SKIP_1) | instid1(VALU_DEP_1)
	v_fmac_f64_e32 v[158:159], v[134:135], v[124:125]
	s_wait_loadcnt 0x2
	v_fmac_f64_e32 v[158:159], v[136:137], v[126:127]
	ds_load_2addr_b64 v[124:127], v2 offset0:117 offset1:118
	s_wait_dscnt 0x1
	v_fmac_f64_e32 v[158:159], v[138:139], v[128:129]
	s_wait_loadcnt 0x0
	s_delay_alu instid0(VALU_DEP_1) | instskip(SKIP_1) | instid1(VALU_DEP_1)
	v_fmac_f64_e32 v[158:159], v[140:141], v[130:131]
	s_wait_dscnt 0x0
	v_fmac_f64_e32 v[158:159], v[142:143], v[124:125]
	s_delay_alu instid0(VALU_DEP_1) | instskip(NEXT) | instid1(VALU_DEP_1)
	v_fmac_f64_e32 v[158:159], v[148:149], v[126:127]
	v_add_f64_e64 v[2:3], v[122:123], -v[158:159]
	scratch_store_b64 off, v[2:3], off offset:256
	s_wait_xcnt 0x0
	v_cmpx_lt_u32_e32 31, v0
	s_cbranch_execz .LBB58_301
; %bb.300:
	scratch_load_b64 v[2:3], off, off offset:248
	v_mov_b64_e32 v[122:123], 0
	scratch_store_b64 off, v[122:123], off offset:248
	s_wait_loadcnt 0x0
	ds_store_b64 v1, v[2:3]
.LBB58_301:
	s_wait_xcnt 0x0
	s_or_b32 exec_lo, exec_lo, s0
	s_wait_storecnt_dscnt 0x0
	s_barrier_signal -1
	s_barrier_wait -1
	s_clause 0x5
	scratch_load_b128 v[122:125], off, off offset:248
	scratch_load_b128 v[126:129], off, off offset:264
	;; [unrolled: 1-line block ×6, first 2 shown]
	v_mov_b32_e32 v2, 0
	ds_load_b128 v[146:149], v2 offset:736
	ds_load_b128 v[150:153], v2 offset:752
	scratch_load_b128 v[154:157], off, off offset:344
	s_mov_b32 s0, exec_lo
	s_wait_loadcnt_dscnt 0x601
	v_fma_f64 v[158:159], v[124:125], v[146:147], 0
	s_wait_loadcnt 0x5
	s_delay_alu instid0(VALU_DEP_1) | instskip(SKIP_4) | instid1(VALU_DEP_1)
	v_fmac_f64_e32 v[158:159], v[126:127], v[148:149]
	scratch_load_b128 v[124:127], off, off offset:360
	s_wait_dscnt 0x0
	v_fmac_f64_e32 v[158:159], v[128:129], v[150:151]
	s_wait_loadcnt 0x5
	v_fmac_f64_e32 v[158:159], v[130:131], v[152:153]
	ds_load_b128 v[128:131], v2 offset:768
	ds_load_b128 v[146:149], v2 offset:784
	scratch_load_b128 v[150:153], off, off offset:376
	s_wait_dscnt 0x1
	v_fmac_f64_e32 v[158:159], v[132:133], v[128:129]
	s_wait_loadcnt 0x5
	s_delay_alu instid0(VALU_DEP_1) | instskip(SKIP_4) | instid1(VALU_DEP_1)
	v_fmac_f64_e32 v[158:159], v[134:135], v[130:131]
	scratch_load_b128 v[128:131], off, off offset:392
	s_wait_dscnt 0x0
	v_fmac_f64_e32 v[158:159], v[136:137], v[146:147]
	s_wait_loadcnt 0x5
	v_fmac_f64_e32 v[158:159], v[138:139], v[148:149]
	ds_load_b128 v[132:135], v2 offset:800
	ds_load_b128 v[136:139], v2 offset:816
	s_wait_dscnt 0x1
	v_fmac_f64_e32 v[158:159], v[140:141], v[132:133]
	s_wait_loadcnt 0x4
	s_delay_alu instid0(VALU_DEP_1) | instskip(SKIP_4) | instid1(VALU_DEP_1)
	v_fmac_f64_e32 v[158:159], v[142:143], v[134:135]
	scratch_load_b128 v[132:135], off, off offset:408
	s_wait_dscnt 0x0
	v_fmac_f64_e32 v[158:159], v[144:145], v[136:137]
	s_wait_loadcnt 0x4
	v_fmac_f64_e32 v[158:159], v[154:155], v[138:139]
	scratch_load_b128 v[136:139], off, off offset:424
	ds_load_b128 v[140:143], v2 offset:832
	ds_load_b128 v[144:147], v2 offset:848
	s_wait_dscnt 0x1
	v_fmac_f64_e32 v[158:159], v[156:157], v[140:141]
	s_wait_loadcnt 0x4
	s_delay_alu instid0(VALU_DEP_1)
	v_fmac_f64_e32 v[158:159], v[124:125], v[142:143]
	scratch_load_b128 v[140:143], off, off offset:440
	s_wait_dscnt 0x0
	v_fmac_f64_e32 v[158:159], v[126:127], v[144:145]
	scratch_load_b128 v[124:127], off, off offset:456
	s_wait_loadcnt 0x5
	v_fmac_f64_e32 v[158:159], v[150:151], v[146:147]
	ds_load_b128 v[144:147], v2 offset:864
	ds_load_b128 v[148:151], v2 offset:880
	s_wait_dscnt 0x1
	v_fmac_f64_e32 v[158:159], v[152:153], v[144:145]
	s_wait_loadcnt 0x4
	s_delay_alu instid0(VALU_DEP_1) | instskip(SKIP_1) | instid1(VALU_DEP_1)
	v_fmac_f64_e32 v[158:159], v[128:129], v[146:147]
	s_wait_dscnt 0x0
	v_fmac_f64_e32 v[158:159], v[130:131], v[148:149]
	ds_load_b128 v[128:131], v2 offset:896
	ds_load_b128 v[144:147], v2 offset:912
	s_wait_loadcnt 0x3
	v_fmac_f64_e32 v[158:159], v[132:133], v[150:151]
	s_wait_dscnt 0x1
	s_delay_alu instid0(VALU_DEP_1) | instskip(SKIP_1) | instid1(VALU_DEP_1)
	v_fmac_f64_e32 v[158:159], v[134:135], v[128:129]
	s_wait_loadcnt 0x2
	v_fmac_f64_e32 v[158:159], v[136:137], v[130:131]
	ds_load_b128 v[128:131], v2 offset:928
	ds_load_b64 v[132:133], v2 offset:944
	s_wait_dscnt 0x2
	v_fmac_f64_e32 v[158:159], v[138:139], v[144:145]
	s_wait_loadcnt 0x1
	s_delay_alu instid0(VALU_DEP_1) | instskip(SKIP_1) | instid1(VALU_DEP_1)
	v_fmac_f64_e32 v[158:159], v[140:141], v[146:147]
	s_wait_dscnt 0x1
	v_fmac_f64_e32 v[158:159], v[142:143], v[128:129]
	s_wait_loadcnt 0x0
	s_delay_alu instid0(VALU_DEP_1) | instskip(SKIP_1) | instid1(VALU_DEP_1)
	v_fmac_f64_e32 v[158:159], v[124:125], v[130:131]
	s_wait_dscnt 0x0
	v_fmac_f64_e32 v[158:159], v[126:127], v[132:133]
	s_delay_alu instid0(VALU_DEP_1)
	v_add_f64_e64 v[122:123], v[122:123], -v[158:159]
	scratch_store_b64 off, v[122:123], off offset:248
	s_wait_xcnt 0x0
	v_cmpx_lt_u32_e32 30, v0
	s_cbranch_execz .LBB58_303
; %bb.302:
	scratch_load_b64 v[122:123], off, off offset:240
	v_mov_b64_e32 v[124:125], 0
	scratch_store_b64 off, v[124:125], off offset:240
	s_wait_loadcnt 0x0
	ds_store_b64 v1, v[122:123]
.LBB58_303:
	s_wait_xcnt 0x0
	s_or_b32 exec_lo, exec_lo, s0
	s_wait_storecnt_dscnt 0x0
	s_barrier_signal -1
	s_barrier_wait -1
	s_clause 0x5
	scratch_load_b128 v[122:125], off, off offset:240
	scratch_load_b128 v[126:129], off, off offset:256
	;; [unrolled: 1-line block ×6, first 2 shown]
	ds_load_2addr_b64 v[146:149], v2 offset0:91 offset1:92
	ds_load_2addr_b64 v[150:153], v2 offset0:93 offset1:94
	scratch_load_b128 v[154:157], off, off offset:336
	s_mov_b32 s0, exec_lo
	s_wait_loadcnt_dscnt 0x601
	v_fma_f64 v[158:159], v[124:125], v[146:147], 0
	s_wait_loadcnt 0x5
	s_delay_alu instid0(VALU_DEP_1) | instskip(SKIP_4) | instid1(VALU_DEP_1)
	v_fmac_f64_e32 v[158:159], v[126:127], v[148:149]
	scratch_load_b128 v[124:127], off, off offset:352
	s_wait_dscnt 0x0
	v_fmac_f64_e32 v[158:159], v[128:129], v[150:151]
	s_wait_loadcnt 0x5
	v_fmac_f64_e32 v[158:159], v[130:131], v[152:153]
	ds_load_2addr_b64 v[128:131], v2 offset0:95 offset1:96
	ds_load_2addr_b64 v[146:149], v2 offset0:97 offset1:98
	scratch_load_b128 v[150:153], off, off offset:368
	s_wait_dscnt 0x1
	v_fmac_f64_e32 v[158:159], v[132:133], v[128:129]
	s_wait_loadcnt 0x5
	s_delay_alu instid0(VALU_DEP_1) | instskip(SKIP_4) | instid1(VALU_DEP_1)
	v_fmac_f64_e32 v[158:159], v[134:135], v[130:131]
	scratch_load_b128 v[128:131], off, off offset:384
	s_wait_dscnt 0x0
	v_fmac_f64_e32 v[158:159], v[136:137], v[146:147]
	s_wait_loadcnt 0x5
	v_fmac_f64_e32 v[158:159], v[138:139], v[148:149]
	ds_load_2addr_b64 v[132:135], v2 offset0:99 offset1:100
	ds_load_2addr_b64 v[136:139], v2 offset0:101 offset1:102
	s_wait_dscnt 0x1
	v_fmac_f64_e32 v[158:159], v[140:141], v[132:133]
	s_wait_loadcnt 0x4
	s_delay_alu instid0(VALU_DEP_1) | instskip(SKIP_4) | instid1(VALU_DEP_1)
	v_fmac_f64_e32 v[158:159], v[142:143], v[134:135]
	scratch_load_b128 v[132:135], off, off offset:400
	s_wait_dscnt 0x0
	v_fmac_f64_e32 v[158:159], v[144:145], v[136:137]
	s_wait_loadcnt 0x4
	v_fmac_f64_e32 v[158:159], v[154:155], v[138:139]
	scratch_load_b128 v[136:139], off, off offset:416
	ds_load_2addr_b64 v[140:143], v2 offset0:103 offset1:104
	ds_load_2addr_b64 v[144:147], v2 offset0:105 offset1:106
	s_wait_dscnt 0x1
	v_fmac_f64_e32 v[158:159], v[156:157], v[140:141]
	s_wait_loadcnt 0x4
	s_delay_alu instid0(VALU_DEP_1)
	v_fmac_f64_e32 v[158:159], v[124:125], v[142:143]
	scratch_load_b128 v[140:143], off, off offset:432
	s_wait_dscnt 0x0
	v_fmac_f64_e32 v[158:159], v[126:127], v[144:145]
	scratch_load_b128 v[124:127], off, off offset:448
	s_wait_loadcnt 0x5
	v_fmac_f64_e32 v[158:159], v[150:151], v[146:147]
	ds_load_2addr_b64 v[144:147], v2 offset0:107 offset1:108
	ds_load_2addr_b64 v[148:151], v2 offset0:109 offset1:110
	s_wait_dscnt 0x1
	v_fmac_f64_e32 v[158:159], v[152:153], v[144:145]
	scratch_load_b64 v[152:153], off, off offset:464
	s_wait_loadcnt 0x5
	v_fmac_f64_e32 v[158:159], v[128:129], v[146:147]
	s_wait_dscnt 0x0
	s_delay_alu instid0(VALU_DEP_1)
	v_fmac_f64_e32 v[158:159], v[130:131], v[148:149]
	ds_load_2addr_b64 v[128:131], v2 offset0:111 offset1:112
	ds_load_2addr_b64 v[144:147], v2 offset0:113 offset1:114
	s_wait_loadcnt 0x4
	v_fmac_f64_e32 v[158:159], v[132:133], v[150:151]
	s_wait_dscnt 0x1
	s_delay_alu instid0(VALU_DEP_1) | instskip(SKIP_1) | instid1(VALU_DEP_1)
	v_fmac_f64_e32 v[158:159], v[134:135], v[128:129]
	s_wait_loadcnt 0x3
	v_fmac_f64_e32 v[158:159], v[136:137], v[130:131]
	ds_load_2addr_b64 v[128:131], v2 offset0:115 offset1:116
	ds_load_2addr_b64 v[132:135], v2 offset0:117 offset1:118
	s_wait_dscnt 0x2
	v_fmac_f64_e32 v[158:159], v[138:139], v[144:145]
	s_wait_loadcnt 0x2
	s_delay_alu instid0(VALU_DEP_1) | instskip(SKIP_1) | instid1(VALU_DEP_1)
	v_fmac_f64_e32 v[158:159], v[140:141], v[146:147]
	s_wait_dscnt 0x1
	v_fmac_f64_e32 v[158:159], v[142:143], v[128:129]
	s_wait_loadcnt 0x1
	s_delay_alu instid0(VALU_DEP_1) | instskip(SKIP_1) | instid1(VALU_DEP_1)
	v_fmac_f64_e32 v[158:159], v[124:125], v[130:131]
	s_wait_dscnt 0x0
	v_fmac_f64_e32 v[158:159], v[126:127], v[132:133]
	s_wait_loadcnt 0x0
	s_delay_alu instid0(VALU_DEP_1) | instskip(NEXT) | instid1(VALU_DEP_1)
	v_fmac_f64_e32 v[158:159], v[152:153], v[134:135]
	v_add_f64_e64 v[2:3], v[122:123], -v[158:159]
	scratch_store_b64 off, v[2:3], off offset:240
	s_wait_xcnt 0x0
	v_cmpx_lt_u32_e32 29, v0
	s_cbranch_execz .LBB58_305
; %bb.304:
	scratch_load_b64 v[2:3], off, off offset:232
	v_mov_b64_e32 v[122:123], 0
	scratch_store_b64 off, v[122:123], off offset:232
	s_wait_loadcnt 0x0
	ds_store_b64 v1, v[2:3]
.LBB58_305:
	s_wait_xcnt 0x0
	s_or_b32 exec_lo, exec_lo, s0
	s_wait_storecnt_dscnt 0x0
	s_barrier_signal -1
	s_barrier_wait -1
	s_clause 0x5
	scratch_load_b128 v[122:125], off, off offset:232
	scratch_load_b128 v[126:129], off, off offset:248
	;; [unrolled: 1-line block ×6, first 2 shown]
	v_mov_b32_e32 v2, 0
	ds_load_b128 v[146:149], v2 offset:720
	ds_load_b128 v[150:153], v2 offset:736
	scratch_load_b128 v[154:157], off, off offset:328
	s_mov_b32 s0, exec_lo
	s_wait_loadcnt_dscnt 0x601
	v_fma_f64 v[158:159], v[124:125], v[146:147], 0
	s_wait_loadcnt 0x5
	s_delay_alu instid0(VALU_DEP_1) | instskip(SKIP_4) | instid1(VALU_DEP_1)
	v_fmac_f64_e32 v[158:159], v[126:127], v[148:149]
	scratch_load_b128 v[124:127], off, off offset:344
	s_wait_dscnt 0x0
	v_fmac_f64_e32 v[158:159], v[128:129], v[150:151]
	s_wait_loadcnt 0x5
	v_fmac_f64_e32 v[158:159], v[130:131], v[152:153]
	ds_load_b128 v[128:131], v2 offset:752
	ds_load_b128 v[146:149], v2 offset:768
	scratch_load_b128 v[150:153], off, off offset:360
	s_wait_dscnt 0x1
	v_fmac_f64_e32 v[158:159], v[132:133], v[128:129]
	s_wait_loadcnt 0x5
	s_delay_alu instid0(VALU_DEP_1) | instskip(SKIP_4) | instid1(VALU_DEP_1)
	v_fmac_f64_e32 v[158:159], v[134:135], v[130:131]
	scratch_load_b128 v[128:131], off, off offset:376
	s_wait_dscnt 0x0
	v_fmac_f64_e32 v[158:159], v[136:137], v[146:147]
	s_wait_loadcnt 0x5
	v_fmac_f64_e32 v[158:159], v[138:139], v[148:149]
	ds_load_b128 v[132:135], v2 offset:784
	ds_load_b128 v[136:139], v2 offset:800
	s_wait_dscnt 0x1
	v_fmac_f64_e32 v[158:159], v[140:141], v[132:133]
	s_wait_loadcnt 0x4
	s_delay_alu instid0(VALU_DEP_1) | instskip(SKIP_4) | instid1(VALU_DEP_1)
	v_fmac_f64_e32 v[158:159], v[142:143], v[134:135]
	scratch_load_b128 v[132:135], off, off offset:392
	s_wait_dscnt 0x0
	v_fmac_f64_e32 v[158:159], v[144:145], v[136:137]
	s_wait_loadcnt 0x4
	v_fmac_f64_e32 v[158:159], v[154:155], v[138:139]
	scratch_load_b128 v[136:139], off, off offset:408
	ds_load_b128 v[140:143], v2 offset:816
	ds_load_b128 v[144:147], v2 offset:832
	s_wait_dscnt 0x1
	v_fmac_f64_e32 v[158:159], v[156:157], v[140:141]
	s_wait_loadcnt 0x4
	s_delay_alu instid0(VALU_DEP_1)
	v_fmac_f64_e32 v[158:159], v[124:125], v[142:143]
	scratch_load_b128 v[140:143], off, off offset:424
	s_wait_dscnt 0x0
	v_fmac_f64_e32 v[158:159], v[126:127], v[144:145]
	scratch_load_b128 v[124:127], off, off offset:440
	s_wait_loadcnt 0x5
	v_fmac_f64_e32 v[158:159], v[150:151], v[146:147]
	ds_load_b128 v[144:147], v2 offset:848
	ds_load_b128 v[148:151], v2 offset:864
	s_wait_dscnt 0x1
	v_fmac_f64_e32 v[158:159], v[152:153], v[144:145]
	s_wait_loadcnt 0x4
	s_delay_alu instid0(VALU_DEP_1) | instskip(SKIP_4) | instid1(VALU_DEP_1)
	v_fmac_f64_e32 v[158:159], v[128:129], v[146:147]
	scratch_load_b128 v[144:147], off, off offset:456
	s_wait_dscnt 0x0
	v_fmac_f64_e32 v[158:159], v[130:131], v[148:149]
	s_wait_loadcnt 0x4
	v_fmac_f64_e32 v[158:159], v[132:133], v[150:151]
	ds_load_b128 v[128:131], v2 offset:880
	ds_load_b128 v[148:151], v2 offset:896
	s_wait_dscnt 0x1
	v_fmac_f64_e32 v[158:159], v[134:135], v[128:129]
	s_wait_loadcnt 0x3
	s_delay_alu instid0(VALU_DEP_1)
	v_fmac_f64_e32 v[158:159], v[136:137], v[130:131]
	ds_load_b128 v[128:131], v2 offset:912
	ds_load_b128 v[132:135], v2 offset:928
	s_wait_dscnt 0x2
	v_fmac_f64_e32 v[158:159], v[138:139], v[148:149]
	s_wait_loadcnt 0x2
	s_delay_alu instid0(VALU_DEP_1) | instskip(SKIP_1) | instid1(VALU_DEP_1)
	v_fmac_f64_e32 v[158:159], v[140:141], v[150:151]
	s_wait_dscnt 0x1
	v_fmac_f64_e32 v[158:159], v[142:143], v[128:129]
	s_wait_loadcnt 0x1
	s_delay_alu instid0(VALU_DEP_1) | instskip(SKIP_4) | instid1(VALU_DEP_1)
	v_fmac_f64_e32 v[158:159], v[124:125], v[130:131]
	ds_load_b64 v[124:125], v2 offset:944
	s_wait_dscnt 0x1
	v_fmac_f64_e32 v[158:159], v[126:127], v[132:133]
	s_wait_loadcnt 0x0
	v_fmac_f64_e32 v[158:159], v[144:145], v[134:135]
	s_wait_dscnt 0x0
	s_delay_alu instid0(VALU_DEP_1) | instskip(NEXT) | instid1(VALU_DEP_1)
	v_fmac_f64_e32 v[158:159], v[146:147], v[124:125]
	v_add_f64_e64 v[122:123], v[122:123], -v[158:159]
	scratch_store_b64 off, v[122:123], off offset:232
	s_wait_xcnt 0x0
	v_cmpx_lt_u32_e32 28, v0
	s_cbranch_execz .LBB58_307
; %bb.306:
	scratch_load_b64 v[122:123], off, off offset:224
	v_mov_b64_e32 v[124:125], 0
	scratch_store_b64 off, v[124:125], off offset:224
	s_wait_loadcnt 0x0
	ds_store_b64 v1, v[122:123]
.LBB58_307:
	s_wait_xcnt 0x0
	s_or_b32 exec_lo, exec_lo, s0
	s_wait_storecnt_dscnt 0x0
	s_barrier_signal -1
	s_barrier_wait -1
	s_clause 0x5
	scratch_load_b128 v[122:125], off, off offset:224
	scratch_load_b128 v[126:129], off, off offset:240
	;; [unrolled: 1-line block ×6, first 2 shown]
	ds_load_2addr_b64 v[146:149], v2 offset0:89 offset1:90
	ds_load_2addr_b64 v[150:153], v2 offset0:91 offset1:92
	scratch_load_b128 v[154:157], off, off offset:320
	s_mov_b32 s0, exec_lo
	s_wait_loadcnt_dscnt 0x601
	v_fma_f64 v[158:159], v[124:125], v[146:147], 0
	s_wait_loadcnt 0x5
	s_delay_alu instid0(VALU_DEP_1) | instskip(SKIP_4) | instid1(VALU_DEP_1)
	v_fmac_f64_e32 v[158:159], v[126:127], v[148:149]
	scratch_load_b128 v[124:127], off, off offset:336
	s_wait_dscnt 0x0
	v_fmac_f64_e32 v[158:159], v[128:129], v[150:151]
	s_wait_loadcnt 0x5
	v_fmac_f64_e32 v[158:159], v[130:131], v[152:153]
	ds_load_2addr_b64 v[128:131], v2 offset0:93 offset1:94
	ds_load_2addr_b64 v[146:149], v2 offset0:95 offset1:96
	scratch_load_b128 v[150:153], off, off offset:352
	s_wait_dscnt 0x1
	v_fmac_f64_e32 v[158:159], v[132:133], v[128:129]
	s_wait_loadcnt 0x5
	s_delay_alu instid0(VALU_DEP_1) | instskip(SKIP_4) | instid1(VALU_DEP_1)
	v_fmac_f64_e32 v[158:159], v[134:135], v[130:131]
	scratch_load_b128 v[128:131], off, off offset:368
	s_wait_dscnt 0x0
	v_fmac_f64_e32 v[158:159], v[136:137], v[146:147]
	s_wait_loadcnt 0x5
	v_fmac_f64_e32 v[158:159], v[138:139], v[148:149]
	ds_load_2addr_b64 v[132:135], v2 offset0:97 offset1:98
	ds_load_2addr_b64 v[136:139], v2 offset0:99 offset1:100
	scratch_load_b128 v[146:149], off, off offset:384
	s_wait_dscnt 0x1
	v_fmac_f64_e32 v[158:159], v[140:141], v[132:133]
	s_wait_loadcnt 0x5
	s_delay_alu instid0(VALU_DEP_1) | instskip(SKIP_4) | instid1(VALU_DEP_1)
	v_fmac_f64_e32 v[158:159], v[142:143], v[134:135]
	scratch_load_b128 v[132:135], off, off offset:400
	s_wait_dscnt 0x0
	v_fmac_f64_e32 v[158:159], v[144:145], v[136:137]
	s_wait_loadcnt 0x5
	v_fmac_f64_e32 v[158:159], v[154:155], v[138:139]
	ds_load_2addr_b64 v[136:139], v2 offset0:101 offset1:102
	ds_load_2addr_b64 v[140:143], v2 offset0:103 offset1:104
	s_wait_dscnt 0x1
	v_fmac_f64_e32 v[158:159], v[156:157], v[136:137]
	s_wait_loadcnt 0x4
	s_delay_alu instid0(VALU_DEP_1)
	v_fmac_f64_e32 v[158:159], v[124:125], v[138:139]
	scratch_load_b128 v[136:139], off, off offset:416
	s_wait_dscnt 0x0
	v_fmac_f64_e32 v[158:159], v[126:127], v[140:141]
	scratch_load_b128 v[124:127], off, off offset:432
	s_wait_loadcnt 0x5
	v_fmac_f64_e32 v[158:159], v[150:151], v[142:143]
	ds_load_2addr_b64 v[140:143], v2 offset0:105 offset1:106
	ds_load_2addr_b64 v[154:157], v2 offset0:107 offset1:108
	scratch_load_b64 v[150:151], off, off offset:464
	s_wait_dscnt 0x1
	v_fmac_f64_e32 v[158:159], v[152:153], v[140:141]
	s_wait_loadcnt 0x5
	s_delay_alu instid0(VALU_DEP_1) | instskip(SKIP_4) | instid1(VALU_DEP_1)
	v_fmac_f64_e32 v[158:159], v[128:129], v[142:143]
	scratch_load_b128 v[140:143], off, off offset:448
	s_wait_dscnt 0x0
	v_fmac_f64_e32 v[158:159], v[130:131], v[154:155]
	s_wait_loadcnt 0x5
	v_fmac_f64_e32 v[158:159], v[146:147], v[156:157]
	ds_load_2addr_b64 v[128:131], v2 offset0:109 offset1:110
	ds_load_2addr_b64 v[144:147], v2 offset0:111 offset1:112
	s_wait_dscnt 0x1
	v_fmac_f64_e32 v[158:159], v[148:149], v[128:129]
	s_wait_loadcnt 0x4
	s_delay_alu instid0(VALU_DEP_1) | instskip(SKIP_1) | instid1(VALU_DEP_1)
	v_fmac_f64_e32 v[158:159], v[132:133], v[130:131]
	s_wait_dscnt 0x0
	v_fmac_f64_e32 v[158:159], v[134:135], v[144:145]
	ds_load_2addr_b64 v[128:131], v2 offset0:113 offset1:114
	ds_load_2addr_b64 v[132:135], v2 offset0:115 offset1:116
	s_wait_loadcnt 0x3
	v_fmac_f64_e32 v[158:159], v[136:137], v[146:147]
	s_wait_dscnt 0x1
	s_delay_alu instid0(VALU_DEP_1) | instskip(SKIP_1) | instid1(VALU_DEP_1)
	v_fmac_f64_e32 v[158:159], v[138:139], v[128:129]
	s_wait_loadcnt 0x2
	v_fmac_f64_e32 v[158:159], v[124:125], v[130:131]
	s_wait_dscnt 0x0
	s_delay_alu instid0(VALU_DEP_1) | instskip(SKIP_4) | instid1(VALU_DEP_1)
	v_fmac_f64_e32 v[158:159], v[126:127], v[132:133]
	ds_load_2addr_b64 v[124:127], v2 offset0:117 offset1:118
	s_wait_loadcnt 0x0
	v_fmac_f64_e32 v[158:159], v[140:141], v[134:135]
	s_wait_dscnt 0x0
	v_fmac_f64_e32 v[158:159], v[142:143], v[124:125]
	s_delay_alu instid0(VALU_DEP_1) | instskip(NEXT) | instid1(VALU_DEP_1)
	v_fmac_f64_e32 v[158:159], v[150:151], v[126:127]
	v_add_f64_e64 v[2:3], v[122:123], -v[158:159]
	scratch_store_b64 off, v[2:3], off offset:224
	s_wait_xcnt 0x0
	v_cmpx_lt_u32_e32 27, v0
	s_cbranch_execz .LBB58_309
; %bb.308:
	scratch_load_b64 v[2:3], off, off offset:216
	v_mov_b64_e32 v[122:123], 0
	scratch_store_b64 off, v[122:123], off offset:216
	s_wait_loadcnt 0x0
	ds_store_b64 v1, v[2:3]
.LBB58_309:
	s_wait_xcnt 0x0
	s_or_b32 exec_lo, exec_lo, s0
	s_wait_storecnt_dscnt 0x0
	s_barrier_signal -1
	s_barrier_wait -1
	s_clause 0x5
	scratch_load_b128 v[122:125], off, off offset:216
	scratch_load_b128 v[126:129], off, off offset:232
	;; [unrolled: 1-line block ×6, first 2 shown]
	v_mov_b32_e32 v2, 0
	ds_load_b128 v[146:149], v2 offset:704
	ds_load_b128 v[150:153], v2 offset:720
	scratch_load_b128 v[154:157], off, off offset:312
	s_mov_b32 s0, exec_lo
	s_wait_loadcnt_dscnt 0x601
	v_fma_f64 v[158:159], v[124:125], v[146:147], 0
	s_wait_loadcnt 0x5
	s_delay_alu instid0(VALU_DEP_1) | instskip(SKIP_4) | instid1(VALU_DEP_1)
	v_fmac_f64_e32 v[158:159], v[126:127], v[148:149]
	scratch_load_b128 v[124:127], off, off offset:328
	s_wait_dscnt 0x0
	v_fmac_f64_e32 v[158:159], v[128:129], v[150:151]
	s_wait_loadcnt 0x5
	v_fmac_f64_e32 v[158:159], v[130:131], v[152:153]
	ds_load_b128 v[128:131], v2 offset:736
	ds_load_b128 v[146:149], v2 offset:752
	scratch_load_b128 v[150:153], off, off offset:344
	s_wait_dscnt 0x1
	v_fmac_f64_e32 v[158:159], v[132:133], v[128:129]
	s_wait_loadcnt 0x5
	s_delay_alu instid0(VALU_DEP_1) | instskip(SKIP_4) | instid1(VALU_DEP_1)
	v_fmac_f64_e32 v[158:159], v[134:135], v[130:131]
	scratch_load_b128 v[128:131], off, off offset:360
	s_wait_dscnt 0x0
	v_fmac_f64_e32 v[158:159], v[136:137], v[146:147]
	s_wait_loadcnt 0x5
	v_fmac_f64_e32 v[158:159], v[138:139], v[148:149]
	ds_load_b128 v[132:135], v2 offset:768
	ds_load_b128 v[136:139], v2 offset:784
	scratch_load_b128 v[146:149], off, off offset:376
	s_wait_dscnt 0x1
	v_fmac_f64_e32 v[158:159], v[140:141], v[132:133]
	s_wait_loadcnt 0x5
	s_delay_alu instid0(VALU_DEP_1) | instskip(SKIP_4) | instid1(VALU_DEP_1)
	v_fmac_f64_e32 v[158:159], v[142:143], v[134:135]
	scratch_load_b128 v[132:135], off, off offset:392
	s_wait_dscnt 0x0
	v_fmac_f64_e32 v[158:159], v[144:145], v[136:137]
	s_wait_loadcnt 0x5
	v_fmac_f64_e32 v[158:159], v[154:155], v[138:139]
	ds_load_b128 v[136:139], v2 offset:800
	ds_load_b128 v[140:143], v2 offset:816
	s_wait_dscnt 0x1
	v_fmac_f64_e32 v[158:159], v[156:157], v[136:137]
	s_wait_loadcnt 0x4
	s_delay_alu instid0(VALU_DEP_1)
	v_fmac_f64_e32 v[158:159], v[124:125], v[138:139]
	scratch_load_b128 v[136:139], off, off offset:408
	s_wait_dscnt 0x0
	v_fmac_f64_e32 v[158:159], v[126:127], v[140:141]
	scratch_load_b128 v[124:127], off, off offset:424
	s_wait_loadcnt 0x5
	v_fmac_f64_e32 v[158:159], v[150:151], v[142:143]
	ds_load_b128 v[140:143], v2 offset:832
	ds_load_b128 v[154:157], v2 offset:848
	s_wait_dscnt 0x1
	v_fmac_f64_e32 v[158:159], v[152:153], v[140:141]
	s_wait_loadcnt 0x4
	s_delay_alu instid0(VALU_DEP_1)
	v_fmac_f64_e32 v[158:159], v[128:129], v[142:143]
	scratch_load_b128 v[140:143], off, off offset:440
	s_wait_dscnt 0x0
	v_fmac_f64_e32 v[158:159], v[130:131], v[154:155]
	scratch_load_b128 v[128:131], off, off offset:456
	s_wait_loadcnt 0x5
	v_fmac_f64_e32 v[158:159], v[146:147], v[156:157]
	ds_load_b128 v[144:147], v2 offset:864
	ds_load_b128 v[150:153], v2 offset:880
	s_wait_dscnt 0x1
	v_fmac_f64_e32 v[158:159], v[148:149], v[144:145]
	s_wait_loadcnt 0x4
	s_delay_alu instid0(VALU_DEP_1) | instskip(SKIP_1) | instid1(VALU_DEP_1)
	v_fmac_f64_e32 v[158:159], v[132:133], v[146:147]
	s_wait_dscnt 0x0
	v_fmac_f64_e32 v[158:159], v[134:135], v[150:151]
	ds_load_b128 v[132:135], v2 offset:896
	ds_load_b128 v[144:147], v2 offset:912
	s_wait_loadcnt 0x3
	v_fmac_f64_e32 v[158:159], v[136:137], v[152:153]
	s_wait_dscnt 0x1
	s_delay_alu instid0(VALU_DEP_1) | instskip(SKIP_1) | instid1(VALU_DEP_1)
	v_fmac_f64_e32 v[158:159], v[138:139], v[132:133]
	s_wait_loadcnt 0x2
	v_fmac_f64_e32 v[158:159], v[124:125], v[134:135]
	s_wait_dscnt 0x0
	s_delay_alu instid0(VALU_DEP_1)
	v_fmac_f64_e32 v[158:159], v[126:127], v[144:145]
	ds_load_b128 v[124:127], v2 offset:928
	ds_load_b64 v[132:133], v2 offset:944
	s_wait_loadcnt 0x1
	v_fmac_f64_e32 v[158:159], v[140:141], v[146:147]
	s_wait_dscnt 0x1
	s_delay_alu instid0(VALU_DEP_1) | instskip(SKIP_1) | instid1(VALU_DEP_1)
	v_fmac_f64_e32 v[158:159], v[142:143], v[124:125]
	s_wait_loadcnt 0x0
	v_fmac_f64_e32 v[158:159], v[128:129], v[126:127]
	s_wait_dscnt 0x0
	s_delay_alu instid0(VALU_DEP_1) | instskip(NEXT) | instid1(VALU_DEP_1)
	v_fmac_f64_e32 v[158:159], v[130:131], v[132:133]
	v_add_f64_e64 v[122:123], v[122:123], -v[158:159]
	scratch_store_b64 off, v[122:123], off offset:216
	s_wait_xcnt 0x0
	v_cmpx_lt_u32_e32 26, v0
	s_cbranch_execz .LBB58_311
; %bb.310:
	scratch_load_b64 v[122:123], off, off offset:208
	v_mov_b64_e32 v[124:125], 0
	scratch_store_b64 off, v[124:125], off offset:208
	s_wait_loadcnt 0x0
	ds_store_b64 v1, v[122:123]
.LBB58_311:
	s_wait_xcnt 0x0
	s_or_b32 exec_lo, exec_lo, s0
	s_wait_storecnt_dscnt 0x0
	s_barrier_signal -1
	s_barrier_wait -1
	s_clause 0x5
	scratch_load_b128 v[122:125], off, off offset:208
	scratch_load_b128 v[126:129], off, off offset:224
	;; [unrolled: 1-line block ×6, first 2 shown]
	ds_load_2addr_b64 v[146:149], v2 offset0:87 offset1:88
	ds_load_2addr_b64 v[150:153], v2 offset0:89 offset1:90
	scratch_load_b128 v[154:157], off, off offset:304
	s_mov_b32 s0, exec_lo
	s_wait_loadcnt_dscnt 0x601
	v_fma_f64 v[158:159], v[124:125], v[146:147], 0
	s_wait_loadcnt 0x5
	s_delay_alu instid0(VALU_DEP_1) | instskip(SKIP_4) | instid1(VALU_DEP_1)
	v_fmac_f64_e32 v[158:159], v[126:127], v[148:149]
	scratch_load_b128 v[124:127], off, off offset:320
	s_wait_dscnt 0x0
	v_fmac_f64_e32 v[158:159], v[128:129], v[150:151]
	s_wait_loadcnt 0x5
	v_fmac_f64_e32 v[158:159], v[130:131], v[152:153]
	ds_load_2addr_b64 v[128:131], v2 offset0:91 offset1:92
	ds_load_2addr_b64 v[146:149], v2 offset0:93 offset1:94
	scratch_load_b128 v[150:153], off, off offset:336
	s_wait_dscnt 0x1
	v_fmac_f64_e32 v[158:159], v[132:133], v[128:129]
	s_wait_loadcnt 0x5
	s_delay_alu instid0(VALU_DEP_1) | instskip(SKIP_4) | instid1(VALU_DEP_1)
	v_fmac_f64_e32 v[158:159], v[134:135], v[130:131]
	scratch_load_b128 v[128:131], off, off offset:352
	s_wait_dscnt 0x0
	v_fmac_f64_e32 v[158:159], v[136:137], v[146:147]
	s_wait_loadcnt 0x5
	v_fmac_f64_e32 v[158:159], v[138:139], v[148:149]
	ds_load_2addr_b64 v[132:135], v2 offset0:95 offset1:96
	ds_load_2addr_b64 v[136:139], v2 offset0:97 offset1:98
	scratch_load_b128 v[146:149], off, off offset:368
	s_wait_dscnt 0x1
	v_fmac_f64_e32 v[158:159], v[140:141], v[132:133]
	s_wait_loadcnt 0x5
	s_delay_alu instid0(VALU_DEP_1) | instskip(SKIP_4) | instid1(VALU_DEP_1)
	v_fmac_f64_e32 v[158:159], v[142:143], v[134:135]
	scratch_load_b128 v[132:135], off, off offset:384
	s_wait_dscnt 0x0
	v_fmac_f64_e32 v[158:159], v[144:145], v[136:137]
	s_wait_loadcnt 0x5
	v_fmac_f64_e32 v[158:159], v[154:155], v[138:139]
	ds_load_2addr_b64 v[136:139], v2 offset0:99 offset1:100
	ds_load_2addr_b64 v[140:143], v2 offset0:101 offset1:102
	s_wait_dscnt 0x1
	v_fmac_f64_e32 v[158:159], v[156:157], v[136:137]
	s_wait_loadcnt 0x4
	s_delay_alu instid0(VALU_DEP_1)
	v_fmac_f64_e32 v[158:159], v[124:125], v[138:139]
	scratch_load_b128 v[136:139], off, off offset:400
	s_wait_dscnt 0x0
	v_fmac_f64_e32 v[158:159], v[126:127], v[140:141]
	scratch_load_b128 v[124:127], off, off offset:416
	s_wait_loadcnt 0x5
	v_fmac_f64_e32 v[158:159], v[150:151], v[142:143]
	ds_load_2addr_b64 v[140:143], v2 offset0:103 offset1:104
	ds_load_2addr_b64 v[154:157], v2 offset0:105 offset1:106
	s_wait_dscnt 0x1
	v_fmac_f64_e32 v[158:159], v[152:153], v[140:141]
	s_wait_loadcnt 0x4
	s_delay_alu instid0(VALU_DEP_1)
	v_fmac_f64_e32 v[158:159], v[128:129], v[142:143]
	scratch_load_b128 v[140:143], off, off offset:432
	s_wait_dscnt 0x0
	v_fmac_f64_e32 v[158:159], v[130:131], v[154:155]
	scratch_load_b128 v[128:131], off, off offset:448
	s_wait_loadcnt 0x5
	v_fmac_f64_e32 v[158:159], v[146:147], v[156:157]
	ds_load_2addr_b64 v[144:147], v2 offset0:107 offset1:108
	ds_load_2addr_b64 v[150:153], v2 offset0:109 offset1:110
	s_wait_dscnt 0x1
	v_fmac_f64_e32 v[158:159], v[148:149], v[144:145]
	scratch_load_b64 v[148:149], off, off offset:464
	s_wait_loadcnt 0x5
	v_fmac_f64_e32 v[158:159], v[132:133], v[146:147]
	s_wait_dscnt 0x0
	s_delay_alu instid0(VALU_DEP_1)
	v_fmac_f64_e32 v[158:159], v[134:135], v[150:151]
	ds_load_2addr_b64 v[132:135], v2 offset0:111 offset1:112
	ds_load_2addr_b64 v[144:147], v2 offset0:113 offset1:114
	s_wait_loadcnt 0x4
	v_fmac_f64_e32 v[158:159], v[136:137], v[152:153]
	s_wait_dscnt 0x1
	s_delay_alu instid0(VALU_DEP_1) | instskip(SKIP_1) | instid1(VALU_DEP_1)
	v_fmac_f64_e32 v[158:159], v[138:139], v[132:133]
	s_wait_loadcnt 0x3
	v_fmac_f64_e32 v[158:159], v[124:125], v[134:135]
	s_wait_dscnt 0x0
	s_delay_alu instid0(VALU_DEP_1)
	v_fmac_f64_e32 v[158:159], v[126:127], v[144:145]
	ds_load_2addr_b64 v[124:127], v2 offset0:115 offset1:116
	ds_load_2addr_b64 v[132:135], v2 offset0:117 offset1:118
	s_wait_loadcnt 0x2
	v_fmac_f64_e32 v[158:159], v[140:141], v[146:147]
	s_wait_dscnt 0x1
	s_delay_alu instid0(VALU_DEP_1) | instskip(SKIP_1) | instid1(VALU_DEP_1)
	v_fmac_f64_e32 v[158:159], v[142:143], v[124:125]
	s_wait_loadcnt 0x1
	v_fmac_f64_e32 v[158:159], v[128:129], v[126:127]
	s_wait_dscnt 0x0
	s_delay_alu instid0(VALU_DEP_1) | instskip(SKIP_1) | instid1(VALU_DEP_1)
	v_fmac_f64_e32 v[158:159], v[130:131], v[132:133]
	s_wait_loadcnt 0x0
	v_fmac_f64_e32 v[158:159], v[148:149], v[134:135]
	s_delay_alu instid0(VALU_DEP_1)
	v_add_f64_e64 v[2:3], v[122:123], -v[158:159]
	scratch_store_b64 off, v[2:3], off offset:208
	s_wait_xcnt 0x0
	v_cmpx_lt_u32_e32 25, v0
	s_cbranch_execz .LBB58_313
; %bb.312:
	scratch_load_b64 v[2:3], off, off offset:200
	v_mov_b64_e32 v[122:123], 0
	scratch_store_b64 off, v[122:123], off offset:200
	s_wait_loadcnt 0x0
	ds_store_b64 v1, v[2:3]
.LBB58_313:
	s_wait_xcnt 0x0
	s_or_b32 exec_lo, exec_lo, s0
	s_wait_storecnt_dscnt 0x0
	s_barrier_signal -1
	s_barrier_wait -1
	s_clause 0x5
	scratch_load_b128 v[122:125], off, off offset:200
	scratch_load_b128 v[126:129], off, off offset:216
	;; [unrolled: 1-line block ×6, first 2 shown]
	v_mov_b32_e32 v2, 0
	ds_load_b128 v[146:149], v2 offset:688
	ds_load_b128 v[150:153], v2 offset:704
	scratch_load_b128 v[154:157], off, off offset:296
	s_mov_b32 s0, exec_lo
	s_wait_loadcnt_dscnt 0x601
	v_fma_f64 v[158:159], v[124:125], v[146:147], 0
	s_wait_loadcnt 0x5
	s_delay_alu instid0(VALU_DEP_1) | instskip(SKIP_4) | instid1(VALU_DEP_1)
	v_fmac_f64_e32 v[158:159], v[126:127], v[148:149]
	scratch_load_b128 v[124:127], off, off offset:312
	s_wait_dscnt 0x0
	v_fmac_f64_e32 v[158:159], v[128:129], v[150:151]
	s_wait_loadcnt 0x5
	v_fmac_f64_e32 v[158:159], v[130:131], v[152:153]
	ds_load_b128 v[128:131], v2 offset:720
	ds_load_b128 v[146:149], v2 offset:736
	scratch_load_b128 v[150:153], off, off offset:328
	s_wait_dscnt 0x1
	v_fmac_f64_e32 v[158:159], v[132:133], v[128:129]
	s_wait_loadcnt 0x5
	s_delay_alu instid0(VALU_DEP_1) | instskip(SKIP_4) | instid1(VALU_DEP_1)
	v_fmac_f64_e32 v[158:159], v[134:135], v[130:131]
	scratch_load_b128 v[128:131], off, off offset:344
	s_wait_dscnt 0x0
	v_fmac_f64_e32 v[158:159], v[136:137], v[146:147]
	s_wait_loadcnt 0x5
	v_fmac_f64_e32 v[158:159], v[138:139], v[148:149]
	ds_load_b128 v[132:135], v2 offset:752
	ds_load_b128 v[136:139], v2 offset:768
	scratch_load_b128 v[146:149], off, off offset:360
	s_wait_dscnt 0x1
	v_fmac_f64_e32 v[158:159], v[140:141], v[132:133]
	s_wait_loadcnt 0x5
	s_delay_alu instid0(VALU_DEP_1) | instskip(SKIP_4) | instid1(VALU_DEP_1)
	v_fmac_f64_e32 v[158:159], v[142:143], v[134:135]
	scratch_load_b128 v[132:135], off, off offset:376
	s_wait_dscnt 0x0
	v_fmac_f64_e32 v[158:159], v[144:145], v[136:137]
	s_wait_loadcnt 0x5
	v_fmac_f64_e32 v[158:159], v[154:155], v[138:139]
	ds_load_b128 v[136:139], v2 offset:784
	ds_load_b128 v[140:143], v2 offset:800
	s_wait_dscnt 0x1
	v_fmac_f64_e32 v[158:159], v[156:157], v[136:137]
	s_wait_loadcnt 0x4
	s_delay_alu instid0(VALU_DEP_1)
	v_fmac_f64_e32 v[158:159], v[124:125], v[138:139]
	scratch_load_b128 v[136:139], off, off offset:392
	s_wait_dscnt 0x0
	v_fmac_f64_e32 v[158:159], v[126:127], v[140:141]
	scratch_load_b128 v[124:127], off, off offset:408
	s_wait_loadcnt 0x5
	v_fmac_f64_e32 v[158:159], v[150:151], v[142:143]
	ds_load_b128 v[140:143], v2 offset:816
	ds_load_b128 v[154:157], v2 offset:832
	s_wait_dscnt 0x1
	v_fmac_f64_e32 v[158:159], v[152:153], v[140:141]
	s_wait_loadcnt 0x4
	s_delay_alu instid0(VALU_DEP_1)
	v_fmac_f64_e32 v[158:159], v[128:129], v[142:143]
	scratch_load_b128 v[140:143], off, off offset:424
	s_wait_dscnt 0x0
	v_fmac_f64_e32 v[158:159], v[130:131], v[154:155]
	scratch_load_b128 v[128:131], off, off offset:440
	s_wait_loadcnt 0x5
	v_fmac_f64_e32 v[158:159], v[146:147], v[156:157]
	ds_load_b128 v[144:147], v2 offset:848
	ds_load_b128 v[150:153], v2 offset:864
	s_wait_dscnt 0x1
	v_fmac_f64_e32 v[158:159], v[148:149], v[144:145]
	s_wait_loadcnt 0x4
	s_delay_alu instid0(VALU_DEP_1)
	v_fmac_f64_e32 v[158:159], v[132:133], v[146:147]
	scratch_load_b128 v[144:147], off, off offset:456
	s_wait_dscnt 0x0
	v_fmac_f64_e32 v[158:159], v[134:135], v[150:151]
	ds_load_b128 v[132:135], v2 offset:880
	ds_load_b128 v[148:151], v2 offset:896
	s_wait_loadcnt 0x4
	v_fmac_f64_e32 v[158:159], v[136:137], v[152:153]
	s_wait_dscnt 0x1
	s_delay_alu instid0(VALU_DEP_1) | instskip(SKIP_1) | instid1(VALU_DEP_1)
	v_fmac_f64_e32 v[158:159], v[138:139], v[132:133]
	s_wait_loadcnt 0x3
	v_fmac_f64_e32 v[158:159], v[124:125], v[134:135]
	s_wait_dscnt 0x0
	s_delay_alu instid0(VALU_DEP_1)
	v_fmac_f64_e32 v[158:159], v[126:127], v[148:149]
	ds_load_b128 v[124:127], v2 offset:912
	ds_load_b128 v[132:135], v2 offset:928
	s_wait_loadcnt 0x2
	v_fmac_f64_e32 v[158:159], v[140:141], v[150:151]
	s_wait_dscnt 0x1
	s_delay_alu instid0(VALU_DEP_1) | instskip(SKIP_4) | instid1(VALU_DEP_1)
	v_fmac_f64_e32 v[158:159], v[142:143], v[124:125]
	ds_load_b64 v[124:125], v2 offset:944
	s_wait_loadcnt 0x1
	v_fmac_f64_e32 v[158:159], v[128:129], v[126:127]
	s_wait_dscnt 0x1
	v_fmac_f64_e32 v[158:159], v[130:131], v[132:133]
	s_wait_loadcnt 0x0
	s_delay_alu instid0(VALU_DEP_1) | instskip(SKIP_1) | instid1(VALU_DEP_1)
	v_fmac_f64_e32 v[158:159], v[144:145], v[134:135]
	s_wait_dscnt 0x0
	v_fmac_f64_e32 v[158:159], v[146:147], v[124:125]
	s_delay_alu instid0(VALU_DEP_1)
	v_add_f64_e64 v[122:123], v[122:123], -v[158:159]
	scratch_store_b64 off, v[122:123], off offset:200
	s_wait_xcnt 0x0
	v_cmpx_lt_u32_e32 24, v0
	s_cbranch_execz .LBB58_315
; %bb.314:
	scratch_load_b64 v[122:123], off, off offset:192
	v_mov_b64_e32 v[124:125], 0
	scratch_store_b64 off, v[124:125], off offset:192
	s_wait_loadcnt 0x0
	ds_store_b64 v1, v[122:123]
.LBB58_315:
	s_wait_xcnt 0x0
	s_or_b32 exec_lo, exec_lo, s0
	s_wait_storecnt_dscnt 0x0
	s_barrier_signal -1
	s_barrier_wait -1
	s_clause 0x5
	scratch_load_b128 v[122:125], off, off offset:192
	scratch_load_b128 v[126:129], off, off offset:208
	;; [unrolled: 1-line block ×6, first 2 shown]
	ds_load_2addr_b64 v[146:149], v2 offset0:85 offset1:86
	ds_load_2addr_b64 v[150:153], v2 offset0:87 offset1:88
	scratch_load_b128 v[154:157], off, off offset:288
	s_mov_b32 s0, exec_lo
	s_wait_loadcnt_dscnt 0x601
	v_fma_f64 v[158:159], v[124:125], v[146:147], 0
	s_wait_loadcnt 0x5
	s_delay_alu instid0(VALU_DEP_1) | instskip(SKIP_4) | instid1(VALU_DEP_1)
	v_fmac_f64_e32 v[158:159], v[126:127], v[148:149]
	scratch_load_b128 v[124:127], off, off offset:304
	s_wait_dscnt 0x0
	v_fmac_f64_e32 v[158:159], v[128:129], v[150:151]
	s_wait_loadcnt 0x5
	v_fmac_f64_e32 v[158:159], v[130:131], v[152:153]
	ds_load_2addr_b64 v[128:131], v2 offset0:89 offset1:90
	ds_load_2addr_b64 v[146:149], v2 offset0:91 offset1:92
	scratch_load_b128 v[150:153], off, off offset:320
	s_wait_dscnt 0x1
	v_fmac_f64_e32 v[158:159], v[132:133], v[128:129]
	s_wait_loadcnt 0x5
	s_delay_alu instid0(VALU_DEP_1) | instskip(SKIP_4) | instid1(VALU_DEP_1)
	v_fmac_f64_e32 v[158:159], v[134:135], v[130:131]
	scratch_load_b128 v[128:131], off, off offset:336
	s_wait_dscnt 0x0
	v_fmac_f64_e32 v[158:159], v[136:137], v[146:147]
	s_wait_loadcnt 0x5
	v_fmac_f64_e32 v[158:159], v[138:139], v[148:149]
	ds_load_2addr_b64 v[132:135], v2 offset0:93 offset1:94
	ds_load_2addr_b64 v[136:139], v2 offset0:95 offset1:96
	scratch_load_b128 v[146:149], off, off offset:352
	s_wait_dscnt 0x1
	v_fmac_f64_e32 v[158:159], v[140:141], v[132:133]
	s_wait_loadcnt 0x5
	s_delay_alu instid0(VALU_DEP_1) | instskip(SKIP_4) | instid1(VALU_DEP_1)
	v_fmac_f64_e32 v[158:159], v[142:143], v[134:135]
	scratch_load_b128 v[132:135], off, off offset:368
	s_wait_dscnt 0x0
	v_fmac_f64_e32 v[158:159], v[144:145], v[136:137]
	s_wait_loadcnt 0x5
	v_fmac_f64_e32 v[158:159], v[154:155], v[138:139]
	ds_load_2addr_b64 v[136:139], v2 offset0:97 offset1:98
	ds_load_2addr_b64 v[140:143], v2 offset0:99 offset1:100
	s_wait_dscnt 0x1
	v_fmac_f64_e32 v[158:159], v[156:157], v[136:137]
	scratch_load_b128 v[154:157], off, off offset:384
	s_wait_loadcnt 0x5
	v_fmac_f64_e32 v[158:159], v[124:125], v[138:139]
	s_wait_dscnt 0x0
	s_delay_alu instid0(VALU_DEP_1)
	v_fmac_f64_e32 v[158:159], v[126:127], v[140:141]
	scratch_load_b128 v[124:127], off, off offset:400
	s_wait_loadcnt 0x5
	v_fmac_f64_e32 v[158:159], v[150:151], v[142:143]
	ds_load_2addr_b64 v[136:139], v2 offset0:101 offset1:102
	ds_load_2addr_b64 v[140:143], v2 offset0:103 offset1:104
	s_wait_dscnt 0x1
	v_fmac_f64_e32 v[158:159], v[152:153], v[136:137]
	s_wait_loadcnt 0x4
	s_delay_alu instid0(VALU_DEP_1)
	v_fmac_f64_e32 v[158:159], v[128:129], v[138:139]
	scratch_load_b128 v[136:139], off, off offset:416
	s_wait_dscnt 0x0
	v_fmac_f64_e32 v[158:159], v[130:131], v[140:141]
	scratch_load_b128 v[128:131], off, off offset:432
	s_wait_loadcnt 0x5
	v_fmac_f64_e32 v[158:159], v[146:147], v[142:143]
	ds_load_2addr_b64 v[140:143], v2 offset0:105 offset1:106
	ds_load_2addr_b64 v[144:147], v2 offset0:107 offset1:108
	s_wait_dscnt 0x1
	v_fmac_f64_e32 v[158:159], v[148:149], v[140:141]
	scratch_load_b64 v[148:149], off, off offset:464
	s_wait_loadcnt 0x5
	v_fmac_f64_e32 v[158:159], v[132:133], v[142:143]
	scratch_load_b128 v[140:143], off, off offset:448
	s_wait_dscnt 0x0
	v_fmac_f64_e32 v[158:159], v[134:135], v[144:145]
	s_wait_loadcnt 0x5
	s_delay_alu instid0(VALU_DEP_1)
	v_fmac_f64_e32 v[158:159], v[154:155], v[146:147]
	ds_load_2addr_b64 v[132:135], v2 offset0:109 offset1:110
	ds_load_2addr_b64 v[144:147], v2 offset0:111 offset1:112
	s_wait_dscnt 0x1
	v_fmac_f64_e32 v[158:159], v[156:157], v[132:133]
	s_wait_loadcnt 0x4
	s_delay_alu instid0(VALU_DEP_1) | instskip(SKIP_1) | instid1(VALU_DEP_1)
	v_fmac_f64_e32 v[158:159], v[124:125], v[134:135]
	s_wait_dscnt 0x0
	v_fmac_f64_e32 v[158:159], v[126:127], v[144:145]
	ds_load_2addr_b64 v[124:127], v2 offset0:113 offset1:114
	ds_load_2addr_b64 v[132:135], v2 offset0:115 offset1:116
	s_wait_loadcnt 0x3
	v_fmac_f64_e32 v[158:159], v[136:137], v[146:147]
	s_wait_dscnt 0x1
	s_delay_alu instid0(VALU_DEP_1) | instskip(SKIP_1) | instid1(VALU_DEP_1)
	v_fmac_f64_e32 v[158:159], v[138:139], v[124:125]
	s_wait_loadcnt 0x2
	v_fmac_f64_e32 v[158:159], v[128:129], v[126:127]
	ds_load_2addr_b64 v[124:127], v2 offset0:117 offset1:118
	s_wait_dscnt 0x1
	v_fmac_f64_e32 v[158:159], v[130:131], v[132:133]
	s_wait_loadcnt 0x0
	s_delay_alu instid0(VALU_DEP_1) | instskip(SKIP_1) | instid1(VALU_DEP_1)
	v_fmac_f64_e32 v[158:159], v[140:141], v[134:135]
	s_wait_dscnt 0x0
	v_fmac_f64_e32 v[158:159], v[142:143], v[124:125]
	s_delay_alu instid0(VALU_DEP_1) | instskip(NEXT) | instid1(VALU_DEP_1)
	v_fmac_f64_e32 v[158:159], v[148:149], v[126:127]
	v_add_f64_e64 v[2:3], v[122:123], -v[158:159]
	scratch_store_b64 off, v[2:3], off offset:192
	s_wait_xcnt 0x0
	v_cmpx_lt_u32_e32 23, v0
	s_cbranch_execz .LBB58_317
; %bb.316:
	scratch_load_b64 v[2:3], off, off offset:184
	v_mov_b64_e32 v[122:123], 0
	scratch_store_b64 off, v[122:123], off offset:184
	s_wait_loadcnt 0x0
	ds_store_b64 v1, v[2:3]
.LBB58_317:
	s_wait_xcnt 0x0
	s_or_b32 exec_lo, exec_lo, s0
	s_wait_storecnt_dscnt 0x0
	s_barrier_signal -1
	s_barrier_wait -1
	s_clause 0x5
	scratch_load_b128 v[122:125], off, off offset:184
	scratch_load_b128 v[126:129], off, off offset:200
	;; [unrolled: 1-line block ×6, first 2 shown]
	v_mov_b32_e32 v2, 0
	ds_load_b128 v[146:149], v2 offset:672
	ds_load_b128 v[150:153], v2 offset:688
	scratch_load_b128 v[154:157], off, off offset:280
	s_mov_b32 s0, exec_lo
	s_wait_loadcnt_dscnt 0x601
	v_fma_f64 v[158:159], v[124:125], v[146:147], 0
	s_wait_loadcnt 0x5
	s_delay_alu instid0(VALU_DEP_1) | instskip(SKIP_4) | instid1(VALU_DEP_1)
	v_fmac_f64_e32 v[158:159], v[126:127], v[148:149]
	scratch_load_b128 v[124:127], off, off offset:296
	s_wait_dscnt 0x0
	v_fmac_f64_e32 v[158:159], v[128:129], v[150:151]
	s_wait_loadcnt 0x5
	v_fmac_f64_e32 v[158:159], v[130:131], v[152:153]
	ds_load_b128 v[128:131], v2 offset:704
	ds_load_b128 v[146:149], v2 offset:720
	scratch_load_b128 v[150:153], off, off offset:312
	s_wait_dscnt 0x1
	v_fmac_f64_e32 v[158:159], v[132:133], v[128:129]
	s_wait_loadcnt 0x5
	s_delay_alu instid0(VALU_DEP_1) | instskip(SKIP_4) | instid1(VALU_DEP_1)
	v_fmac_f64_e32 v[158:159], v[134:135], v[130:131]
	scratch_load_b128 v[128:131], off, off offset:328
	s_wait_dscnt 0x0
	v_fmac_f64_e32 v[158:159], v[136:137], v[146:147]
	s_wait_loadcnt 0x5
	v_fmac_f64_e32 v[158:159], v[138:139], v[148:149]
	ds_load_b128 v[132:135], v2 offset:736
	ds_load_b128 v[136:139], v2 offset:752
	scratch_load_b128 v[146:149], off, off offset:344
	s_wait_dscnt 0x1
	v_fmac_f64_e32 v[158:159], v[140:141], v[132:133]
	s_wait_loadcnt 0x5
	s_delay_alu instid0(VALU_DEP_1) | instskip(SKIP_4) | instid1(VALU_DEP_1)
	v_fmac_f64_e32 v[158:159], v[142:143], v[134:135]
	scratch_load_b128 v[132:135], off, off offset:360
	s_wait_dscnt 0x0
	v_fmac_f64_e32 v[158:159], v[144:145], v[136:137]
	s_wait_loadcnt 0x5
	v_fmac_f64_e32 v[158:159], v[154:155], v[138:139]
	ds_load_b128 v[136:139], v2 offset:768
	ds_load_b128 v[140:143], v2 offset:784
	s_wait_dscnt 0x1
	v_fmac_f64_e32 v[158:159], v[156:157], v[136:137]
	scratch_load_b128 v[154:157], off, off offset:376
	s_wait_loadcnt 0x5
	v_fmac_f64_e32 v[158:159], v[124:125], v[138:139]
	s_wait_dscnt 0x0
	s_delay_alu instid0(VALU_DEP_1)
	v_fmac_f64_e32 v[158:159], v[126:127], v[140:141]
	scratch_load_b128 v[124:127], off, off offset:392
	s_wait_loadcnt 0x5
	v_fmac_f64_e32 v[158:159], v[150:151], v[142:143]
	ds_load_b128 v[136:139], v2 offset:800
	ds_load_b128 v[140:143], v2 offset:816
	s_wait_dscnt 0x1
	v_fmac_f64_e32 v[158:159], v[152:153], v[136:137]
	s_wait_loadcnt 0x4
	s_delay_alu instid0(VALU_DEP_1)
	v_fmac_f64_e32 v[158:159], v[128:129], v[138:139]
	scratch_load_b128 v[136:139], off, off offset:408
	s_wait_dscnt 0x0
	v_fmac_f64_e32 v[158:159], v[130:131], v[140:141]
	scratch_load_b128 v[128:131], off, off offset:424
	s_wait_loadcnt 0x5
	v_fmac_f64_e32 v[158:159], v[146:147], v[142:143]
	ds_load_b128 v[140:143], v2 offset:832
	ds_load_b128 v[144:147], v2 offset:848
	s_wait_dscnt 0x1
	v_fmac_f64_e32 v[158:159], v[148:149], v[140:141]
	s_wait_loadcnt 0x4
	s_delay_alu instid0(VALU_DEP_1)
	v_fmac_f64_e32 v[158:159], v[132:133], v[142:143]
	scratch_load_b128 v[140:143], off, off offset:440
	s_wait_dscnt 0x0
	v_fmac_f64_e32 v[158:159], v[134:135], v[144:145]
	scratch_load_b128 v[132:135], off, off offset:456
	s_wait_loadcnt 0x5
	v_fmac_f64_e32 v[158:159], v[154:155], v[146:147]
	ds_load_b128 v[144:147], v2 offset:864
	ds_load_b128 v[148:151], v2 offset:880
	s_wait_dscnt 0x1
	v_fmac_f64_e32 v[158:159], v[156:157], v[144:145]
	s_wait_loadcnt 0x4
	s_delay_alu instid0(VALU_DEP_1) | instskip(SKIP_1) | instid1(VALU_DEP_1)
	v_fmac_f64_e32 v[158:159], v[124:125], v[146:147]
	s_wait_dscnt 0x0
	v_fmac_f64_e32 v[158:159], v[126:127], v[148:149]
	ds_load_b128 v[124:127], v2 offset:896
	ds_load_b128 v[144:147], v2 offset:912
	s_wait_loadcnt 0x3
	v_fmac_f64_e32 v[158:159], v[136:137], v[150:151]
	s_wait_dscnt 0x1
	s_delay_alu instid0(VALU_DEP_1) | instskip(SKIP_1) | instid1(VALU_DEP_1)
	v_fmac_f64_e32 v[158:159], v[138:139], v[124:125]
	s_wait_loadcnt 0x2
	v_fmac_f64_e32 v[158:159], v[128:129], v[126:127]
	ds_load_b128 v[124:127], v2 offset:928
	ds_load_b64 v[128:129], v2 offset:944
	s_wait_dscnt 0x2
	v_fmac_f64_e32 v[158:159], v[130:131], v[144:145]
	s_wait_loadcnt 0x1
	s_delay_alu instid0(VALU_DEP_1) | instskip(SKIP_1) | instid1(VALU_DEP_1)
	v_fmac_f64_e32 v[158:159], v[140:141], v[146:147]
	s_wait_dscnt 0x1
	v_fmac_f64_e32 v[158:159], v[142:143], v[124:125]
	s_wait_loadcnt 0x0
	s_delay_alu instid0(VALU_DEP_1) | instskip(SKIP_1) | instid1(VALU_DEP_1)
	v_fmac_f64_e32 v[158:159], v[132:133], v[126:127]
	s_wait_dscnt 0x0
	v_fmac_f64_e32 v[158:159], v[134:135], v[128:129]
	s_delay_alu instid0(VALU_DEP_1)
	v_add_f64_e64 v[122:123], v[122:123], -v[158:159]
	scratch_store_b64 off, v[122:123], off offset:184
	s_wait_xcnt 0x0
	v_cmpx_lt_u32_e32 22, v0
	s_cbranch_execz .LBB58_319
; %bb.318:
	scratch_load_b64 v[122:123], off, off offset:176
	v_mov_b64_e32 v[124:125], 0
	scratch_store_b64 off, v[124:125], off offset:176
	s_wait_loadcnt 0x0
	ds_store_b64 v1, v[122:123]
.LBB58_319:
	s_wait_xcnt 0x0
	s_or_b32 exec_lo, exec_lo, s0
	s_wait_storecnt_dscnt 0x0
	s_barrier_signal -1
	s_barrier_wait -1
	s_clause 0x5
	scratch_load_b128 v[122:125], off, off offset:176
	scratch_load_b128 v[126:129], off, off offset:192
	;; [unrolled: 1-line block ×6, first 2 shown]
	ds_load_2addr_b64 v[146:149], v2 offset0:83 offset1:84
	ds_load_2addr_b64 v[150:153], v2 offset0:85 offset1:86
	scratch_load_b128 v[154:157], off, off offset:272
	s_mov_b32 s0, exec_lo
	s_wait_loadcnt_dscnt 0x601
	v_fma_f64 v[158:159], v[124:125], v[146:147], 0
	s_wait_loadcnt 0x5
	s_delay_alu instid0(VALU_DEP_1) | instskip(SKIP_4) | instid1(VALU_DEP_1)
	v_fmac_f64_e32 v[158:159], v[126:127], v[148:149]
	scratch_load_b128 v[124:127], off, off offset:288
	s_wait_dscnt 0x0
	v_fmac_f64_e32 v[158:159], v[128:129], v[150:151]
	s_wait_loadcnt 0x5
	v_fmac_f64_e32 v[158:159], v[130:131], v[152:153]
	ds_load_2addr_b64 v[128:131], v2 offset0:87 offset1:88
	ds_load_2addr_b64 v[146:149], v2 offset0:89 offset1:90
	scratch_load_b128 v[150:153], off, off offset:304
	s_wait_dscnt 0x1
	v_fmac_f64_e32 v[158:159], v[132:133], v[128:129]
	s_wait_loadcnt 0x5
	s_delay_alu instid0(VALU_DEP_1) | instskip(SKIP_4) | instid1(VALU_DEP_1)
	v_fmac_f64_e32 v[158:159], v[134:135], v[130:131]
	scratch_load_b128 v[128:131], off, off offset:320
	s_wait_dscnt 0x0
	v_fmac_f64_e32 v[158:159], v[136:137], v[146:147]
	s_wait_loadcnt 0x5
	v_fmac_f64_e32 v[158:159], v[138:139], v[148:149]
	ds_load_2addr_b64 v[132:135], v2 offset0:91 offset1:92
	ds_load_2addr_b64 v[136:139], v2 offset0:93 offset1:94
	scratch_load_b128 v[146:149], off, off offset:336
	s_wait_dscnt 0x1
	v_fmac_f64_e32 v[158:159], v[140:141], v[132:133]
	s_wait_loadcnt 0x5
	s_delay_alu instid0(VALU_DEP_1) | instskip(SKIP_4) | instid1(VALU_DEP_1)
	v_fmac_f64_e32 v[158:159], v[142:143], v[134:135]
	scratch_load_b128 v[132:135], off, off offset:352
	s_wait_dscnt 0x0
	v_fmac_f64_e32 v[158:159], v[144:145], v[136:137]
	s_wait_loadcnt 0x5
	v_fmac_f64_e32 v[158:159], v[154:155], v[138:139]
	ds_load_2addr_b64 v[136:139], v2 offset0:95 offset1:96
	ds_load_2addr_b64 v[140:143], v2 offset0:97 offset1:98
	s_wait_dscnt 0x1
	v_fmac_f64_e32 v[158:159], v[156:157], v[136:137]
	scratch_load_b128 v[154:157], off, off offset:368
	s_wait_loadcnt 0x5
	v_fmac_f64_e32 v[158:159], v[124:125], v[138:139]
	s_wait_dscnt 0x0
	s_delay_alu instid0(VALU_DEP_1)
	v_fmac_f64_e32 v[158:159], v[126:127], v[140:141]
	scratch_load_b128 v[124:127], off, off offset:384
	s_wait_loadcnt 0x5
	v_fmac_f64_e32 v[158:159], v[150:151], v[142:143]
	ds_load_2addr_b64 v[136:139], v2 offset0:99 offset1:100
	ds_load_2addr_b64 v[140:143], v2 offset0:101 offset1:102
	s_wait_dscnt 0x1
	v_fmac_f64_e32 v[158:159], v[152:153], v[136:137]
	s_wait_loadcnt 0x4
	s_delay_alu instid0(VALU_DEP_1)
	v_fmac_f64_e32 v[158:159], v[128:129], v[138:139]
	scratch_load_b128 v[136:139], off, off offset:400
	s_wait_dscnt 0x0
	v_fmac_f64_e32 v[158:159], v[130:131], v[140:141]
	scratch_load_b128 v[128:131], off, off offset:416
	s_wait_loadcnt 0x5
	v_fmac_f64_e32 v[158:159], v[146:147], v[142:143]
	ds_load_2addr_b64 v[140:143], v2 offset0:103 offset1:104
	ds_load_2addr_b64 v[144:147], v2 offset0:105 offset1:106
	s_wait_dscnt 0x1
	v_fmac_f64_e32 v[158:159], v[148:149], v[140:141]
	s_wait_loadcnt 0x4
	s_delay_alu instid0(VALU_DEP_1)
	v_fmac_f64_e32 v[158:159], v[132:133], v[142:143]
	scratch_load_b128 v[140:143], off, off offset:432
	s_wait_dscnt 0x0
	v_fmac_f64_e32 v[158:159], v[134:135], v[144:145]
	scratch_load_b128 v[132:135], off, off offset:448
	s_wait_loadcnt 0x5
	v_fmac_f64_e32 v[158:159], v[154:155], v[146:147]
	ds_load_2addr_b64 v[144:147], v2 offset0:107 offset1:108
	ds_load_2addr_b64 v[148:151], v2 offset0:109 offset1:110
	scratch_load_b64 v[152:153], off, off offset:464
	s_wait_dscnt 0x1
	v_fmac_f64_e32 v[158:159], v[156:157], v[144:145]
	s_wait_loadcnt 0x5
	s_delay_alu instid0(VALU_DEP_1) | instskip(SKIP_1) | instid1(VALU_DEP_1)
	v_fmac_f64_e32 v[158:159], v[124:125], v[146:147]
	s_wait_dscnt 0x0
	v_fmac_f64_e32 v[158:159], v[126:127], v[148:149]
	ds_load_2addr_b64 v[124:127], v2 offset0:111 offset1:112
	ds_load_2addr_b64 v[144:147], v2 offset0:113 offset1:114
	s_wait_loadcnt 0x4
	v_fmac_f64_e32 v[158:159], v[136:137], v[150:151]
	s_wait_dscnt 0x1
	s_delay_alu instid0(VALU_DEP_1) | instskip(SKIP_1) | instid1(VALU_DEP_1)
	v_fmac_f64_e32 v[158:159], v[138:139], v[124:125]
	s_wait_loadcnt 0x3
	v_fmac_f64_e32 v[158:159], v[128:129], v[126:127]
	s_wait_dscnt 0x0
	s_delay_alu instid0(VALU_DEP_1)
	v_fmac_f64_e32 v[158:159], v[130:131], v[144:145]
	ds_load_2addr_b64 v[124:127], v2 offset0:115 offset1:116
	ds_load_2addr_b64 v[128:131], v2 offset0:117 offset1:118
	s_wait_loadcnt 0x2
	v_fmac_f64_e32 v[158:159], v[140:141], v[146:147]
	s_wait_dscnt 0x1
	s_delay_alu instid0(VALU_DEP_1) | instskip(SKIP_1) | instid1(VALU_DEP_1)
	v_fmac_f64_e32 v[158:159], v[142:143], v[124:125]
	s_wait_loadcnt 0x1
	v_fmac_f64_e32 v[158:159], v[132:133], v[126:127]
	s_wait_dscnt 0x0
	s_delay_alu instid0(VALU_DEP_1) | instskip(SKIP_1) | instid1(VALU_DEP_1)
	v_fmac_f64_e32 v[158:159], v[134:135], v[128:129]
	s_wait_loadcnt 0x0
	v_fmac_f64_e32 v[158:159], v[152:153], v[130:131]
	s_delay_alu instid0(VALU_DEP_1)
	v_add_f64_e64 v[2:3], v[122:123], -v[158:159]
	scratch_store_b64 off, v[2:3], off offset:176
	s_wait_xcnt 0x0
	v_cmpx_lt_u32_e32 21, v0
	s_cbranch_execz .LBB58_321
; %bb.320:
	scratch_load_b64 v[2:3], off, off offset:168
	v_mov_b64_e32 v[122:123], 0
	scratch_store_b64 off, v[122:123], off offset:168
	s_wait_loadcnt 0x0
	ds_store_b64 v1, v[2:3]
.LBB58_321:
	s_wait_xcnt 0x0
	s_or_b32 exec_lo, exec_lo, s0
	s_wait_storecnt_dscnt 0x0
	s_barrier_signal -1
	s_barrier_wait -1
	s_clause 0x5
	scratch_load_b128 v[122:125], off, off offset:168
	scratch_load_b128 v[126:129], off, off offset:184
	;; [unrolled: 1-line block ×6, first 2 shown]
	v_mov_b32_e32 v2, 0
	ds_load_b128 v[146:149], v2 offset:656
	ds_load_b128 v[150:153], v2 offset:672
	scratch_load_b128 v[154:157], off, off offset:264
	s_mov_b32 s0, exec_lo
	s_wait_loadcnt_dscnt 0x601
	v_fma_f64 v[158:159], v[124:125], v[146:147], 0
	s_wait_loadcnt 0x5
	s_delay_alu instid0(VALU_DEP_1) | instskip(SKIP_4) | instid1(VALU_DEP_1)
	v_fmac_f64_e32 v[158:159], v[126:127], v[148:149]
	scratch_load_b128 v[124:127], off, off offset:280
	s_wait_dscnt 0x0
	v_fmac_f64_e32 v[158:159], v[128:129], v[150:151]
	s_wait_loadcnt 0x5
	v_fmac_f64_e32 v[158:159], v[130:131], v[152:153]
	ds_load_b128 v[128:131], v2 offset:688
	ds_load_b128 v[146:149], v2 offset:704
	scratch_load_b128 v[150:153], off, off offset:296
	s_wait_dscnt 0x1
	v_fmac_f64_e32 v[158:159], v[132:133], v[128:129]
	s_wait_loadcnt 0x5
	s_delay_alu instid0(VALU_DEP_1) | instskip(SKIP_4) | instid1(VALU_DEP_1)
	v_fmac_f64_e32 v[158:159], v[134:135], v[130:131]
	scratch_load_b128 v[128:131], off, off offset:312
	s_wait_dscnt 0x0
	v_fmac_f64_e32 v[158:159], v[136:137], v[146:147]
	s_wait_loadcnt 0x5
	v_fmac_f64_e32 v[158:159], v[138:139], v[148:149]
	ds_load_b128 v[132:135], v2 offset:720
	ds_load_b128 v[136:139], v2 offset:736
	scratch_load_b128 v[146:149], off, off offset:328
	s_wait_dscnt 0x1
	v_fmac_f64_e32 v[158:159], v[140:141], v[132:133]
	s_wait_loadcnt 0x5
	s_delay_alu instid0(VALU_DEP_1) | instskip(SKIP_4) | instid1(VALU_DEP_1)
	v_fmac_f64_e32 v[158:159], v[142:143], v[134:135]
	scratch_load_b128 v[132:135], off, off offset:344
	s_wait_dscnt 0x0
	v_fmac_f64_e32 v[158:159], v[144:145], v[136:137]
	s_wait_loadcnt 0x5
	v_fmac_f64_e32 v[158:159], v[154:155], v[138:139]
	ds_load_b128 v[136:139], v2 offset:752
	ds_load_b128 v[140:143], v2 offset:768
	s_wait_dscnt 0x1
	v_fmac_f64_e32 v[158:159], v[156:157], v[136:137]
	scratch_load_b128 v[154:157], off, off offset:360
	s_wait_loadcnt 0x5
	v_fmac_f64_e32 v[158:159], v[124:125], v[138:139]
	s_wait_dscnt 0x0
	s_delay_alu instid0(VALU_DEP_1)
	v_fmac_f64_e32 v[158:159], v[126:127], v[140:141]
	scratch_load_b128 v[124:127], off, off offset:376
	s_wait_loadcnt 0x5
	v_fmac_f64_e32 v[158:159], v[150:151], v[142:143]
	ds_load_b128 v[136:139], v2 offset:784
	ds_load_b128 v[140:143], v2 offset:800
	s_wait_dscnt 0x1
	v_fmac_f64_e32 v[158:159], v[152:153], v[136:137]
	s_wait_loadcnt 0x4
	s_delay_alu instid0(VALU_DEP_1)
	v_fmac_f64_e32 v[158:159], v[128:129], v[138:139]
	scratch_load_b128 v[136:139], off, off offset:392
	s_wait_dscnt 0x0
	v_fmac_f64_e32 v[158:159], v[130:131], v[140:141]
	scratch_load_b128 v[128:131], off, off offset:408
	s_wait_loadcnt 0x5
	v_fmac_f64_e32 v[158:159], v[146:147], v[142:143]
	ds_load_b128 v[140:143], v2 offset:816
	ds_load_b128 v[144:147], v2 offset:832
	s_wait_dscnt 0x1
	v_fmac_f64_e32 v[158:159], v[148:149], v[140:141]
	s_wait_loadcnt 0x4
	s_delay_alu instid0(VALU_DEP_1)
	v_fmac_f64_e32 v[158:159], v[132:133], v[142:143]
	scratch_load_b128 v[140:143], off, off offset:424
	s_wait_dscnt 0x0
	v_fmac_f64_e32 v[158:159], v[134:135], v[144:145]
	scratch_load_b128 v[132:135], off, off offset:440
	s_wait_loadcnt 0x5
	v_fmac_f64_e32 v[158:159], v[154:155], v[146:147]
	ds_load_b128 v[144:147], v2 offset:848
	ds_load_b128 v[148:151], v2 offset:864
	s_wait_dscnt 0x1
	v_fmac_f64_e32 v[158:159], v[156:157], v[144:145]
	s_wait_loadcnt 0x4
	s_delay_alu instid0(VALU_DEP_1) | instskip(SKIP_4) | instid1(VALU_DEP_1)
	v_fmac_f64_e32 v[158:159], v[124:125], v[146:147]
	scratch_load_b128 v[144:147], off, off offset:456
	s_wait_dscnt 0x0
	v_fmac_f64_e32 v[158:159], v[126:127], v[148:149]
	s_wait_loadcnt 0x4
	v_fmac_f64_e32 v[158:159], v[136:137], v[150:151]
	ds_load_b128 v[124:127], v2 offset:880
	ds_load_b128 v[148:151], v2 offset:896
	s_wait_dscnt 0x1
	v_fmac_f64_e32 v[158:159], v[138:139], v[124:125]
	s_wait_loadcnt 0x3
	s_delay_alu instid0(VALU_DEP_1) | instskip(SKIP_1) | instid1(VALU_DEP_1)
	v_fmac_f64_e32 v[158:159], v[128:129], v[126:127]
	s_wait_dscnt 0x0
	v_fmac_f64_e32 v[158:159], v[130:131], v[148:149]
	ds_load_b128 v[124:127], v2 offset:912
	ds_load_b128 v[128:131], v2 offset:928
	s_wait_loadcnt 0x2
	v_fmac_f64_e32 v[158:159], v[140:141], v[150:151]
	s_wait_dscnt 0x1
	s_delay_alu instid0(VALU_DEP_1) | instskip(SKIP_4) | instid1(VALU_DEP_1)
	v_fmac_f64_e32 v[158:159], v[142:143], v[124:125]
	ds_load_b64 v[124:125], v2 offset:944
	s_wait_loadcnt 0x1
	v_fmac_f64_e32 v[158:159], v[132:133], v[126:127]
	s_wait_dscnt 0x1
	v_fmac_f64_e32 v[158:159], v[134:135], v[128:129]
	s_wait_loadcnt 0x0
	s_delay_alu instid0(VALU_DEP_1) | instskip(SKIP_1) | instid1(VALU_DEP_1)
	v_fmac_f64_e32 v[158:159], v[144:145], v[130:131]
	s_wait_dscnt 0x0
	v_fmac_f64_e32 v[158:159], v[146:147], v[124:125]
	s_delay_alu instid0(VALU_DEP_1)
	v_add_f64_e64 v[122:123], v[122:123], -v[158:159]
	scratch_store_b64 off, v[122:123], off offset:168
	s_wait_xcnt 0x0
	v_cmpx_lt_u32_e32 20, v0
	s_cbranch_execz .LBB58_323
; %bb.322:
	scratch_load_b64 v[122:123], off, off offset:160
	v_mov_b64_e32 v[124:125], 0
	scratch_store_b64 off, v[124:125], off offset:160
	s_wait_loadcnt 0x0
	ds_store_b64 v1, v[122:123]
.LBB58_323:
	s_wait_xcnt 0x0
	s_or_b32 exec_lo, exec_lo, s0
	s_wait_storecnt_dscnt 0x0
	s_barrier_signal -1
	s_barrier_wait -1
	s_clause 0x5
	scratch_load_b128 v[122:125], off, off offset:160
	scratch_load_b128 v[126:129], off, off offset:176
	;; [unrolled: 1-line block ×6, first 2 shown]
	ds_load_2addr_b64 v[146:149], v2 offset0:81 offset1:82
	ds_load_2addr_b64 v[150:153], v2 offset0:83 offset1:84
	scratch_load_b128 v[154:157], off, off offset:256
	s_mov_b32 s0, exec_lo
	s_wait_loadcnt_dscnt 0x601
	v_fma_f64 v[158:159], v[124:125], v[146:147], 0
	s_wait_loadcnt 0x5
	s_delay_alu instid0(VALU_DEP_1) | instskip(SKIP_4) | instid1(VALU_DEP_1)
	v_fmac_f64_e32 v[158:159], v[126:127], v[148:149]
	scratch_load_b128 v[124:127], off, off offset:272
	s_wait_dscnt 0x0
	v_fmac_f64_e32 v[158:159], v[128:129], v[150:151]
	s_wait_loadcnt 0x5
	v_fmac_f64_e32 v[158:159], v[130:131], v[152:153]
	ds_load_2addr_b64 v[128:131], v2 offset0:85 offset1:86
	ds_load_2addr_b64 v[146:149], v2 offset0:87 offset1:88
	scratch_load_b128 v[150:153], off, off offset:288
	s_wait_dscnt 0x1
	v_fmac_f64_e32 v[158:159], v[132:133], v[128:129]
	s_wait_loadcnt 0x5
	s_delay_alu instid0(VALU_DEP_1) | instskip(SKIP_4) | instid1(VALU_DEP_1)
	v_fmac_f64_e32 v[158:159], v[134:135], v[130:131]
	scratch_load_b128 v[128:131], off, off offset:304
	s_wait_dscnt 0x0
	v_fmac_f64_e32 v[158:159], v[136:137], v[146:147]
	s_wait_loadcnt 0x5
	v_fmac_f64_e32 v[158:159], v[138:139], v[148:149]
	ds_load_2addr_b64 v[132:135], v2 offset0:89 offset1:90
	ds_load_2addr_b64 v[136:139], v2 offset0:91 offset1:92
	scratch_load_b128 v[146:149], off, off offset:320
	s_wait_dscnt 0x1
	v_fmac_f64_e32 v[158:159], v[140:141], v[132:133]
	s_wait_loadcnt 0x5
	s_delay_alu instid0(VALU_DEP_1) | instskip(SKIP_4) | instid1(VALU_DEP_1)
	v_fmac_f64_e32 v[158:159], v[142:143], v[134:135]
	scratch_load_b128 v[132:135], off, off offset:336
	s_wait_dscnt 0x0
	v_fmac_f64_e32 v[158:159], v[144:145], v[136:137]
	s_wait_loadcnt 0x5
	v_fmac_f64_e32 v[158:159], v[154:155], v[138:139]
	ds_load_2addr_b64 v[136:139], v2 offset0:93 offset1:94
	ds_load_2addr_b64 v[140:143], v2 offset0:95 offset1:96
	s_wait_dscnt 0x1
	v_fmac_f64_e32 v[158:159], v[156:157], v[136:137]
	scratch_load_b128 v[154:157], off, off offset:352
	s_wait_loadcnt 0x5
	v_fmac_f64_e32 v[158:159], v[124:125], v[138:139]
	s_wait_dscnt 0x0
	s_delay_alu instid0(VALU_DEP_1)
	v_fmac_f64_e32 v[158:159], v[126:127], v[140:141]
	scratch_load_b128 v[124:127], off, off offset:368
	s_wait_loadcnt 0x5
	v_fmac_f64_e32 v[158:159], v[150:151], v[142:143]
	ds_load_2addr_b64 v[136:139], v2 offset0:97 offset1:98
	ds_load_2addr_b64 v[140:143], v2 offset0:99 offset1:100
	s_wait_dscnt 0x1
	v_fmac_f64_e32 v[158:159], v[152:153], v[136:137]
	scratch_load_b128 v[150:153], off, off offset:384
	s_wait_loadcnt 0x5
	v_fmac_f64_e32 v[158:159], v[128:129], v[138:139]
	s_wait_dscnt 0x0
	s_delay_alu instid0(VALU_DEP_1)
	v_fmac_f64_e32 v[158:159], v[130:131], v[140:141]
	scratch_load_b128 v[128:131], off, off offset:400
	s_wait_loadcnt 0x5
	v_fmac_f64_e32 v[158:159], v[146:147], v[142:143]
	ds_load_2addr_b64 v[136:139], v2 offset0:101 offset1:102
	ds_load_2addr_b64 v[140:143], v2 offset0:103 offset1:104
	s_wait_dscnt 0x1
	v_fmac_f64_e32 v[158:159], v[148:149], v[136:137]
	s_wait_loadcnt 0x4
	s_delay_alu instid0(VALU_DEP_1)
	v_fmac_f64_e32 v[158:159], v[132:133], v[138:139]
	scratch_load_b128 v[136:139], off, off offset:416
	s_wait_dscnt 0x0
	v_fmac_f64_e32 v[158:159], v[134:135], v[140:141]
	scratch_load_b128 v[132:135], off, off offset:432
	s_wait_loadcnt 0x5
	v_fmac_f64_e32 v[158:159], v[154:155], v[142:143]
	ds_load_2addr_b64 v[140:143], v2 offset0:105 offset1:106
	ds_load_2addr_b64 v[144:147], v2 offset0:107 offset1:108
	scratch_load_b64 v[148:149], off, off offset:464
	s_wait_dscnt 0x1
	v_fmac_f64_e32 v[158:159], v[156:157], v[140:141]
	s_wait_loadcnt 0x5
	s_delay_alu instid0(VALU_DEP_1) | instskip(SKIP_4) | instid1(VALU_DEP_1)
	v_fmac_f64_e32 v[158:159], v[124:125], v[142:143]
	scratch_load_b128 v[140:143], off, off offset:448
	s_wait_dscnt 0x0
	v_fmac_f64_e32 v[158:159], v[126:127], v[144:145]
	s_wait_loadcnt 0x5
	v_fmac_f64_e32 v[158:159], v[150:151], v[146:147]
	ds_load_2addr_b64 v[124:127], v2 offset0:109 offset1:110
	ds_load_2addr_b64 v[144:147], v2 offset0:111 offset1:112
	s_wait_dscnt 0x1
	v_fmac_f64_e32 v[158:159], v[152:153], v[124:125]
	s_wait_loadcnt 0x4
	s_delay_alu instid0(VALU_DEP_1) | instskip(SKIP_1) | instid1(VALU_DEP_1)
	v_fmac_f64_e32 v[158:159], v[128:129], v[126:127]
	s_wait_dscnt 0x0
	v_fmac_f64_e32 v[158:159], v[130:131], v[144:145]
	ds_load_2addr_b64 v[124:127], v2 offset0:113 offset1:114
	ds_load_2addr_b64 v[128:131], v2 offset0:115 offset1:116
	s_wait_loadcnt 0x3
	v_fmac_f64_e32 v[158:159], v[136:137], v[146:147]
	s_wait_dscnt 0x1
	s_delay_alu instid0(VALU_DEP_1) | instskip(SKIP_1) | instid1(VALU_DEP_1)
	v_fmac_f64_e32 v[158:159], v[138:139], v[124:125]
	s_wait_loadcnt 0x2
	v_fmac_f64_e32 v[158:159], v[132:133], v[126:127]
	ds_load_2addr_b64 v[124:127], v2 offset0:117 offset1:118
	s_wait_dscnt 0x1
	v_fmac_f64_e32 v[158:159], v[134:135], v[128:129]
	s_wait_loadcnt 0x0
	s_delay_alu instid0(VALU_DEP_1) | instskip(SKIP_1) | instid1(VALU_DEP_1)
	v_fmac_f64_e32 v[158:159], v[140:141], v[130:131]
	s_wait_dscnt 0x0
	v_fmac_f64_e32 v[158:159], v[142:143], v[124:125]
	s_delay_alu instid0(VALU_DEP_1) | instskip(NEXT) | instid1(VALU_DEP_1)
	v_fmac_f64_e32 v[158:159], v[148:149], v[126:127]
	v_add_f64_e64 v[2:3], v[122:123], -v[158:159]
	scratch_store_b64 off, v[2:3], off offset:160
	s_wait_xcnt 0x0
	v_cmpx_lt_u32_e32 19, v0
	s_cbranch_execz .LBB58_325
; %bb.324:
	scratch_load_b64 v[2:3], off, off offset:152
	v_mov_b64_e32 v[122:123], 0
	scratch_store_b64 off, v[122:123], off offset:152
	s_wait_loadcnt 0x0
	ds_store_b64 v1, v[2:3]
.LBB58_325:
	s_wait_xcnt 0x0
	s_or_b32 exec_lo, exec_lo, s0
	s_wait_storecnt_dscnt 0x0
	s_barrier_signal -1
	s_barrier_wait -1
	s_clause 0x5
	scratch_load_b128 v[122:125], off, off offset:152
	scratch_load_b128 v[126:129], off, off offset:168
	;; [unrolled: 1-line block ×6, first 2 shown]
	v_mov_b32_e32 v2, 0
	ds_load_b128 v[146:149], v2 offset:640
	ds_load_b128 v[150:153], v2 offset:656
	scratch_load_b128 v[154:157], off, off offset:248
	s_mov_b32 s0, exec_lo
	s_wait_loadcnt_dscnt 0x601
	v_fma_f64 v[158:159], v[124:125], v[146:147], 0
	s_wait_loadcnt 0x5
	s_delay_alu instid0(VALU_DEP_1) | instskip(SKIP_4) | instid1(VALU_DEP_1)
	v_fmac_f64_e32 v[158:159], v[126:127], v[148:149]
	scratch_load_b128 v[124:127], off, off offset:264
	s_wait_dscnt 0x0
	v_fmac_f64_e32 v[158:159], v[128:129], v[150:151]
	s_wait_loadcnt 0x5
	v_fmac_f64_e32 v[158:159], v[130:131], v[152:153]
	ds_load_b128 v[128:131], v2 offset:672
	ds_load_b128 v[146:149], v2 offset:688
	scratch_load_b128 v[150:153], off, off offset:280
	s_wait_dscnt 0x1
	v_fmac_f64_e32 v[158:159], v[132:133], v[128:129]
	s_wait_loadcnt 0x5
	s_delay_alu instid0(VALU_DEP_1) | instskip(SKIP_4) | instid1(VALU_DEP_1)
	v_fmac_f64_e32 v[158:159], v[134:135], v[130:131]
	scratch_load_b128 v[128:131], off, off offset:296
	s_wait_dscnt 0x0
	v_fmac_f64_e32 v[158:159], v[136:137], v[146:147]
	s_wait_loadcnt 0x5
	v_fmac_f64_e32 v[158:159], v[138:139], v[148:149]
	ds_load_b128 v[132:135], v2 offset:704
	ds_load_b128 v[136:139], v2 offset:720
	scratch_load_b128 v[146:149], off, off offset:312
	s_wait_dscnt 0x1
	v_fmac_f64_e32 v[158:159], v[140:141], v[132:133]
	s_wait_loadcnt 0x5
	s_delay_alu instid0(VALU_DEP_1) | instskip(SKIP_4) | instid1(VALU_DEP_1)
	v_fmac_f64_e32 v[158:159], v[142:143], v[134:135]
	scratch_load_b128 v[132:135], off, off offset:328
	s_wait_dscnt 0x0
	v_fmac_f64_e32 v[158:159], v[144:145], v[136:137]
	s_wait_loadcnt 0x5
	v_fmac_f64_e32 v[158:159], v[154:155], v[138:139]
	ds_load_b128 v[136:139], v2 offset:736
	ds_load_b128 v[140:143], v2 offset:752
	s_wait_dscnt 0x1
	v_fmac_f64_e32 v[158:159], v[156:157], v[136:137]
	scratch_load_b128 v[154:157], off, off offset:344
	s_wait_loadcnt 0x5
	v_fmac_f64_e32 v[158:159], v[124:125], v[138:139]
	s_wait_dscnt 0x0
	s_delay_alu instid0(VALU_DEP_1)
	v_fmac_f64_e32 v[158:159], v[126:127], v[140:141]
	scratch_load_b128 v[124:127], off, off offset:360
	s_wait_loadcnt 0x5
	v_fmac_f64_e32 v[158:159], v[150:151], v[142:143]
	ds_load_b128 v[136:139], v2 offset:768
	ds_load_b128 v[140:143], v2 offset:784
	s_wait_dscnt 0x1
	v_fmac_f64_e32 v[158:159], v[152:153], v[136:137]
	scratch_load_b128 v[150:153], off, off offset:376
	s_wait_loadcnt 0x5
	v_fmac_f64_e32 v[158:159], v[128:129], v[138:139]
	s_wait_dscnt 0x0
	s_delay_alu instid0(VALU_DEP_1)
	v_fmac_f64_e32 v[158:159], v[130:131], v[140:141]
	scratch_load_b128 v[128:131], off, off offset:392
	s_wait_loadcnt 0x5
	v_fmac_f64_e32 v[158:159], v[146:147], v[142:143]
	ds_load_b128 v[136:139], v2 offset:800
	ds_load_b128 v[140:143], v2 offset:816
	s_wait_dscnt 0x1
	v_fmac_f64_e32 v[158:159], v[148:149], v[136:137]
	s_wait_loadcnt 0x4
	s_delay_alu instid0(VALU_DEP_1)
	v_fmac_f64_e32 v[158:159], v[132:133], v[138:139]
	scratch_load_b128 v[136:139], off, off offset:408
	s_wait_dscnt 0x0
	v_fmac_f64_e32 v[158:159], v[134:135], v[140:141]
	scratch_load_b128 v[132:135], off, off offset:424
	s_wait_loadcnt 0x5
	v_fmac_f64_e32 v[158:159], v[154:155], v[142:143]
	ds_load_b128 v[140:143], v2 offset:832
	ds_load_b128 v[144:147], v2 offset:848
	s_wait_dscnt 0x1
	v_fmac_f64_e32 v[158:159], v[156:157], v[140:141]
	s_wait_loadcnt 0x4
	s_delay_alu instid0(VALU_DEP_1)
	v_fmac_f64_e32 v[158:159], v[124:125], v[142:143]
	scratch_load_b128 v[140:143], off, off offset:440
	s_wait_dscnt 0x0
	v_fmac_f64_e32 v[158:159], v[126:127], v[144:145]
	scratch_load_b128 v[124:127], off, off offset:456
	s_wait_loadcnt 0x5
	v_fmac_f64_e32 v[158:159], v[150:151], v[146:147]
	ds_load_b128 v[144:147], v2 offset:864
	ds_load_b128 v[148:151], v2 offset:880
	s_wait_dscnt 0x1
	v_fmac_f64_e32 v[158:159], v[152:153], v[144:145]
	s_wait_loadcnt 0x4
	s_delay_alu instid0(VALU_DEP_1) | instskip(SKIP_1) | instid1(VALU_DEP_1)
	v_fmac_f64_e32 v[158:159], v[128:129], v[146:147]
	s_wait_dscnt 0x0
	v_fmac_f64_e32 v[158:159], v[130:131], v[148:149]
	ds_load_b128 v[128:131], v2 offset:896
	ds_load_b128 v[144:147], v2 offset:912
	s_wait_loadcnt 0x3
	v_fmac_f64_e32 v[158:159], v[136:137], v[150:151]
	s_wait_dscnt 0x1
	s_delay_alu instid0(VALU_DEP_1) | instskip(SKIP_1) | instid1(VALU_DEP_1)
	v_fmac_f64_e32 v[158:159], v[138:139], v[128:129]
	s_wait_loadcnt 0x2
	v_fmac_f64_e32 v[158:159], v[132:133], v[130:131]
	ds_load_b128 v[128:131], v2 offset:928
	ds_load_b64 v[132:133], v2 offset:944
	s_wait_dscnt 0x2
	v_fmac_f64_e32 v[158:159], v[134:135], v[144:145]
	s_wait_loadcnt 0x1
	s_delay_alu instid0(VALU_DEP_1) | instskip(SKIP_1) | instid1(VALU_DEP_1)
	v_fmac_f64_e32 v[158:159], v[140:141], v[146:147]
	s_wait_dscnt 0x1
	v_fmac_f64_e32 v[158:159], v[142:143], v[128:129]
	s_wait_loadcnt 0x0
	s_delay_alu instid0(VALU_DEP_1) | instskip(SKIP_1) | instid1(VALU_DEP_1)
	v_fmac_f64_e32 v[158:159], v[124:125], v[130:131]
	s_wait_dscnt 0x0
	v_fmac_f64_e32 v[158:159], v[126:127], v[132:133]
	s_delay_alu instid0(VALU_DEP_1)
	v_add_f64_e64 v[122:123], v[122:123], -v[158:159]
	scratch_store_b64 off, v[122:123], off offset:152
	s_wait_xcnt 0x0
	v_cmpx_lt_u32_e32 18, v0
	s_cbranch_execz .LBB58_327
; %bb.326:
	scratch_load_b64 v[122:123], off, off offset:144
	v_mov_b64_e32 v[124:125], 0
	scratch_store_b64 off, v[124:125], off offset:144
	s_wait_loadcnt 0x0
	ds_store_b64 v1, v[122:123]
.LBB58_327:
	s_wait_xcnt 0x0
	s_or_b32 exec_lo, exec_lo, s0
	s_wait_storecnt_dscnt 0x0
	s_barrier_signal -1
	s_barrier_wait -1
	s_clause 0x5
	scratch_load_b128 v[122:125], off, off offset:144
	scratch_load_b128 v[126:129], off, off offset:160
	;; [unrolled: 1-line block ×6, first 2 shown]
	ds_load_2addr_b64 v[146:149], v2 offset0:79 offset1:80
	ds_load_2addr_b64 v[150:153], v2 offset0:81 offset1:82
	scratch_load_b128 v[154:157], off, off offset:240
	s_mov_b32 s0, exec_lo
	s_wait_loadcnt_dscnt 0x601
	v_fma_f64 v[158:159], v[124:125], v[146:147], 0
	s_wait_loadcnt 0x5
	s_delay_alu instid0(VALU_DEP_1) | instskip(SKIP_4) | instid1(VALU_DEP_1)
	v_fmac_f64_e32 v[158:159], v[126:127], v[148:149]
	scratch_load_b128 v[124:127], off, off offset:256
	s_wait_dscnt 0x0
	v_fmac_f64_e32 v[158:159], v[128:129], v[150:151]
	s_wait_loadcnt 0x5
	v_fmac_f64_e32 v[158:159], v[130:131], v[152:153]
	ds_load_2addr_b64 v[128:131], v2 offset0:83 offset1:84
	ds_load_2addr_b64 v[146:149], v2 offset0:85 offset1:86
	scratch_load_b128 v[150:153], off, off offset:272
	s_wait_dscnt 0x1
	v_fmac_f64_e32 v[158:159], v[132:133], v[128:129]
	s_wait_loadcnt 0x5
	s_delay_alu instid0(VALU_DEP_1) | instskip(SKIP_4) | instid1(VALU_DEP_1)
	v_fmac_f64_e32 v[158:159], v[134:135], v[130:131]
	scratch_load_b128 v[128:131], off, off offset:288
	s_wait_dscnt 0x0
	v_fmac_f64_e32 v[158:159], v[136:137], v[146:147]
	s_wait_loadcnt 0x5
	v_fmac_f64_e32 v[158:159], v[138:139], v[148:149]
	ds_load_2addr_b64 v[132:135], v2 offset0:87 offset1:88
	ds_load_2addr_b64 v[136:139], v2 offset0:89 offset1:90
	scratch_load_b128 v[146:149], off, off offset:304
	s_wait_dscnt 0x1
	v_fmac_f64_e32 v[158:159], v[140:141], v[132:133]
	s_wait_loadcnt 0x5
	s_delay_alu instid0(VALU_DEP_1) | instskip(SKIP_4) | instid1(VALU_DEP_1)
	v_fmac_f64_e32 v[158:159], v[142:143], v[134:135]
	scratch_load_b128 v[132:135], off, off offset:320
	s_wait_dscnt 0x0
	v_fmac_f64_e32 v[158:159], v[144:145], v[136:137]
	s_wait_loadcnt 0x5
	v_fmac_f64_e32 v[158:159], v[154:155], v[138:139]
	ds_load_2addr_b64 v[136:139], v2 offset0:91 offset1:92
	ds_load_2addr_b64 v[140:143], v2 offset0:93 offset1:94
	s_wait_dscnt 0x1
	v_fmac_f64_e32 v[158:159], v[156:157], v[136:137]
	scratch_load_b128 v[154:157], off, off offset:336
	s_wait_loadcnt 0x5
	v_fmac_f64_e32 v[158:159], v[124:125], v[138:139]
	s_wait_dscnt 0x0
	s_delay_alu instid0(VALU_DEP_1)
	v_fmac_f64_e32 v[158:159], v[126:127], v[140:141]
	scratch_load_b128 v[124:127], off, off offset:352
	s_wait_loadcnt 0x5
	v_fmac_f64_e32 v[158:159], v[150:151], v[142:143]
	ds_load_2addr_b64 v[136:139], v2 offset0:95 offset1:96
	ds_load_2addr_b64 v[140:143], v2 offset0:97 offset1:98
	s_wait_dscnt 0x1
	v_fmac_f64_e32 v[158:159], v[152:153], v[136:137]
	scratch_load_b128 v[150:153], off, off offset:368
	s_wait_loadcnt 0x5
	v_fmac_f64_e32 v[158:159], v[128:129], v[138:139]
	s_wait_dscnt 0x0
	s_delay_alu instid0(VALU_DEP_1)
	v_fmac_f64_e32 v[158:159], v[130:131], v[140:141]
	scratch_load_b128 v[128:131], off, off offset:384
	s_wait_loadcnt 0x5
	v_fmac_f64_e32 v[158:159], v[146:147], v[142:143]
	ds_load_2addr_b64 v[136:139], v2 offset0:99 offset1:100
	ds_load_2addr_b64 v[140:143], v2 offset0:101 offset1:102
	s_wait_dscnt 0x1
	v_fmac_f64_e32 v[158:159], v[148:149], v[136:137]
	s_wait_loadcnt 0x4
	s_delay_alu instid0(VALU_DEP_1)
	v_fmac_f64_e32 v[158:159], v[132:133], v[138:139]
	scratch_load_b128 v[136:139], off, off offset:400
	s_wait_dscnt 0x0
	v_fmac_f64_e32 v[158:159], v[134:135], v[140:141]
	scratch_load_b128 v[132:135], off, off offset:416
	s_wait_loadcnt 0x5
	v_fmac_f64_e32 v[158:159], v[154:155], v[142:143]
	ds_load_2addr_b64 v[140:143], v2 offset0:103 offset1:104
	ds_load_2addr_b64 v[144:147], v2 offset0:105 offset1:106
	s_wait_dscnt 0x1
	v_fmac_f64_e32 v[158:159], v[156:157], v[140:141]
	s_wait_loadcnt 0x4
	s_delay_alu instid0(VALU_DEP_1)
	v_fmac_f64_e32 v[158:159], v[124:125], v[142:143]
	scratch_load_b128 v[140:143], off, off offset:432
	s_wait_dscnt 0x0
	v_fmac_f64_e32 v[158:159], v[126:127], v[144:145]
	scratch_load_b128 v[124:127], off, off offset:448
	s_wait_loadcnt 0x5
	v_fmac_f64_e32 v[158:159], v[150:151], v[146:147]
	ds_load_2addr_b64 v[144:147], v2 offset0:107 offset1:108
	ds_load_2addr_b64 v[148:151], v2 offset0:109 offset1:110
	s_wait_dscnt 0x1
	v_fmac_f64_e32 v[158:159], v[152:153], v[144:145]
	scratch_load_b64 v[152:153], off, off offset:464
	s_wait_loadcnt 0x5
	v_fmac_f64_e32 v[158:159], v[128:129], v[146:147]
	s_wait_dscnt 0x0
	s_delay_alu instid0(VALU_DEP_1)
	v_fmac_f64_e32 v[158:159], v[130:131], v[148:149]
	ds_load_2addr_b64 v[128:131], v2 offset0:111 offset1:112
	ds_load_2addr_b64 v[144:147], v2 offset0:113 offset1:114
	s_wait_loadcnt 0x4
	v_fmac_f64_e32 v[158:159], v[136:137], v[150:151]
	s_wait_dscnt 0x1
	s_delay_alu instid0(VALU_DEP_1) | instskip(SKIP_1) | instid1(VALU_DEP_1)
	v_fmac_f64_e32 v[158:159], v[138:139], v[128:129]
	s_wait_loadcnt 0x3
	v_fmac_f64_e32 v[158:159], v[132:133], v[130:131]
	s_wait_dscnt 0x0
	s_delay_alu instid0(VALU_DEP_1)
	v_fmac_f64_e32 v[158:159], v[134:135], v[144:145]
	ds_load_2addr_b64 v[128:131], v2 offset0:115 offset1:116
	ds_load_2addr_b64 v[132:135], v2 offset0:117 offset1:118
	s_wait_loadcnt 0x2
	v_fmac_f64_e32 v[158:159], v[140:141], v[146:147]
	s_wait_dscnt 0x1
	s_delay_alu instid0(VALU_DEP_1) | instskip(SKIP_1) | instid1(VALU_DEP_1)
	v_fmac_f64_e32 v[158:159], v[142:143], v[128:129]
	s_wait_loadcnt 0x1
	v_fmac_f64_e32 v[158:159], v[124:125], v[130:131]
	s_wait_dscnt 0x0
	s_delay_alu instid0(VALU_DEP_1) | instskip(SKIP_1) | instid1(VALU_DEP_1)
	v_fmac_f64_e32 v[158:159], v[126:127], v[132:133]
	s_wait_loadcnt 0x0
	v_fmac_f64_e32 v[158:159], v[152:153], v[134:135]
	s_delay_alu instid0(VALU_DEP_1)
	v_add_f64_e64 v[2:3], v[122:123], -v[158:159]
	scratch_store_b64 off, v[2:3], off offset:144
	s_wait_xcnt 0x0
	v_cmpx_lt_u32_e32 17, v0
	s_cbranch_execz .LBB58_329
; %bb.328:
	scratch_load_b64 v[2:3], off, off offset:136
	v_mov_b64_e32 v[122:123], 0
	scratch_store_b64 off, v[122:123], off offset:136
	s_wait_loadcnt 0x0
	ds_store_b64 v1, v[2:3]
.LBB58_329:
	s_wait_xcnt 0x0
	s_or_b32 exec_lo, exec_lo, s0
	s_wait_storecnt_dscnt 0x0
	s_barrier_signal -1
	s_barrier_wait -1
	s_clause 0x5
	scratch_load_b128 v[122:125], off, off offset:136
	scratch_load_b128 v[126:129], off, off offset:152
	;; [unrolled: 1-line block ×6, first 2 shown]
	v_mov_b32_e32 v2, 0
	ds_load_b128 v[146:149], v2 offset:624
	ds_load_b128 v[150:153], v2 offset:640
	scratch_load_b128 v[154:157], off, off offset:232
	s_mov_b32 s0, exec_lo
	s_wait_loadcnt_dscnt 0x601
	v_fma_f64 v[158:159], v[124:125], v[146:147], 0
	s_wait_loadcnt 0x5
	s_delay_alu instid0(VALU_DEP_1) | instskip(SKIP_4) | instid1(VALU_DEP_1)
	v_fmac_f64_e32 v[158:159], v[126:127], v[148:149]
	scratch_load_b128 v[124:127], off, off offset:248
	s_wait_dscnt 0x0
	v_fmac_f64_e32 v[158:159], v[128:129], v[150:151]
	s_wait_loadcnt 0x5
	v_fmac_f64_e32 v[158:159], v[130:131], v[152:153]
	ds_load_b128 v[128:131], v2 offset:656
	ds_load_b128 v[146:149], v2 offset:672
	scratch_load_b128 v[150:153], off, off offset:264
	s_wait_dscnt 0x1
	v_fmac_f64_e32 v[158:159], v[132:133], v[128:129]
	s_wait_loadcnt 0x5
	s_delay_alu instid0(VALU_DEP_1) | instskip(SKIP_4) | instid1(VALU_DEP_1)
	v_fmac_f64_e32 v[158:159], v[134:135], v[130:131]
	scratch_load_b128 v[128:131], off, off offset:280
	s_wait_dscnt 0x0
	v_fmac_f64_e32 v[158:159], v[136:137], v[146:147]
	s_wait_loadcnt 0x5
	v_fmac_f64_e32 v[158:159], v[138:139], v[148:149]
	ds_load_b128 v[132:135], v2 offset:688
	ds_load_b128 v[136:139], v2 offset:704
	scratch_load_b128 v[146:149], off, off offset:296
	s_wait_dscnt 0x1
	v_fmac_f64_e32 v[158:159], v[140:141], v[132:133]
	s_wait_loadcnt 0x5
	s_delay_alu instid0(VALU_DEP_1) | instskip(SKIP_4) | instid1(VALU_DEP_1)
	v_fmac_f64_e32 v[158:159], v[142:143], v[134:135]
	scratch_load_b128 v[132:135], off, off offset:312
	s_wait_dscnt 0x0
	v_fmac_f64_e32 v[158:159], v[144:145], v[136:137]
	s_wait_loadcnt 0x5
	v_fmac_f64_e32 v[158:159], v[154:155], v[138:139]
	ds_load_b128 v[136:139], v2 offset:720
	ds_load_b128 v[140:143], v2 offset:736
	s_wait_dscnt 0x1
	v_fmac_f64_e32 v[158:159], v[156:157], v[136:137]
	scratch_load_b128 v[154:157], off, off offset:328
	s_wait_loadcnt 0x5
	v_fmac_f64_e32 v[158:159], v[124:125], v[138:139]
	s_wait_dscnt 0x0
	s_delay_alu instid0(VALU_DEP_1)
	v_fmac_f64_e32 v[158:159], v[126:127], v[140:141]
	scratch_load_b128 v[124:127], off, off offset:344
	s_wait_loadcnt 0x5
	v_fmac_f64_e32 v[158:159], v[150:151], v[142:143]
	ds_load_b128 v[136:139], v2 offset:752
	ds_load_b128 v[140:143], v2 offset:768
	s_wait_dscnt 0x1
	v_fmac_f64_e32 v[158:159], v[152:153], v[136:137]
	scratch_load_b128 v[150:153], off, off offset:360
	s_wait_loadcnt 0x5
	v_fmac_f64_e32 v[158:159], v[128:129], v[138:139]
	s_wait_dscnt 0x0
	s_delay_alu instid0(VALU_DEP_1)
	v_fmac_f64_e32 v[158:159], v[130:131], v[140:141]
	scratch_load_b128 v[128:131], off, off offset:376
	s_wait_loadcnt 0x5
	v_fmac_f64_e32 v[158:159], v[146:147], v[142:143]
	ds_load_b128 v[136:139], v2 offset:784
	ds_load_b128 v[140:143], v2 offset:800
	s_wait_dscnt 0x1
	v_fmac_f64_e32 v[158:159], v[148:149], v[136:137]
	s_wait_loadcnt 0x4
	s_delay_alu instid0(VALU_DEP_1)
	v_fmac_f64_e32 v[158:159], v[132:133], v[138:139]
	scratch_load_b128 v[136:139], off, off offset:392
	s_wait_dscnt 0x0
	v_fmac_f64_e32 v[158:159], v[134:135], v[140:141]
	scratch_load_b128 v[132:135], off, off offset:408
	s_wait_loadcnt 0x5
	v_fmac_f64_e32 v[158:159], v[154:155], v[142:143]
	ds_load_b128 v[140:143], v2 offset:816
	ds_load_b128 v[144:147], v2 offset:832
	s_wait_dscnt 0x1
	v_fmac_f64_e32 v[158:159], v[156:157], v[140:141]
	s_wait_loadcnt 0x4
	s_delay_alu instid0(VALU_DEP_1)
	v_fmac_f64_e32 v[158:159], v[124:125], v[142:143]
	scratch_load_b128 v[140:143], off, off offset:424
	s_wait_dscnt 0x0
	v_fmac_f64_e32 v[158:159], v[126:127], v[144:145]
	scratch_load_b128 v[124:127], off, off offset:440
	s_wait_loadcnt 0x5
	v_fmac_f64_e32 v[158:159], v[150:151], v[146:147]
	ds_load_b128 v[144:147], v2 offset:848
	ds_load_b128 v[148:151], v2 offset:864
	s_wait_dscnt 0x1
	v_fmac_f64_e32 v[158:159], v[152:153], v[144:145]
	s_wait_loadcnt 0x4
	s_delay_alu instid0(VALU_DEP_1) | instskip(SKIP_4) | instid1(VALU_DEP_1)
	v_fmac_f64_e32 v[158:159], v[128:129], v[146:147]
	scratch_load_b128 v[144:147], off, off offset:456
	s_wait_dscnt 0x0
	v_fmac_f64_e32 v[158:159], v[130:131], v[148:149]
	s_wait_loadcnt 0x4
	v_fmac_f64_e32 v[158:159], v[136:137], v[150:151]
	ds_load_b128 v[128:131], v2 offset:880
	ds_load_b128 v[148:151], v2 offset:896
	s_wait_dscnt 0x1
	v_fmac_f64_e32 v[158:159], v[138:139], v[128:129]
	s_wait_loadcnt 0x3
	s_delay_alu instid0(VALU_DEP_1) | instskip(SKIP_1) | instid1(VALU_DEP_1)
	v_fmac_f64_e32 v[158:159], v[132:133], v[130:131]
	s_wait_dscnt 0x0
	v_fmac_f64_e32 v[158:159], v[134:135], v[148:149]
	ds_load_b128 v[128:131], v2 offset:912
	ds_load_b128 v[132:135], v2 offset:928
	s_wait_loadcnt 0x2
	v_fmac_f64_e32 v[158:159], v[140:141], v[150:151]
	s_wait_dscnt 0x1
	s_delay_alu instid0(VALU_DEP_1) | instskip(SKIP_1) | instid1(VALU_DEP_1)
	v_fmac_f64_e32 v[158:159], v[142:143], v[128:129]
	s_wait_loadcnt 0x1
	v_fmac_f64_e32 v[158:159], v[124:125], v[130:131]
	ds_load_b64 v[124:125], v2 offset:944
	s_wait_dscnt 0x1
	v_fmac_f64_e32 v[158:159], v[126:127], v[132:133]
	s_wait_loadcnt 0x0
	s_delay_alu instid0(VALU_DEP_1) | instskip(SKIP_1) | instid1(VALU_DEP_1)
	v_fmac_f64_e32 v[158:159], v[144:145], v[134:135]
	s_wait_dscnt 0x0
	v_fmac_f64_e32 v[158:159], v[146:147], v[124:125]
	s_delay_alu instid0(VALU_DEP_1)
	v_add_f64_e64 v[122:123], v[122:123], -v[158:159]
	scratch_store_b64 off, v[122:123], off offset:136
	s_wait_xcnt 0x0
	v_cmpx_lt_u32_e32 16, v0
	s_cbranch_execz .LBB58_331
; %bb.330:
	scratch_load_b64 v[122:123], off, off offset:128
	v_mov_b64_e32 v[124:125], 0
	scratch_store_b64 off, v[124:125], off offset:128
	s_wait_loadcnt 0x0
	ds_store_b64 v1, v[122:123]
.LBB58_331:
	s_wait_xcnt 0x0
	s_or_b32 exec_lo, exec_lo, s0
	s_wait_storecnt_dscnt 0x0
	s_barrier_signal -1
	s_barrier_wait -1
	s_clause 0x5
	scratch_load_b128 v[122:125], off, off offset:128
	scratch_load_b128 v[126:129], off, off offset:144
	;; [unrolled: 1-line block ×6, first 2 shown]
	ds_load_2addr_b64 v[146:149], v2 offset0:77 offset1:78
	ds_load_2addr_b64 v[150:153], v2 offset0:79 offset1:80
	scratch_load_b128 v[154:157], off, off offset:224
	s_mov_b32 s0, exec_lo
	s_wait_loadcnt_dscnt 0x601
	v_fma_f64 v[158:159], v[124:125], v[146:147], 0
	s_wait_loadcnt 0x5
	s_delay_alu instid0(VALU_DEP_1) | instskip(SKIP_4) | instid1(VALU_DEP_1)
	v_fmac_f64_e32 v[158:159], v[126:127], v[148:149]
	scratch_load_b128 v[124:127], off, off offset:240
	s_wait_dscnt 0x0
	v_fmac_f64_e32 v[158:159], v[128:129], v[150:151]
	s_wait_loadcnt 0x5
	v_fmac_f64_e32 v[158:159], v[130:131], v[152:153]
	ds_load_2addr_b64 v[128:131], v2 offset0:81 offset1:82
	ds_load_2addr_b64 v[146:149], v2 offset0:83 offset1:84
	scratch_load_b128 v[150:153], off, off offset:256
	s_wait_dscnt 0x1
	v_fmac_f64_e32 v[158:159], v[132:133], v[128:129]
	s_wait_loadcnt 0x5
	s_delay_alu instid0(VALU_DEP_1) | instskip(SKIP_4) | instid1(VALU_DEP_1)
	v_fmac_f64_e32 v[158:159], v[134:135], v[130:131]
	scratch_load_b128 v[128:131], off, off offset:272
	s_wait_dscnt 0x0
	v_fmac_f64_e32 v[158:159], v[136:137], v[146:147]
	s_wait_loadcnt 0x5
	v_fmac_f64_e32 v[158:159], v[138:139], v[148:149]
	ds_load_2addr_b64 v[132:135], v2 offset0:85 offset1:86
	ds_load_2addr_b64 v[136:139], v2 offset0:87 offset1:88
	scratch_load_b128 v[146:149], off, off offset:288
	s_wait_dscnt 0x1
	v_fmac_f64_e32 v[158:159], v[140:141], v[132:133]
	s_wait_loadcnt 0x5
	s_delay_alu instid0(VALU_DEP_1) | instskip(SKIP_4) | instid1(VALU_DEP_1)
	v_fmac_f64_e32 v[158:159], v[142:143], v[134:135]
	scratch_load_b128 v[132:135], off, off offset:304
	s_wait_dscnt 0x0
	v_fmac_f64_e32 v[158:159], v[144:145], v[136:137]
	s_wait_loadcnt 0x5
	v_fmac_f64_e32 v[158:159], v[154:155], v[138:139]
	ds_load_2addr_b64 v[136:139], v2 offset0:89 offset1:90
	ds_load_2addr_b64 v[140:143], v2 offset0:91 offset1:92
	s_wait_dscnt 0x1
	v_fmac_f64_e32 v[158:159], v[156:157], v[136:137]
	scratch_load_b128 v[154:157], off, off offset:320
	s_wait_loadcnt 0x5
	v_fmac_f64_e32 v[158:159], v[124:125], v[138:139]
	s_wait_dscnt 0x0
	s_delay_alu instid0(VALU_DEP_1)
	v_fmac_f64_e32 v[158:159], v[126:127], v[140:141]
	scratch_load_b128 v[124:127], off, off offset:336
	s_wait_loadcnt 0x5
	v_fmac_f64_e32 v[158:159], v[150:151], v[142:143]
	ds_load_2addr_b64 v[136:139], v2 offset0:93 offset1:94
	ds_load_2addr_b64 v[140:143], v2 offset0:95 offset1:96
	s_wait_dscnt 0x1
	v_fmac_f64_e32 v[158:159], v[152:153], v[136:137]
	scratch_load_b128 v[150:153], off, off offset:352
	s_wait_loadcnt 0x5
	v_fmac_f64_e32 v[158:159], v[128:129], v[138:139]
	s_wait_dscnt 0x0
	s_delay_alu instid0(VALU_DEP_1)
	v_fmac_f64_e32 v[158:159], v[130:131], v[140:141]
	scratch_load_b128 v[128:131], off, off offset:368
	s_wait_loadcnt 0x5
	v_fmac_f64_e32 v[158:159], v[146:147], v[142:143]
	ds_load_2addr_b64 v[136:139], v2 offset0:97 offset1:98
	ds_load_2addr_b64 v[140:143], v2 offset0:99 offset1:100
	scratch_load_b128 v[144:147], off, off offset:384
	s_wait_dscnt 0x1
	v_fmac_f64_e32 v[158:159], v[148:149], v[136:137]
	s_wait_loadcnt 0x5
	s_delay_alu instid0(VALU_DEP_1) | instskip(SKIP_1) | instid1(VALU_DEP_1)
	v_fmac_f64_e32 v[158:159], v[132:133], v[138:139]
	s_wait_dscnt 0x0
	v_fmac_f64_e32 v[158:159], v[134:135], v[140:141]
	scratch_load_b128 v[132:135], off, off offset:400
	s_wait_loadcnt 0x5
	v_fmac_f64_e32 v[158:159], v[154:155], v[142:143]
	ds_load_2addr_b64 v[136:139], v2 offset0:101 offset1:102
	ds_load_2addr_b64 v[140:143], v2 offset0:103 offset1:104
	s_wait_dscnt 0x1
	v_fmac_f64_e32 v[158:159], v[156:157], v[136:137]
	s_wait_loadcnt 0x4
	s_delay_alu instid0(VALU_DEP_1)
	v_fmac_f64_e32 v[158:159], v[124:125], v[138:139]
	scratch_load_b128 v[136:139], off, off offset:416
	s_wait_dscnt 0x0
	v_fmac_f64_e32 v[158:159], v[126:127], v[140:141]
	scratch_load_b128 v[124:127], off, off offset:432
	s_wait_loadcnt 0x5
	v_fmac_f64_e32 v[158:159], v[150:151], v[142:143]
	ds_load_2addr_b64 v[140:143], v2 offset0:105 offset1:106
	ds_load_2addr_b64 v[148:151], v2 offset0:107 offset1:108
	s_wait_dscnt 0x1
	v_fmac_f64_e32 v[158:159], v[152:153], v[140:141]
	s_wait_loadcnt 0x4
	s_delay_alu instid0(VALU_DEP_1) | instskip(SKIP_4) | instid1(VALU_DEP_1)
	v_fmac_f64_e32 v[158:159], v[128:129], v[142:143]
	scratch_load_b128 v[140:143], off, off offset:448
	s_wait_dscnt 0x0
	v_fmac_f64_e32 v[158:159], v[130:131], v[148:149]
	s_wait_loadcnt 0x4
	v_fmac_f64_e32 v[158:159], v[144:145], v[150:151]
	scratch_load_b64 v[144:145], off, off offset:464
	ds_load_2addr_b64 v[128:131], v2 offset0:109 offset1:110
	ds_load_2addr_b64 v[148:151], v2 offset0:111 offset1:112
	s_wait_dscnt 0x1
	v_fmac_f64_e32 v[158:159], v[146:147], v[128:129]
	s_wait_loadcnt 0x4
	s_delay_alu instid0(VALU_DEP_1) | instskip(SKIP_1) | instid1(VALU_DEP_1)
	v_fmac_f64_e32 v[158:159], v[132:133], v[130:131]
	s_wait_dscnt 0x0
	v_fmac_f64_e32 v[158:159], v[134:135], v[148:149]
	ds_load_2addr_b64 v[128:131], v2 offset0:113 offset1:114
	ds_load_2addr_b64 v[132:135], v2 offset0:115 offset1:116
	s_wait_loadcnt 0x3
	v_fmac_f64_e32 v[158:159], v[136:137], v[150:151]
	s_wait_dscnt 0x1
	s_delay_alu instid0(VALU_DEP_1) | instskip(SKIP_1) | instid1(VALU_DEP_1)
	v_fmac_f64_e32 v[158:159], v[138:139], v[128:129]
	s_wait_loadcnt 0x2
	v_fmac_f64_e32 v[158:159], v[124:125], v[130:131]
	s_wait_dscnt 0x0
	s_delay_alu instid0(VALU_DEP_1) | instskip(SKIP_4) | instid1(VALU_DEP_1)
	v_fmac_f64_e32 v[158:159], v[126:127], v[132:133]
	ds_load_2addr_b64 v[124:127], v2 offset0:117 offset1:118
	s_wait_loadcnt 0x1
	v_fmac_f64_e32 v[158:159], v[140:141], v[134:135]
	s_wait_dscnt 0x0
	v_fmac_f64_e32 v[158:159], v[142:143], v[124:125]
	s_wait_loadcnt 0x0
	s_delay_alu instid0(VALU_DEP_1) | instskip(NEXT) | instid1(VALU_DEP_1)
	v_fmac_f64_e32 v[158:159], v[144:145], v[126:127]
	v_add_f64_e64 v[2:3], v[122:123], -v[158:159]
	scratch_store_b64 off, v[2:3], off offset:128
	s_wait_xcnt 0x0
	v_cmpx_lt_u32_e32 15, v0
	s_cbranch_execz .LBB58_333
; %bb.332:
	scratch_load_b64 v[2:3], off, off offset:120
	v_mov_b64_e32 v[122:123], 0
	scratch_store_b64 off, v[122:123], off offset:120
	s_wait_loadcnt 0x0
	ds_store_b64 v1, v[2:3]
.LBB58_333:
	s_wait_xcnt 0x0
	s_or_b32 exec_lo, exec_lo, s0
	s_wait_storecnt_dscnt 0x0
	s_barrier_signal -1
	s_barrier_wait -1
	s_clause 0x5
	scratch_load_b128 v[122:125], off, off offset:120
	scratch_load_b128 v[126:129], off, off offset:136
	;; [unrolled: 1-line block ×6, first 2 shown]
	v_mov_b32_e32 v2, 0
	ds_load_b128 v[146:149], v2 offset:608
	ds_load_b128 v[150:153], v2 offset:624
	scratch_load_b128 v[154:157], off, off offset:216
	s_mov_b32 s0, exec_lo
	s_wait_loadcnt_dscnt 0x601
	v_fma_f64 v[158:159], v[124:125], v[146:147], 0
	s_wait_loadcnt 0x5
	s_delay_alu instid0(VALU_DEP_1) | instskip(SKIP_4) | instid1(VALU_DEP_1)
	v_fmac_f64_e32 v[158:159], v[126:127], v[148:149]
	scratch_load_b128 v[124:127], off, off offset:232
	s_wait_dscnt 0x0
	v_fmac_f64_e32 v[158:159], v[128:129], v[150:151]
	s_wait_loadcnt 0x5
	v_fmac_f64_e32 v[158:159], v[130:131], v[152:153]
	ds_load_b128 v[128:131], v2 offset:640
	ds_load_b128 v[146:149], v2 offset:656
	scratch_load_b128 v[150:153], off, off offset:248
	s_wait_dscnt 0x1
	v_fmac_f64_e32 v[158:159], v[132:133], v[128:129]
	s_wait_loadcnt 0x5
	s_delay_alu instid0(VALU_DEP_1) | instskip(SKIP_4) | instid1(VALU_DEP_1)
	v_fmac_f64_e32 v[158:159], v[134:135], v[130:131]
	scratch_load_b128 v[128:131], off, off offset:264
	s_wait_dscnt 0x0
	v_fmac_f64_e32 v[158:159], v[136:137], v[146:147]
	s_wait_loadcnt 0x5
	v_fmac_f64_e32 v[158:159], v[138:139], v[148:149]
	ds_load_b128 v[132:135], v2 offset:672
	ds_load_b128 v[136:139], v2 offset:688
	scratch_load_b128 v[146:149], off, off offset:280
	s_wait_dscnt 0x1
	v_fmac_f64_e32 v[158:159], v[140:141], v[132:133]
	s_wait_loadcnt 0x5
	s_delay_alu instid0(VALU_DEP_1) | instskip(SKIP_4) | instid1(VALU_DEP_1)
	v_fmac_f64_e32 v[158:159], v[142:143], v[134:135]
	scratch_load_b128 v[132:135], off, off offset:296
	s_wait_dscnt 0x0
	v_fmac_f64_e32 v[158:159], v[144:145], v[136:137]
	s_wait_loadcnt 0x5
	v_fmac_f64_e32 v[158:159], v[154:155], v[138:139]
	ds_load_b128 v[136:139], v2 offset:704
	ds_load_b128 v[140:143], v2 offset:720
	s_wait_dscnt 0x1
	v_fmac_f64_e32 v[158:159], v[156:157], v[136:137]
	scratch_load_b128 v[154:157], off, off offset:312
	s_wait_loadcnt 0x5
	v_fmac_f64_e32 v[158:159], v[124:125], v[138:139]
	s_wait_dscnt 0x0
	s_delay_alu instid0(VALU_DEP_1)
	v_fmac_f64_e32 v[158:159], v[126:127], v[140:141]
	scratch_load_b128 v[124:127], off, off offset:328
	s_wait_loadcnt 0x5
	v_fmac_f64_e32 v[158:159], v[150:151], v[142:143]
	ds_load_b128 v[136:139], v2 offset:736
	ds_load_b128 v[140:143], v2 offset:752
	s_wait_dscnt 0x1
	v_fmac_f64_e32 v[158:159], v[152:153], v[136:137]
	scratch_load_b128 v[150:153], off, off offset:344
	s_wait_loadcnt 0x5
	v_fmac_f64_e32 v[158:159], v[128:129], v[138:139]
	s_wait_dscnt 0x0
	s_delay_alu instid0(VALU_DEP_1)
	v_fmac_f64_e32 v[158:159], v[130:131], v[140:141]
	scratch_load_b128 v[128:131], off, off offset:360
	s_wait_loadcnt 0x5
	v_fmac_f64_e32 v[158:159], v[146:147], v[142:143]
	ds_load_b128 v[136:139], v2 offset:768
	ds_load_b128 v[140:143], v2 offset:784
	scratch_load_b128 v[144:147], off, off offset:376
	s_wait_dscnt 0x1
	v_fmac_f64_e32 v[158:159], v[148:149], v[136:137]
	s_wait_loadcnt 0x5
	s_delay_alu instid0(VALU_DEP_1) | instskip(SKIP_1) | instid1(VALU_DEP_1)
	v_fmac_f64_e32 v[158:159], v[132:133], v[138:139]
	s_wait_dscnt 0x0
	v_fmac_f64_e32 v[158:159], v[134:135], v[140:141]
	scratch_load_b128 v[132:135], off, off offset:392
	s_wait_loadcnt 0x5
	v_fmac_f64_e32 v[158:159], v[154:155], v[142:143]
	ds_load_b128 v[136:139], v2 offset:800
	ds_load_b128 v[140:143], v2 offset:816
	s_wait_dscnt 0x1
	v_fmac_f64_e32 v[158:159], v[156:157], v[136:137]
	s_wait_loadcnt 0x4
	s_delay_alu instid0(VALU_DEP_1)
	v_fmac_f64_e32 v[158:159], v[124:125], v[138:139]
	scratch_load_b128 v[136:139], off, off offset:408
	s_wait_dscnt 0x0
	v_fmac_f64_e32 v[158:159], v[126:127], v[140:141]
	scratch_load_b128 v[124:127], off, off offset:424
	s_wait_loadcnt 0x5
	v_fmac_f64_e32 v[158:159], v[150:151], v[142:143]
	ds_load_b128 v[140:143], v2 offset:832
	ds_load_b128 v[148:151], v2 offset:848
	s_wait_dscnt 0x1
	v_fmac_f64_e32 v[158:159], v[152:153], v[140:141]
	s_wait_loadcnt 0x4
	s_delay_alu instid0(VALU_DEP_1)
	v_fmac_f64_e32 v[158:159], v[128:129], v[142:143]
	scratch_load_b128 v[140:143], off, off offset:440
	s_wait_dscnt 0x0
	v_fmac_f64_e32 v[158:159], v[130:131], v[148:149]
	scratch_load_b128 v[128:131], off, off offset:456
	s_wait_loadcnt 0x5
	v_fmac_f64_e32 v[158:159], v[144:145], v[150:151]
	ds_load_b128 v[148:151], v2 offset:864
	ds_load_b128 v[152:155], v2 offset:880
	s_wait_dscnt 0x1
	v_fmac_f64_e32 v[158:159], v[146:147], v[148:149]
	s_wait_loadcnt 0x4
	s_delay_alu instid0(VALU_DEP_1) | instskip(SKIP_1) | instid1(VALU_DEP_1)
	v_fmac_f64_e32 v[158:159], v[132:133], v[150:151]
	s_wait_dscnt 0x0
	v_fmac_f64_e32 v[158:159], v[134:135], v[152:153]
	ds_load_b128 v[132:135], v2 offset:896
	ds_load_b128 v[144:147], v2 offset:912
	s_wait_loadcnt 0x3
	v_fmac_f64_e32 v[158:159], v[136:137], v[154:155]
	s_wait_dscnt 0x1
	s_delay_alu instid0(VALU_DEP_1) | instskip(SKIP_1) | instid1(VALU_DEP_1)
	v_fmac_f64_e32 v[158:159], v[138:139], v[132:133]
	s_wait_loadcnt 0x2
	v_fmac_f64_e32 v[158:159], v[124:125], v[134:135]
	s_wait_dscnt 0x0
	s_delay_alu instid0(VALU_DEP_1)
	v_fmac_f64_e32 v[158:159], v[126:127], v[144:145]
	ds_load_b128 v[124:127], v2 offset:928
	ds_load_b64 v[132:133], v2 offset:944
	s_wait_loadcnt 0x1
	v_fmac_f64_e32 v[158:159], v[140:141], v[146:147]
	s_wait_dscnt 0x1
	s_delay_alu instid0(VALU_DEP_1) | instskip(SKIP_1) | instid1(VALU_DEP_1)
	v_fmac_f64_e32 v[158:159], v[142:143], v[124:125]
	s_wait_loadcnt 0x0
	v_fmac_f64_e32 v[158:159], v[128:129], v[126:127]
	s_wait_dscnt 0x0
	s_delay_alu instid0(VALU_DEP_1) | instskip(NEXT) | instid1(VALU_DEP_1)
	v_fmac_f64_e32 v[158:159], v[130:131], v[132:133]
	v_add_f64_e64 v[122:123], v[122:123], -v[158:159]
	scratch_store_b64 off, v[122:123], off offset:120
	s_wait_xcnt 0x0
	v_cmpx_lt_u32_e32 14, v0
	s_cbranch_execz .LBB58_335
; %bb.334:
	scratch_load_b64 v[122:123], off, off offset:112
	v_mov_b64_e32 v[124:125], 0
	scratch_store_b64 off, v[124:125], off offset:112
	s_wait_loadcnt 0x0
	ds_store_b64 v1, v[122:123]
.LBB58_335:
	s_wait_xcnt 0x0
	s_or_b32 exec_lo, exec_lo, s0
	s_wait_storecnt_dscnt 0x0
	s_barrier_signal -1
	s_barrier_wait -1
	s_clause 0x5
	scratch_load_b128 v[122:125], off, off offset:112
	scratch_load_b128 v[126:129], off, off offset:128
	;; [unrolled: 1-line block ×6, first 2 shown]
	ds_load_2addr_b64 v[146:149], v2 offset0:75 offset1:76
	ds_load_2addr_b64 v[150:153], v2 offset0:77 offset1:78
	scratch_load_b128 v[154:157], off, off offset:208
	s_mov_b32 s0, exec_lo
	s_wait_loadcnt_dscnt 0x601
	v_fma_f64 v[158:159], v[124:125], v[146:147], 0
	s_wait_loadcnt 0x5
	s_delay_alu instid0(VALU_DEP_1) | instskip(SKIP_4) | instid1(VALU_DEP_1)
	v_fmac_f64_e32 v[158:159], v[126:127], v[148:149]
	scratch_load_b128 v[124:127], off, off offset:224
	s_wait_dscnt 0x0
	v_fmac_f64_e32 v[158:159], v[128:129], v[150:151]
	s_wait_loadcnt 0x5
	v_fmac_f64_e32 v[158:159], v[130:131], v[152:153]
	ds_load_2addr_b64 v[128:131], v2 offset0:79 offset1:80
	ds_load_2addr_b64 v[146:149], v2 offset0:81 offset1:82
	scratch_load_b128 v[150:153], off, off offset:240
	s_wait_dscnt 0x1
	v_fmac_f64_e32 v[158:159], v[132:133], v[128:129]
	s_wait_loadcnt 0x5
	s_delay_alu instid0(VALU_DEP_1) | instskip(SKIP_4) | instid1(VALU_DEP_1)
	v_fmac_f64_e32 v[158:159], v[134:135], v[130:131]
	scratch_load_b128 v[128:131], off, off offset:256
	s_wait_dscnt 0x0
	v_fmac_f64_e32 v[158:159], v[136:137], v[146:147]
	s_wait_loadcnt 0x5
	v_fmac_f64_e32 v[158:159], v[138:139], v[148:149]
	ds_load_2addr_b64 v[132:135], v2 offset0:83 offset1:84
	ds_load_2addr_b64 v[136:139], v2 offset0:85 offset1:86
	scratch_load_b128 v[146:149], off, off offset:272
	s_wait_dscnt 0x1
	v_fmac_f64_e32 v[158:159], v[140:141], v[132:133]
	s_wait_loadcnt 0x5
	s_delay_alu instid0(VALU_DEP_1) | instskip(SKIP_4) | instid1(VALU_DEP_1)
	v_fmac_f64_e32 v[158:159], v[142:143], v[134:135]
	scratch_load_b128 v[132:135], off, off offset:288
	s_wait_dscnt 0x0
	v_fmac_f64_e32 v[158:159], v[144:145], v[136:137]
	s_wait_loadcnt 0x5
	v_fmac_f64_e32 v[158:159], v[154:155], v[138:139]
	ds_load_2addr_b64 v[136:139], v2 offset0:87 offset1:88
	ds_load_2addr_b64 v[140:143], v2 offset0:89 offset1:90
	s_wait_dscnt 0x1
	v_fmac_f64_e32 v[158:159], v[156:157], v[136:137]
	scratch_load_b128 v[154:157], off, off offset:304
	s_wait_loadcnt 0x5
	v_fmac_f64_e32 v[158:159], v[124:125], v[138:139]
	s_wait_dscnt 0x0
	s_delay_alu instid0(VALU_DEP_1)
	v_fmac_f64_e32 v[158:159], v[126:127], v[140:141]
	scratch_load_b128 v[124:127], off, off offset:320
	s_wait_loadcnt 0x5
	v_fmac_f64_e32 v[158:159], v[150:151], v[142:143]
	ds_load_2addr_b64 v[136:139], v2 offset0:91 offset1:92
	ds_load_2addr_b64 v[140:143], v2 offset0:93 offset1:94
	s_wait_dscnt 0x1
	v_fmac_f64_e32 v[158:159], v[152:153], v[136:137]
	scratch_load_b128 v[150:153], off, off offset:336
	s_wait_loadcnt 0x5
	v_fmac_f64_e32 v[158:159], v[128:129], v[138:139]
	s_wait_dscnt 0x0
	s_delay_alu instid0(VALU_DEP_1)
	v_fmac_f64_e32 v[158:159], v[130:131], v[140:141]
	scratch_load_b128 v[128:131], off, off offset:352
	s_wait_loadcnt 0x5
	v_fmac_f64_e32 v[158:159], v[146:147], v[142:143]
	ds_load_2addr_b64 v[136:139], v2 offset0:95 offset1:96
	ds_load_2addr_b64 v[140:143], v2 offset0:97 offset1:98
	scratch_load_b128 v[144:147], off, off offset:368
	s_wait_dscnt 0x1
	v_fmac_f64_e32 v[158:159], v[148:149], v[136:137]
	s_wait_loadcnt 0x5
	s_delay_alu instid0(VALU_DEP_1) | instskip(SKIP_1) | instid1(VALU_DEP_1)
	v_fmac_f64_e32 v[158:159], v[132:133], v[138:139]
	s_wait_dscnt 0x0
	v_fmac_f64_e32 v[158:159], v[134:135], v[140:141]
	scratch_load_b128 v[132:135], off, off offset:384
	s_wait_loadcnt 0x5
	v_fmac_f64_e32 v[158:159], v[154:155], v[142:143]
	ds_load_2addr_b64 v[136:139], v2 offset0:99 offset1:100
	ds_load_2addr_b64 v[140:143], v2 offset0:101 offset1:102
	s_wait_dscnt 0x1
	v_fmac_f64_e32 v[158:159], v[156:157], v[136:137]
	s_wait_loadcnt 0x4
	s_delay_alu instid0(VALU_DEP_1)
	v_fmac_f64_e32 v[158:159], v[124:125], v[138:139]
	scratch_load_b128 v[136:139], off, off offset:400
	s_wait_dscnt 0x0
	v_fmac_f64_e32 v[158:159], v[126:127], v[140:141]
	scratch_load_b128 v[124:127], off, off offset:416
	s_wait_loadcnt 0x5
	v_fmac_f64_e32 v[158:159], v[150:151], v[142:143]
	ds_load_2addr_b64 v[140:143], v2 offset0:103 offset1:104
	ds_load_2addr_b64 v[148:151], v2 offset0:105 offset1:106
	s_wait_dscnt 0x1
	v_fmac_f64_e32 v[158:159], v[152:153], v[140:141]
	s_wait_loadcnt 0x4
	s_delay_alu instid0(VALU_DEP_1)
	v_fmac_f64_e32 v[158:159], v[128:129], v[142:143]
	scratch_load_b128 v[140:143], off, off offset:432
	s_wait_dscnt 0x0
	v_fmac_f64_e32 v[158:159], v[130:131], v[148:149]
	scratch_load_b128 v[128:131], off, off offset:448
	s_wait_loadcnt 0x5
	v_fmac_f64_e32 v[158:159], v[144:145], v[150:151]
	ds_load_2addr_b64 v[148:151], v2 offset0:107 offset1:108
	ds_load_2addr_b64 v[152:155], v2 offset0:109 offset1:110
	s_wait_dscnt 0x1
	v_fmac_f64_e32 v[158:159], v[146:147], v[148:149]
	scratch_load_b64 v[148:149], off, off offset:464
	s_wait_loadcnt 0x5
	v_fmac_f64_e32 v[158:159], v[132:133], v[150:151]
	s_wait_dscnt 0x0
	s_delay_alu instid0(VALU_DEP_1)
	v_fmac_f64_e32 v[158:159], v[134:135], v[152:153]
	ds_load_2addr_b64 v[132:135], v2 offset0:111 offset1:112
	ds_load_2addr_b64 v[144:147], v2 offset0:113 offset1:114
	s_wait_loadcnt 0x4
	v_fmac_f64_e32 v[158:159], v[136:137], v[154:155]
	s_wait_dscnt 0x1
	s_delay_alu instid0(VALU_DEP_1) | instskip(SKIP_1) | instid1(VALU_DEP_1)
	v_fmac_f64_e32 v[158:159], v[138:139], v[132:133]
	s_wait_loadcnt 0x3
	v_fmac_f64_e32 v[158:159], v[124:125], v[134:135]
	s_wait_dscnt 0x0
	s_delay_alu instid0(VALU_DEP_1)
	v_fmac_f64_e32 v[158:159], v[126:127], v[144:145]
	ds_load_2addr_b64 v[124:127], v2 offset0:115 offset1:116
	ds_load_2addr_b64 v[132:135], v2 offset0:117 offset1:118
	s_wait_loadcnt 0x2
	v_fmac_f64_e32 v[158:159], v[140:141], v[146:147]
	s_wait_dscnt 0x1
	s_delay_alu instid0(VALU_DEP_1) | instskip(SKIP_1) | instid1(VALU_DEP_1)
	v_fmac_f64_e32 v[158:159], v[142:143], v[124:125]
	s_wait_loadcnt 0x1
	v_fmac_f64_e32 v[158:159], v[128:129], v[126:127]
	s_wait_dscnt 0x0
	s_delay_alu instid0(VALU_DEP_1) | instskip(SKIP_1) | instid1(VALU_DEP_1)
	v_fmac_f64_e32 v[158:159], v[130:131], v[132:133]
	s_wait_loadcnt 0x0
	v_fmac_f64_e32 v[158:159], v[148:149], v[134:135]
	s_delay_alu instid0(VALU_DEP_1)
	v_add_f64_e64 v[2:3], v[122:123], -v[158:159]
	scratch_store_b64 off, v[2:3], off offset:112
	s_wait_xcnt 0x0
	v_cmpx_lt_u32_e32 13, v0
	s_cbranch_execz .LBB58_337
; %bb.336:
	scratch_load_b64 v[2:3], off, off offset:104
	v_mov_b64_e32 v[122:123], 0
	scratch_store_b64 off, v[122:123], off offset:104
	s_wait_loadcnt 0x0
	ds_store_b64 v1, v[2:3]
.LBB58_337:
	s_wait_xcnt 0x0
	s_or_b32 exec_lo, exec_lo, s0
	s_wait_storecnt_dscnt 0x0
	s_barrier_signal -1
	s_barrier_wait -1
	s_clause 0x5
	scratch_load_b128 v[122:125], off, off offset:104
	scratch_load_b128 v[126:129], off, off offset:120
	;; [unrolled: 1-line block ×6, first 2 shown]
	v_mov_b32_e32 v2, 0
	ds_load_b128 v[146:149], v2 offset:592
	ds_load_b128 v[150:153], v2 offset:608
	scratch_load_b128 v[154:157], off, off offset:200
	s_mov_b32 s0, exec_lo
	s_wait_loadcnt_dscnt 0x601
	v_fma_f64 v[158:159], v[124:125], v[146:147], 0
	s_wait_loadcnt 0x5
	s_delay_alu instid0(VALU_DEP_1) | instskip(SKIP_4) | instid1(VALU_DEP_1)
	v_fmac_f64_e32 v[158:159], v[126:127], v[148:149]
	scratch_load_b128 v[124:127], off, off offset:216
	s_wait_dscnt 0x0
	v_fmac_f64_e32 v[158:159], v[128:129], v[150:151]
	s_wait_loadcnt 0x5
	v_fmac_f64_e32 v[158:159], v[130:131], v[152:153]
	ds_load_b128 v[128:131], v2 offset:624
	ds_load_b128 v[146:149], v2 offset:640
	scratch_load_b128 v[150:153], off, off offset:232
	s_wait_dscnt 0x1
	v_fmac_f64_e32 v[158:159], v[132:133], v[128:129]
	s_wait_loadcnt 0x5
	s_delay_alu instid0(VALU_DEP_1) | instskip(SKIP_4) | instid1(VALU_DEP_1)
	v_fmac_f64_e32 v[158:159], v[134:135], v[130:131]
	scratch_load_b128 v[128:131], off, off offset:248
	s_wait_dscnt 0x0
	v_fmac_f64_e32 v[158:159], v[136:137], v[146:147]
	s_wait_loadcnt 0x5
	v_fmac_f64_e32 v[158:159], v[138:139], v[148:149]
	ds_load_b128 v[132:135], v2 offset:656
	ds_load_b128 v[136:139], v2 offset:672
	scratch_load_b128 v[146:149], off, off offset:264
	s_wait_dscnt 0x1
	v_fmac_f64_e32 v[158:159], v[140:141], v[132:133]
	s_wait_loadcnt 0x5
	s_delay_alu instid0(VALU_DEP_1) | instskip(SKIP_4) | instid1(VALU_DEP_1)
	v_fmac_f64_e32 v[158:159], v[142:143], v[134:135]
	scratch_load_b128 v[132:135], off, off offset:280
	s_wait_dscnt 0x0
	v_fmac_f64_e32 v[158:159], v[144:145], v[136:137]
	s_wait_loadcnt 0x5
	v_fmac_f64_e32 v[158:159], v[154:155], v[138:139]
	ds_load_b128 v[136:139], v2 offset:688
	ds_load_b128 v[140:143], v2 offset:704
	s_wait_dscnt 0x1
	v_fmac_f64_e32 v[158:159], v[156:157], v[136:137]
	scratch_load_b128 v[154:157], off, off offset:296
	s_wait_loadcnt 0x5
	v_fmac_f64_e32 v[158:159], v[124:125], v[138:139]
	s_wait_dscnt 0x0
	s_delay_alu instid0(VALU_DEP_1)
	v_fmac_f64_e32 v[158:159], v[126:127], v[140:141]
	scratch_load_b128 v[124:127], off, off offset:312
	s_wait_loadcnt 0x5
	v_fmac_f64_e32 v[158:159], v[150:151], v[142:143]
	ds_load_b128 v[136:139], v2 offset:720
	ds_load_b128 v[140:143], v2 offset:736
	s_wait_dscnt 0x1
	v_fmac_f64_e32 v[158:159], v[152:153], v[136:137]
	scratch_load_b128 v[150:153], off, off offset:328
	s_wait_loadcnt 0x5
	v_fmac_f64_e32 v[158:159], v[128:129], v[138:139]
	s_wait_dscnt 0x0
	s_delay_alu instid0(VALU_DEP_1)
	v_fmac_f64_e32 v[158:159], v[130:131], v[140:141]
	scratch_load_b128 v[128:131], off, off offset:344
	s_wait_loadcnt 0x5
	v_fmac_f64_e32 v[158:159], v[146:147], v[142:143]
	ds_load_b128 v[136:139], v2 offset:752
	ds_load_b128 v[140:143], v2 offset:768
	scratch_load_b128 v[144:147], off, off offset:360
	s_wait_dscnt 0x1
	v_fmac_f64_e32 v[158:159], v[148:149], v[136:137]
	s_wait_loadcnt 0x5
	s_delay_alu instid0(VALU_DEP_1) | instskip(SKIP_1) | instid1(VALU_DEP_1)
	v_fmac_f64_e32 v[158:159], v[132:133], v[138:139]
	s_wait_dscnt 0x0
	v_fmac_f64_e32 v[158:159], v[134:135], v[140:141]
	scratch_load_b128 v[132:135], off, off offset:376
	s_wait_loadcnt 0x5
	v_fmac_f64_e32 v[158:159], v[154:155], v[142:143]
	ds_load_b128 v[136:139], v2 offset:784
	ds_load_b128 v[140:143], v2 offset:800
	s_wait_dscnt 0x1
	v_fmac_f64_e32 v[158:159], v[156:157], v[136:137]
	s_wait_loadcnt 0x4
	s_delay_alu instid0(VALU_DEP_1)
	v_fmac_f64_e32 v[158:159], v[124:125], v[138:139]
	scratch_load_b128 v[136:139], off, off offset:392
	s_wait_dscnt 0x0
	v_fmac_f64_e32 v[158:159], v[126:127], v[140:141]
	scratch_load_b128 v[124:127], off, off offset:408
	s_wait_loadcnt 0x5
	v_fmac_f64_e32 v[158:159], v[150:151], v[142:143]
	ds_load_b128 v[140:143], v2 offset:816
	ds_load_b128 v[148:151], v2 offset:832
	s_wait_dscnt 0x1
	v_fmac_f64_e32 v[158:159], v[152:153], v[140:141]
	s_wait_loadcnt 0x4
	s_delay_alu instid0(VALU_DEP_1)
	v_fmac_f64_e32 v[158:159], v[128:129], v[142:143]
	scratch_load_b128 v[140:143], off, off offset:424
	s_wait_dscnt 0x0
	v_fmac_f64_e32 v[158:159], v[130:131], v[148:149]
	scratch_load_b128 v[128:131], off, off offset:440
	s_wait_loadcnt 0x5
	v_fmac_f64_e32 v[158:159], v[144:145], v[150:151]
	ds_load_b128 v[148:151], v2 offset:848
	ds_load_b128 v[152:155], v2 offset:864
	s_wait_dscnt 0x1
	v_fmac_f64_e32 v[158:159], v[146:147], v[148:149]
	scratch_load_b128 v[144:147], off, off offset:456
	s_wait_loadcnt 0x5
	v_fmac_f64_e32 v[158:159], v[132:133], v[150:151]
	s_wait_dscnt 0x0
	s_delay_alu instid0(VALU_DEP_1)
	v_fmac_f64_e32 v[158:159], v[134:135], v[152:153]
	ds_load_b128 v[132:135], v2 offset:880
	ds_load_b128 v[148:151], v2 offset:896
	s_wait_loadcnt 0x4
	v_fmac_f64_e32 v[158:159], v[136:137], v[154:155]
	s_wait_dscnt 0x1
	s_delay_alu instid0(VALU_DEP_1) | instskip(SKIP_1) | instid1(VALU_DEP_1)
	v_fmac_f64_e32 v[158:159], v[138:139], v[132:133]
	s_wait_loadcnt 0x3
	v_fmac_f64_e32 v[158:159], v[124:125], v[134:135]
	s_wait_dscnt 0x0
	s_delay_alu instid0(VALU_DEP_1)
	v_fmac_f64_e32 v[158:159], v[126:127], v[148:149]
	ds_load_b128 v[124:127], v2 offset:912
	ds_load_b128 v[132:135], v2 offset:928
	s_wait_loadcnt 0x2
	v_fmac_f64_e32 v[158:159], v[140:141], v[150:151]
	s_wait_dscnt 0x1
	s_delay_alu instid0(VALU_DEP_1) | instskip(SKIP_4) | instid1(VALU_DEP_1)
	v_fmac_f64_e32 v[158:159], v[142:143], v[124:125]
	ds_load_b64 v[124:125], v2 offset:944
	s_wait_loadcnt 0x1
	v_fmac_f64_e32 v[158:159], v[128:129], v[126:127]
	s_wait_dscnt 0x1
	v_fmac_f64_e32 v[158:159], v[130:131], v[132:133]
	s_wait_loadcnt 0x0
	s_delay_alu instid0(VALU_DEP_1) | instskip(SKIP_1) | instid1(VALU_DEP_1)
	v_fmac_f64_e32 v[158:159], v[144:145], v[134:135]
	s_wait_dscnt 0x0
	v_fmac_f64_e32 v[158:159], v[146:147], v[124:125]
	s_delay_alu instid0(VALU_DEP_1)
	v_add_f64_e64 v[122:123], v[122:123], -v[158:159]
	scratch_store_b64 off, v[122:123], off offset:104
	s_wait_xcnt 0x0
	v_cmpx_lt_u32_e32 12, v0
	s_cbranch_execz .LBB58_339
; %bb.338:
	scratch_load_b64 v[122:123], off, off offset:96
	v_mov_b64_e32 v[124:125], 0
	scratch_store_b64 off, v[124:125], off offset:96
	s_wait_loadcnt 0x0
	ds_store_b64 v1, v[122:123]
.LBB58_339:
	s_wait_xcnt 0x0
	s_or_b32 exec_lo, exec_lo, s0
	s_wait_storecnt_dscnt 0x0
	s_barrier_signal -1
	s_barrier_wait -1
	s_clause 0x5
	scratch_load_b128 v[122:125], off, off offset:96
	scratch_load_b128 v[126:129], off, off offset:112
	;; [unrolled: 1-line block ×6, first 2 shown]
	ds_load_2addr_b64 v[146:149], v2 offset0:73 offset1:74
	ds_load_2addr_b64 v[150:153], v2 offset0:75 offset1:76
	scratch_load_b128 v[154:157], off, off offset:192
	s_mov_b32 s0, exec_lo
	s_wait_loadcnt_dscnt 0x601
	v_fma_f64 v[158:159], v[124:125], v[146:147], 0
	s_wait_loadcnt 0x5
	s_delay_alu instid0(VALU_DEP_1) | instskip(SKIP_4) | instid1(VALU_DEP_1)
	v_fmac_f64_e32 v[158:159], v[126:127], v[148:149]
	scratch_load_b128 v[124:127], off, off offset:208
	s_wait_dscnt 0x0
	v_fmac_f64_e32 v[158:159], v[128:129], v[150:151]
	s_wait_loadcnt 0x5
	v_fmac_f64_e32 v[158:159], v[130:131], v[152:153]
	ds_load_2addr_b64 v[128:131], v2 offset0:77 offset1:78
	ds_load_2addr_b64 v[146:149], v2 offset0:79 offset1:80
	scratch_load_b128 v[150:153], off, off offset:224
	s_wait_dscnt 0x1
	v_fmac_f64_e32 v[158:159], v[132:133], v[128:129]
	s_wait_loadcnt 0x5
	s_delay_alu instid0(VALU_DEP_1) | instskip(SKIP_4) | instid1(VALU_DEP_1)
	v_fmac_f64_e32 v[158:159], v[134:135], v[130:131]
	scratch_load_b128 v[128:131], off, off offset:240
	s_wait_dscnt 0x0
	v_fmac_f64_e32 v[158:159], v[136:137], v[146:147]
	s_wait_loadcnt 0x5
	v_fmac_f64_e32 v[158:159], v[138:139], v[148:149]
	ds_load_2addr_b64 v[132:135], v2 offset0:81 offset1:82
	ds_load_2addr_b64 v[136:139], v2 offset0:83 offset1:84
	scratch_load_b128 v[146:149], off, off offset:256
	s_wait_dscnt 0x1
	v_fmac_f64_e32 v[158:159], v[140:141], v[132:133]
	s_wait_loadcnt 0x5
	s_delay_alu instid0(VALU_DEP_1) | instskip(SKIP_4) | instid1(VALU_DEP_1)
	v_fmac_f64_e32 v[158:159], v[142:143], v[134:135]
	scratch_load_b128 v[132:135], off, off offset:272
	s_wait_dscnt 0x0
	v_fmac_f64_e32 v[158:159], v[144:145], v[136:137]
	s_wait_loadcnt 0x5
	v_fmac_f64_e32 v[158:159], v[154:155], v[138:139]
	ds_load_2addr_b64 v[136:139], v2 offset0:85 offset1:86
	ds_load_2addr_b64 v[140:143], v2 offset0:87 offset1:88
	s_wait_dscnt 0x1
	v_fmac_f64_e32 v[158:159], v[156:157], v[136:137]
	scratch_load_b128 v[154:157], off, off offset:288
	s_wait_loadcnt 0x5
	v_fmac_f64_e32 v[158:159], v[124:125], v[138:139]
	s_wait_dscnt 0x0
	s_delay_alu instid0(VALU_DEP_1)
	v_fmac_f64_e32 v[158:159], v[126:127], v[140:141]
	scratch_load_b128 v[124:127], off, off offset:304
	s_wait_loadcnt 0x5
	v_fmac_f64_e32 v[158:159], v[150:151], v[142:143]
	ds_load_2addr_b64 v[136:139], v2 offset0:89 offset1:90
	ds_load_2addr_b64 v[140:143], v2 offset0:91 offset1:92
	s_wait_dscnt 0x1
	v_fmac_f64_e32 v[158:159], v[152:153], v[136:137]
	scratch_load_b128 v[150:153], off, off offset:320
	s_wait_loadcnt 0x5
	v_fmac_f64_e32 v[158:159], v[128:129], v[138:139]
	s_wait_dscnt 0x0
	s_delay_alu instid0(VALU_DEP_1)
	v_fmac_f64_e32 v[158:159], v[130:131], v[140:141]
	scratch_load_b128 v[128:131], off, off offset:336
	s_wait_loadcnt 0x5
	v_fmac_f64_e32 v[158:159], v[146:147], v[142:143]
	ds_load_2addr_b64 v[136:139], v2 offset0:93 offset1:94
	ds_load_2addr_b64 v[140:143], v2 offset0:95 offset1:96
	scratch_load_b128 v[144:147], off, off offset:352
	s_wait_dscnt 0x1
	v_fmac_f64_e32 v[158:159], v[148:149], v[136:137]
	s_wait_loadcnt 0x5
	s_delay_alu instid0(VALU_DEP_1) | instskip(SKIP_1) | instid1(VALU_DEP_1)
	v_fmac_f64_e32 v[158:159], v[132:133], v[138:139]
	s_wait_dscnt 0x0
	v_fmac_f64_e32 v[158:159], v[134:135], v[140:141]
	scratch_load_b128 v[132:135], off, off offset:368
	s_wait_loadcnt 0x5
	v_fmac_f64_e32 v[158:159], v[154:155], v[142:143]
	ds_load_2addr_b64 v[136:139], v2 offset0:97 offset1:98
	ds_load_2addr_b64 v[140:143], v2 offset0:99 offset1:100
	s_wait_dscnt 0x1
	v_fmac_f64_e32 v[158:159], v[156:157], v[136:137]
	scratch_load_b128 v[154:157], off, off offset:384
	s_wait_loadcnt 0x5
	v_fmac_f64_e32 v[158:159], v[124:125], v[138:139]
	s_wait_dscnt 0x0
	s_delay_alu instid0(VALU_DEP_1)
	v_fmac_f64_e32 v[158:159], v[126:127], v[140:141]
	scratch_load_b128 v[124:127], off, off offset:400
	s_wait_loadcnt 0x5
	v_fmac_f64_e32 v[158:159], v[150:151], v[142:143]
	ds_load_2addr_b64 v[136:139], v2 offset0:101 offset1:102
	ds_load_2addr_b64 v[140:143], v2 offset0:103 offset1:104
	s_wait_dscnt 0x1
	v_fmac_f64_e32 v[158:159], v[152:153], v[136:137]
	s_wait_loadcnt 0x4
	s_delay_alu instid0(VALU_DEP_1)
	v_fmac_f64_e32 v[158:159], v[128:129], v[138:139]
	scratch_load_b128 v[136:139], off, off offset:416
	s_wait_dscnt 0x0
	v_fmac_f64_e32 v[158:159], v[130:131], v[140:141]
	scratch_load_b128 v[128:131], off, off offset:432
	s_wait_loadcnt 0x5
	v_fmac_f64_e32 v[158:159], v[144:145], v[142:143]
	ds_load_2addr_b64 v[140:143], v2 offset0:105 offset1:106
	ds_load_2addr_b64 v[148:151], v2 offset0:107 offset1:108
	s_wait_dscnt 0x1
	v_fmac_f64_e32 v[158:159], v[146:147], v[140:141]
	s_wait_loadcnt 0x4
	s_delay_alu instid0(VALU_DEP_1)
	v_fmac_f64_e32 v[158:159], v[132:133], v[142:143]
	scratch_load_b128 v[140:143], off, off offset:448
	s_wait_dscnt 0x0
	v_fmac_f64_e32 v[158:159], v[134:135], v[148:149]
	scratch_load_b64 v[148:149], off, off offset:464
	ds_load_2addr_b64 v[132:135], v2 offset0:109 offset1:110
	ds_load_2addr_b64 v[144:147], v2 offset0:111 offset1:112
	s_wait_loadcnt 0x5
	v_fmac_f64_e32 v[158:159], v[154:155], v[150:151]
	s_wait_dscnt 0x1
	s_delay_alu instid0(VALU_DEP_1) | instskip(SKIP_1) | instid1(VALU_DEP_1)
	v_fmac_f64_e32 v[158:159], v[156:157], v[132:133]
	s_wait_loadcnt 0x4
	v_fmac_f64_e32 v[158:159], v[124:125], v[134:135]
	s_wait_dscnt 0x0
	s_delay_alu instid0(VALU_DEP_1)
	v_fmac_f64_e32 v[158:159], v[126:127], v[144:145]
	ds_load_2addr_b64 v[124:127], v2 offset0:113 offset1:114
	ds_load_2addr_b64 v[132:135], v2 offset0:115 offset1:116
	s_wait_loadcnt 0x3
	v_fmac_f64_e32 v[158:159], v[136:137], v[146:147]
	s_wait_dscnt 0x1
	s_delay_alu instid0(VALU_DEP_1) | instskip(SKIP_1) | instid1(VALU_DEP_1)
	v_fmac_f64_e32 v[158:159], v[138:139], v[124:125]
	s_wait_loadcnt 0x2
	v_fmac_f64_e32 v[158:159], v[128:129], v[126:127]
	ds_load_2addr_b64 v[124:127], v2 offset0:117 offset1:118
	s_wait_dscnt 0x1
	v_fmac_f64_e32 v[158:159], v[130:131], v[132:133]
	s_wait_loadcnt 0x1
	s_delay_alu instid0(VALU_DEP_1) | instskip(SKIP_1) | instid1(VALU_DEP_1)
	v_fmac_f64_e32 v[158:159], v[140:141], v[134:135]
	s_wait_dscnt 0x0
	v_fmac_f64_e32 v[158:159], v[142:143], v[124:125]
	s_wait_loadcnt 0x0
	s_delay_alu instid0(VALU_DEP_1) | instskip(NEXT) | instid1(VALU_DEP_1)
	v_fmac_f64_e32 v[158:159], v[148:149], v[126:127]
	v_add_f64_e64 v[2:3], v[122:123], -v[158:159]
	scratch_store_b64 off, v[2:3], off offset:96
	s_wait_xcnt 0x0
	v_cmpx_lt_u32_e32 11, v0
	s_cbranch_execz .LBB58_341
; %bb.340:
	scratch_load_b64 v[2:3], off, off offset:88
	v_mov_b64_e32 v[122:123], 0
	scratch_store_b64 off, v[122:123], off offset:88
	s_wait_loadcnt 0x0
	ds_store_b64 v1, v[2:3]
.LBB58_341:
	s_wait_xcnt 0x0
	s_or_b32 exec_lo, exec_lo, s0
	s_wait_storecnt_dscnt 0x0
	s_barrier_signal -1
	s_barrier_wait -1
	s_clause 0x5
	scratch_load_b128 v[122:125], off, off offset:88
	scratch_load_b128 v[126:129], off, off offset:104
	;; [unrolled: 1-line block ×6, first 2 shown]
	v_mov_b32_e32 v2, 0
	ds_load_b128 v[146:149], v2 offset:576
	ds_load_b128 v[150:153], v2 offset:592
	scratch_load_b128 v[154:157], off, off offset:184
	s_mov_b32 s0, exec_lo
	s_wait_loadcnt_dscnt 0x601
	v_fma_f64 v[158:159], v[124:125], v[146:147], 0
	s_wait_loadcnt 0x5
	s_delay_alu instid0(VALU_DEP_1) | instskip(SKIP_4) | instid1(VALU_DEP_1)
	v_fmac_f64_e32 v[158:159], v[126:127], v[148:149]
	scratch_load_b128 v[124:127], off, off offset:200
	s_wait_dscnt 0x0
	v_fmac_f64_e32 v[158:159], v[128:129], v[150:151]
	s_wait_loadcnt 0x5
	v_fmac_f64_e32 v[158:159], v[130:131], v[152:153]
	ds_load_b128 v[128:131], v2 offset:608
	ds_load_b128 v[146:149], v2 offset:624
	scratch_load_b128 v[150:153], off, off offset:216
	s_wait_dscnt 0x1
	v_fmac_f64_e32 v[158:159], v[132:133], v[128:129]
	s_wait_loadcnt 0x5
	s_delay_alu instid0(VALU_DEP_1) | instskip(SKIP_4) | instid1(VALU_DEP_1)
	v_fmac_f64_e32 v[158:159], v[134:135], v[130:131]
	scratch_load_b128 v[128:131], off, off offset:232
	s_wait_dscnt 0x0
	v_fmac_f64_e32 v[158:159], v[136:137], v[146:147]
	s_wait_loadcnt 0x5
	v_fmac_f64_e32 v[158:159], v[138:139], v[148:149]
	ds_load_b128 v[132:135], v2 offset:640
	ds_load_b128 v[136:139], v2 offset:656
	scratch_load_b128 v[146:149], off, off offset:248
	s_wait_dscnt 0x1
	v_fmac_f64_e32 v[158:159], v[140:141], v[132:133]
	s_wait_loadcnt 0x5
	s_delay_alu instid0(VALU_DEP_1) | instskip(SKIP_4) | instid1(VALU_DEP_1)
	v_fmac_f64_e32 v[158:159], v[142:143], v[134:135]
	scratch_load_b128 v[132:135], off, off offset:264
	s_wait_dscnt 0x0
	v_fmac_f64_e32 v[158:159], v[144:145], v[136:137]
	s_wait_loadcnt 0x5
	v_fmac_f64_e32 v[158:159], v[154:155], v[138:139]
	ds_load_b128 v[136:139], v2 offset:672
	ds_load_b128 v[140:143], v2 offset:688
	s_wait_dscnt 0x1
	v_fmac_f64_e32 v[158:159], v[156:157], v[136:137]
	scratch_load_b128 v[154:157], off, off offset:280
	s_wait_loadcnt 0x5
	v_fmac_f64_e32 v[158:159], v[124:125], v[138:139]
	s_wait_dscnt 0x0
	s_delay_alu instid0(VALU_DEP_1)
	v_fmac_f64_e32 v[158:159], v[126:127], v[140:141]
	scratch_load_b128 v[124:127], off, off offset:296
	s_wait_loadcnt 0x5
	v_fmac_f64_e32 v[158:159], v[150:151], v[142:143]
	ds_load_b128 v[136:139], v2 offset:704
	ds_load_b128 v[140:143], v2 offset:720
	s_wait_dscnt 0x1
	v_fmac_f64_e32 v[158:159], v[152:153], v[136:137]
	scratch_load_b128 v[150:153], off, off offset:312
	s_wait_loadcnt 0x5
	v_fmac_f64_e32 v[158:159], v[128:129], v[138:139]
	s_wait_dscnt 0x0
	s_delay_alu instid0(VALU_DEP_1)
	v_fmac_f64_e32 v[158:159], v[130:131], v[140:141]
	scratch_load_b128 v[128:131], off, off offset:328
	s_wait_loadcnt 0x5
	v_fmac_f64_e32 v[158:159], v[146:147], v[142:143]
	ds_load_b128 v[136:139], v2 offset:736
	ds_load_b128 v[140:143], v2 offset:752
	scratch_load_b128 v[144:147], off, off offset:344
	s_wait_dscnt 0x1
	v_fmac_f64_e32 v[158:159], v[148:149], v[136:137]
	s_wait_loadcnt 0x5
	s_delay_alu instid0(VALU_DEP_1) | instskip(SKIP_1) | instid1(VALU_DEP_1)
	v_fmac_f64_e32 v[158:159], v[132:133], v[138:139]
	s_wait_dscnt 0x0
	v_fmac_f64_e32 v[158:159], v[134:135], v[140:141]
	scratch_load_b128 v[132:135], off, off offset:360
	s_wait_loadcnt 0x5
	v_fmac_f64_e32 v[158:159], v[154:155], v[142:143]
	ds_load_b128 v[136:139], v2 offset:768
	ds_load_b128 v[140:143], v2 offset:784
	s_wait_dscnt 0x1
	v_fmac_f64_e32 v[158:159], v[156:157], v[136:137]
	scratch_load_b128 v[154:157], off, off offset:376
	s_wait_loadcnt 0x5
	v_fmac_f64_e32 v[158:159], v[124:125], v[138:139]
	s_wait_dscnt 0x0
	s_delay_alu instid0(VALU_DEP_1)
	v_fmac_f64_e32 v[158:159], v[126:127], v[140:141]
	scratch_load_b128 v[124:127], off, off offset:392
	s_wait_loadcnt 0x5
	v_fmac_f64_e32 v[158:159], v[150:151], v[142:143]
	ds_load_b128 v[136:139], v2 offset:800
	ds_load_b128 v[140:143], v2 offset:816
	s_wait_dscnt 0x1
	v_fmac_f64_e32 v[158:159], v[152:153], v[136:137]
	s_wait_loadcnt 0x4
	s_delay_alu instid0(VALU_DEP_1)
	v_fmac_f64_e32 v[158:159], v[128:129], v[138:139]
	scratch_load_b128 v[136:139], off, off offset:408
	s_wait_dscnt 0x0
	v_fmac_f64_e32 v[158:159], v[130:131], v[140:141]
	scratch_load_b128 v[128:131], off, off offset:424
	s_wait_loadcnt 0x5
	v_fmac_f64_e32 v[158:159], v[144:145], v[142:143]
	ds_load_b128 v[140:143], v2 offset:832
	ds_load_b128 v[148:151], v2 offset:848
	s_wait_dscnt 0x1
	v_fmac_f64_e32 v[158:159], v[146:147], v[140:141]
	s_wait_loadcnt 0x4
	s_delay_alu instid0(VALU_DEP_1)
	v_fmac_f64_e32 v[158:159], v[132:133], v[142:143]
	scratch_load_b128 v[140:143], off, off offset:440
	s_wait_dscnt 0x0
	v_fmac_f64_e32 v[158:159], v[134:135], v[148:149]
	scratch_load_b128 v[132:135], off, off offset:456
	s_wait_loadcnt 0x5
	v_fmac_f64_e32 v[158:159], v[154:155], v[150:151]
	ds_load_b128 v[144:147], v2 offset:864
	ds_load_b128 v[148:151], v2 offset:880
	s_wait_dscnt 0x1
	v_fmac_f64_e32 v[158:159], v[156:157], v[144:145]
	s_wait_loadcnt 0x4
	s_delay_alu instid0(VALU_DEP_1) | instskip(SKIP_1) | instid1(VALU_DEP_1)
	v_fmac_f64_e32 v[158:159], v[124:125], v[146:147]
	s_wait_dscnt 0x0
	v_fmac_f64_e32 v[158:159], v[126:127], v[148:149]
	ds_load_b128 v[124:127], v2 offset:896
	ds_load_b128 v[144:147], v2 offset:912
	s_wait_loadcnt 0x3
	v_fmac_f64_e32 v[158:159], v[136:137], v[150:151]
	s_wait_dscnt 0x1
	s_delay_alu instid0(VALU_DEP_1) | instskip(SKIP_1) | instid1(VALU_DEP_1)
	v_fmac_f64_e32 v[158:159], v[138:139], v[124:125]
	s_wait_loadcnt 0x2
	v_fmac_f64_e32 v[158:159], v[128:129], v[126:127]
	ds_load_b128 v[124:127], v2 offset:928
	ds_load_b64 v[128:129], v2 offset:944
	s_wait_dscnt 0x2
	v_fmac_f64_e32 v[158:159], v[130:131], v[144:145]
	s_wait_loadcnt 0x1
	s_delay_alu instid0(VALU_DEP_1) | instskip(SKIP_1) | instid1(VALU_DEP_1)
	v_fmac_f64_e32 v[158:159], v[140:141], v[146:147]
	s_wait_dscnt 0x1
	v_fmac_f64_e32 v[158:159], v[142:143], v[124:125]
	s_wait_loadcnt 0x0
	s_delay_alu instid0(VALU_DEP_1) | instskip(SKIP_1) | instid1(VALU_DEP_1)
	v_fmac_f64_e32 v[158:159], v[132:133], v[126:127]
	s_wait_dscnt 0x0
	v_fmac_f64_e32 v[158:159], v[134:135], v[128:129]
	s_delay_alu instid0(VALU_DEP_1)
	v_add_f64_e64 v[122:123], v[122:123], -v[158:159]
	scratch_store_b64 off, v[122:123], off offset:88
	s_wait_xcnt 0x0
	v_cmpx_lt_u32_e32 10, v0
	s_cbranch_execz .LBB58_343
; %bb.342:
	scratch_load_b64 v[122:123], off, off offset:80
	v_mov_b64_e32 v[124:125], 0
	scratch_store_b64 off, v[124:125], off offset:80
	s_wait_loadcnt 0x0
	ds_store_b64 v1, v[122:123]
.LBB58_343:
	s_wait_xcnt 0x0
	s_or_b32 exec_lo, exec_lo, s0
	s_wait_storecnt_dscnt 0x0
	s_barrier_signal -1
	s_barrier_wait -1
	s_clause 0x5
	scratch_load_b128 v[122:125], off, off offset:80
	scratch_load_b128 v[126:129], off, off offset:96
	;; [unrolled: 1-line block ×6, first 2 shown]
	ds_load_2addr_b64 v[146:149], v2 offset0:71 offset1:72
	ds_load_2addr_b64 v[150:153], v2 offset0:73 offset1:74
	scratch_load_b128 v[154:157], off, off offset:176
	s_mov_b32 s0, exec_lo
	s_wait_loadcnt_dscnt 0x601
	v_fma_f64 v[158:159], v[124:125], v[146:147], 0
	s_wait_loadcnt 0x5
	s_delay_alu instid0(VALU_DEP_1) | instskip(SKIP_4) | instid1(VALU_DEP_1)
	v_fmac_f64_e32 v[158:159], v[126:127], v[148:149]
	scratch_load_b128 v[124:127], off, off offset:192
	s_wait_dscnt 0x0
	v_fmac_f64_e32 v[158:159], v[128:129], v[150:151]
	s_wait_loadcnt 0x5
	v_fmac_f64_e32 v[158:159], v[130:131], v[152:153]
	ds_load_2addr_b64 v[128:131], v2 offset0:75 offset1:76
	ds_load_2addr_b64 v[146:149], v2 offset0:77 offset1:78
	scratch_load_b128 v[150:153], off, off offset:208
	s_wait_dscnt 0x1
	v_fmac_f64_e32 v[158:159], v[132:133], v[128:129]
	s_wait_loadcnt 0x5
	s_delay_alu instid0(VALU_DEP_1) | instskip(SKIP_4) | instid1(VALU_DEP_1)
	v_fmac_f64_e32 v[158:159], v[134:135], v[130:131]
	scratch_load_b128 v[128:131], off, off offset:224
	s_wait_dscnt 0x0
	v_fmac_f64_e32 v[158:159], v[136:137], v[146:147]
	s_wait_loadcnt 0x5
	v_fmac_f64_e32 v[158:159], v[138:139], v[148:149]
	ds_load_2addr_b64 v[132:135], v2 offset0:79 offset1:80
	ds_load_2addr_b64 v[136:139], v2 offset0:81 offset1:82
	scratch_load_b128 v[146:149], off, off offset:240
	s_wait_dscnt 0x1
	v_fmac_f64_e32 v[158:159], v[140:141], v[132:133]
	s_wait_loadcnt 0x5
	s_delay_alu instid0(VALU_DEP_1) | instskip(SKIP_4) | instid1(VALU_DEP_1)
	v_fmac_f64_e32 v[158:159], v[142:143], v[134:135]
	scratch_load_b128 v[132:135], off, off offset:256
	s_wait_dscnt 0x0
	v_fmac_f64_e32 v[158:159], v[144:145], v[136:137]
	s_wait_loadcnt 0x5
	v_fmac_f64_e32 v[158:159], v[154:155], v[138:139]
	ds_load_2addr_b64 v[136:139], v2 offset0:83 offset1:84
	ds_load_2addr_b64 v[140:143], v2 offset0:85 offset1:86
	s_wait_dscnt 0x1
	v_fmac_f64_e32 v[158:159], v[156:157], v[136:137]
	scratch_load_b128 v[154:157], off, off offset:272
	s_wait_loadcnt 0x5
	v_fmac_f64_e32 v[158:159], v[124:125], v[138:139]
	s_wait_dscnt 0x0
	s_delay_alu instid0(VALU_DEP_1)
	v_fmac_f64_e32 v[158:159], v[126:127], v[140:141]
	scratch_load_b128 v[124:127], off, off offset:288
	s_wait_loadcnt 0x5
	v_fmac_f64_e32 v[158:159], v[150:151], v[142:143]
	ds_load_2addr_b64 v[136:139], v2 offset0:87 offset1:88
	ds_load_2addr_b64 v[140:143], v2 offset0:89 offset1:90
	s_wait_dscnt 0x1
	v_fmac_f64_e32 v[158:159], v[152:153], v[136:137]
	scratch_load_b128 v[150:153], off, off offset:304
	s_wait_loadcnt 0x5
	v_fmac_f64_e32 v[158:159], v[128:129], v[138:139]
	s_wait_dscnt 0x0
	s_delay_alu instid0(VALU_DEP_1)
	v_fmac_f64_e32 v[158:159], v[130:131], v[140:141]
	scratch_load_b128 v[128:131], off, off offset:320
	s_wait_loadcnt 0x5
	v_fmac_f64_e32 v[158:159], v[146:147], v[142:143]
	ds_load_2addr_b64 v[136:139], v2 offset0:91 offset1:92
	ds_load_2addr_b64 v[140:143], v2 offset0:93 offset1:94
	scratch_load_b128 v[144:147], off, off offset:336
	s_wait_dscnt 0x1
	v_fmac_f64_e32 v[158:159], v[148:149], v[136:137]
	s_wait_loadcnt 0x5
	s_delay_alu instid0(VALU_DEP_1) | instskip(SKIP_1) | instid1(VALU_DEP_1)
	v_fmac_f64_e32 v[158:159], v[132:133], v[138:139]
	s_wait_dscnt 0x0
	v_fmac_f64_e32 v[158:159], v[134:135], v[140:141]
	scratch_load_b128 v[132:135], off, off offset:352
	s_wait_loadcnt 0x5
	v_fmac_f64_e32 v[158:159], v[154:155], v[142:143]
	ds_load_2addr_b64 v[136:139], v2 offset0:95 offset1:96
	ds_load_2addr_b64 v[140:143], v2 offset0:97 offset1:98
	s_wait_dscnt 0x1
	v_fmac_f64_e32 v[158:159], v[156:157], v[136:137]
	scratch_load_b128 v[154:157], off, off offset:368
	s_wait_loadcnt 0x5
	v_fmac_f64_e32 v[158:159], v[124:125], v[138:139]
	s_wait_dscnt 0x0
	s_delay_alu instid0(VALU_DEP_1)
	v_fmac_f64_e32 v[158:159], v[126:127], v[140:141]
	scratch_load_b128 v[124:127], off, off offset:384
	s_wait_loadcnt 0x5
	v_fmac_f64_e32 v[158:159], v[150:151], v[142:143]
	ds_load_2addr_b64 v[136:139], v2 offset0:99 offset1:100
	ds_load_2addr_b64 v[140:143], v2 offset0:101 offset1:102
	s_wait_dscnt 0x1
	v_fmac_f64_e32 v[158:159], v[152:153], v[136:137]
	s_wait_loadcnt 0x4
	s_delay_alu instid0(VALU_DEP_1)
	v_fmac_f64_e32 v[158:159], v[128:129], v[138:139]
	scratch_load_b128 v[136:139], off, off offset:400
	s_wait_dscnt 0x0
	v_fmac_f64_e32 v[158:159], v[130:131], v[140:141]
	scratch_load_b128 v[128:131], off, off offset:416
	s_wait_loadcnt 0x5
	v_fmac_f64_e32 v[158:159], v[144:145], v[142:143]
	ds_load_2addr_b64 v[140:143], v2 offset0:103 offset1:104
	ds_load_2addr_b64 v[148:151], v2 offset0:105 offset1:106
	s_wait_dscnt 0x1
	v_fmac_f64_e32 v[158:159], v[146:147], v[140:141]
	s_wait_loadcnt 0x4
	s_delay_alu instid0(VALU_DEP_1)
	v_fmac_f64_e32 v[158:159], v[132:133], v[142:143]
	scratch_load_b128 v[140:143], off, off offset:432
	s_wait_dscnt 0x0
	v_fmac_f64_e32 v[158:159], v[134:135], v[148:149]
	scratch_load_b128 v[132:135], off, off offset:448
	s_wait_loadcnt 0x5
	v_fmac_f64_e32 v[158:159], v[154:155], v[150:151]
	ds_load_2addr_b64 v[144:147], v2 offset0:107 offset1:108
	ds_load_2addr_b64 v[148:151], v2 offset0:109 offset1:110
	scratch_load_b64 v[152:153], off, off offset:464
	s_wait_dscnt 0x1
	v_fmac_f64_e32 v[158:159], v[156:157], v[144:145]
	s_wait_loadcnt 0x5
	s_delay_alu instid0(VALU_DEP_1) | instskip(SKIP_1) | instid1(VALU_DEP_1)
	v_fmac_f64_e32 v[158:159], v[124:125], v[146:147]
	s_wait_dscnt 0x0
	v_fmac_f64_e32 v[158:159], v[126:127], v[148:149]
	ds_load_2addr_b64 v[124:127], v2 offset0:111 offset1:112
	ds_load_2addr_b64 v[144:147], v2 offset0:113 offset1:114
	s_wait_loadcnt 0x4
	v_fmac_f64_e32 v[158:159], v[136:137], v[150:151]
	s_wait_dscnt 0x1
	s_delay_alu instid0(VALU_DEP_1) | instskip(SKIP_1) | instid1(VALU_DEP_1)
	v_fmac_f64_e32 v[158:159], v[138:139], v[124:125]
	s_wait_loadcnt 0x3
	v_fmac_f64_e32 v[158:159], v[128:129], v[126:127]
	s_wait_dscnt 0x0
	s_delay_alu instid0(VALU_DEP_1)
	v_fmac_f64_e32 v[158:159], v[130:131], v[144:145]
	ds_load_2addr_b64 v[124:127], v2 offset0:115 offset1:116
	ds_load_2addr_b64 v[128:131], v2 offset0:117 offset1:118
	s_wait_loadcnt 0x2
	v_fmac_f64_e32 v[158:159], v[140:141], v[146:147]
	s_wait_dscnt 0x1
	s_delay_alu instid0(VALU_DEP_1) | instskip(SKIP_1) | instid1(VALU_DEP_1)
	v_fmac_f64_e32 v[158:159], v[142:143], v[124:125]
	s_wait_loadcnt 0x1
	v_fmac_f64_e32 v[158:159], v[132:133], v[126:127]
	s_wait_dscnt 0x0
	s_delay_alu instid0(VALU_DEP_1) | instskip(SKIP_1) | instid1(VALU_DEP_1)
	v_fmac_f64_e32 v[158:159], v[134:135], v[128:129]
	s_wait_loadcnt 0x0
	v_fmac_f64_e32 v[158:159], v[152:153], v[130:131]
	s_delay_alu instid0(VALU_DEP_1)
	v_add_f64_e64 v[2:3], v[122:123], -v[158:159]
	scratch_store_b64 off, v[2:3], off offset:80
	s_wait_xcnt 0x0
	v_cmpx_lt_u32_e32 9, v0
	s_cbranch_execz .LBB58_345
; %bb.344:
	scratch_load_b64 v[2:3], off, off offset:72
	v_mov_b64_e32 v[122:123], 0
	scratch_store_b64 off, v[122:123], off offset:72
	s_wait_loadcnt 0x0
	ds_store_b64 v1, v[2:3]
.LBB58_345:
	s_wait_xcnt 0x0
	s_or_b32 exec_lo, exec_lo, s0
	s_wait_storecnt_dscnt 0x0
	s_barrier_signal -1
	s_barrier_wait -1
	s_clause 0x5
	scratch_load_b128 v[122:125], off, off offset:72
	scratch_load_b128 v[126:129], off, off offset:88
	scratch_load_b128 v[130:133], off, off offset:104
	scratch_load_b128 v[134:137], off, off offset:120
	scratch_load_b128 v[138:141], off, off offset:136
	scratch_load_b128 v[142:145], off, off offset:152
	v_mov_b32_e32 v2, 0
	ds_load_b128 v[146:149], v2 offset:560
	ds_load_b128 v[150:153], v2 offset:576
	scratch_load_b128 v[154:157], off, off offset:168
	s_mov_b32 s0, exec_lo
	s_wait_loadcnt_dscnt 0x601
	v_fma_f64 v[158:159], v[124:125], v[146:147], 0
	s_wait_loadcnt 0x5
	s_delay_alu instid0(VALU_DEP_1) | instskip(SKIP_4) | instid1(VALU_DEP_1)
	v_fmac_f64_e32 v[158:159], v[126:127], v[148:149]
	scratch_load_b128 v[124:127], off, off offset:184
	s_wait_dscnt 0x0
	v_fmac_f64_e32 v[158:159], v[128:129], v[150:151]
	s_wait_loadcnt 0x5
	v_fmac_f64_e32 v[158:159], v[130:131], v[152:153]
	ds_load_b128 v[128:131], v2 offset:592
	ds_load_b128 v[146:149], v2 offset:608
	scratch_load_b128 v[150:153], off, off offset:200
	s_wait_dscnt 0x1
	v_fmac_f64_e32 v[158:159], v[132:133], v[128:129]
	s_wait_loadcnt 0x5
	s_delay_alu instid0(VALU_DEP_1) | instskip(SKIP_4) | instid1(VALU_DEP_1)
	v_fmac_f64_e32 v[158:159], v[134:135], v[130:131]
	scratch_load_b128 v[128:131], off, off offset:216
	s_wait_dscnt 0x0
	v_fmac_f64_e32 v[158:159], v[136:137], v[146:147]
	s_wait_loadcnt 0x5
	v_fmac_f64_e32 v[158:159], v[138:139], v[148:149]
	ds_load_b128 v[132:135], v2 offset:624
	ds_load_b128 v[136:139], v2 offset:640
	scratch_load_b128 v[146:149], off, off offset:232
	s_wait_dscnt 0x1
	v_fmac_f64_e32 v[158:159], v[140:141], v[132:133]
	s_wait_loadcnt 0x5
	s_delay_alu instid0(VALU_DEP_1) | instskip(SKIP_4) | instid1(VALU_DEP_1)
	v_fmac_f64_e32 v[158:159], v[142:143], v[134:135]
	scratch_load_b128 v[132:135], off, off offset:248
	s_wait_dscnt 0x0
	v_fmac_f64_e32 v[158:159], v[144:145], v[136:137]
	s_wait_loadcnt 0x5
	v_fmac_f64_e32 v[158:159], v[154:155], v[138:139]
	ds_load_b128 v[136:139], v2 offset:656
	ds_load_b128 v[140:143], v2 offset:672
	s_wait_dscnt 0x1
	v_fmac_f64_e32 v[158:159], v[156:157], v[136:137]
	scratch_load_b128 v[154:157], off, off offset:264
	s_wait_loadcnt 0x5
	v_fmac_f64_e32 v[158:159], v[124:125], v[138:139]
	s_wait_dscnt 0x0
	s_delay_alu instid0(VALU_DEP_1)
	v_fmac_f64_e32 v[158:159], v[126:127], v[140:141]
	scratch_load_b128 v[124:127], off, off offset:280
	s_wait_loadcnt 0x5
	v_fmac_f64_e32 v[158:159], v[150:151], v[142:143]
	ds_load_b128 v[136:139], v2 offset:688
	ds_load_b128 v[140:143], v2 offset:704
	s_wait_dscnt 0x1
	v_fmac_f64_e32 v[158:159], v[152:153], v[136:137]
	scratch_load_b128 v[150:153], off, off offset:296
	s_wait_loadcnt 0x5
	v_fmac_f64_e32 v[158:159], v[128:129], v[138:139]
	s_wait_dscnt 0x0
	s_delay_alu instid0(VALU_DEP_1)
	v_fmac_f64_e32 v[158:159], v[130:131], v[140:141]
	scratch_load_b128 v[128:131], off, off offset:312
	s_wait_loadcnt 0x5
	v_fmac_f64_e32 v[158:159], v[146:147], v[142:143]
	ds_load_b128 v[136:139], v2 offset:720
	ds_load_b128 v[140:143], v2 offset:736
	scratch_load_b128 v[144:147], off, off offset:328
	s_wait_dscnt 0x1
	v_fmac_f64_e32 v[158:159], v[148:149], v[136:137]
	s_wait_loadcnt 0x5
	s_delay_alu instid0(VALU_DEP_1) | instskip(SKIP_1) | instid1(VALU_DEP_1)
	v_fmac_f64_e32 v[158:159], v[132:133], v[138:139]
	s_wait_dscnt 0x0
	v_fmac_f64_e32 v[158:159], v[134:135], v[140:141]
	scratch_load_b128 v[132:135], off, off offset:344
	s_wait_loadcnt 0x5
	v_fmac_f64_e32 v[158:159], v[154:155], v[142:143]
	ds_load_b128 v[136:139], v2 offset:752
	ds_load_b128 v[140:143], v2 offset:768
	s_wait_dscnt 0x1
	v_fmac_f64_e32 v[158:159], v[156:157], v[136:137]
	scratch_load_b128 v[154:157], off, off offset:360
	s_wait_loadcnt 0x5
	v_fmac_f64_e32 v[158:159], v[124:125], v[138:139]
	s_wait_dscnt 0x0
	s_delay_alu instid0(VALU_DEP_1)
	v_fmac_f64_e32 v[158:159], v[126:127], v[140:141]
	scratch_load_b128 v[124:127], off, off offset:376
	s_wait_loadcnt 0x5
	v_fmac_f64_e32 v[158:159], v[150:151], v[142:143]
	ds_load_b128 v[136:139], v2 offset:784
	ds_load_b128 v[140:143], v2 offset:800
	s_wait_dscnt 0x1
	v_fmac_f64_e32 v[158:159], v[152:153], v[136:137]
	s_wait_loadcnt 0x4
	s_delay_alu instid0(VALU_DEP_1)
	v_fmac_f64_e32 v[158:159], v[128:129], v[138:139]
	scratch_load_b128 v[136:139], off, off offset:392
	s_wait_dscnt 0x0
	v_fmac_f64_e32 v[158:159], v[130:131], v[140:141]
	scratch_load_b128 v[128:131], off, off offset:408
	s_wait_loadcnt 0x5
	v_fmac_f64_e32 v[158:159], v[144:145], v[142:143]
	ds_load_b128 v[140:143], v2 offset:816
	ds_load_b128 v[148:151], v2 offset:832
	s_wait_dscnt 0x1
	v_fmac_f64_e32 v[158:159], v[146:147], v[140:141]
	s_wait_loadcnt 0x4
	s_delay_alu instid0(VALU_DEP_1)
	v_fmac_f64_e32 v[158:159], v[132:133], v[142:143]
	scratch_load_b128 v[140:143], off, off offset:424
	s_wait_dscnt 0x0
	v_fmac_f64_e32 v[158:159], v[134:135], v[148:149]
	scratch_load_b128 v[132:135], off, off offset:440
	s_wait_loadcnt 0x5
	v_fmac_f64_e32 v[158:159], v[154:155], v[150:151]
	ds_load_b128 v[144:147], v2 offset:848
	ds_load_b128 v[148:151], v2 offset:864
	s_wait_dscnt 0x1
	v_fmac_f64_e32 v[158:159], v[156:157], v[144:145]
	s_wait_loadcnt 0x4
	s_delay_alu instid0(VALU_DEP_1) | instskip(SKIP_4) | instid1(VALU_DEP_1)
	v_fmac_f64_e32 v[158:159], v[124:125], v[146:147]
	scratch_load_b128 v[144:147], off, off offset:456
	s_wait_dscnt 0x0
	v_fmac_f64_e32 v[158:159], v[126:127], v[148:149]
	s_wait_loadcnt 0x4
	v_fmac_f64_e32 v[158:159], v[136:137], v[150:151]
	ds_load_b128 v[124:127], v2 offset:880
	ds_load_b128 v[148:151], v2 offset:896
	s_wait_dscnt 0x1
	v_fmac_f64_e32 v[158:159], v[138:139], v[124:125]
	s_wait_loadcnt 0x3
	s_delay_alu instid0(VALU_DEP_1) | instskip(SKIP_1) | instid1(VALU_DEP_1)
	v_fmac_f64_e32 v[158:159], v[128:129], v[126:127]
	s_wait_dscnt 0x0
	v_fmac_f64_e32 v[158:159], v[130:131], v[148:149]
	ds_load_b128 v[124:127], v2 offset:912
	ds_load_b128 v[128:131], v2 offset:928
	s_wait_loadcnt 0x2
	v_fmac_f64_e32 v[158:159], v[140:141], v[150:151]
	s_wait_dscnt 0x1
	s_delay_alu instid0(VALU_DEP_1) | instskip(SKIP_4) | instid1(VALU_DEP_1)
	v_fmac_f64_e32 v[158:159], v[142:143], v[124:125]
	ds_load_b64 v[124:125], v2 offset:944
	s_wait_loadcnt 0x1
	v_fmac_f64_e32 v[158:159], v[132:133], v[126:127]
	s_wait_dscnt 0x1
	v_fmac_f64_e32 v[158:159], v[134:135], v[128:129]
	s_wait_loadcnt 0x0
	s_delay_alu instid0(VALU_DEP_1) | instskip(SKIP_1) | instid1(VALU_DEP_1)
	v_fmac_f64_e32 v[158:159], v[144:145], v[130:131]
	s_wait_dscnt 0x0
	v_fmac_f64_e32 v[158:159], v[146:147], v[124:125]
	s_delay_alu instid0(VALU_DEP_1)
	v_add_f64_e64 v[122:123], v[122:123], -v[158:159]
	scratch_store_b64 off, v[122:123], off offset:72
	s_wait_xcnt 0x0
	v_cmpx_lt_u32_e32 8, v0
	s_cbranch_execz .LBB58_347
; %bb.346:
	scratch_load_b64 v[122:123], off, off offset:64
	v_mov_b64_e32 v[124:125], 0
	scratch_store_b64 off, v[124:125], off offset:64
	s_wait_loadcnt 0x0
	ds_store_b64 v1, v[122:123]
.LBB58_347:
	s_wait_xcnt 0x0
	s_or_b32 exec_lo, exec_lo, s0
	s_wait_storecnt_dscnt 0x0
	s_barrier_signal -1
	s_barrier_wait -1
	s_clause 0x5
	scratch_load_b128 v[122:125], off, off offset:64
	scratch_load_b128 v[126:129], off, off offset:80
	;; [unrolled: 1-line block ×6, first 2 shown]
	ds_load_2addr_b64 v[146:149], v2 offset0:69 offset1:70
	ds_load_2addr_b64 v[150:153], v2 offset0:71 offset1:72
	scratch_load_b128 v[154:157], off, off offset:160
	s_mov_b32 s0, exec_lo
	s_wait_loadcnt_dscnt 0x601
	v_fma_f64 v[158:159], v[124:125], v[146:147], 0
	s_wait_loadcnt 0x5
	s_delay_alu instid0(VALU_DEP_1) | instskip(SKIP_4) | instid1(VALU_DEP_1)
	v_fmac_f64_e32 v[158:159], v[126:127], v[148:149]
	scratch_load_b128 v[124:127], off, off offset:176
	s_wait_dscnt 0x0
	v_fmac_f64_e32 v[158:159], v[128:129], v[150:151]
	s_wait_loadcnt 0x5
	v_fmac_f64_e32 v[158:159], v[130:131], v[152:153]
	ds_load_2addr_b64 v[128:131], v2 offset0:73 offset1:74
	ds_load_2addr_b64 v[146:149], v2 offset0:75 offset1:76
	scratch_load_b128 v[150:153], off, off offset:192
	s_wait_dscnt 0x1
	v_fmac_f64_e32 v[158:159], v[132:133], v[128:129]
	s_wait_loadcnt 0x5
	s_delay_alu instid0(VALU_DEP_1) | instskip(SKIP_4) | instid1(VALU_DEP_1)
	v_fmac_f64_e32 v[158:159], v[134:135], v[130:131]
	scratch_load_b128 v[128:131], off, off offset:208
	s_wait_dscnt 0x0
	v_fmac_f64_e32 v[158:159], v[136:137], v[146:147]
	s_wait_loadcnt 0x5
	v_fmac_f64_e32 v[158:159], v[138:139], v[148:149]
	ds_load_2addr_b64 v[132:135], v2 offset0:77 offset1:78
	ds_load_2addr_b64 v[136:139], v2 offset0:79 offset1:80
	scratch_load_b128 v[146:149], off, off offset:224
	s_wait_dscnt 0x1
	v_fmac_f64_e32 v[158:159], v[140:141], v[132:133]
	s_wait_loadcnt 0x5
	s_delay_alu instid0(VALU_DEP_1) | instskip(SKIP_4) | instid1(VALU_DEP_1)
	v_fmac_f64_e32 v[158:159], v[142:143], v[134:135]
	scratch_load_b128 v[132:135], off, off offset:240
	s_wait_dscnt 0x0
	v_fmac_f64_e32 v[158:159], v[144:145], v[136:137]
	s_wait_loadcnt 0x5
	v_fmac_f64_e32 v[158:159], v[154:155], v[138:139]
	ds_load_2addr_b64 v[136:139], v2 offset0:81 offset1:82
	ds_load_2addr_b64 v[140:143], v2 offset0:83 offset1:84
	s_wait_dscnt 0x1
	v_fmac_f64_e32 v[158:159], v[156:157], v[136:137]
	scratch_load_b128 v[154:157], off, off offset:256
	s_wait_loadcnt 0x5
	v_fmac_f64_e32 v[158:159], v[124:125], v[138:139]
	s_wait_dscnt 0x0
	s_delay_alu instid0(VALU_DEP_1)
	v_fmac_f64_e32 v[158:159], v[126:127], v[140:141]
	scratch_load_b128 v[124:127], off, off offset:272
	s_wait_loadcnt 0x5
	v_fmac_f64_e32 v[158:159], v[150:151], v[142:143]
	ds_load_2addr_b64 v[136:139], v2 offset0:85 offset1:86
	ds_load_2addr_b64 v[140:143], v2 offset0:87 offset1:88
	s_wait_dscnt 0x1
	v_fmac_f64_e32 v[158:159], v[152:153], v[136:137]
	scratch_load_b128 v[150:153], off, off offset:288
	s_wait_loadcnt 0x5
	v_fmac_f64_e32 v[158:159], v[128:129], v[138:139]
	s_wait_dscnt 0x0
	s_delay_alu instid0(VALU_DEP_1)
	v_fmac_f64_e32 v[158:159], v[130:131], v[140:141]
	scratch_load_b128 v[128:131], off, off offset:304
	s_wait_loadcnt 0x5
	v_fmac_f64_e32 v[158:159], v[146:147], v[142:143]
	ds_load_2addr_b64 v[136:139], v2 offset0:89 offset1:90
	ds_load_2addr_b64 v[140:143], v2 offset0:91 offset1:92
	scratch_load_b128 v[144:147], off, off offset:320
	s_wait_dscnt 0x1
	v_fmac_f64_e32 v[158:159], v[148:149], v[136:137]
	s_wait_loadcnt 0x5
	s_delay_alu instid0(VALU_DEP_1) | instskip(SKIP_1) | instid1(VALU_DEP_1)
	v_fmac_f64_e32 v[158:159], v[132:133], v[138:139]
	s_wait_dscnt 0x0
	v_fmac_f64_e32 v[158:159], v[134:135], v[140:141]
	scratch_load_b128 v[132:135], off, off offset:336
	s_wait_loadcnt 0x5
	v_fmac_f64_e32 v[158:159], v[154:155], v[142:143]
	ds_load_2addr_b64 v[136:139], v2 offset0:93 offset1:94
	ds_load_2addr_b64 v[140:143], v2 offset0:95 offset1:96
	s_wait_dscnt 0x1
	v_fmac_f64_e32 v[158:159], v[156:157], v[136:137]
	scratch_load_b128 v[154:157], off, off offset:352
	s_wait_loadcnt 0x5
	v_fmac_f64_e32 v[158:159], v[124:125], v[138:139]
	s_wait_dscnt 0x0
	s_delay_alu instid0(VALU_DEP_1)
	v_fmac_f64_e32 v[158:159], v[126:127], v[140:141]
	scratch_load_b128 v[124:127], off, off offset:368
	s_wait_loadcnt 0x5
	v_fmac_f64_e32 v[158:159], v[150:151], v[142:143]
	ds_load_2addr_b64 v[136:139], v2 offset0:97 offset1:98
	ds_load_2addr_b64 v[140:143], v2 offset0:99 offset1:100
	scratch_load_b128 v[148:151], off, off offset:384
	s_wait_dscnt 0x1
	v_fmac_f64_e32 v[158:159], v[152:153], v[136:137]
	s_wait_loadcnt 0x5
	s_delay_alu instid0(VALU_DEP_1) | instskip(SKIP_1) | instid1(VALU_DEP_1)
	v_fmac_f64_e32 v[158:159], v[128:129], v[138:139]
	s_wait_dscnt 0x0
	v_fmac_f64_e32 v[158:159], v[130:131], v[140:141]
	scratch_load_b128 v[128:131], off, off offset:400
	s_wait_loadcnt 0x5
	v_fmac_f64_e32 v[158:159], v[144:145], v[142:143]
	ds_load_2addr_b64 v[136:139], v2 offset0:101 offset1:102
	ds_load_2addr_b64 v[140:143], v2 offset0:103 offset1:104
	s_wait_dscnt 0x1
	v_fmac_f64_e32 v[158:159], v[146:147], v[136:137]
	s_wait_loadcnt 0x4
	s_delay_alu instid0(VALU_DEP_1)
	v_fmac_f64_e32 v[158:159], v[132:133], v[138:139]
	scratch_load_b128 v[136:139], off, off offset:416
	s_wait_dscnt 0x0
	v_fmac_f64_e32 v[158:159], v[134:135], v[140:141]
	scratch_load_b128 v[132:135], off, off offset:432
	s_wait_loadcnt 0x5
	v_fmac_f64_e32 v[158:159], v[154:155], v[142:143]
	ds_load_2addr_b64 v[140:143], v2 offset0:105 offset1:106
	ds_load_2addr_b64 v[144:147], v2 offset0:107 offset1:108
	s_wait_dscnt 0x1
	v_fmac_f64_e32 v[158:159], v[156:157], v[140:141]
	s_wait_loadcnt 0x4
	s_delay_alu instid0(VALU_DEP_1) | instskip(SKIP_4) | instid1(VALU_DEP_1)
	v_fmac_f64_e32 v[158:159], v[124:125], v[142:143]
	scratch_load_b128 v[140:143], off, off offset:448
	s_wait_dscnt 0x0
	v_fmac_f64_e32 v[158:159], v[126:127], v[144:145]
	s_wait_loadcnt 0x4
	v_fmac_f64_e32 v[158:159], v[148:149], v[146:147]
	scratch_load_b64 v[148:149], off, off offset:464
	ds_load_2addr_b64 v[124:127], v2 offset0:109 offset1:110
	ds_load_2addr_b64 v[144:147], v2 offset0:111 offset1:112
	s_wait_dscnt 0x1
	v_fmac_f64_e32 v[158:159], v[150:151], v[124:125]
	s_wait_loadcnt 0x4
	s_delay_alu instid0(VALU_DEP_1) | instskip(SKIP_1) | instid1(VALU_DEP_1)
	v_fmac_f64_e32 v[158:159], v[128:129], v[126:127]
	s_wait_dscnt 0x0
	v_fmac_f64_e32 v[158:159], v[130:131], v[144:145]
	ds_load_2addr_b64 v[124:127], v2 offset0:113 offset1:114
	ds_load_2addr_b64 v[128:131], v2 offset0:115 offset1:116
	s_wait_loadcnt 0x3
	v_fmac_f64_e32 v[158:159], v[136:137], v[146:147]
	s_wait_dscnt 0x1
	s_delay_alu instid0(VALU_DEP_1) | instskip(SKIP_1) | instid1(VALU_DEP_1)
	v_fmac_f64_e32 v[158:159], v[138:139], v[124:125]
	s_wait_loadcnt 0x2
	v_fmac_f64_e32 v[158:159], v[132:133], v[126:127]
	ds_load_2addr_b64 v[124:127], v2 offset0:117 offset1:118
	s_wait_dscnt 0x1
	v_fmac_f64_e32 v[158:159], v[134:135], v[128:129]
	s_wait_loadcnt 0x1
	s_delay_alu instid0(VALU_DEP_1) | instskip(SKIP_1) | instid1(VALU_DEP_1)
	v_fmac_f64_e32 v[158:159], v[140:141], v[130:131]
	s_wait_dscnt 0x0
	v_fmac_f64_e32 v[158:159], v[142:143], v[124:125]
	s_wait_loadcnt 0x0
	s_delay_alu instid0(VALU_DEP_1) | instskip(NEXT) | instid1(VALU_DEP_1)
	v_fmac_f64_e32 v[158:159], v[148:149], v[126:127]
	v_add_f64_e64 v[2:3], v[122:123], -v[158:159]
	scratch_store_b64 off, v[2:3], off offset:64
	s_wait_xcnt 0x0
	v_cmpx_lt_u32_e32 7, v0
	s_cbranch_execz .LBB58_349
; %bb.348:
	scratch_load_b64 v[2:3], off, off offset:56
	v_mov_b64_e32 v[122:123], 0
	scratch_store_b64 off, v[122:123], off offset:56
	s_wait_loadcnt 0x0
	ds_store_b64 v1, v[2:3]
.LBB58_349:
	s_wait_xcnt 0x0
	s_or_b32 exec_lo, exec_lo, s0
	s_wait_storecnt_dscnt 0x0
	s_barrier_signal -1
	s_barrier_wait -1
	s_clause 0x5
	scratch_load_b128 v[122:125], off, off offset:56
	scratch_load_b128 v[126:129], off, off offset:72
	;; [unrolled: 1-line block ×6, first 2 shown]
	v_mov_b32_e32 v2, 0
	ds_load_b128 v[146:149], v2 offset:544
	ds_load_b128 v[150:153], v2 offset:560
	scratch_load_b128 v[154:157], off, off offset:152
	s_mov_b32 s0, exec_lo
	s_wait_loadcnt_dscnt 0x601
	v_fma_f64 v[158:159], v[124:125], v[146:147], 0
	s_wait_loadcnt 0x5
	s_delay_alu instid0(VALU_DEP_1) | instskip(SKIP_4) | instid1(VALU_DEP_1)
	v_fmac_f64_e32 v[158:159], v[126:127], v[148:149]
	scratch_load_b128 v[124:127], off, off offset:168
	s_wait_dscnt 0x0
	v_fmac_f64_e32 v[158:159], v[128:129], v[150:151]
	s_wait_loadcnt 0x5
	v_fmac_f64_e32 v[158:159], v[130:131], v[152:153]
	ds_load_b128 v[128:131], v2 offset:576
	ds_load_b128 v[146:149], v2 offset:592
	scratch_load_b128 v[150:153], off, off offset:184
	s_wait_dscnt 0x1
	v_fmac_f64_e32 v[158:159], v[132:133], v[128:129]
	s_wait_loadcnt 0x5
	s_delay_alu instid0(VALU_DEP_1) | instskip(SKIP_4) | instid1(VALU_DEP_1)
	v_fmac_f64_e32 v[158:159], v[134:135], v[130:131]
	scratch_load_b128 v[128:131], off, off offset:200
	s_wait_dscnt 0x0
	v_fmac_f64_e32 v[158:159], v[136:137], v[146:147]
	s_wait_loadcnt 0x5
	v_fmac_f64_e32 v[158:159], v[138:139], v[148:149]
	ds_load_b128 v[132:135], v2 offset:608
	ds_load_b128 v[136:139], v2 offset:624
	scratch_load_b128 v[146:149], off, off offset:216
	s_wait_dscnt 0x1
	v_fmac_f64_e32 v[158:159], v[140:141], v[132:133]
	s_wait_loadcnt 0x5
	s_delay_alu instid0(VALU_DEP_1) | instskip(SKIP_4) | instid1(VALU_DEP_1)
	v_fmac_f64_e32 v[158:159], v[142:143], v[134:135]
	scratch_load_b128 v[132:135], off, off offset:232
	s_wait_dscnt 0x0
	v_fmac_f64_e32 v[158:159], v[144:145], v[136:137]
	s_wait_loadcnt 0x5
	v_fmac_f64_e32 v[158:159], v[154:155], v[138:139]
	ds_load_b128 v[136:139], v2 offset:640
	ds_load_b128 v[140:143], v2 offset:656
	s_wait_dscnt 0x1
	v_fmac_f64_e32 v[158:159], v[156:157], v[136:137]
	scratch_load_b128 v[154:157], off, off offset:248
	s_wait_loadcnt 0x5
	v_fmac_f64_e32 v[158:159], v[124:125], v[138:139]
	s_wait_dscnt 0x0
	s_delay_alu instid0(VALU_DEP_1)
	v_fmac_f64_e32 v[158:159], v[126:127], v[140:141]
	scratch_load_b128 v[124:127], off, off offset:264
	s_wait_loadcnt 0x5
	v_fmac_f64_e32 v[158:159], v[150:151], v[142:143]
	ds_load_b128 v[136:139], v2 offset:672
	ds_load_b128 v[140:143], v2 offset:688
	s_wait_dscnt 0x1
	v_fmac_f64_e32 v[158:159], v[152:153], v[136:137]
	scratch_load_b128 v[150:153], off, off offset:280
	s_wait_loadcnt 0x5
	v_fmac_f64_e32 v[158:159], v[128:129], v[138:139]
	s_wait_dscnt 0x0
	s_delay_alu instid0(VALU_DEP_1)
	v_fmac_f64_e32 v[158:159], v[130:131], v[140:141]
	scratch_load_b128 v[128:131], off, off offset:296
	s_wait_loadcnt 0x5
	v_fmac_f64_e32 v[158:159], v[146:147], v[142:143]
	ds_load_b128 v[136:139], v2 offset:704
	ds_load_b128 v[140:143], v2 offset:720
	scratch_load_b128 v[144:147], off, off offset:312
	s_wait_dscnt 0x1
	v_fmac_f64_e32 v[158:159], v[148:149], v[136:137]
	s_wait_loadcnt 0x5
	s_delay_alu instid0(VALU_DEP_1) | instskip(SKIP_1) | instid1(VALU_DEP_1)
	v_fmac_f64_e32 v[158:159], v[132:133], v[138:139]
	s_wait_dscnt 0x0
	v_fmac_f64_e32 v[158:159], v[134:135], v[140:141]
	scratch_load_b128 v[132:135], off, off offset:328
	s_wait_loadcnt 0x5
	v_fmac_f64_e32 v[158:159], v[154:155], v[142:143]
	ds_load_b128 v[136:139], v2 offset:736
	ds_load_b128 v[140:143], v2 offset:752
	s_wait_dscnt 0x1
	v_fmac_f64_e32 v[158:159], v[156:157], v[136:137]
	scratch_load_b128 v[154:157], off, off offset:344
	s_wait_loadcnt 0x5
	v_fmac_f64_e32 v[158:159], v[124:125], v[138:139]
	s_wait_dscnt 0x0
	s_delay_alu instid0(VALU_DEP_1)
	v_fmac_f64_e32 v[158:159], v[126:127], v[140:141]
	scratch_load_b128 v[124:127], off, off offset:360
	s_wait_loadcnt 0x5
	v_fmac_f64_e32 v[158:159], v[150:151], v[142:143]
	ds_load_b128 v[136:139], v2 offset:768
	ds_load_b128 v[140:143], v2 offset:784
	scratch_load_b128 v[148:151], off, off offset:376
	s_wait_dscnt 0x1
	v_fmac_f64_e32 v[158:159], v[152:153], v[136:137]
	s_wait_loadcnt 0x5
	s_delay_alu instid0(VALU_DEP_1) | instskip(SKIP_1) | instid1(VALU_DEP_1)
	v_fmac_f64_e32 v[158:159], v[128:129], v[138:139]
	s_wait_dscnt 0x0
	v_fmac_f64_e32 v[158:159], v[130:131], v[140:141]
	scratch_load_b128 v[128:131], off, off offset:392
	s_wait_loadcnt 0x5
	v_fmac_f64_e32 v[158:159], v[144:145], v[142:143]
	ds_load_b128 v[136:139], v2 offset:800
	ds_load_b128 v[140:143], v2 offset:816
	s_wait_dscnt 0x1
	v_fmac_f64_e32 v[158:159], v[146:147], v[136:137]
	s_wait_loadcnt 0x4
	s_delay_alu instid0(VALU_DEP_1)
	v_fmac_f64_e32 v[158:159], v[132:133], v[138:139]
	scratch_load_b128 v[136:139], off, off offset:408
	s_wait_dscnt 0x0
	v_fmac_f64_e32 v[158:159], v[134:135], v[140:141]
	scratch_load_b128 v[132:135], off, off offset:424
	s_wait_loadcnt 0x5
	v_fmac_f64_e32 v[158:159], v[154:155], v[142:143]
	ds_load_b128 v[140:143], v2 offset:832
	ds_load_b128 v[144:147], v2 offset:848
	s_wait_dscnt 0x1
	v_fmac_f64_e32 v[158:159], v[156:157], v[140:141]
	s_wait_loadcnt 0x4
	s_delay_alu instid0(VALU_DEP_1)
	v_fmac_f64_e32 v[158:159], v[124:125], v[142:143]
	scratch_load_b128 v[140:143], off, off offset:440
	s_wait_dscnt 0x0
	v_fmac_f64_e32 v[158:159], v[126:127], v[144:145]
	scratch_load_b128 v[124:127], off, off offset:456
	s_wait_loadcnt 0x5
	v_fmac_f64_e32 v[158:159], v[148:149], v[146:147]
	ds_load_b128 v[144:147], v2 offset:864
	ds_load_b128 v[152:155], v2 offset:880
	s_wait_dscnt 0x1
	v_fmac_f64_e32 v[158:159], v[150:151], v[144:145]
	s_wait_loadcnt 0x4
	s_delay_alu instid0(VALU_DEP_1) | instskip(SKIP_1) | instid1(VALU_DEP_1)
	v_fmac_f64_e32 v[158:159], v[128:129], v[146:147]
	s_wait_dscnt 0x0
	v_fmac_f64_e32 v[158:159], v[130:131], v[152:153]
	ds_load_b128 v[128:131], v2 offset:896
	ds_load_b128 v[144:147], v2 offset:912
	s_wait_loadcnt 0x3
	v_fmac_f64_e32 v[158:159], v[136:137], v[154:155]
	s_wait_dscnt 0x1
	s_delay_alu instid0(VALU_DEP_1) | instskip(SKIP_1) | instid1(VALU_DEP_1)
	v_fmac_f64_e32 v[158:159], v[138:139], v[128:129]
	s_wait_loadcnt 0x2
	v_fmac_f64_e32 v[158:159], v[132:133], v[130:131]
	ds_load_b128 v[128:131], v2 offset:928
	ds_load_b64 v[132:133], v2 offset:944
	s_wait_dscnt 0x2
	v_fmac_f64_e32 v[158:159], v[134:135], v[144:145]
	s_wait_loadcnt 0x1
	s_delay_alu instid0(VALU_DEP_1) | instskip(SKIP_1) | instid1(VALU_DEP_1)
	v_fmac_f64_e32 v[158:159], v[140:141], v[146:147]
	s_wait_dscnt 0x1
	v_fmac_f64_e32 v[158:159], v[142:143], v[128:129]
	s_wait_loadcnt 0x0
	s_delay_alu instid0(VALU_DEP_1) | instskip(SKIP_1) | instid1(VALU_DEP_1)
	v_fmac_f64_e32 v[158:159], v[124:125], v[130:131]
	s_wait_dscnt 0x0
	v_fmac_f64_e32 v[158:159], v[126:127], v[132:133]
	s_delay_alu instid0(VALU_DEP_1)
	v_add_f64_e64 v[122:123], v[122:123], -v[158:159]
	scratch_store_b64 off, v[122:123], off offset:56
	s_wait_xcnt 0x0
	v_cmpx_lt_u32_e32 6, v0
	s_cbranch_execz .LBB58_351
; %bb.350:
	scratch_load_b64 v[122:123], off, off offset:48
	v_mov_b64_e32 v[124:125], 0
	scratch_store_b64 off, v[124:125], off offset:48
	s_wait_loadcnt 0x0
	ds_store_b64 v1, v[122:123]
.LBB58_351:
	s_wait_xcnt 0x0
	s_or_b32 exec_lo, exec_lo, s0
	s_wait_storecnt_dscnt 0x0
	s_barrier_signal -1
	s_barrier_wait -1
	s_clause 0x5
	scratch_load_b128 v[122:125], off, off offset:48
	scratch_load_b128 v[126:129], off, off offset:64
	;; [unrolled: 1-line block ×6, first 2 shown]
	ds_load_2addr_b64 v[146:149], v2 offset0:67 offset1:68
	ds_load_2addr_b64 v[150:153], v2 offset0:69 offset1:70
	scratch_load_b128 v[154:157], off, off offset:144
	s_mov_b32 s0, exec_lo
	s_wait_loadcnt_dscnt 0x601
	v_fma_f64 v[158:159], v[124:125], v[146:147], 0
	s_wait_loadcnt 0x5
	s_delay_alu instid0(VALU_DEP_1) | instskip(SKIP_4) | instid1(VALU_DEP_1)
	v_fmac_f64_e32 v[158:159], v[126:127], v[148:149]
	scratch_load_b128 v[124:127], off, off offset:160
	s_wait_dscnt 0x0
	v_fmac_f64_e32 v[158:159], v[128:129], v[150:151]
	s_wait_loadcnt 0x5
	v_fmac_f64_e32 v[158:159], v[130:131], v[152:153]
	ds_load_2addr_b64 v[128:131], v2 offset0:71 offset1:72
	ds_load_2addr_b64 v[146:149], v2 offset0:73 offset1:74
	scratch_load_b128 v[150:153], off, off offset:176
	s_wait_dscnt 0x1
	v_fmac_f64_e32 v[158:159], v[132:133], v[128:129]
	s_wait_loadcnt 0x5
	s_delay_alu instid0(VALU_DEP_1) | instskip(SKIP_4) | instid1(VALU_DEP_1)
	v_fmac_f64_e32 v[158:159], v[134:135], v[130:131]
	scratch_load_b128 v[128:131], off, off offset:192
	s_wait_dscnt 0x0
	v_fmac_f64_e32 v[158:159], v[136:137], v[146:147]
	s_wait_loadcnt 0x5
	v_fmac_f64_e32 v[158:159], v[138:139], v[148:149]
	ds_load_2addr_b64 v[132:135], v2 offset0:75 offset1:76
	ds_load_2addr_b64 v[136:139], v2 offset0:77 offset1:78
	scratch_load_b128 v[146:149], off, off offset:208
	s_wait_dscnt 0x1
	v_fmac_f64_e32 v[158:159], v[140:141], v[132:133]
	s_wait_loadcnt 0x5
	s_delay_alu instid0(VALU_DEP_1) | instskip(SKIP_4) | instid1(VALU_DEP_1)
	v_fmac_f64_e32 v[158:159], v[142:143], v[134:135]
	scratch_load_b128 v[132:135], off, off offset:224
	s_wait_dscnt 0x0
	v_fmac_f64_e32 v[158:159], v[144:145], v[136:137]
	s_wait_loadcnt 0x5
	v_fmac_f64_e32 v[158:159], v[154:155], v[138:139]
	ds_load_2addr_b64 v[136:139], v2 offset0:79 offset1:80
	ds_load_2addr_b64 v[140:143], v2 offset0:81 offset1:82
	s_wait_dscnt 0x1
	v_fmac_f64_e32 v[158:159], v[156:157], v[136:137]
	scratch_load_b128 v[154:157], off, off offset:240
	s_wait_loadcnt 0x5
	v_fmac_f64_e32 v[158:159], v[124:125], v[138:139]
	s_wait_dscnt 0x0
	s_delay_alu instid0(VALU_DEP_1)
	v_fmac_f64_e32 v[158:159], v[126:127], v[140:141]
	scratch_load_b128 v[124:127], off, off offset:256
	s_wait_loadcnt 0x5
	v_fmac_f64_e32 v[158:159], v[150:151], v[142:143]
	ds_load_2addr_b64 v[136:139], v2 offset0:83 offset1:84
	ds_load_2addr_b64 v[140:143], v2 offset0:85 offset1:86
	s_wait_dscnt 0x1
	v_fmac_f64_e32 v[158:159], v[152:153], v[136:137]
	scratch_load_b128 v[150:153], off, off offset:272
	s_wait_loadcnt 0x5
	v_fmac_f64_e32 v[158:159], v[128:129], v[138:139]
	s_wait_dscnt 0x0
	s_delay_alu instid0(VALU_DEP_1)
	v_fmac_f64_e32 v[158:159], v[130:131], v[140:141]
	scratch_load_b128 v[128:131], off, off offset:288
	s_wait_loadcnt 0x5
	v_fmac_f64_e32 v[158:159], v[146:147], v[142:143]
	ds_load_2addr_b64 v[136:139], v2 offset0:87 offset1:88
	ds_load_2addr_b64 v[140:143], v2 offset0:89 offset1:90
	scratch_load_b128 v[144:147], off, off offset:304
	s_wait_dscnt 0x1
	v_fmac_f64_e32 v[158:159], v[148:149], v[136:137]
	s_wait_loadcnt 0x5
	s_delay_alu instid0(VALU_DEP_1) | instskip(SKIP_1) | instid1(VALU_DEP_1)
	v_fmac_f64_e32 v[158:159], v[132:133], v[138:139]
	s_wait_dscnt 0x0
	v_fmac_f64_e32 v[158:159], v[134:135], v[140:141]
	scratch_load_b128 v[132:135], off, off offset:320
	s_wait_loadcnt 0x5
	v_fmac_f64_e32 v[158:159], v[154:155], v[142:143]
	ds_load_2addr_b64 v[136:139], v2 offset0:91 offset1:92
	ds_load_2addr_b64 v[140:143], v2 offset0:93 offset1:94
	s_wait_dscnt 0x1
	v_fmac_f64_e32 v[158:159], v[156:157], v[136:137]
	scratch_load_b128 v[154:157], off, off offset:336
	s_wait_loadcnt 0x5
	v_fmac_f64_e32 v[158:159], v[124:125], v[138:139]
	s_wait_dscnt 0x0
	s_delay_alu instid0(VALU_DEP_1)
	v_fmac_f64_e32 v[158:159], v[126:127], v[140:141]
	scratch_load_b128 v[124:127], off, off offset:352
	s_wait_loadcnt 0x5
	v_fmac_f64_e32 v[158:159], v[150:151], v[142:143]
	ds_load_2addr_b64 v[136:139], v2 offset0:95 offset1:96
	ds_load_2addr_b64 v[140:143], v2 offset0:97 offset1:98
	scratch_load_b128 v[148:151], off, off offset:368
	s_wait_dscnt 0x1
	v_fmac_f64_e32 v[158:159], v[152:153], v[136:137]
	s_wait_loadcnt 0x5
	s_delay_alu instid0(VALU_DEP_1) | instskip(SKIP_1) | instid1(VALU_DEP_1)
	v_fmac_f64_e32 v[158:159], v[128:129], v[138:139]
	s_wait_dscnt 0x0
	v_fmac_f64_e32 v[158:159], v[130:131], v[140:141]
	scratch_load_b128 v[128:131], off, off offset:384
	s_wait_loadcnt 0x5
	v_fmac_f64_e32 v[158:159], v[144:145], v[142:143]
	ds_load_2addr_b64 v[136:139], v2 offset0:99 offset1:100
	ds_load_2addr_b64 v[140:143], v2 offset0:101 offset1:102
	s_wait_dscnt 0x1
	v_fmac_f64_e32 v[158:159], v[146:147], v[136:137]
	s_wait_loadcnt 0x4
	s_delay_alu instid0(VALU_DEP_1)
	v_fmac_f64_e32 v[158:159], v[132:133], v[138:139]
	scratch_load_b128 v[136:139], off, off offset:400
	s_wait_dscnt 0x0
	v_fmac_f64_e32 v[158:159], v[134:135], v[140:141]
	scratch_load_b128 v[132:135], off, off offset:416
	s_wait_loadcnt 0x5
	v_fmac_f64_e32 v[158:159], v[154:155], v[142:143]
	ds_load_2addr_b64 v[140:143], v2 offset0:103 offset1:104
	ds_load_2addr_b64 v[144:147], v2 offset0:105 offset1:106
	s_wait_dscnt 0x1
	v_fmac_f64_e32 v[158:159], v[156:157], v[140:141]
	s_wait_loadcnt 0x4
	s_delay_alu instid0(VALU_DEP_1)
	v_fmac_f64_e32 v[158:159], v[124:125], v[142:143]
	scratch_load_b128 v[140:143], off, off offset:432
	s_wait_dscnt 0x0
	v_fmac_f64_e32 v[158:159], v[126:127], v[144:145]
	scratch_load_b128 v[124:127], off, off offset:448
	s_wait_loadcnt 0x5
	v_fmac_f64_e32 v[158:159], v[148:149], v[146:147]
	ds_load_2addr_b64 v[144:147], v2 offset0:107 offset1:108
	ds_load_2addr_b64 v[152:155], v2 offset0:109 offset1:110
	scratch_load_b64 v[148:149], off, off offset:464
	s_wait_dscnt 0x1
	v_fmac_f64_e32 v[158:159], v[150:151], v[144:145]
	s_wait_loadcnt 0x5
	s_delay_alu instid0(VALU_DEP_1) | instskip(SKIP_1) | instid1(VALU_DEP_1)
	v_fmac_f64_e32 v[158:159], v[128:129], v[146:147]
	s_wait_dscnt 0x0
	v_fmac_f64_e32 v[158:159], v[130:131], v[152:153]
	ds_load_2addr_b64 v[128:131], v2 offset0:111 offset1:112
	ds_load_2addr_b64 v[144:147], v2 offset0:113 offset1:114
	s_wait_loadcnt 0x4
	v_fmac_f64_e32 v[158:159], v[136:137], v[154:155]
	s_wait_dscnt 0x1
	s_delay_alu instid0(VALU_DEP_1) | instskip(SKIP_1) | instid1(VALU_DEP_1)
	v_fmac_f64_e32 v[158:159], v[138:139], v[128:129]
	s_wait_loadcnt 0x3
	v_fmac_f64_e32 v[158:159], v[132:133], v[130:131]
	s_wait_dscnt 0x0
	s_delay_alu instid0(VALU_DEP_1)
	v_fmac_f64_e32 v[158:159], v[134:135], v[144:145]
	ds_load_2addr_b64 v[128:131], v2 offset0:115 offset1:116
	ds_load_2addr_b64 v[132:135], v2 offset0:117 offset1:118
	s_wait_loadcnt 0x2
	v_fmac_f64_e32 v[158:159], v[140:141], v[146:147]
	s_wait_dscnt 0x1
	s_delay_alu instid0(VALU_DEP_1) | instskip(SKIP_1) | instid1(VALU_DEP_1)
	v_fmac_f64_e32 v[158:159], v[142:143], v[128:129]
	s_wait_loadcnt 0x1
	v_fmac_f64_e32 v[158:159], v[124:125], v[130:131]
	s_wait_dscnt 0x0
	s_delay_alu instid0(VALU_DEP_1) | instskip(SKIP_1) | instid1(VALU_DEP_1)
	v_fmac_f64_e32 v[158:159], v[126:127], v[132:133]
	s_wait_loadcnt 0x0
	v_fmac_f64_e32 v[158:159], v[148:149], v[134:135]
	s_delay_alu instid0(VALU_DEP_1)
	v_add_f64_e64 v[2:3], v[122:123], -v[158:159]
	scratch_store_b64 off, v[2:3], off offset:48
	s_wait_xcnt 0x0
	v_cmpx_lt_u32_e32 5, v0
	s_cbranch_execz .LBB58_353
; %bb.352:
	scratch_load_b64 v[2:3], off, off offset:40
	v_mov_b64_e32 v[122:123], 0
	scratch_store_b64 off, v[122:123], off offset:40
	s_wait_loadcnt 0x0
	ds_store_b64 v1, v[2:3]
.LBB58_353:
	s_wait_xcnt 0x0
	s_or_b32 exec_lo, exec_lo, s0
	s_wait_storecnt_dscnt 0x0
	s_barrier_signal -1
	s_barrier_wait -1
	s_clause 0x5
	scratch_load_b128 v[122:125], off, off offset:40
	scratch_load_b128 v[126:129], off, off offset:56
	;; [unrolled: 1-line block ×6, first 2 shown]
	v_mov_b32_e32 v2, 0
	ds_load_b128 v[146:149], v2 offset:528
	ds_load_b128 v[150:153], v2 offset:544
	scratch_load_b128 v[154:157], off, off offset:136
	s_mov_b32 s0, exec_lo
	s_wait_loadcnt_dscnt 0x601
	v_fma_f64 v[158:159], v[124:125], v[146:147], 0
	s_wait_loadcnt 0x5
	s_delay_alu instid0(VALU_DEP_1) | instskip(SKIP_4) | instid1(VALU_DEP_1)
	v_fmac_f64_e32 v[158:159], v[126:127], v[148:149]
	scratch_load_b128 v[124:127], off, off offset:152
	s_wait_dscnt 0x0
	v_fmac_f64_e32 v[158:159], v[128:129], v[150:151]
	s_wait_loadcnt 0x5
	v_fmac_f64_e32 v[158:159], v[130:131], v[152:153]
	ds_load_b128 v[128:131], v2 offset:560
	ds_load_b128 v[146:149], v2 offset:576
	scratch_load_b128 v[150:153], off, off offset:168
	s_wait_dscnt 0x1
	v_fmac_f64_e32 v[158:159], v[132:133], v[128:129]
	s_wait_loadcnt 0x5
	s_delay_alu instid0(VALU_DEP_1) | instskip(SKIP_4) | instid1(VALU_DEP_1)
	v_fmac_f64_e32 v[158:159], v[134:135], v[130:131]
	scratch_load_b128 v[128:131], off, off offset:184
	s_wait_dscnt 0x0
	v_fmac_f64_e32 v[158:159], v[136:137], v[146:147]
	s_wait_loadcnt 0x5
	v_fmac_f64_e32 v[158:159], v[138:139], v[148:149]
	ds_load_b128 v[132:135], v2 offset:592
	ds_load_b128 v[136:139], v2 offset:608
	scratch_load_b128 v[146:149], off, off offset:200
	s_wait_dscnt 0x1
	v_fmac_f64_e32 v[158:159], v[140:141], v[132:133]
	s_wait_loadcnt 0x5
	s_delay_alu instid0(VALU_DEP_1) | instskip(SKIP_4) | instid1(VALU_DEP_1)
	v_fmac_f64_e32 v[158:159], v[142:143], v[134:135]
	scratch_load_b128 v[132:135], off, off offset:216
	s_wait_dscnt 0x0
	v_fmac_f64_e32 v[158:159], v[144:145], v[136:137]
	s_wait_loadcnt 0x5
	v_fmac_f64_e32 v[158:159], v[154:155], v[138:139]
	ds_load_b128 v[136:139], v2 offset:624
	ds_load_b128 v[140:143], v2 offset:640
	s_wait_dscnt 0x1
	v_fmac_f64_e32 v[158:159], v[156:157], v[136:137]
	scratch_load_b128 v[154:157], off, off offset:232
	s_wait_loadcnt 0x5
	v_fmac_f64_e32 v[158:159], v[124:125], v[138:139]
	s_wait_dscnt 0x0
	s_delay_alu instid0(VALU_DEP_1)
	v_fmac_f64_e32 v[158:159], v[126:127], v[140:141]
	scratch_load_b128 v[124:127], off, off offset:248
	s_wait_loadcnt 0x5
	v_fmac_f64_e32 v[158:159], v[150:151], v[142:143]
	ds_load_b128 v[136:139], v2 offset:656
	ds_load_b128 v[140:143], v2 offset:672
	s_wait_dscnt 0x1
	v_fmac_f64_e32 v[158:159], v[152:153], v[136:137]
	scratch_load_b128 v[150:153], off, off offset:264
	s_wait_loadcnt 0x5
	v_fmac_f64_e32 v[158:159], v[128:129], v[138:139]
	s_wait_dscnt 0x0
	s_delay_alu instid0(VALU_DEP_1)
	v_fmac_f64_e32 v[158:159], v[130:131], v[140:141]
	scratch_load_b128 v[128:131], off, off offset:280
	s_wait_loadcnt 0x5
	v_fmac_f64_e32 v[158:159], v[146:147], v[142:143]
	ds_load_b128 v[136:139], v2 offset:688
	ds_load_b128 v[140:143], v2 offset:704
	scratch_load_b128 v[144:147], off, off offset:296
	s_wait_dscnt 0x1
	v_fmac_f64_e32 v[158:159], v[148:149], v[136:137]
	s_wait_loadcnt 0x5
	s_delay_alu instid0(VALU_DEP_1) | instskip(SKIP_1) | instid1(VALU_DEP_1)
	v_fmac_f64_e32 v[158:159], v[132:133], v[138:139]
	s_wait_dscnt 0x0
	v_fmac_f64_e32 v[158:159], v[134:135], v[140:141]
	scratch_load_b128 v[132:135], off, off offset:312
	s_wait_loadcnt 0x5
	v_fmac_f64_e32 v[158:159], v[154:155], v[142:143]
	ds_load_b128 v[136:139], v2 offset:720
	ds_load_b128 v[140:143], v2 offset:736
	s_wait_dscnt 0x1
	v_fmac_f64_e32 v[158:159], v[156:157], v[136:137]
	scratch_load_b128 v[154:157], off, off offset:328
	s_wait_loadcnt 0x5
	v_fmac_f64_e32 v[158:159], v[124:125], v[138:139]
	s_wait_dscnt 0x0
	s_delay_alu instid0(VALU_DEP_1)
	v_fmac_f64_e32 v[158:159], v[126:127], v[140:141]
	scratch_load_b128 v[124:127], off, off offset:344
	s_wait_loadcnt 0x5
	v_fmac_f64_e32 v[158:159], v[150:151], v[142:143]
	ds_load_b128 v[136:139], v2 offset:752
	ds_load_b128 v[140:143], v2 offset:768
	scratch_load_b128 v[148:151], off, off offset:360
	s_wait_dscnt 0x1
	v_fmac_f64_e32 v[158:159], v[152:153], v[136:137]
	s_wait_loadcnt 0x5
	s_delay_alu instid0(VALU_DEP_1) | instskip(SKIP_1) | instid1(VALU_DEP_1)
	v_fmac_f64_e32 v[158:159], v[128:129], v[138:139]
	s_wait_dscnt 0x0
	v_fmac_f64_e32 v[158:159], v[130:131], v[140:141]
	scratch_load_b128 v[128:131], off, off offset:376
	s_wait_loadcnt 0x5
	v_fmac_f64_e32 v[158:159], v[144:145], v[142:143]
	ds_load_b128 v[136:139], v2 offset:784
	ds_load_b128 v[140:143], v2 offset:800
	s_wait_dscnt 0x1
	v_fmac_f64_e32 v[158:159], v[146:147], v[136:137]
	s_wait_loadcnt 0x4
	s_delay_alu instid0(VALU_DEP_1)
	v_fmac_f64_e32 v[158:159], v[132:133], v[138:139]
	scratch_load_b128 v[136:139], off, off offset:392
	s_wait_dscnt 0x0
	v_fmac_f64_e32 v[158:159], v[134:135], v[140:141]
	scratch_load_b128 v[132:135], off, off offset:408
	s_wait_loadcnt 0x5
	v_fmac_f64_e32 v[158:159], v[154:155], v[142:143]
	ds_load_b128 v[140:143], v2 offset:816
	ds_load_b128 v[144:147], v2 offset:832
	s_wait_dscnt 0x1
	v_fmac_f64_e32 v[158:159], v[156:157], v[140:141]
	s_wait_loadcnt 0x4
	s_delay_alu instid0(VALU_DEP_1)
	v_fmac_f64_e32 v[158:159], v[124:125], v[142:143]
	scratch_load_b128 v[140:143], off, off offset:424
	;; [unrolled: 13-line block ×3, first 2 shown]
	s_wait_dscnt 0x0
	v_fmac_f64_e32 v[158:159], v[130:131], v[152:153]
	ds_load_b128 v[128:131], v2 offset:880
	ds_load_b128 v[148:151], v2 offset:896
	s_wait_loadcnt 0x4
	v_fmac_f64_e32 v[158:159], v[136:137], v[154:155]
	s_wait_dscnt 0x1
	s_delay_alu instid0(VALU_DEP_1) | instskip(SKIP_1) | instid1(VALU_DEP_1)
	v_fmac_f64_e32 v[158:159], v[138:139], v[128:129]
	s_wait_loadcnt 0x3
	v_fmac_f64_e32 v[158:159], v[132:133], v[130:131]
	s_wait_dscnt 0x0
	s_delay_alu instid0(VALU_DEP_1)
	v_fmac_f64_e32 v[158:159], v[134:135], v[148:149]
	ds_load_b128 v[128:131], v2 offset:912
	ds_load_b128 v[132:135], v2 offset:928
	s_wait_loadcnt 0x2
	v_fmac_f64_e32 v[158:159], v[140:141], v[150:151]
	s_wait_dscnt 0x1
	s_delay_alu instid0(VALU_DEP_1) | instskip(SKIP_1) | instid1(VALU_DEP_1)
	v_fmac_f64_e32 v[158:159], v[142:143], v[128:129]
	s_wait_loadcnt 0x1
	v_fmac_f64_e32 v[158:159], v[124:125], v[130:131]
	ds_load_b64 v[124:125], v2 offset:944
	s_wait_dscnt 0x1
	v_fmac_f64_e32 v[158:159], v[126:127], v[132:133]
	s_wait_loadcnt 0x0
	s_delay_alu instid0(VALU_DEP_1) | instskip(SKIP_1) | instid1(VALU_DEP_1)
	v_fmac_f64_e32 v[158:159], v[144:145], v[134:135]
	s_wait_dscnt 0x0
	v_fmac_f64_e32 v[158:159], v[146:147], v[124:125]
	s_delay_alu instid0(VALU_DEP_1)
	v_add_f64_e64 v[122:123], v[122:123], -v[158:159]
	scratch_store_b64 off, v[122:123], off offset:40
	s_wait_xcnt 0x0
	v_cmpx_lt_u32_e32 4, v0
	s_cbranch_execz .LBB58_355
; %bb.354:
	scratch_load_b64 v[122:123], off, off offset:32
	v_mov_b64_e32 v[124:125], 0
	scratch_store_b64 off, v[124:125], off offset:32
	s_wait_loadcnt 0x0
	ds_store_b64 v1, v[122:123]
.LBB58_355:
	s_wait_xcnt 0x0
	s_or_b32 exec_lo, exec_lo, s0
	s_wait_storecnt_dscnt 0x0
	s_barrier_signal -1
	s_barrier_wait -1
	s_clause 0x5
	scratch_load_b128 v[122:125], off, off offset:32
	scratch_load_b128 v[126:129], off, off offset:48
	;; [unrolled: 1-line block ×6, first 2 shown]
	ds_load_2addr_b64 v[146:149], v2 offset0:65 offset1:66
	ds_load_2addr_b64 v[150:153], v2 offset0:67 offset1:68
	scratch_load_b128 v[154:157], off, off offset:128
	s_mov_b32 s0, exec_lo
	s_wait_loadcnt_dscnt 0x601
	v_fma_f64 v[158:159], v[124:125], v[146:147], 0
	s_wait_loadcnt 0x5
	s_delay_alu instid0(VALU_DEP_1) | instskip(SKIP_4) | instid1(VALU_DEP_1)
	v_fmac_f64_e32 v[158:159], v[126:127], v[148:149]
	scratch_load_b128 v[124:127], off, off offset:144
	s_wait_dscnt 0x0
	v_fmac_f64_e32 v[158:159], v[128:129], v[150:151]
	s_wait_loadcnt 0x5
	v_fmac_f64_e32 v[158:159], v[130:131], v[152:153]
	ds_load_2addr_b64 v[128:131], v2 offset0:69 offset1:70
	ds_load_2addr_b64 v[146:149], v2 offset0:71 offset1:72
	scratch_load_b128 v[150:153], off, off offset:160
	s_wait_dscnt 0x1
	v_fmac_f64_e32 v[158:159], v[132:133], v[128:129]
	s_wait_loadcnt 0x5
	s_delay_alu instid0(VALU_DEP_1) | instskip(SKIP_4) | instid1(VALU_DEP_1)
	v_fmac_f64_e32 v[158:159], v[134:135], v[130:131]
	scratch_load_b128 v[128:131], off, off offset:176
	s_wait_dscnt 0x0
	v_fmac_f64_e32 v[158:159], v[136:137], v[146:147]
	s_wait_loadcnt 0x5
	v_fmac_f64_e32 v[158:159], v[138:139], v[148:149]
	ds_load_2addr_b64 v[132:135], v2 offset0:73 offset1:74
	ds_load_2addr_b64 v[136:139], v2 offset0:75 offset1:76
	scratch_load_b128 v[146:149], off, off offset:192
	s_wait_dscnt 0x1
	v_fmac_f64_e32 v[158:159], v[140:141], v[132:133]
	s_wait_loadcnt 0x5
	s_delay_alu instid0(VALU_DEP_1) | instskip(SKIP_4) | instid1(VALU_DEP_1)
	v_fmac_f64_e32 v[158:159], v[142:143], v[134:135]
	scratch_load_b128 v[132:135], off, off offset:208
	s_wait_dscnt 0x0
	v_fmac_f64_e32 v[158:159], v[144:145], v[136:137]
	s_wait_loadcnt 0x5
	v_fmac_f64_e32 v[158:159], v[154:155], v[138:139]
	ds_load_2addr_b64 v[136:139], v2 offset0:77 offset1:78
	ds_load_2addr_b64 v[140:143], v2 offset0:79 offset1:80
	s_wait_dscnt 0x1
	v_fmac_f64_e32 v[158:159], v[156:157], v[136:137]
	scratch_load_b128 v[154:157], off, off offset:224
	s_wait_loadcnt 0x5
	v_fmac_f64_e32 v[158:159], v[124:125], v[138:139]
	s_wait_dscnt 0x0
	s_delay_alu instid0(VALU_DEP_1)
	v_fmac_f64_e32 v[158:159], v[126:127], v[140:141]
	scratch_load_b128 v[124:127], off, off offset:240
	s_wait_loadcnt 0x5
	v_fmac_f64_e32 v[158:159], v[150:151], v[142:143]
	ds_load_2addr_b64 v[136:139], v2 offset0:81 offset1:82
	ds_load_2addr_b64 v[140:143], v2 offset0:83 offset1:84
	s_wait_dscnt 0x1
	v_fmac_f64_e32 v[158:159], v[152:153], v[136:137]
	scratch_load_b128 v[150:153], off, off offset:256
	s_wait_loadcnt 0x5
	v_fmac_f64_e32 v[158:159], v[128:129], v[138:139]
	s_wait_dscnt 0x0
	s_delay_alu instid0(VALU_DEP_1)
	v_fmac_f64_e32 v[158:159], v[130:131], v[140:141]
	scratch_load_b128 v[128:131], off, off offset:272
	s_wait_loadcnt 0x5
	v_fmac_f64_e32 v[158:159], v[146:147], v[142:143]
	ds_load_2addr_b64 v[136:139], v2 offset0:85 offset1:86
	ds_load_2addr_b64 v[140:143], v2 offset0:87 offset1:88
	scratch_load_b128 v[144:147], off, off offset:288
	s_wait_dscnt 0x1
	v_fmac_f64_e32 v[158:159], v[148:149], v[136:137]
	s_wait_loadcnt 0x5
	s_delay_alu instid0(VALU_DEP_1) | instskip(SKIP_1) | instid1(VALU_DEP_1)
	v_fmac_f64_e32 v[158:159], v[132:133], v[138:139]
	s_wait_dscnt 0x0
	v_fmac_f64_e32 v[158:159], v[134:135], v[140:141]
	scratch_load_b128 v[132:135], off, off offset:304
	s_wait_loadcnt 0x5
	v_fmac_f64_e32 v[158:159], v[154:155], v[142:143]
	ds_load_2addr_b64 v[136:139], v2 offset0:89 offset1:90
	ds_load_2addr_b64 v[140:143], v2 offset0:91 offset1:92
	s_wait_dscnt 0x1
	v_fmac_f64_e32 v[158:159], v[156:157], v[136:137]
	scratch_load_b128 v[154:157], off, off offset:320
	s_wait_loadcnt 0x5
	v_fmac_f64_e32 v[158:159], v[124:125], v[138:139]
	s_wait_dscnt 0x0
	s_delay_alu instid0(VALU_DEP_1)
	v_fmac_f64_e32 v[158:159], v[126:127], v[140:141]
	scratch_load_b128 v[124:127], off, off offset:336
	s_wait_loadcnt 0x5
	v_fmac_f64_e32 v[158:159], v[150:151], v[142:143]
	ds_load_2addr_b64 v[136:139], v2 offset0:93 offset1:94
	ds_load_2addr_b64 v[140:143], v2 offset0:95 offset1:96
	scratch_load_b128 v[148:151], off, off offset:352
	s_wait_dscnt 0x1
	v_fmac_f64_e32 v[158:159], v[152:153], v[136:137]
	s_wait_loadcnt 0x5
	s_delay_alu instid0(VALU_DEP_1) | instskip(SKIP_1) | instid1(VALU_DEP_1)
	v_fmac_f64_e32 v[158:159], v[128:129], v[138:139]
	s_wait_dscnt 0x0
	v_fmac_f64_e32 v[158:159], v[130:131], v[140:141]
	scratch_load_b128 v[128:131], off, off offset:368
	s_wait_loadcnt 0x5
	v_fmac_f64_e32 v[158:159], v[144:145], v[142:143]
	ds_load_2addr_b64 v[136:139], v2 offset0:97 offset1:98
	ds_load_2addr_b64 v[140:143], v2 offset0:99 offset1:100
	s_wait_dscnt 0x1
	v_fmac_f64_e32 v[158:159], v[146:147], v[136:137]
	scratch_load_b128 v[144:147], off, off offset:384
	s_wait_loadcnt 0x5
	v_fmac_f64_e32 v[158:159], v[132:133], v[138:139]
	s_wait_dscnt 0x0
	s_delay_alu instid0(VALU_DEP_1)
	v_fmac_f64_e32 v[158:159], v[134:135], v[140:141]
	scratch_load_b128 v[132:135], off, off offset:400
	s_wait_loadcnt 0x5
	v_fmac_f64_e32 v[158:159], v[154:155], v[142:143]
	ds_load_2addr_b64 v[136:139], v2 offset0:101 offset1:102
	ds_load_2addr_b64 v[140:143], v2 offset0:103 offset1:104
	s_wait_dscnt 0x1
	v_fmac_f64_e32 v[158:159], v[156:157], v[136:137]
	s_wait_loadcnt 0x4
	s_delay_alu instid0(VALU_DEP_1)
	v_fmac_f64_e32 v[158:159], v[124:125], v[138:139]
	scratch_load_b128 v[136:139], off, off offset:416
	s_wait_dscnt 0x0
	v_fmac_f64_e32 v[158:159], v[126:127], v[140:141]
	scratch_load_b128 v[124:127], off, off offset:432
	s_wait_loadcnt 0x5
	v_fmac_f64_e32 v[158:159], v[148:149], v[142:143]
	ds_load_2addr_b64 v[140:143], v2 offset0:105 offset1:106
	ds_load_2addr_b64 v[152:155], v2 offset0:107 offset1:108
	s_wait_dscnt 0x1
	v_fmac_f64_e32 v[158:159], v[150:151], v[140:141]
	s_wait_loadcnt 0x4
	s_delay_alu instid0(VALU_DEP_1) | instskip(SKIP_4) | instid1(VALU_DEP_1)
	v_fmac_f64_e32 v[158:159], v[128:129], v[142:143]
	scratch_load_b128 v[140:143], off, off offset:448
	s_wait_dscnt 0x0
	v_fmac_f64_e32 v[158:159], v[130:131], v[152:153]
	s_wait_loadcnt 0x4
	v_fmac_f64_e32 v[158:159], v[144:145], v[154:155]
	scratch_load_b64 v[144:145], off, off offset:464
	ds_load_2addr_b64 v[128:131], v2 offset0:109 offset1:110
	ds_load_2addr_b64 v[148:151], v2 offset0:111 offset1:112
	s_wait_dscnt 0x1
	v_fmac_f64_e32 v[158:159], v[146:147], v[128:129]
	s_wait_loadcnt 0x4
	s_delay_alu instid0(VALU_DEP_1) | instskip(SKIP_1) | instid1(VALU_DEP_1)
	v_fmac_f64_e32 v[158:159], v[132:133], v[130:131]
	s_wait_dscnt 0x0
	v_fmac_f64_e32 v[158:159], v[134:135], v[148:149]
	ds_load_2addr_b64 v[128:131], v2 offset0:113 offset1:114
	ds_load_2addr_b64 v[132:135], v2 offset0:115 offset1:116
	s_wait_loadcnt 0x3
	v_fmac_f64_e32 v[158:159], v[136:137], v[150:151]
	s_wait_dscnt 0x1
	s_delay_alu instid0(VALU_DEP_1) | instskip(SKIP_1) | instid1(VALU_DEP_1)
	v_fmac_f64_e32 v[158:159], v[138:139], v[128:129]
	s_wait_loadcnt 0x2
	v_fmac_f64_e32 v[158:159], v[124:125], v[130:131]
	s_wait_dscnt 0x0
	s_delay_alu instid0(VALU_DEP_1) | instskip(SKIP_4) | instid1(VALU_DEP_1)
	v_fmac_f64_e32 v[158:159], v[126:127], v[132:133]
	ds_load_2addr_b64 v[124:127], v2 offset0:117 offset1:118
	s_wait_loadcnt 0x1
	v_fmac_f64_e32 v[158:159], v[140:141], v[134:135]
	s_wait_dscnt 0x0
	v_fmac_f64_e32 v[158:159], v[142:143], v[124:125]
	s_wait_loadcnt 0x0
	s_delay_alu instid0(VALU_DEP_1) | instskip(NEXT) | instid1(VALU_DEP_1)
	v_fmac_f64_e32 v[158:159], v[144:145], v[126:127]
	v_add_f64_e64 v[2:3], v[122:123], -v[158:159]
	scratch_store_b64 off, v[2:3], off offset:32
	s_wait_xcnt 0x0
	v_cmpx_lt_u32_e32 3, v0
	s_cbranch_execz .LBB58_357
; %bb.356:
	scratch_load_b64 v[2:3], off, off offset:24
	v_mov_b64_e32 v[122:123], 0
	scratch_store_b64 off, v[122:123], off offset:24
	s_wait_loadcnt 0x0
	ds_store_b64 v1, v[2:3]
.LBB58_357:
	s_wait_xcnt 0x0
	s_or_b32 exec_lo, exec_lo, s0
	s_wait_storecnt_dscnt 0x0
	s_barrier_signal -1
	s_barrier_wait -1
	s_clause 0x5
	scratch_load_b128 v[122:125], off, off offset:24
	scratch_load_b128 v[126:129], off, off offset:40
	;; [unrolled: 1-line block ×6, first 2 shown]
	v_mov_b32_e32 v2, 0
	ds_load_b128 v[146:149], v2 offset:512
	ds_load_b128 v[150:153], v2 offset:528
	scratch_load_b128 v[154:157], off, off offset:120
	s_mov_b32 s0, exec_lo
	s_wait_loadcnt_dscnt 0x601
	v_fma_f64 v[158:159], v[124:125], v[146:147], 0
	s_wait_loadcnt 0x5
	s_delay_alu instid0(VALU_DEP_1) | instskip(SKIP_4) | instid1(VALU_DEP_1)
	v_fmac_f64_e32 v[158:159], v[126:127], v[148:149]
	scratch_load_b128 v[124:127], off, off offset:136
	s_wait_dscnt 0x0
	v_fmac_f64_e32 v[158:159], v[128:129], v[150:151]
	s_wait_loadcnt 0x5
	v_fmac_f64_e32 v[158:159], v[130:131], v[152:153]
	ds_load_b128 v[128:131], v2 offset:544
	ds_load_b128 v[146:149], v2 offset:560
	scratch_load_b128 v[150:153], off, off offset:152
	s_wait_dscnt 0x1
	v_fmac_f64_e32 v[158:159], v[132:133], v[128:129]
	s_wait_loadcnt 0x5
	s_delay_alu instid0(VALU_DEP_1) | instskip(SKIP_4) | instid1(VALU_DEP_1)
	v_fmac_f64_e32 v[158:159], v[134:135], v[130:131]
	scratch_load_b128 v[128:131], off, off offset:168
	s_wait_dscnt 0x0
	v_fmac_f64_e32 v[158:159], v[136:137], v[146:147]
	s_wait_loadcnt 0x5
	v_fmac_f64_e32 v[158:159], v[138:139], v[148:149]
	ds_load_b128 v[132:135], v2 offset:576
	ds_load_b128 v[136:139], v2 offset:592
	scratch_load_b128 v[146:149], off, off offset:184
	s_wait_dscnt 0x1
	v_fmac_f64_e32 v[158:159], v[140:141], v[132:133]
	s_wait_loadcnt 0x5
	s_delay_alu instid0(VALU_DEP_1) | instskip(SKIP_4) | instid1(VALU_DEP_1)
	v_fmac_f64_e32 v[158:159], v[142:143], v[134:135]
	scratch_load_b128 v[132:135], off, off offset:200
	s_wait_dscnt 0x0
	v_fmac_f64_e32 v[158:159], v[144:145], v[136:137]
	s_wait_loadcnt 0x5
	v_fmac_f64_e32 v[158:159], v[154:155], v[138:139]
	ds_load_b128 v[136:139], v2 offset:608
	ds_load_b128 v[140:143], v2 offset:624
	s_wait_dscnt 0x1
	v_fmac_f64_e32 v[158:159], v[156:157], v[136:137]
	scratch_load_b128 v[154:157], off, off offset:216
	s_wait_loadcnt 0x5
	v_fmac_f64_e32 v[158:159], v[124:125], v[138:139]
	s_wait_dscnt 0x0
	s_delay_alu instid0(VALU_DEP_1)
	v_fmac_f64_e32 v[158:159], v[126:127], v[140:141]
	scratch_load_b128 v[124:127], off, off offset:232
	s_wait_loadcnt 0x5
	v_fmac_f64_e32 v[158:159], v[150:151], v[142:143]
	ds_load_b128 v[136:139], v2 offset:640
	ds_load_b128 v[140:143], v2 offset:656
	s_wait_dscnt 0x1
	v_fmac_f64_e32 v[158:159], v[152:153], v[136:137]
	scratch_load_b128 v[150:153], off, off offset:248
	s_wait_loadcnt 0x5
	v_fmac_f64_e32 v[158:159], v[128:129], v[138:139]
	s_wait_dscnt 0x0
	s_delay_alu instid0(VALU_DEP_1)
	v_fmac_f64_e32 v[158:159], v[130:131], v[140:141]
	scratch_load_b128 v[128:131], off, off offset:264
	s_wait_loadcnt 0x5
	v_fmac_f64_e32 v[158:159], v[146:147], v[142:143]
	ds_load_b128 v[136:139], v2 offset:672
	ds_load_b128 v[140:143], v2 offset:688
	scratch_load_b128 v[144:147], off, off offset:280
	s_wait_dscnt 0x1
	v_fmac_f64_e32 v[158:159], v[148:149], v[136:137]
	s_wait_loadcnt 0x5
	s_delay_alu instid0(VALU_DEP_1) | instskip(SKIP_1) | instid1(VALU_DEP_1)
	v_fmac_f64_e32 v[158:159], v[132:133], v[138:139]
	s_wait_dscnt 0x0
	v_fmac_f64_e32 v[158:159], v[134:135], v[140:141]
	scratch_load_b128 v[132:135], off, off offset:296
	s_wait_loadcnt 0x5
	v_fmac_f64_e32 v[158:159], v[154:155], v[142:143]
	ds_load_b128 v[136:139], v2 offset:704
	ds_load_b128 v[140:143], v2 offset:720
	s_wait_dscnt 0x1
	v_fmac_f64_e32 v[158:159], v[156:157], v[136:137]
	scratch_load_b128 v[154:157], off, off offset:312
	s_wait_loadcnt 0x5
	v_fmac_f64_e32 v[158:159], v[124:125], v[138:139]
	s_wait_dscnt 0x0
	s_delay_alu instid0(VALU_DEP_1)
	v_fmac_f64_e32 v[158:159], v[126:127], v[140:141]
	scratch_load_b128 v[124:127], off, off offset:328
	s_wait_loadcnt 0x5
	v_fmac_f64_e32 v[158:159], v[150:151], v[142:143]
	ds_load_b128 v[136:139], v2 offset:736
	ds_load_b128 v[140:143], v2 offset:752
	scratch_load_b128 v[148:151], off, off offset:344
	s_wait_dscnt 0x1
	v_fmac_f64_e32 v[158:159], v[152:153], v[136:137]
	s_wait_loadcnt 0x5
	s_delay_alu instid0(VALU_DEP_1) | instskip(SKIP_1) | instid1(VALU_DEP_1)
	v_fmac_f64_e32 v[158:159], v[128:129], v[138:139]
	s_wait_dscnt 0x0
	v_fmac_f64_e32 v[158:159], v[130:131], v[140:141]
	scratch_load_b128 v[128:131], off, off offset:360
	s_wait_loadcnt 0x5
	v_fmac_f64_e32 v[158:159], v[144:145], v[142:143]
	ds_load_b128 v[136:139], v2 offset:768
	ds_load_b128 v[140:143], v2 offset:784
	s_wait_dscnt 0x1
	v_fmac_f64_e32 v[158:159], v[146:147], v[136:137]
	scratch_load_b128 v[144:147], off, off offset:376
	s_wait_loadcnt 0x5
	v_fmac_f64_e32 v[158:159], v[132:133], v[138:139]
	s_wait_dscnt 0x0
	s_delay_alu instid0(VALU_DEP_1)
	v_fmac_f64_e32 v[158:159], v[134:135], v[140:141]
	scratch_load_b128 v[132:135], off, off offset:392
	s_wait_loadcnt 0x5
	v_fmac_f64_e32 v[158:159], v[154:155], v[142:143]
	ds_load_b128 v[136:139], v2 offset:800
	ds_load_b128 v[140:143], v2 offset:816
	s_wait_dscnt 0x1
	v_fmac_f64_e32 v[158:159], v[156:157], v[136:137]
	s_wait_loadcnt 0x4
	s_delay_alu instid0(VALU_DEP_1)
	v_fmac_f64_e32 v[158:159], v[124:125], v[138:139]
	scratch_load_b128 v[136:139], off, off offset:408
	s_wait_dscnt 0x0
	v_fmac_f64_e32 v[158:159], v[126:127], v[140:141]
	scratch_load_b128 v[124:127], off, off offset:424
	s_wait_loadcnt 0x5
	v_fmac_f64_e32 v[158:159], v[148:149], v[142:143]
	ds_load_b128 v[140:143], v2 offset:832
	ds_load_b128 v[152:155], v2 offset:848
	s_wait_dscnt 0x1
	v_fmac_f64_e32 v[158:159], v[150:151], v[140:141]
	s_wait_loadcnt 0x4
	s_delay_alu instid0(VALU_DEP_1)
	v_fmac_f64_e32 v[158:159], v[128:129], v[142:143]
	scratch_load_b128 v[140:143], off, off offset:440
	s_wait_dscnt 0x0
	v_fmac_f64_e32 v[158:159], v[130:131], v[152:153]
	scratch_load_b128 v[128:131], off, off offset:456
	s_wait_loadcnt 0x5
	v_fmac_f64_e32 v[158:159], v[144:145], v[154:155]
	ds_load_b128 v[148:151], v2 offset:864
	ds_load_b128 v[152:155], v2 offset:880
	s_wait_dscnt 0x1
	v_fmac_f64_e32 v[158:159], v[146:147], v[148:149]
	s_wait_loadcnt 0x4
	s_delay_alu instid0(VALU_DEP_1) | instskip(SKIP_1) | instid1(VALU_DEP_1)
	v_fmac_f64_e32 v[158:159], v[132:133], v[150:151]
	s_wait_dscnt 0x0
	v_fmac_f64_e32 v[158:159], v[134:135], v[152:153]
	ds_load_b128 v[132:135], v2 offset:896
	ds_load_b128 v[144:147], v2 offset:912
	s_wait_loadcnt 0x3
	v_fmac_f64_e32 v[158:159], v[136:137], v[154:155]
	s_wait_dscnt 0x1
	s_delay_alu instid0(VALU_DEP_1) | instskip(SKIP_1) | instid1(VALU_DEP_1)
	v_fmac_f64_e32 v[158:159], v[138:139], v[132:133]
	s_wait_loadcnt 0x2
	v_fmac_f64_e32 v[158:159], v[124:125], v[134:135]
	s_wait_dscnt 0x0
	s_delay_alu instid0(VALU_DEP_1)
	v_fmac_f64_e32 v[158:159], v[126:127], v[144:145]
	ds_load_b128 v[124:127], v2 offset:928
	ds_load_b64 v[132:133], v2 offset:944
	s_wait_loadcnt 0x1
	v_fmac_f64_e32 v[158:159], v[140:141], v[146:147]
	s_wait_dscnt 0x1
	s_delay_alu instid0(VALU_DEP_1) | instskip(SKIP_1) | instid1(VALU_DEP_1)
	v_fmac_f64_e32 v[158:159], v[142:143], v[124:125]
	s_wait_loadcnt 0x0
	v_fmac_f64_e32 v[158:159], v[128:129], v[126:127]
	s_wait_dscnt 0x0
	s_delay_alu instid0(VALU_DEP_1) | instskip(NEXT) | instid1(VALU_DEP_1)
	v_fmac_f64_e32 v[158:159], v[130:131], v[132:133]
	v_add_f64_e64 v[122:123], v[122:123], -v[158:159]
	scratch_store_b64 off, v[122:123], off offset:24
	s_wait_xcnt 0x0
	v_cmpx_lt_u32_e32 2, v0
	s_cbranch_execz .LBB58_359
; %bb.358:
	scratch_load_b64 v[122:123], off, off offset:16
	v_mov_b64_e32 v[124:125], 0
	scratch_store_b64 off, v[124:125], off offset:16
	s_wait_loadcnt 0x0
	ds_store_b64 v1, v[122:123]
.LBB58_359:
	s_wait_xcnt 0x0
	s_or_b32 exec_lo, exec_lo, s0
	s_wait_storecnt_dscnt 0x0
	s_barrier_signal -1
	s_barrier_wait -1
	s_clause 0x5
	scratch_load_b128 v[122:125], off, off offset:16
	scratch_load_b128 v[126:129], off, off offset:32
	;; [unrolled: 1-line block ×6, first 2 shown]
	ds_load_2addr_b64 v[146:149], v2 offset0:63 offset1:64
	ds_load_2addr_b64 v[150:153], v2 offset0:65 offset1:66
	scratch_load_b128 v[154:157], off, off offset:112
	s_mov_b32 s0, exec_lo
	s_wait_loadcnt_dscnt 0x601
	v_fma_f64 v[158:159], v[124:125], v[146:147], 0
	s_wait_loadcnt 0x5
	s_delay_alu instid0(VALU_DEP_1) | instskip(SKIP_4) | instid1(VALU_DEP_1)
	v_fmac_f64_e32 v[158:159], v[126:127], v[148:149]
	scratch_load_b128 v[124:127], off, off offset:128
	s_wait_dscnt 0x0
	v_fmac_f64_e32 v[158:159], v[128:129], v[150:151]
	s_wait_loadcnt 0x5
	v_fmac_f64_e32 v[158:159], v[130:131], v[152:153]
	ds_load_2addr_b64 v[128:131], v2 offset0:67 offset1:68
	ds_load_2addr_b64 v[146:149], v2 offset0:69 offset1:70
	scratch_load_b128 v[150:153], off, off offset:144
	s_wait_dscnt 0x1
	v_fmac_f64_e32 v[158:159], v[132:133], v[128:129]
	s_wait_loadcnt 0x5
	s_delay_alu instid0(VALU_DEP_1) | instskip(SKIP_4) | instid1(VALU_DEP_1)
	v_fmac_f64_e32 v[158:159], v[134:135], v[130:131]
	scratch_load_b128 v[128:131], off, off offset:160
	s_wait_dscnt 0x0
	v_fmac_f64_e32 v[158:159], v[136:137], v[146:147]
	s_wait_loadcnt 0x5
	v_fmac_f64_e32 v[158:159], v[138:139], v[148:149]
	ds_load_2addr_b64 v[132:135], v2 offset0:71 offset1:72
	ds_load_2addr_b64 v[136:139], v2 offset0:73 offset1:74
	scratch_load_b128 v[146:149], off, off offset:176
	s_wait_dscnt 0x1
	v_fmac_f64_e32 v[158:159], v[140:141], v[132:133]
	s_wait_loadcnt 0x5
	s_delay_alu instid0(VALU_DEP_1) | instskip(SKIP_4) | instid1(VALU_DEP_1)
	v_fmac_f64_e32 v[158:159], v[142:143], v[134:135]
	scratch_load_b128 v[132:135], off, off offset:192
	s_wait_dscnt 0x0
	v_fmac_f64_e32 v[158:159], v[144:145], v[136:137]
	s_wait_loadcnt 0x5
	v_fmac_f64_e32 v[158:159], v[154:155], v[138:139]
	ds_load_2addr_b64 v[136:139], v2 offset0:75 offset1:76
	ds_load_2addr_b64 v[140:143], v2 offset0:77 offset1:78
	s_wait_dscnt 0x1
	v_fmac_f64_e32 v[158:159], v[156:157], v[136:137]
	scratch_load_b128 v[154:157], off, off offset:208
	s_wait_loadcnt 0x5
	v_fmac_f64_e32 v[158:159], v[124:125], v[138:139]
	s_wait_dscnt 0x0
	s_delay_alu instid0(VALU_DEP_1)
	v_fmac_f64_e32 v[158:159], v[126:127], v[140:141]
	scratch_load_b128 v[124:127], off, off offset:224
	s_wait_loadcnt 0x5
	v_fmac_f64_e32 v[158:159], v[150:151], v[142:143]
	ds_load_2addr_b64 v[136:139], v2 offset0:79 offset1:80
	ds_load_2addr_b64 v[140:143], v2 offset0:81 offset1:82
	s_wait_dscnt 0x1
	v_fmac_f64_e32 v[158:159], v[152:153], v[136:137]
	scratch_load_b128 v[150:153], off, off offset:240
	s_wait_loadcnt 0x5
	v_fmac_f64_e32 v[158:159], v[128:129], v[138:139]
	s_wait_dscnt 0x0
	s_delay_alu instid0(VALU_DEP_1)
	v_fmac_f64_e32 v[158:159], v[130:131], v[140:141]
	scratch_load_b128 v[128:131], off, off offset:256
	s_wait_loadcnt 0x5
	v_fmac_f64_e32 v[158:159], v[146:147], v[142:143]
	ds_load_2addr_b64 v[136:139], v2 offset0:83 offset1:84
	ds_load_2addr_b64 v[140:143], v2 offset0:85 offset1:86
	scratch_load_b128 v[144:147], off, off offset:272
	s_wait_dscnt 0x1
	v_fmac_f64_e32 v[158:159], v[148:149], v[136:137]
	s_wait_loadcnt 0x5
	s_delay_alu instid0(VALU_DEP_1) | instskip(SKIP_1) | instid1(VALU_DEP_1)
	v_fmac_f64_e32 v[158:159], v[132:133], v[138:139]
	s_wait_dscnt 0x0
	v_fmac_f64_e32 v[158:159], v[134:135], v[140:141]
	scratch_load_b128 v[132:135], off, off offset:288
	s_wait_loadcnt 0x5
	v_fmac_f64_e32 v[158:159], v[154:155], v[142:143]
	ds_load_2addr_b64 v[136:139], v2 offset0:87 offset1:88
	ds_load_2addr_b64 v[140:143], v2 offset0:89 offset1:90
	s_wait_dscnt 0x1
	v_fmac_f64_e32 v[158:159], v[156:157], v[136:137]
	scratch_load_b128 v[154:157], off, off offset:304
	s_wait_loadcnt 0x5
	v_fmac_f64_e32 v[158:159], v[124:125], v[138:139]
	s_wait_dscnt 0x0
	s_delay_alu instid0(VALU_DEP_1)
	v_fmac_f64_e32 v[158:159], v[126:127], v[140:141]
	scratch_load_b128 v[124:127], off, off offset:320
	s_wait_loadcnt 0x5
	v_fmac_f64_e32 v[158:159], v[150:151], v[142:143]
	ds_load_2addr_b64 v[136:139], v2 offset0:91 offset1:92
	ds_load_2addr_b64 v[140:143], v2 offset0:93 offset1:94
	scratch_load_b128 v[148:151], off, off offset:336
	s_wait_dscnt 0x1
	v_fmac_f64_e32 v[158:159], v[152:153], v[136:137]
	s_wait_loadcnt 0x5
	s_delay_alu instid0(VALU_DEP_1) | instskip(SKIP_1) | instid1(VALU_DEP_1)
	v_fmac_f64_e32 v[158:159], v[128:129], v[138:139]
	s_wait_dscnt 0x0
	v_fmac_f64_e32 v[158:159], v[130:131], v[140:141]
	scratch_load_b128 v[128:131], off, off offset:352
	s_wait_loadcnt 0x5
	v_fmac_f64_e32 v[158:159], v[144:145], v[142:143]
	ds_load_2addr_b64 v[136:139], v2 offset0:95 offset1:96
	ds_load_2addr_b64 v[140:143], v2 offset0:97 offset1:98
	s_wait_dscnt 0x1
	v_fmac_f64_e32 v[158:159], v[146:147], v[136:137]
	scratch_load_b128 v[144:147], off, off offset:368
	s_wait_loadcnt 0x5
	v_fmac_f64_e32 v[158:159], v[132:133], v[138:139]
	s_wait_dscnt 0x0
	s_delay_alu instid0(VALU_DEP_1)
	v_fmac_f64_e32 v[158:159], v[134:135], v[140:141]
	scratch_load_b128 v[132:135], off, off offset:384
	s_wait_loadcnt 0x5
	v_fmac_f64_e32 v[158:159], v[154:155], v[142:143]
	ds_load_2addr_b64 v[136:139], v2 offset0:99 offset1:100
	ds_load_2addr_b64 v[140:143], v2 offset0:101 offset1:102
	s_wait_dscnt 0x1
	v_fmac_f64_e32 v[158:159], v[156:157], v[136:137]
	s_wait_loadcnt 0x4
	s_delay_alu instid0(VALU_DEP_1)
	v_fmac_f64_e32 v[158:159], v[124:125], v[138:139]
	scratch_load_b128 v[136:139], off, off offset:400
	s_wait_dscnt 0x0
	v_fmac_f64_e32 v[158:159], v[126:127], v[140:141]
	scratch_load_b128 v[124:127], off, off offset:416
	s_wait_loadcnt 0x5
	v_fmac_f64_e32 v[158:159], v[148:149], v[142:143]
	ds_load_2addr_b64 v[140:143], v2 offset0:103 offset1:104
	ds_load_2addr_b64 v[152:155], v2 offset0:105 offset1:106
	s_wait_dscnt 0x1
	v_fmac_f64_e32 v[158:159], v[150:151], v[140:141]
	s_wait_loadcnt 0x4
	s_delay_alu instid0(VALU_DEP_1)
	v_fmac_f64_e32 v[158:159], v[128:129], v[142:143]
	scratch_load_b128 v[140:143], off, off offset:432
	s_wait_dscnt 0x0
	v_fmac_f64_e32 v[158:159], v[130:131], v[152:153]
	scratch_load_b128 v[128:131], off, off offset:448
	s_wait_loadcnt 0x5
	v_fmac_f64_e32 v[158:159], v[144:145], v[154:155]
	ds_load_2addr_b64 v[148:151], v2 offset0:107 offset1:108
	ds_load_2addr_b64 v[152:155], v2 offset0:109 offset1:110
	s_wait_dscnt 0x1
	v_fmac_f64_e32 v[158:159], v[146:147], v[148:149]
	scratch_load_b64 v[148:149], off, off offset:464
	s_wait_loadcnt 0x5
	v_fmac_f64_e32 v[158:159], v[132:133], v[150:151]
	s_wait_dscnt 0x0
	s_delay_alu instid0(VALU_DEP_1)
	v_fmac_f64_e32 v[158:159], v[134:135], v[152:153]
	ds_load_2addr_b64 v[132:135], v2 offset0:111 offset1:112
	ds_load_2addr_b64 v[144:147], v2 offset0:113 offset1:114
	s_wait_loadcnt 0x4
	v_fmac_f64_e32 v[158:159], v[136:137], v[154:155]
	s_wait_dscnt 0x1
	s_delay_alu instid0(VALU_DEP_1) | instskip(SKIP_1) | instid1(VALU_DEP_1)
	v_fmac_f64_e32 v[158:159], v[138:139], v[132:133]
	s_wait_loadcnt 0x3
	v_fmac_f64_e32 v[158:159], v[124:125], v[134:135]
	s_wait_dscnt 0x0
	s_delay_alu instid0(VALU_DEP_1)
	v_fmac_f64_e32 v[158:159], v[126:127], v[144:145]
	ds_load_2addr_b64 v[124:127], v2 offset0:115 offset1:116
	ds_load_2addr_b64 v[132:135], v2 offset0:117 offset1:118
	s_wait_loadcnt 0x2
	v_fmac_f64_e32 v[158:159], v[140:141], v[146:147]
	s_wait_dscnt 0x1
	s_delay_alu instid0(VALU_DEP_1) | instskip(SKIP_1) | instid1(VALU_DEP_1)
	v_fmac_f64_e32 v[158:159], v[142:143], v[124:125]
	s_wait_loadcnt 0x1
	v_fmac_f64_e32 v[158:159], v[128:129], v[126:127]
	s_wait_dscnt 0x0
	s_delay_alu instid0(VALU_DEP_1) | instskip(SKIP_1) | instid1(VALU_DEP_1)
	v_fmac_f64_e32 v[158:159], v[130:131], v[132:133]
	s_wait_loadcnt 0x0
	v_fmac_f64_e32 v[158:159], v[148:149], v[134:135]
	s_delay_alu instid0(VALU_DEP_1)
	v_add_f64_e64 v[2:3], v[122:123], -v[158:159]
	scratch_store_b64 off, v[2:3], off offset:16
	s_wait_xcnt 0x0
	v_cmpx_lt_u32_e32 1, v0
	s_cbranch_execz .LBB58_361
; %bb.360:
	scratch_load_b64 v[2:3], off, off offset:8
	v_mov_b64_e32 v[122:123], 0
	scratch_store_b64 off, v[122:123], off offset:8
	s_wait_loadcnt 0x0
	ds_store_b64 v1, v[2:3]
.LBB58_361:
	s_wait_xcnt 0x0
	s_or_b32 exec_lo, exec_lo, s0
	s_wait_storecnt_dscnt 0x0
	s_barrier_signal -1
	s_barrier_wait -1
	s_clause 0x5
	scratch_load_b128 v[124:127], off, off offset:8
	scratch_load_b128 v[128:131], off, off offset:24
	;; [unrolled: 1-line block ×6, first 2 shown]
	v_dual_mov_b32 v122, 0 :: v_dual_ashrrev_i32 v9, 31, v8
	ds_load_b128 v[148:151], v122 offset:496
	ds_load_b128 v[152:155], v122 offset:512
	scratch_load_b128 v[156:159], off, off offset:104
	v_dual_ashrrev_i32 v11, 31, v10 :: v_dual_ashrrev_i32 v13, 31, v12
	v_dual_ashrrev_i32 v15, 31, v14 :: v_dual_ashrrev_i32 v17, 31, v16
	;; [unrolled: 1-line block ×27, first 2 shown]
	v_ashrrev_i32_e32 v119, 31, v118
	s_mov_b32 s0, exec_lo
	v_ashrrev_i32_e32 v73, 31, v72
	s_wait_loadcnt_dscnt 0x601
	v_fma_f64 v[2:3], v[126:127], v[148:149], 0
	s_wait_loadcnt 0x5
	s_delay_alu instid0(VALU_DEP_1) | instskip(SKIP_4) | instid1(VALU_DEP_1)
	v_fmac_f64_e32 v[2:3], v[128:129], v[150:151]
	scratch_load_b128 v[126:129], off, off offset:120
	s_wait_dscnt 0x0
	v_fmac_f64_e32 v[2:3], v[130:131], v[152:153]
	s_wait_loadcnt 0x5
	v_fmac_f64_e32 v[2:3], v[132:133], v[154:155]
	ds_load_b128 v[130:133], v122 offset:528
	ds_load_b128 v[148:151], v122 offset:544
	scratch_load_b128 v[152:155], off, off offset:136
	s_wait_dscnt 0x1
	v_fmac_f64_e32 v[2:3], v[134:135], v[130:131]
	s_wait_loadcnt 0x5
	s_delay_alu instid0(VALU_DEP_1) | instskip(SKIP_4) | instid1(VALU_DEP_1)
	v_fmac_f64_e32 v[2:3], v[136:137], v[132:133]
	scratch_load_b128 v[130:133], off, off offset:152
	s_wait_dscnt 0x0
	v_fmac_f64_e32 v[2:3], v[138:139], v[148:149]
	s_wait_loadcnt 0x5
	v_fmac_f64_e32 v[2:3], v[140:141], v[150:151]
	ds_load_b128 v[134:137], v122 offset:560
	ds_load_b128 v[138:141], v122 offset:576
	scratch_load_b128 v[148:151], off, off offset:168
	s_wait_dscnt 0x1
	v_fmac_f64_e32 v[2:3], v[142:143], v[134:135]
	s_wait_loadcnt 0x5
	s_delay_alu instid0(VALU_DEP_1) | instskip(SKIP_4) | instid1(VALU_DEP_1)
	v_fmac_f64_e32 v[2:3], v[144:145], v[136:137]
	scratch_load_b128 v[134:137], off, off offset:184
	s_wait_dscnt 0x0
	v_fmac_f64_e32 v[2:3], v[146:147], v[138:139]
	s_wait_loadcnt 0x5
	v_fmac_f64_e32 v[2:3], v[156:157], v[140:141]
	ds_load_b128 v[138:141], v122 offset:592
	ds_load_b128 v[142:145], v122 offset:608
	s_wait_dscnt 0x1
	v_fmac_f64_e32 v[2:3], v[158:159], v[138:139]
	scratch_load_b128 v[156:159], off, off offset:200
	s_wait_loadcnt 0x5
	v_fmac_f64_e32 v[2:3], v[126:127], v[140:141]
	s_wait_dscnt 0x0
	s_delay_alu instid0(VALU_DEP_1)
	v_fmac_f64_e32 v[2:3], v[128:129], v[142:143]
	scratch_load_b128 v[126:129], off, off offset:216
	s_wait_loadcnt 0x5
	v_fmac_f64_e32 v[2:3], v[152:153], v[144:145]
	ds_load_b128 v[138:141], v122 offset:624
	ds_load_b128 v[142:145], v122 offset:640
	s_wait_dscnt 0x1
	v_fmac_f64_e32 v[2:3], v[154:155], v[138:139]
	scratch_load_b128 v[152:155], off, off offset:232
	s_wait_loadcnt 0x5
	v_fmac_f64_e32 v[2:3], v[130:131], v[140:141]
	s_wait_dscnt 0x0
	s_delay_alu instid0(VALU_DEP_1)
	v_fmac_f64_e32 v[2:3], v[132:133], v[142:143]
	scratch_load_b128 v[130:133], off, off offset:248
	s_wait_loadcnt 0x5
	v_fmac_f64_e32 v[2:3], v[148:149], v[144:145]
	ds_load_b128 v[138:141], v122 offset:656
	ds_load_b128 v[142:145], v122 offset:672
	scratch_load_b128 v[146:149], off, off offset:264
	s_wait_dscnt 0x1
	v_fmac_f64_e32 v[2:3], v[150:151], v[138:139]
	s_wait_loadcnt 0x5
	s_delay_alu instid0(VALU_DEP_1) | instskip(SKIP_1) | instid1(VALU_DEP_1)
	v_fmac_f64_e32 v[2:3], v[134:135], v[140:141]
	s_wait_dscnt 0x0
	v_fmac_f64_e32 v[2:3], v[136:137], v[142:143]
	scratch_load_b128 v[134:137], off, off offset:280
	s_wait_loadcnt 0x5
	v_fmac_f64_e32 v[2:3], v[156:157], v[144:145]
	ds_load_b128 v[138:141], v122 offset:688
	ds_load_b128 v[142:145], v122 offset:704
	s_wait_dscnt 0x1
	v_fmac_f64_e32 v[2:3], v[158:159], v[138:139]
	scratch_load_b128 v[156:159], off, off offset:296
	s_wait_loadcnt 0x5
	v_fmac_f64_e32 v[2:3], v[126:127], v[140:141]
	s_wait_dscnt 0x0
	s_delay_alu instid0(VALU_DEP_1)
	v_fmac_f64_e32 v[2:3], v[128:129], v[142:143]
	scratch_load_b128 v[126:129], off, off offset:312
	s_wait_loadcnt 0x5
	v_fmac_f64_e32 v[2:3], v[152:153], v[144:145]
	ds_load_b128 v[138:141], v122 offset:720
	ds_load_b128 v[142:145], v122 offset:736
	scratch_load_b128 v[150:153], off, off offset:328
	s_wait_dscnt 0x1
	v_fmac_f64_e32 v[2:3], v[154:155], v[138:139]
	s_wait_loadcnt 0x5
	s_delay_alu instid0(VALU_DEP_1) | instskip(SKIP_1) | instid1(VALU_DEP_1)
	v_fmac_f64_e32 v[2:3], v[130:131], v[140:141]
	s_wait_dscnt 0x0
	v_fmac_f64_e32 v[2:3], v[132:133], v[142:143]
	scratch_load_b128 v[130:133], off, off offset:344
	s_wait_loadcnt 0x5
	v_fmac_f64_e32 v[2:3], v[146:147], v[144:145]
	ds_load_b128 v[138:141], v122 offset:752
	ds_load_b128 v[142:145], v122 offset:768
	s_wait_dscnt 0x1
	v_fmac_f64_e32 v[2:3], v[148:149], v[138:139]
	scratch_load_b128 v[146:149], off, off offset:360
	s_wait_loadcnt 0x5
	v_fmac_f64_e32 v[2:3], v[134:135], v[140:141]
	s_wait_dscnt 0x0
	s_delay_alu instid0(VALU_DEP_1)
	v_fmac_f64_e32 v[2:3], v[136:137], v[142:143]
	scratch_load_b128 v[134:137], off, off offset:376
	s_wait_loadcnt 0x5
	v_fmac_f64_e32 v[2:3], v[156:157], v[144:145]
	ds_load_b128 v[138:141], v122 offset:784
	ds_load_b128 v[142:145], v122 offset:800
	s_wait_dscnt 0x1
	v_fmac_f64_e32 v[2:3], v[158:159], v[138:139]
	s_wait_loadcnt 0x4
	s_delay_alu instid0(VALU_DEP_1)
	v_fmac_f64_e32 v[2:3], v[126:127], v[140:141]
	scratch_load_b128 v[138:141], off, off offset:392
	s_wait_dscnt 0x0
	v_fmac_f64_e32 v[2:3], v[128:129], v[142:143]
	scratch_load_b128 v[126:129], off, off offset:408
	s_wait_loadcnt 0x5
	v_fmac_f64_e32 v[2:3], v[150:151], v[144:145]
	ds_load_b128 v[142:145], v122 offset:816
	ds_load_b128 v[154:157], v122 offset:832
	s_wait_dscnt 0x1
	v_fmac_f64_e32 v[2:3], v[152:153], v[142:143]
	s_wait_loadcnt 0x4
	s_delay_alu instid0(VALU_DEP_1)
	v_fmac_f64_e32 v[2:3], v[130:131], v[144:145]
	scratch_load_b128 v[142:145], off, off offset:424
	s_wait_dscnt 0x0
	v_fmac_f64_e32 v[2:3], v[132:133], v[154:155]
	scratch_load_b128 v[130:133], off, off offset:440
	s_wait_loadcnt 0x5
	v_fmac_f64_e32 v[2:3], v[146:147], v[156:157]
	ds_load_b128 v[150:153], v122 offset:848
	ds_load_b128 v[154:157], v122 offset:864
	s_wait_dscnt 0x1
	v_fmac_f64_e32 v[2:3], v[148:149], v[150:151]
	scratch_load_b128 v[146:149], off, off offset:456
	s_wait_loadcnt 0x5
	v_fmac_f64_e32 v[2:3], v[134:135], v[152:153]
	s_wait_dscnt 0x0
	s_delay_alu instid0(VALU_DEP_1)
	v_fmac_f64_e32 v[2:3], v[136:137], v[154:155]
	ds_load_b128 v[134:137], v122 offset:880
	ds_load_b128 v[150:153], v122 offset:896
	s_wait_loadcnt 0x4
	v_fmac_f64_e32 v[2:3], v[138:139], v[156:157]
	s_wait_dscnt 0x1
	s_delay_alu instid0(VALU_DEP_1) | instskip(SKIP_1) | instid1(VALU_DEP_1)
	v_fmac_f64_e32 v[2:3], v[140:141], v[134:135]
	s_wait_loadcnt 0x3
	v_fmac_f64_e32 v[2:3], v[126:127], v[136:137]
	s_wait_dscnt 0x0
	s_delay_alu instid0(VALU_DEP_1)
	v_fmac_f64_e32 v[2:3], v[128:129], v[150:151]
	ds_load_b128 v[126:129], v122 offset:912
	ds_load_b128 v[134:137], v122 offset:928
	s_wait_loadcnt 0x2
	v_fmac_f64_e32 v[2:3], v[142:143], v[152:153]
	s_wait_dscnt 0x1
	s_delay_alu instid0(VALU_DEP_1) | instskip(SKIP_4) | instid1(VALU_DEP_1)
	v_fmac_f64_e32 v[2:3], v[144:145], v[126:127]
	ds_load_b64 v[126:127], v122 offset:944
	s_wait_loadcnt 0x1
	v_fmac_f64_e32 v[2:3], v[130:131], v[128:129]
	s_wait_dscnt 0x1
	v_fmac_f64_e32 v[2:3], v[132:133], v[134:135]
	s_wait_loadcnt 0x0
	s_delay_alu instid0(VALU_DEP_1) | instskip(SKIP_1) | instid1(VALU_DEP_1)
	v_fmac_f64_e32 v[2:3], v[146:147], v[136:137]
	s_wait_dscnt 0x0
	v_fmac_f64_e32 v[2:3], v[148:149], v[126:127]
	s_delay_alu instid0(VALU_DEP_1)
	v_add_f64_e64 v[2:3], v[124:125], -v[2:3]
	scratch_store_b64 off, v[2:3], off offset:8
	s_wait_xcnt 0x0
	v_cmpx_ne_u32_e32 0, v0
	s_cbranch_execz .LBB58_363
; %bb.362:
	scratch_load_b64 v[2:3], off, off
	v_mov_b64_e32 v[124:125], 0
	scratch_store_b64 off, v[124:125], off
	s_wait_loadcnt 0x0
	ds_store_b64 v1, v[2:3]
.LBB58_363:
	s_wait_xcnt 0x0
	s_or_b32 exec_lo, exec_lo, s0
	s_wait_storecnt_dscnt 0x0
	s_barrier_signal -1
	s_barrier_wait -1
	s_clause 0x5
	scratch_load_b128 v[124:127], off, off
	scratch_load_b128 v[0:3], off, off offset:16
	scratch_load_b128 v[128:131], off, off offset:32
	;; [unrolled: 1-line block ×5, first 2 shown]
	ds_load_2addr_b64 v[144:147], v122 offset0:61 offset1:62
	scratch_load_b128 v[148:151], off, off offset:96
	s_and_b32 vcc_lo, exec_lo, s20
	s_wait_loadcnt_dscnt 0x600
	v_fma_f64 v[154:155], v[126:127], v[144:145], 0
	s_wait_loadcnt 0x5
	s_delay_alu instid0(VALU_DEP_1)
	v_fmac_f64_e32 v[154:155], v[0:1], v[146:147]
	ds_load_2addr_b64 v[144:147], v122 offset0:63 offset1:64
	s_wait_dscnt 0x0
	v_fmac_f64_e32 v[154:155], v[2:3], v[144:145]
	scratch_load_b128 v[0:3], off, off offset:112
	s_wait_loadcnt 0x5
	v_fmac_f64_e32 v[154:155], v[128:129], v[146:147]
	ds_load_2addr_b64 v[126:129], v122 offset0:65 offset1:66
	scratch_load_b128 v[144:147], off, off offset:128
	s_wait_dscnt 0x0
	v_fmac_f64_e32 v[154:155], v[130:131], v[126:127]
	s_wait_loadcnt 0x5
	s_delay_alu instid0(VALU_DEP_1)
	v_fmac_f64_e32 v[154:155], v[132:133], v[128:129]
	ds_load_2addr_b64 v[126:129], v122 offset0:67 offset1:68
	scratch_load_b128 v[130:133], off, off offset:144
	s_wait_dscnt 0x0
	v_fmac_f64_e32 v[154:155], v[134:135], v[126:127]
	s_wait_loadcnt 0x5
	s_delay_alu instid0(VALU_DEP_1)
	;; [unrolled: 7-line block ×4, first 2 shown]
	v_fmac_f64_e32 v[154:155], v[148:149], v[128:129]
	ds_load_2addr_b64 v[126:129], v122 offset0:73 offset1:74
	s_wait_dscnt 0x0
	v_fmac_f64_e32 v[154:155], v[150:151], v[126:127]
	scratch_load_b128 v[148:151], off, off offset:192
	s_wait_loadcnt 0x5
	v_fmac_f64_e32 v[154:155], v[0:1], v[128:129]
	ds_load_2addr_b64 v[126:129], v122 offset0:75 offset1:76
	s_wait_dscnt 0x0
	v_fmac_f64_e32 v[154:155], v[2:3], v[126:127]
	scratch_load_b128 v[0:3], off, off offset:208
	s_wait_loadcnt 0x5
	v_fmac_f64_e32 v[154:155], v[144:145], v[128:129]
	ds_load_2addr_b64 v[126:129], v122 offset0:77 offset1:78
	scratch_load_b128 v[142:145], off, off offset:224
	s_wait_dscnt 0x0
	v_fmac_f64_e32 v[154:155], v[146:147], v[126:127]
	s_wait_loadcnt 0x5
	s_delay_alu instid0(VALU_DEP_1)
	v_fmac_f64_e32 v[154:155], v[130:131], v[128:129]
	ds_load_2addr_b64 v[126:129], v122 offset0:79 offset1:80
	s_wait_dscnt 0x0
	v_fmac_f64_e32 v[154:155], v[132:133], v[126:127]
	scratch_load_b128 v[130:133], off, off offset:240
	s_wait_loadcnt 0x5
	v_fmac_f64_e32 v[154:155], v[134:135], v[128:129]
	ds_load_2addr_b64 v[126:129], v122 offset0:81 offset1:82
	s_wait_dscnt 0x0
	v_fmac_f64_e32 v[154:155], v[136:137], v[126:127]
	scratch_load_b128 v[134:137], off, off offset:256
	s_wait_loadcnt 0x5
	;; [unrolled: 6-line block ×3, first 2 shown]
	v_fmac_f64_e32 v[154:155], v[148:149], v[128:129]
	ds_load_2addr_b64 v[126:129], v122 offset0:85 offset1:86
	scratch_load_b128 v[146:149], off, off offset:288
	s_wait_dscnt 0x0
	v_fmac_f64_e32 v[154:155], v[150:151], v[126:127]
	scratch_load_b128 v[150:153], off, off offset:400
	s_wait_loadcnt 0x6
	v_fmac_f64_e32 v[154:155], v[0:1], v[128:129]
	ds_load_2addr_b64 v[126:129], v122 offset0:87 offset1:88
	s_wait_dscnt 0x0
	v_fmac_f64_e32 v[154:155], v[2:3], v[126:127]
	scratch_load_b128 v[0:3], off, off offset:304
	s_wait_loadcnt 0x6
	v_fmac_f64_e32 v[154:155], v[142:143], v[128:129]
	ds_load_2addr_b64 v[126:129], v122 offset0:89 offset1:90
	s_wait_dscnt 0x0
	v_fmac_f64_e32 v[154:155], v[144:145], v[126:127]
	scratch_load_b128 v[142:145], off, off offset:320
	s_wait_loadcnt 0x6
	v_fmac_f64_e32 v[154:155], v[130:131], v[128:129]
	ds_load_2addr_b64 v[126:129], v122 offset0:91 offset1:92
	s_wait_dscnt 0x0
	v_fmac_f64_e32 v[154:155], v[132:133], v[126:127]
	scratch_load_b128 v[130:133], off, off offset:336
	s_wait_loadcnt 0x6
	v_fmac_f64_e32 v[154:155], v[134:135], v[128:129]
	ds_load_2addr_b64 v[126:129], v122 offset0:93 offset1:94
	s_wait_dscnt 0x0
	v_fmac_f64_e32 v[154:155], v[136:137], v[126:127]
	scratch_load_b128 v[134:137], off, off offset:352
	s_wait_loadcnt 0x6
	v_fmac_f64_e32 v[154:155], v[138:139], v[128:129]
	ds_load_2addr_b64 v[126:129], v122 offset0:95 offset1:96
	s_wait_dscnt 0x0
	v_fmac_f64_e32 v[154:155], v[140:141], v[126:127]
	scratch_load_b128 v[138:141], off, off offset:368
	s_wait_loadcnt 0x6
	v_fmac_f64_e32 v[154:155], v[146:147], v[128:129]
	ds_load_2addr_b64 v[126:129], v122 offset0:97 offset1:98
	s_wait_dscnt 0x0
	v_fmac_f64_e32 v[154:155], v[148:149], v[126:127]
	scratch_load_b128 v[146:149], off, off offset:384
	s_wait_loadcnt 0x5
	v_fmac_f64_e32 v[154:155], v[0:1], v[128:129]
	ds_load_2addr_b64 v[126:129], v122 offset0:99 offset1:100
	s_wait_dscnt 0x0
	v_fmac_f64_e32 v[154:155], v[2:3], v[126:127]
	ds_load_2addr_b64 v[0:3], v122 offset0:101 offset1:102
	s_wait_loadcnt 0x4
	v_fmac_f64_e32 v[154:155], v[142:143], v[128:129]
	scratch_load_b128 v[126:129], off, off offset:416
	s_wait_dscnt 0x0
	v_fmac_f64_e32 v[154:155], v[144:145], v[0:1]
	ds_load_2addr_b64 v[142:145], v122 offset0:105 offset1:106
	s_wait_loadcnt 0x4
	v_fmac_f64_e32 v[154:155], v[130:131], v[2:3]
	ds_load_2addr_b64 v[0:3], v122 offset0:103 offset1:104
	s_wait_dscnt 0x0
	v_fmac_f64_e32 v[154:155], v[132:133], v[0:1]
	scratch_load_b128 v[130:133], off, off offset:432
	s_wait_loadcnt 0x4
	v_fmac_f64_e32 v[154:155], v[134:135], v[2:3]
	scratch_load_b128 v[0:3], off, off offset:448
	v_fmac_f64_e32 v[154:155], v[136:137], v[142:143]
	ds_load_2addr_b64 v[134:137], v122 offset0:107 offset1:108
	s_wait_loadcnt 0x4
	v_fmac_f64_e32 v[154:155], v[138:139], v[144:145]
	scratch_load_b64 v[138:139], off, off offset:464
	s_wait_dscnt 0x0
	v_fmac_f64_e32 v[154:155], v[140:141], v[134:135]
	s_wait_loadcnt 0x4
	s_delay_alu instid0(VALU_DEP_1) | instskip(SKIP_3) | instid1(VALU_DEP_1)
	v_fmac_f64_e32 v[154:155], v[146:147], v[136:137]
	ds_load_2addr_b64 v[134:137], v122 offset0:109 offset1:110
	s_wait_dscnt 0x0
	v_fmac_f64_e32 v[154:155], v[148:149], v[134:135]
	v_fmac_f64_e32 v[154:155], v[150:151], v[136:137]
	ds_load_2addr_b64 v[134:137], v122 offset0:111 offset1:112
	s_wait_dscnt 0x0
	v_fmac_f64_e32 v[154:155], v[152:153], v[134:135]
	s_wait_loadcnt 0x3
	s_delay_alu instid0(VALU_DEP_1)
	v_fmac_f64_e32 v[154:155], v[126:127], v[136:137]
	ds_load_2addr_b64 v[134:137], v122 offset0:113 offset1:114
	s_wait_dscnt 0x0
	v_fmac_f64_e32 v[154:155], v[128:129], v[134:135]
	ds_load_2addr_b64 v[126:129], v122 offset0:115 offset1:116
	s_wait_loadcnt 0x2
	v_fmac_f64_e32 v[154:155], v[130:131], v[136:137]
	s_wait_dscnt 0x0
	s_delay_alu instid0(VALU_DEP_1) | instskip(SKIP_1) | instid1(VALU_DEP_1)
	v_fmac_f64_e32 v[154:155], v[132:133], v[126:127]
	s_wait_loadcnt 0x1
	v_fmac_f64_e32 v[154:155], v[0:1], v[128:129]
	ds_load_2addr_b64 v[126:129], v122 offset0:117 offset1:118
	s_wait_dscnt 0x0
	v_fmac_f64_e32 v[154:155], v[2:3], v[126:127]
	s_wait_loadcnt 0x0
	s_delay_alu instid0(VALU_DEP_1) | instskip(NEXT) | instid1(VALU_DEP_1)
	v_fmac_f64_e32 v[154:155], v[138:139], v[128:129]
	v_add_f64_e64 v[154:155], v[124:125], -v[154:155]
	scratch_store_b64 off, v[154:155], off
	s_cbranch_vccz .LBB58_480
; %bb.364:
	v_mov_b32_e32 v0, 0
	global_load_b32 v1, v0, s[16:17] offset:228
	s_wait_loadcnt 0x0
	v_cmp_ne_u32_e32 vcc_lo, 58, v1
	s_cbranch_vccz .LBB58_366
; %bb.365:
	v_lshlrev_b32_e32 v1, 3, v1
	scratch_load_b64 v[122:123], v1, off offset:-8
	s_wait_loadcnt 0x0
	scratch_store_b64 off, v[122:123], off offset:456
	scratch_store_b64 v1, v[2:3], off offset:-8
.LBB58_366:
	global_load_b32 v0, v0, s[16:17] offset:224
	s_wait_loadcnt 0x0
	v_cmp_eq_u32_e32 vcc_lo, 57, v0
	s_cbranch_vccnz .LBB58_368
; %bb.367:
	s_wait_xcnt 0x0
	v_lshlrev_b32_e32 v0, 3, v0
	s_delay_alu instid0(VALU_DEP_1)
	v_mov_b32_e32 v122, v0
	scratch_load_b64 v[0:1], v122, off offset:-8
	scratch_load_b64 v[2:3], off, off offset:448
	s_wait_loadcnt 0x1
	scratch_store_b64 off, v[0:1], off offset:448
	s_wait_loadcnt 0x0
	scratch_store_b64 v122, v[2:3], off offset:-8
.LBB58_368:
	s_wait_xcnt 0x0
	v_mov_b32_e32 v0, 0
	global_load_b32 v1, v0, s[16:17] offset:220
	s_wait_loadcnt 0x0
	v_cmp_eq_u32_e32 vcc_lo, 56, v1
	s_cbranch_vccnz .LBB58_370
; %bb.369:
	v_lshlrev_b32_e32 v1, 3, v1
	scratch_load_b64 v[2:3], v1, off offset:-8
	scratch_load_b64 v[122:123], off, off offset:440
	s_wait_loadcnt 0x1
	scratch_store_b64 off, v[2:3], off offset:440
	s_wait_loadcnt 0x0
	scratch_store_b64 v1, v[122:123], off offset:-8
.LBB58_370:
	global_load_b32 v0, v0, s[16:17] offset:216
	s_wait_loadcnt 0x0
	v_cmp_eq_u32_e32 vcc_lo, 55, v0
	s_cbranch_vccnz .LBB58_372
; %bb.371:
	s_wait_xcnt 0x0
	v_lshlrev_b32_e32 v0, 3, v0
	s_delay_alu instid0(VALU_DEP_1)
	v_mov_b32_e32 v122, v0
	scratch_load_b64 v[0:1], v122, off offset:-8
	scratch_load_b64 v[2:3], off, off offset:432
	s_wait_loadcnt 0x1
	scratch_store_b64 off, v[0:1], off offset:432
	s_wait_loadcnt 0x0
	scratch_store_b64 v122, v[2:3], off offset:-8
.LBB58_372:
	s_wait_xcnt 0x0
	v_mov_b32_e32 v0, 0
	global_load_b32 v1, v0, s[16:17] offset:212
	s_wait_loadcnt 0x0
	v_cmp_eq_u32_e32 vcc_lo, 54, v1
	s_cbranch_vccnz .LBB58_374
; %bb.373:
	v_lshlrev_b32_e32 v1, 3, v1
	scratch_load_b64 v[2:3], v1, off offset:-8
	scratch_load_b64 v[122:123], off, off offset:424
	s_wait_loadcnt 0x1
	scratch_store_b64 off, v[2:3], off offset:424
	s_wait_loadcnt 0x0
	scratch_store_b64 v1, v[122:123], off offset:-8
.LBB58_374:
	global_load_b32 v0, v0, s[16:17] offset:208
	s_wait_loadcnt 0x0
	v_cmp_eq_u32_e32 vcc_lo, 53, v0
	s_cbranch_vccnz .LBB58_376
; %bb.375:
	s_wait_xcnt 0x0
	v_lshlrev_b32_e32 v0, 3, v0
	s_delay_alu instid0(VALU_DEP_1)
	v_mov_b32_e32 v122, v0
	scratch_load_b64 v[0:1], v122, off offset:-8
	scratch_load_b64 v[2:3], off, off offset:416
	s_wait_loadcnt 0x1
	scratch_store_b64 off, v[0:1], off offset:416
	s_wait_loadcnt 0x0
	scratch_store_b64 v122, v[2:3], off offset:-8
.LBB58_376:
	s_wait_xcnt 0x0
	v_mov_b32_e32 v0, 0
	global_load_b32 v1, v0, s[16:17] offset:204
	s_wait_loadcnt 0x0
	v_cmp_eq_u32_e32 vcc_lo, 52, v1
	s_cbranch_vccnz .LBB58_378
; %bb.377:
	v_lshlrev_b32_e32 v1, 3, v1
	scratch_load_b64 v[2:3], v1, off offset:-8
	scratch_load_b64 v[122:123], off, off offset:408
	s_wait_loadcnt 0x1
	scratch_store_b64 off, v[2:3], off offset:408
	s_wait_loadcnt 0x0
	scratch_store_b64 v1, v[122:123], off offset:-8
.LBB58_378:
	global_load_b32 v0, v0, s[16:17] offset:200
	s_wait_loadcnt 0x0
	v_cmp_eq_u32_e32 vcc_lo, 51, v0
	s_cbranch_vccnz .LBB58_380
; %bb.379:
	s_wait_xcnt 0x0
	v_lshlrev_b32_e32 v0, 3, v0
	s_delay_alu instid0(VALU_DEP_1)
	v_mov_b32_e32 v122, v0
	scratch_load_b64 v[0:1], v122, off offset:-8
	scratch_load_b64 v[2:3], off, off offset:400
	s_wait_loadcnt 0x1
	scratch_store_b64 off, v[0:1], off offset:400
	s_wait_loadcnt 0x0
	scratch_store_b64 v122, v[2:3], off offset:-8
.LBB58_380:
	s_wait_xcnt 0x0
	v_mov_b32_e32 v0, 0
	global_load_b32 v1, v0, s[16:17] offset:196
	s_wait_loadcnt 0x0
	v_cmp_eq_u32_e32 vcc_lo, 50, v1
	s_cbranch_vccnz .LBB58_382
; %bb.381:
	v_lshlrev_b32_e32 v1, 3, v1
	scratch_load_b64 v[2:3], v1, off offset:-8
	scratch_load_b64 v[122:123], off, off offset:392
	s_wait_loadcnt 0x1
	scratch_store_b64 off, v[2:3], off offset:392
	s_wait_loadcnt 0x0
	scratch_store_b64 v1, v[122:123], off offset:-8
.LBB58_382:
	global_load_b32 v0, v0, s[16:17] offset:192
	s_wait_loadcnt 0x0
	v_cmp_eq_u32_e32 vcc_lo, 49, v0
	s_cbranch_vccnz .LBB58_384
; %bb.383:
	s_wait_xcnt 0x0
	v_lshlrev_b32_e32 v0, 3, v0
	s_delay_alu instid0(VALU_DEP_1)
	v_mov_b32_e32 v122, v0
	scratch_load_b64 v[0:1], v122, off offset:-8
	scratch_load_b64 v[2:3], off, off offset:384
	s_wait_loadcnt 0x1
	scratch_store_b64 off, v[0:1], off offset:384
	s_wait_loadcnt 0x0
	scratch_store_b64 v122, v[2:3], off offset:-8
.LBB58_384:
	s_wait_xcnt 0x0
	v_mov_b32_e32 v0, 0
	global_load_b32 v1, v0, s[16:17] offset:188
	s_wait_loadcnt 0x0
	v_cmp_eq_u32_e32 vcc_lo, 48, v1
	s_cbranch_vccnz .LBB58_386
; %bb.385:
	v_lshlrev_b32_e32 v1, 3, v1
	scratch_load_b64 v[2:3], v1, off offset:-8
	scratch_load_b64 v[122:123], off, off offset:376
	s_wait_loadcnt 0x1
	scratch_store_b64 off, v[2:3], off offset:376
	s_wait_loadcnt 0x0
	scratch_store_b64 v1, v[122:123], off offset:-8
.LBB58_386:
	global_load_b32 v0, v0, s[16:17] offset:184
	s_wait_loadcnt 0x0
	v_cmp_eq_u32_e32 vcc_lo, 47, v0
	s_cbranch_vccnz .LBB58_388
; %bb.387:
	s_wait_xcnt 0x0
	v_lshlrev_b32_e32 v0, 3, v0
	s_delay_alu instid0(VALU_DEP_1)
	v_mov_b32_e32 v122, v0
	scratch_load_b64 v[0:1], v122, off offset:-8
	scratch_load_b64 v[2:3], off, off offset:368
	s_wait_loadcnt 0x1
	scratch_store_b64 off, v[0:1], off offset:368
	s_wait_loadcnt 0x0
	scratch_store_b64 v122, v[2:3], off offset:-8
.LBB58_388:
	s_wait_xcnt 0x0
	v_mov_b32_e32 v0, 0
	global_load_b32 v1, v0, s[16:17] offset:180
	s_wait_loadcnt 0x0
	v_cmp_eq_u32_e32 vcc_lo, 46, v1
	s_cbranch_vccnz .LBB58_390
; %bb.389:
	v_lshlrev_b32_e32 v1, 3, v1
	scratch_load_b64 v[2:3], v1, off offset:-8
	scratch_load_b64 v[122:123], off, off offset:360
	s_wait_loadcnt 0x1
	scratch_store_b64 off, v[2:3], off offset:360
	s_wait_loadcnt 0x0
	scratch_store_b64 v1, v[122:123], off offset:-8
.LBB58_390:
	global_load_b32 v0, v0, s[16:17] offset:176
	s_wait_loadcnt 0x0
	v_cmp_eq_u32_e32 vcc_lo, 45, v0
	s_cbranch_vccnz .LBB58_392
; %bb.391:
	s_wait_xcnt 0x0
	v_lshlrev_b32_e32 v0, 3, v0
	s_delay_alu instid0(VALU_DEP_1)
	v_mov_b32_e32 v122, v0
	scratch_load_b64 v[0:1], v122, off offset:-8
	scratch_load_b64 v[2:3], off, off offset:352
	s_wait_loadcnt 0x1
	scratch_store_b64 off, v[0:1], off offset:352
	s_wait_loadcnt 0x0
	scratch_store_b64 v122, v[2:3], off offset:-8
.LBB58_392:
	s_wait_xcnt 0x0
	v_mov_b32_e32 v0, 0
	global_load_b32 v1, v0, s[16:17] offset:172
	s_wait_loadcnt 0x0
	v_cmp_eq_u32_e32 vcc_lo, 44, v1
	s_cbranch_vccnz .LBB58_394
; %bb.393:
	v_lshlrev_b32_e32 v1, 3, v1
	scratch_load_b64 v[2:3], v1, off offset:-8
	scratch_load_b64 v[122:123], off, off offset:344
	s_wait_loadcnt 0x1
	scratch_store_b64 off, v[2:3], off offset:344
	s_wait_loadcnt 0x0
	scratch_store_b64 v1, v[122:123], off offset:-8
.LBB58_394:
	global_load_b32 v0, v0, s[16:17] offset:168
	s_wait_loadcnt 0x0
	v_cmp_eq_u32_e32 vcc_lo, 43, v0
	s_cbranch_vccnz .LBB58_396
; %bb.395:
	s_wait_xcnt 0x0
	v_lshlrev_b32_e32 v0, 3, v0
	s_delay_alu instid0(VALU_DEP_1)
	v_mov_b32_e32 v122, v0
	scratch_load_b64 v[0:1], v122, off offset:-8
	scratch_load_b64 v[2:3], off, off offset:336
	s_wait_loadcnt 0x1
	scratch_store_b64 off, v[0:1], off offset:336
	s_wait_loadcnt 0x0
	scratch_store_b64 v122, v[2:3], off offset:-8
.LBB58_396:
	s_wait_xcnt 0x0
	v_mov_b32_e32 v0, 0
	global_load_b32 v1, v0, s[16:17] offset:164
	s_wait_loadcnt 0x0
	v_cmp_eq_u32_e32 vcc_lo, 42, v1
	s_cbranch_vccnz .LBB58_398
; %bb.397:
	v_lshlrev_b32_e32 v1, 3, v1
	scratch_load_b64 v[2:3], v1, off offset:-8
	scratch_load_b64 v[122:123], off, off offset:328
	s_wait_loadcnt 0x1
	scratch_store_b64 off, v[2:3], off offset:328
	s_wait_loadcnt 0x0
	scratch_store_b64 v1, v[122:123], off offset:-8
.LBB58_398:
	global_load_b32 v0, v0, s[16:17] offset:160
	s_wait_loadcnt 0x0
	v_cmp_eq_u32_e32 vcc_lo, 41, v0
	s_cbranch_vccnz .LBB58_400
; %bb.399:
	s_wait_xcnt 0x0
	v_lshlrev_b32_e32 v0, 3, v0
	s_delay_alu instid0(VALU_DEP_1)
	v_mov_b32_e32 v122, v0
	scratch_load_b64 v[0:1], v122, off offset:-8
	scratch_load_b64 v[2:3], off, off offset:320
	s_wait_loadcnt 0x1
	scratch_store_b64 off, v[0:1], off offset:320
	s_wait_loadcnt 0x0
	scratch_store_b64 v122, v[2:3], off offset:-8
.LBB58_400:
	s_wait_xcnt 0x0
	v_mov_b32_e32 v0, 0
	global_load_b32 v1, v0, s[16:17] offset:156
	s_wait_loadcnt 0x0
	v_cmp_eq_u32_e32 vcc_lo, 40, v1
	s_cbranch_vccnz .LBB58_402
; %bb.401:
	v_lshlrev_b32_e32 v1, 3, v1
	scratch_load_b64 v[2:3], v1, off offset:-8
	scratch_load_b64 v[122:123], off, off offset:312
	s_wait_loadcnt 0x1
	scratch_store_b64 off, v[2:3], off offset:312
	s_wait_loadcnt 0x0
	scratch_store_b64 v1, v[122:123], off offset:-8
.LBB58_402:
	global_load_b32 v0, v0, s[16:17] offset:152
	s_wait_loadcnt 0x0
	v_cmp_eq_u32_e32 vcc_lo, 39, v0
	s_cbranch_vccnz .LBB58_404
; %bb.403:
	s_wait_xcnt 0x0
	v_lshlrev_b32_e32 v0, 3, v0
	s_delay_alu instid0(VALU_DEP_1)
	v_mov_b32_e32 v122, v0
	scratch_load_b64 v[0:1], v122, off offset:-8
	scratch_load_b64 v[2:3], off, off offset:304
	s_wait_loadcnt 0x1
	scratch_store_b64 off, v[0:1], off offset:304
	s_wait_loadcnt 0x0
	scratch_store_b64 v122, v[2:3], off offset:-8
.LBB58_404:
	s_wait_xcnt 0x0
	v_mov_b32_e32 v0, 0
	global_load_b32 v1, v0, s[16:17] offset:148
	s_wait_loadcnt 0x0
	v_cmp_eq_u32_e32 vcc_lo, 38, v1
	s_cbranch_vccnz .LBB58_406
; %bb.405:
	v_lshlrev_b32_e32 v1, 3, v1
	scratch_load_b64 v[2:3], v1, off offset:-8
	scratch_load_b64 v[122:123], off, off offset:296
	s_wait_loadcnt 0x1
	scratch_store_b64 off, v[2:3], off offset:296
	s_wait_loadcnt 0x0
	scratch_store_b64 v1, v[122:123], off offset:-8
.LBB58_406:
	global_load_b32 v0, v0, s[16:17] offset:144
	s_wait_loadcnt 0x0
	v_cmp_eq_u32_e32 vcc_lo, 37, v0
	s_cbranch_vccnz .LBB58_408
; %bb.407:
	s_wait_xcnt 0x0
	v_lshlrev_b32_e32 v0, 3, v0
	s_delay_alu instid0(VALU_DEP_1)
	v_mov_b32_e32 v122, v0
	scratch_load_b64 v[0:1], v122, off offset:-8
	scratch_load_b64 v[2:3], off, off offset:288
	s_wait_loadcnt 0x1
	scratch_store_b64 off, v[0:1], off offset:288
	s_wait_loadcnt 0x0
	scratch_store_b64 v122, v[2:3], off offset:-8
.LBB58_408:
	s_wait_xcnt 0x0
	v_mov_b32_e32 v0, 0
	global_load_b32 v1, v0, s[16:17] offset:140
	s_wait_loadcnt 0x0
	v_cmp_eq_u32_e32 vcc_lo, 36, v1
	s_cbranch_vccnz .LBB58_410
; %bb.409:
	v_lshlrev_b32_e32 v1, 3, v1
	scratch_load_b64 v[2:3], v1, off offset:-8
	scratch_load_b64 v[122:123], off, off offset:280
	s_wait_loadcnt 0x1
	scratch_store_b64 off, v[2:3], off offset:280
	s_wait_loadcnt 0x0
	scratch_store_b64 v1, v[122:123], off offset:-8
.LBB58_410:
	global_load_b32 v0, v0, s[16:17] offset:136
	s_wait_loadcnt 0x0
	v_cmp_eq_u32_e32 vcc_lo, 35, v0
	s_cbranch_vccnz .LBB58_412
; %bb.411:
	s_wait_xcnt 0x0
	v_lshlrev_b32_e32 v0, 3, v0
	s_delay_alu instid0(VALU_DEP_1)
	v_mov_b32_e32 v122, v0
	scratch_load_b64 v[0:1], v122, off offset:-8
	scratch_load_b64 v[2:3], off, off offset:272
	s_wait_loadcnt 0x1
	scratch_store_b64 off, v[0:1], off offset:272
	s_wait_loadcnt 0x0
	scratch_store_b64 v122, v[2:3], off offset:-8
.LBB58_412:
	s_wait_xcnt 0x0
	v_mov_b32_e32 v0, 0
	global_load_b32 v1, v0, s[16:17] offset:132
	s_wait_loadcnt 0x0
	v_cmp_eq_u32_e32 vcc_lo, 34, v1
	s_cbranch_vccnz .LBB58_414
; %bb.413:
	v_lshlrev_b32_e32 v1, 3, v1
	scratch_load_b64 v[2:3], v1, off offset:-8
	scratch_load_b64 v[122:123], off, off offset:264
	s_wait_loadcnt 0x1
	scratch_store_b64 off, v[2:3], off offset:264
	s_wait_loadcnt 0x0
	scratch_store_b64 v1, v[122:123], off offset:-8
.LBB58_414:
	global_load_b32 v0, v0, s[16:17] offset:128
	s_wait_loadcnt 0x0
	v_cmp_eq_u32_e32 vcc_lo, 33, v0
	s_cbranch_vccnz .LBB58_416
; %bb.415:
	s_wait_xcnt 0x0
	v_lshlrev_b32_e32 v0, 3, v0
	s_delay_alu instid0(VALU_DEP_1)
	v_mov_b32_e32 v122, v0
	scratch_load_b64 v[0:1], v122, off offset:-8
	scratch_load_b64 v[2:3], off, off offset:256
	s_wait_loadcnt 0x1
	scratch_store_b64 off, v[0:1], off offset:256
	s_wait_loadcnt 0x0
	scratch_store_b64 v122, v[2:3], off offset:-8
.LBB58_416:
	s_wait_xcnt 0x0
	v_mov_b32_e32 v0, 0
	global_load_b32 v1, v0, s[16:17] offset:124
	s_wait_loadcnt 0x0
	v_cmp_eq_u32_e32 vcc_lo, 32, v1
	s_cbranch_vccnz .LBB58_418
; %bb.417:
	v_lshlrev_b32_e32 v1, 3, v1
	scratch_load_b64 v[2:3], v1, off offset:-8
	scratch_load_b64 v[122:123], off, off offset:248
	s_wait_loadcnt 0x1
	scratch_store_b64 off, v[2:3], off offset:248
	s_wait_loadcnt 0x0
	scratch_store_b64 v1, v[122:123], off offset:-8
.LBB58_418:
	global_load_b32 v0, v0, s[16:17] offset:120
	s_wait_loadcnt 0x0
	v_cmp_eq_u32_e32 vcc_lo, 31, v0
	s_cbranch_vccnz .LBB58_420
; %bb.419:
	s_wait_xcnt 0x0
	v_lshlrev_b32_e32 v0, 3, v0
	s_delay_alu instid0(VALU_DEP_1)
	v_mov_b32_e32 v122, v0
	scratch_load_b64 v[0:1], v122, off offset:-8
	scratch_load_b64 v[2:3], off, off offset:240
	s_wait_loadcnt 0x1
	scratch_store_b64 off, v[0:1], off offset:240
	s_wait_loadcnt 0x0
	scratch_store_b64 v122, v[2:3], off offset:-8
.LBB58_420:
	s_wait_xcnt 0x0
	v_mov_b32_e32 v0, 0
	global_load_b32 v1, v0, s[16:17] offset:116
	s_wait_loadcnt 0x0
	v_cmp_eq_u32_e32 vcc_lo, 30, v1
	s_cbranch_vccnz .LBB58_422
; %bb.421:
	v_lshlrev_b32_e32 v1, 3, v1
	scratch_load_b64 v[2:3], v1, off offset:-8
	scratch_load_b64 v[122:123], off, off offset:232
	s_wait_loadcnt 0x1
	scratch_store_b64 off, v[2:3], off offset:232
	s_wait_loadcnt 0x0
	scratch_store_b64 v1, v[122:123], off offset:-8
.LBB58_422:
	global_load_b32 v0, v0, s[16:17] offset:112
	s_wait_loadcnt 0x0
	v_cmp_eq_u32_e32 vcc_lo, 29, v0
	s_cbranch_vccnz .LBB58_424
; %bb.423:
	s_wait_xcnt 0x0
	v_lshlrev_b32_e32 v0, 3, v0
	s_delay_alu instid0(VALU_DEP_1)
	v_mov_b32_e32 v122, v0
	scratch_load_b64 v[0:1], v122, off offset:-8
	scratch_load_b64 v[2:3], off, off offset:224
	s_wait_loadcnt 0x1
	scratch_store_b64 off, v[0:1], off offset:224
	s_wait_loadcnt 0x0
	scratch_store_b64 v122, v[2:3], off offset:-8
.LBB58_424:
	s_wait_xcnt 0x0
	v_mov_b32_e32 v0, 0
	global_load_b32 v1, v0, s[16:17] offset:108
	s_wait_loadcnt 0x0
	v_cmp_eq_u32_e32 vcc_lo, 28, v1
	s_cbranch_vccnz .LBB58_426
; %bb.425:
	v_lshlrev_b32_e32 v1, 3, v1
	scratch_load_b64 v[2:3], v1, off offset:-8
	scratch_load_b64 v[122:123], off, off offset:216
	s_wait_loadcnt 0x1
	scratch_store_b64 off, v[2:3], off offset:216
	s_wait_loadcnt 0x0
	scratch_store_b64 v1, v[122:123], off offset:-8
.LBB58_426:
	global_load_b32 v0, v0, s[16:17] offset:104
	s_wait_loadcnt 0x0
	v_cmp_eq_u32_e32 vcc_lo, 27, v0
	s_cbranch_vccnz .LBB58_428
; %bb.427:
	s_wait_xcnt 0x0
	v_lshlrev_b32_e32 v0, 3, v0
	s_delay_alu instid0(VALU_DEP_1)
	v_mov_b32_e32 v122, v0
	scratch_load_b64 v[0:1], v122, off offset:-8
	scratch_load_b64 v[2:3], off, off offset:208
	s_wait_loadcnt 0x1
	scratch_store_b64 off, v[0:1], off offset:208
	s_wait_loadcnt 0x0
	scratch_store_b64 v122, v[2:3], off offset:-8
.LBB58_428:
	s_wait_xcnt 0x0
	v_mov_b32_e32 v0, 0
	global_load_b32 v1, v0, s[16:17] offset:100
	s_wait_loadcnt 0x0
	v_cmp_eq_u32_e32 vcc_lo, 26, v1
	s_cbranch_vccnz .LBB58_430
; %bb.429:
	v_lshlrev_b32_e32 v1, 3, v1
	scratch_load_b64 v[2:3], v1, off offset:-8
	scratch_load_b64 v[122:123], off, off offset:200
	s_wait_loadcnt 0x1
	scratch_store_b64 off, v[2:3], off offset:200
	s_wait_loadcnt 0x0
	scratch_store_b64 v1, v[122:123], off offset:-8
.LBB58_430:
	global_load_b32 v0, v0, s[16:17] offset:96
	s_wait_loadcnt 0x0
	v_cmp_eq_u32_e32 vcc_lo, 25, v0
	s_cbranch_vccnz .LBB58_432
; %bb.431:
	s_wait_xcnt 0x0
	v_lshlrev_b32_e32 v0, 3, v0
	s_delay_alu instid0(VALU_DEP_1)
	v_mov_b32_e32 v122, v0
	scratch_load_b64 v[0:1], v122, off offset:-8
	scratch_load_b64 v[2:3], off, off offset:192
	s_wait_loadcnt 0x1
	scratch_store_b64 off, v[0:1], off offset:192
	s_wait_loadcnt 0x0
	scratch_store_b64 v122, v[2:3], off offset:-8
.LBB58_432:
	s_wait_xcnt 0x0
	v_mov_b32_e32 v0, 0
	global_load_b32 v1, v0, s[16:17] offset:92
	s_wait_loadcnt 0x0
	v_cmp_eq_u32_e32 vcc_lo, 24, v1
	s_cbranch_vccnz .LBB58_434
; %bb.433:
	v_lshlrev_b32_e32 v1, 3, v1
	scratch_load_b64 v[2:3], v1, off offset:-8
	scratch_load_b64 v[122:123], off, off offset:184
	s_wait_loadcnt 0x1
	scratch_store_b64 off, v[2:3], off offset:184
	s_wait_loadcnt 0x0
	scratch_store_b64 v1, v[122:123], off offset:-8
.LBB58_434:
	global_load_b32 v0, v0, s[16:17] offset:88
	s_wait_loadcnt 0x0
	v_cmp_eq_u32_e32 vcc_lo, 23, v0
	s_cbranch_vccnz .LBB58_436
; %bb.435:
	s_wait_xcnt 0x0
	v_lshlrev_b32_e32 v0, 3, v0
	s_delay_alu instid0(VALU_DEP_1)
	v_mov_b32_e32 v122, v0
	scratch_load_b64 v[0:1], v122, off offset:-8
	scratch_load_b64 v[2:3], off, off offset:176
	s_wait_loadcnt 0x1
	scratch_store_b64 off, v[0:1], off offset:176
	s_wait_loadcnt 0x0
	scratch_store_b64 v122, v[2:3], off offset:-8
.LBB58_436:
	s_wait_xcnt 0x0
	v_mov_b32_e32 v0, 0
	global_load_b32 v1, v0, s[16:17] offset:84
	s_wait_loadcnt 0x0
	v_cmp_eq_u32_e32 vcc_lo, 22, v1
	s_cbranch_vccnz .LBB58_438
; %bb.437:
	v_lshlrev_b32_e32 v1, 3, v1
	scratch_load_b64 v[2:3], v1, off offset:-8
	scratch_load_b64 v[122:123], off, off offset:168
	s_wait_loadcnt 0x1
	scratch_store_b64 off, v[2:3], off offset:168
	s_wait_loadcnt 0x0
	scratch_store_b64 v1, v[122:123], off offset:-8
.LBB58_438:
	global_load_b32 v0, v0, s[16:17] offset:80
	s_wait_loadcnt 0x0
	v_cmp_eq_u32_e32 vcc_lo, 21, v0
	s_cbranch_vccnz .LBB58_440
; %bb.439:
	s_wait_xcnt 0x0
	v_lshlrev_b32_e32 v0, 3, v0
	s_delay_alu instid0(VALU_DEP_1)
	v_mov_b32_e32 v122, v0
	scratch_load_b64 v[0:1], v122, off offset:-8
	scratch_load_b64 v[2:3], off, off offset:160
	s_wait_loadcnt 0x1
	scratch_store_b64 off, v[0:1], off offset:160
	s_wait_loadcnt 0x0
	scratch_store_b64 v122, v[2:3], off offset:-8
.LBB58_440:
	s_wait_xcnt 0x0
	v_mov_b32_e32 v0, 0
	global_load_b32 v1, v0, s[16:17] offset:76
	s_wait_loadcnt 0x0
	v_cmp_eq_u32_e32 vcc_lo, 20, v1
	s_cbranch_vccnz .LBB58_442
; %bb.441:
	v_lshlrev_b32_e32 v1, 3, v1
	scratch_load_b64 v[2:3], v1, off offset:-8
	scratch_load_b64 v[122:123], off, off offset:152
	s_wait_loadcnt 0x1
	scratch_store_b64 off, v[2:3], off offset:152
	s_wait_loadcnt 0x0
	scratch_store_b64 v1, v[122:123], off offset:-8
.LBB58_442:
	global_load_b32 v0, v0, s[16:17] offset:72
	s_wait_loadcnt 0x0
	v_cmp_eq_u32_e32 vcc_lo, 19, v0
	s_cbranch_vccnz .LBB58_444
; %bb.443:
	s_wait_xcnt 0x0
	v_lshlrev_b32_e32 v0, 3, v0
	s_delay_alu instid0(VALU_DEP_1)
	v_mov_b32_e32 v122, v0
	scratch_load_b64 v[0:1], v122, off offset:-8
	scratch_load_b64 v[2:3], off, off offset:144
	s_wait_loadcnt 0x1
	scratch_store_b64 off, v[0:1], off offset:144
	s_wait_loadcnt 0x0
	scratch_store_b64 v122, v[2:3], off offset:-8
.LBB58_444:
	s_wait_xcnt 0x0
	v_mov_b32_e32 v0, 0
	global_load_b32 v1, v0, s[16:17] offset:68
	s_wait_loadcnt 0x0
	v_cmp_eq_u32_e32 vcc_lo, 18, v1
	s_cbranch_vccnz .LBB58_446
; %bb.445:
	v_lshlrev_b32_e32 v1, 3, v1
	scratch_load_b64 v[2:3], v1, off offset:-8
	scratch_load_b64 v[122:123], off, off offset:136
	s_wait_loadcnt 0x1
	scratch_store_b64 off, v[2:3], off offset:136
	s_wait_loadcnt 0x0
	scratch_store_b64 v1, v[122:123], off offset:-8
.LBB58_446:
	global_load_b32 v0, v0, s[16:17] offset:64
	s_wait_loadcnt 0x0
	v_cmp_eq_u32_e32 vcc_lo, 17, v0
	s_cbranch_vccnz .LBB58_448
; %bb.447:
	s_wait_xcnt 0x0
	v_lshlrev_b32_e32 v0, 3, v0
	s_delay_alu instid0(VALU_DEP_1)
	v_mov_b32_e32 v122, v0
	scratch_load_b64 v[0:1], v122, off offset:-8
	scratch_load_b64 v[2:3], off, off offset:128
	s_wait_loadcnt 0x1
	scratch_store_b64 off, v[0:1], off offset:128
	s_wait_loadcnt 0x0
	scratch_store_b64 v122, v[2:3], off offset:-8
.LBB58_448:
	s_wait_xcnt 0x0
	v_mov_b32_e32 v0, 0
	global_load_b32 v1, v0, s[16:17] offset:60
	s_wait_loadcnt 0x0
	v_cmp_eq_u32_e32 vcc_lo, 16, v1
	s_cbranch_vccnz .LBB58_450
; %bb.449:
	v_lshlrev_b32_e32 v1, 3, v1
	scratch_load_b64 v[2:3], v1, off offset:-8
	scratch_load_b64 v[122:123], off, off offset:120
	s_wait_loadcnt 0x1
	scratch_store_b64 off, v[2:3], off offset:120
	s_wait_loadcnt 0x0
	scratch_store_b64 v1, v[122:123], off offset:-8
.LBB58_450:
	global_load_b32 v0, v0, s[16:17] offset:56
	s_wait_loadcnt 0x0
	v_cmp_eq_u32_e32 vcc_lo, 15, v0
	s_cbranch_vccnz .LBB58_452
; %bb.451:
	s_wait_xcnt 0x0
	v_lshlrev_b32_e32 v0, 3, v0
	s_delay_alu instid0(VALU_DEP_1)
	v_mov_b32_e32 v122, v0
	scratch_load_b64 v[0:1], v122, off offset:-8
	scratch_load_b64 v[2:3], off, off offset:112
	s_wait_loadcnt 0x1
	scratch_store_b64 off, v[0:1], off offset:112
	s_wait_loadcnt 0x0
	scratch_store_b64 v122, v[2:3], off offset:-8
.LBB58_452:
	s_wait_xcnt 0x0
	v_mov_b32_e32 v0, 0
	global_load_b32 v1, v0, s[16:17] offset:52
	s_wait_loadcnt 0x0
	v_cmp_eq_u32_e32 vcc_lo, 14, v1
	s_cbranch_vccnz .LBB58_454
; %bb.453:
	v_lshlrev_b32_e32 v1, 3, v1
	scratch_load_b64 v[2:3], v1, off offset:-8
	scratch_load_b64 v[122:123], off, off offset:104
	s_wait_loadcnt 0x1
	scratch_store_b64 off, v[2:3], off offset:104
	s_wait_loadcnt 0x0
	scratch_store_b64 v1, v[122:123], off offset:-8
.LBB58_454:
	global_load_b32 v0, v0, s[16:17] offset:48
	s_wait_loadcnt 0x0
	v_cmp_eq_u32_e32 vcc_lo, 13, v0
	s_cbranch_vccnz .LBB58_456
; %bb.455:
	s_wait_xcnt 0x0
	v_lshlrev_b32_e32 v0, 3, v0
	s_delay_alu instid0(VALU_DEP_1)
	v_mov_b32_e32 v122, v0
	scratch_load_b64 v[0:1], v122, off offset:-8
	scratch_load_b64 v[2:3], off, off offset:96
	s_wait_loadcnt 0x1
	scratch_store_b64 off, v[0:1], off offset:96
	s_wait_loadcnt 0x0
	scratch_store_b64 v122, v[2:3], off offset:-8
.LBB58_456:
	s_wait_xcnt 0x0
	v_mov_b32_e32 v0, 0
	global_load_b32 v1, v0, s[16:17] offset:44
	s_wait_loadcnt 0x0
	v_cmp_eq_u32_e32 vcc_lo, 12, v1
	s_cbranch_vccnz .LBB58_458
; %bb.457:
	v_lshlrev_b32_e32 v1, 3, v1
	scratch_load_b64 v[2:3], v1, off offset:-8
	scratch_load_b64 v[122:123], off, off offset:88
	s_wait_loadcnt 0x1
	scratch_store_b64 off, v[2:3], off offset:88
	s_wait_loadcnt 0x0
	scratch_store_b64 v1, v[122:123], off offset:-8
.LBB58_458:
	global_load_b32 v0, v0, s[16:17] offset:40
	s_wait_loadcnt 0x0
	v_cmp_eq_u32_e32 vcc_lo, 11, v0
	s_cbranch_vccnz .LBB58_460
; %bb.459:
	s_wait_xcnt 0x0
	v_lshlrev_b32_e32 v0, 3, v0
	s_delay_alu instid0(VALU_DEP_1)
	v_mov_b32_e32 v122, v0
	scratch_load_b64 v[0:1], v122, off offset:-8
	scratch_load_b64 v[2:3], off, off offset:80
	s_wait_loadcnt 0x1
	scratch_store_b64 off, v[0:1], off offset:80
	s_wait_loadcnt 0x0
	scratch_store_b64 v122, v[2:3], off offset:-8
.LBB58_460:
	s_wait_xcnt 0x0
	v_mov_b32_e32 v0, 0
	global_load_b32 v1, v0, s[16:17] offset:36
	s_wait_loadcnt 0x0
	v_cmp_eq_u32_e32 vcc_lo, 10, v1
	s_cbranch_vccnz .LBB58_462
; %bb.461:
	v_lshlrev_b32_e32 v1, 3, v1
	scratch_load_b64 v[2:3], v1, off offset:-8
	scratch_load_b64 v[122:123], off, off offset:72
	s_wait_loadcnt 0x1
	scratch_store_b64 off, v[2:3], off offset:72
	s_wait_loadcnt 0x0
	scratch_store_b64 v1, v[122:123], off offset:-8
.LBB58_462:
	global_load_b32 v0, v0, s[16:17] offset:32
	s_wait_loadcnt 0x0
	v_cmp_eq_u32_e32 vcc_lo, 9, v0
	s_cbranch_vccnz .LBB58_464
; %bb.463:
	s_wait_xcnt 0x0
	v_lshlrev_b32_e32 v0, 3, v0
	s_delay_alu instid0(VALU_DEP_1)
	v_mov_b32_e32 v122, v0
	scratch_load_b64 v[0:1], v122, off offset:-8
	scratch_load_b64 v[2:3], off, off offset:64
	s_wait_loadcnt 0x1
	scratch_store_b64 off, v[0:1], off offset:64
	s_wait_loadcnt 0x0
	scratch_store_b64 v122, v[2:3], off offset:-8
.LBB58_464:
	s_wait_xcnt 0x0
	v_mov_b32_e32 v0, 0
	global_load_b32 v1, v0, s[16:17] offset:28
	s_wait_loadcnt 0x0
	v_cmp_eq_u32_e32 vcc_lo, 8, v1
	s_cbranch_vccnz .LBB58_466
; %bb.465:
	v_lshlrev_b32_e32 v1, 3, v1
	scratch_load_b64 v[2:3], v1, off offset:-8
	scratch_load_b64 v[122:123], off, off offset:56
	s_wait_loadcnt 0x1
	scratch_store_b64 off, v[2:3], off offset:56
	s_wait_loadcnt 0x0
	scratch_store_b64 v1, v[122:123], off offset:-8
.LBB58_466:
	global_load_b32 v0, v0, s[16:17] offset:24
	s_wait_loadcnt 0x0
	v_cmp_eq_u32_e32 vcc_lo, 7, v0
	s_cbranch_vccnz .LBB58_468
; %bb.467:
	s_wait_xcnt 0x0
	v_lshlrev_b32_e32 v0, 3, v0
	s_delay_alu instid0(VALU_DEP_1)
	v_mov_b32_e32 v122, v0
	scratch_load_b64 v[0:1], v122, off offset:-8
	scratch_load_b64 v[2:3], off, off offset:48
	s_wait_loadcnt 0x1
	scratch_store_b64 off, v[0:1], off offset:48
	s_wait_loadcnt 0x0
	scratch_store_b64 v122, v[2:3], off offset:-8
.LBB58_468:
	s_wait_xcnt 0x0
	v_mov_b32_e32 v0, 0
	global_load_b32 v1, v0, s[16:17] offset:20
	s_wait_loadcnt 0x0
	v_cmp_eq_u32_e32 vcc_lo, 6, v1
	s_cbranch_vccnz .LBB58_470
; %bb.469:
	v_lshlrev_b32_e32 v1, 3, v1
	scratch_load_b64 v[2:3], v1, off offset:-8
	scratch_load_b64 v[122:123], off, off offset:40
	s_wait_loadcnt 0x1
	scratch_store_b64 off, v[2:3], off offset:40
	s_wait_loadcnt 0x0
	scratch_store_b64 v1, v[122:123], off offset:-8
.LBB58_470:
	global_load_b32 v0, v0, s[16:17] offset:16
	s_wait_loadcnt 0x0
	v_cmp_eq_u32_e32 vcc_lo, 5, v0
	s_cbranch_vccnz .LBB58_472
; %bb.471:
	s_wait_xcnt 0x0
	v_lshlrev_b32_e32 v0, 3, v0
	s_delay_alu instid0(VALU_DEP_1)
	v_mov_b32_e32 v122, v0
	scratch_load_b64 v[0:1], v122, off offset:-8
	scratch_load_b64 v[2:3], off, off offset:32
	s_wait_loadcnt 0x1
	scratch_store_b64 off, v[0:1], off offset:32
	s_wait_loadcnt 0x0
	scratch_store_b64 v122, v[2:3], off offset:-8
.LBB58_472:
	s_wait_xcnt 0x0
	v_mov_b32_e32 v0, 0
	global_load_b32 v1, v0, s[16:17] offset:12
	s_wait_loadcnt 0x0
	v_cmp_eq_u32_e32 vcc_lo, 4, v1
	s_cbranch_vccnz .LBB58_474
; %bb.473:
	v_lshlrev_b32_e32 v1, 3, v1
	scratch_load_b64 v[2:3], v1, off offset:-8
	scratch_load_b64 v[122:123], off, off offset:24
	s_wait_loadcnt 0x1
	scratch_store_b64 off, v[2:3], off offset:24
	s_wait_loadcnt 0x0
	scratch_store_b64 v1, v[122:123], off offset:-8
.LBB58_474:
	global_load_b32 v0, v0, s[16:17] offset:8
	s_wait_loadcnt 0x0
	v_cmp_eq_u32_e32 vcc_lo, 3, v0
	s_cbranch_vccnz .LBB58_476
; %bb.475:
	s_wait_xcnt 0x0
	v_lshlrev_b32_e32 v0, 3, v0
	s_delay_alu instid0(VALU_DEP_1)
	v_mov_b32_e32 v122, v0
	scratch_load_b64 v[0:1], v122, off offset:-8
	scratch_load_b64 v[2:3], off, off offset:16
	s_wait_loadcnt 0x1
	scratch_store_b64 off, v[0:1], off offset:16
	s_wait_loadcnt 0x0
	scratch_store_b64 v122, v[2:3], off offset:-8
.LBB58_476:
	s_wait_xcnt 0x0
	v_mov_b32_e32 v0, 0
	global_load_b32 v1, v0, s[16:17] offset:4
	s_wait_loadcnt 0x0
	v_cmp_eq_u32_e32 vcc_lo, 2, v1
	s_cbranch_vccnz .LBB58_478
; %bb.477:
	v_lshlrev_b32_e32 v1, 3, v1
	scratch_load_b64 v[2:3], v1, off offset:-8
	scratch_load_b64 v[122:123], off, off offset:8
	s_wait_loadcnt 0x1
	scratch_store_b64 off, v[2:3], off offset:8
	s_wait_loadcnt 0x0
	scratch_store_b64 v1, v[122:123], off offset:-8
.LBB58_478:
	global_load_b32 v0, v0, s[16:17]
	scratch_load_b64 v[154:155], off, off
	s_wait_loadcnt 0x1
	v_cmp_eq_u32_e32 vcc_lo, 1, v0
	s_cbranch_vccnz .LBB58_480
; %bb.479:
	s_wait_xcnt 0x1
	v_lshlrev_b32_e32 v0, 3, v0
	s_delay_alu instid0(VALU_DEP_1)
	v_mov_b32_e32 v2, v0
	scratch_load_b64 v[0:1], v2, off offset:-8
	s_wait_loadcnt 0x0
	scratch_store_b64 off, v[0:1], off
	scratch_store_b64 v2, v[154:155], off offset:-8
	scratch_load_b64 v[154:155], off, off
.LBB58_480:
	v_lshl_add_u64 v[160:161], v[8:9], 3, s[2:3]
	v_lshl_add_u64 v[156:157], v[10:11], 3, s[2:3]
	;; [unrolled: 1-line block ×52, first 2 shown]
	s_clause 0x8
	scratch_load_b128 v[80:83], off, off offset:8
	scratch_load_b128 v[84:87], off, off offset:24
	;; [unrolled: 1-line block ×9, first 2 shown]
	v_lshl_add_u64 v[128:129], v[40:41], 3, s[2:3]
	v_lshl_add_u64 v[40:41], v[78:79], 3, s[2:3]
	;; [unrolled: 1-line block ×3, first 2 shown]
	s_wait_xcnt 0xa
	v_lshl_add_u64 v[0:1], v[118:119], 3, s[2:3]
	scratch_load_b128 v[116:119], off, off offset:152
	s_wait_loadcnt 0xa
	global_store_b64 v[4:5], v[154:155], off
	v_lshl_add_u64 v[2:3], v[120:121], 3, s[2:3]
	s_wait_loadcnt 0x9
	s_clause 0x1
	global_store_b64 v[6:7], v[80:81], off
	global_store_b64 v[160:161], v[82:83], off
	s_clause 0x1
	scratch_load_b128 v[4:7], off, off offset:168
	scratch_load_b128 v[80:83], off, off offset:184
	s_wait_loadcnt 0xa
	s_clause 0x1
	global_store_b64 v[156:157], v[84:85], off
	global_store_b64 v[158:159], v[86:87], off
	s_clause 0x1
	scratch_load_b128 v[84:87], off, off offset:200
	scratch_load_b128 v[154:157], off, off offset:216
	;; [unrolled: 7-line block ×9, first 2 shown]
	s_wait_loadcnt 0x12
	s_clause 0x1
	global_store_b64 v[122:123], v[116:117], off
	global_store_b64 v[124:125], v[118:119], off
	scratch_load_b128 v[116:119], off, off offset:456
	s_wait_loadcnt 0x12
	s_clause 0x1
	global_store_b64 v[8:9], v[4:5], off
	global_store_b64 v[10:11], v[6:7], off
	s_wait_loadcnt 0x11
	s_clause 0x1
	global_store_b64 v[12:13], v[80:81], off
	global_store_b64 v[14:15], v[82:83], off
	;; [unrolled: 4-line block ×19, first 2 shown]
	s_sendmsg sendmsg(MSG_DEALLOC_VGPRS)
	s_endpgm
	.section	.rodata,"a",@progbits
	.p2align	6, 0x0
	.amdhsa_kernel _ZN9rocsolver6v33100L18getri_kernel_smallILi59EdPdEEvT1_iilPiilS4_bb
		.amdhsa_group_segment_fixed_size 952
		.amdhsa_private_segment_fixed_size 480
		.amdhsa_kernarg_size 60
		.amdhsa_user_sgpr_count 2
		.amdhsa_user_sgpr_dispatch_ptr 0
		.amdhsa_user_sgpr_queue_ptr 0
		.amdhsa_user_sgpr_kernarg_segment_ptr 1
		.amdhsa_user_sgpr_dispatch_id 0
		.amdhsa_user_sgpr_kernarg_preload_length 0
		.amdhsa_user_sgpr_kernarg_preload_offset 0
		.amdhsa_user_sgpr_private_segment_size 0
		.amdhsa_wavefront_size32 1
		.amdhsa_uses_dynamic_stack 0
		.amdhsa_enable_private_segment 1
		.amdhsa_system_sgpr_workgroup_id_x 1
		.amdhsa_system_sgpr_workgroup_id_y 0
		.amdhsa_system_sgpr_workgroup_id_z 0
		.amdhsa_system_sgpr_workgroup_info 0
		.amdhsa_system_vgpr_workitem_id 0
		.amdhsa_next_free_vgpr 170
		.amdhsa_next_free_sgpr 21
		.amdhsa_named_barrier_count 0
		.amdhsa_reserve_vcc 1
		.amdhsa_float_round_mode_32 0
		.amdhsa_float_round_mode_16_64 0
		.amdhsa_float_denorm_mode_32 3
		.amdhsa_float_denorm_mode_16_64 3
		.amdhsa_fp16_overflow 0
		.amdhsa_memory_ordered 1
		.amdhsa_forward_progress 1
		.amdhsa_inst_pref_size 255
		.amdhsa_round_robin_scheduling 0
		.amdhsa_exception_fp_ieee_invalid_op 0
		.amdhsa_exception_fp_denorm_src 0
		.amdhsa_exception_fp_ieee_div_zero 0
		.amdhsa_exception_fp_ieee_overflow 0
		.amdhsa_exception_fp_ieee_underflow 0
		.amdhsa_exception_fp_ieee_inexact 0
		.amdhsa_exception_int_div_zero 0
	.end_amdhsa_kernel
	.section	.text._ZN9rocsolver6v33100L18getri_kernel_smallILi59EdPdEEvT1_iilPiilS4_bb,"axG",@progbits,_ZN9rocsolver6v33100L18getri_kernel_smallILi59EdPdEEvT1_iilPiilS4_bb,comdat
.Lfunc_end58:
	.size	_ZN9rocsolver6v33100L18getri_kernel_smallILi59EdPdEEvT1_iilPiilS4_bb, .Lfunc_end58-_ZN9rocsolver6v33100L18getri_kernel_smallILi59EdPdEEvT1_iilPiilS4_bb
                                        ; -- End function
	.set _ZN9rocsolver6v33100L18getri_kernel_smallILi59EdPdEEvT1_iilPiilS4_bb.num_vgpr, 170
	.set _ZN9rocsolver6v33100L18getri_kernel_smallILi59EdPdEEvT1_iilPiilS4_bb.num_agpr, 0
	.set _ZN9rocsolver6v33100L18getri_kernel_smallILi59EdPdEEvT1_iilPiilS4_bb.numbered_sgpr, 21
	.set _ZN9rocsolver6v33100L18getri_kernel_smallILi59EdPdEEvT1_iilPiilS4_bb.num_named_barrier, 0
	.set _ZN9rocsolver6v33100L18getri_kernel_smallILi59EdPdEEvT1_iilPiilS4_bb.private_seg_size, 480
	.set _ZN9rocsolver6v33100L18getri_kernel_smallILi59EdPdEEvT1_iilPiilS4_bb.uses_vcc, 1
	.set _ZN9rocsolver6v33100L18getri_kernel_smallILi59EdPdEEvT1_iilPiilS4_bb.uses_flat_scratch, 1
	.set _ZN9rocsolver6v33100L18getri_kernel_smallILi59EdPdEEvT1_iilPiilS4_bb.has_dyn_sized_stack, 0
	.set _ZN9rocsolver6v33100L18getri_kernel_smallILi59EdPdEEvT1_iilPiilS4_bb.has_recursion, 0
	.set _ZN9rocsolver6v33100L18getri_kernel_smallILi59EdPdEEvT1_iilPiilS4_bb.has_indirect_call, 0
	.section	.AMDGPU.csdata,"",@progbits
; Kernel info:
; codeLenInByte = 61228
; TotalNumSgprs: 23
; NumVgprs: 170
; ScratchSize: 480
; MemoryBound: 0
; FloatMode: 240
; IeeeMode: 1
; LDSByteSize: 952 bytes/workgroup (compile time only)
; SGPRBlocks: 0
; VGPRBlocks: 10
; NumSGPRsForWavesPerEU: 23
; NumVGPRsForWavesPerEU: 170
; NamedBarCnt: 0
; Occupancy: 5
; WaveLimiterHint : 1
; COMPUTE_PGM_RSRC2:SCRATCH_EN: 1
; COMPUTE_PGM_RSRC2:USER_SGPR: 2
; COMPUTE_PGM_RSRC2:TRAP_HANDLER: 0
; COMPUTE_PGM_RSRC2:TGID_X_EN: 1
; COMPUTE_PGM_RSRC2:TGID_Y_EN: 0
; COMPUTE_PGM_RSRC2:TGID_Z_EN: 0
; COMPUTE_PGM_RSRC2:TIDIG_COMP_CNT: 0
	.section	.text._ZN9rocsolver6v33100L18getri_kernel_smallILi60EdPdEEvT1_iilPiilS4_bb,"axG",@progbits,_ZN9rocsolver6v33100L18getri_kernel_smallILi60EdPdEEvT1_iilPiilS4_bb,comdat
	.globl	_ZN9rocsolver6v33100L18getri_kernel_smallILi60EdPdEEvT1_iilPiilS4_bb ; -- Begin function _ZN9rocsolver6v33100L18getri_kernel_smallILi60EdPdEEvT1_iilPiilS4_bb
	.p2align	8
	.type	_ZN9rocsolver6v33100L18getri_kernel_smallILi60EdPdEEvT1_iilPiilS4_bb,@function
_ZN9rocsolver6v33100L18getri_kernel_smallILi60EdPdEEvT1_iilPiilS4_bb: ; @_ZN9rocsolver6v33100L18getri_kernel_smallILi60EdPdEEvT1_iilPiilS4_bb
; %bb.0:
	s_mov_b32 s2, exec_lo
	v_cmpx_gt_u32_e32 60, v0
	s_cbranch_execz .LBB59_250
; %bb.1:
	s_clause 0x2
	s_load_b32 s2, s[0:1], 0x38
	s_load_b128 s[12:15], s[0:1], 0x10
	s_load_b128 s[4:7], s[0:1], 0x28
	s_getreg_b32 s9, hwreg(HW_REG_IB_STS2, 6, 4)
                                        ; implicit-def: $sgpr16_sgpr17
	s_wait_kmcnt 0x0
	s_bitcmp1_b32 s2, 8
	s_cselect_b32 s20, -1, 0
	s_bfe_u32 s3, ttmp6, 0x4000c
	s_and_b32 s8, ttmp6, 15
	s_add_co_i32 s3, s3, 1
	s_delay_alu instid0(SALU_CYCLE_1) | instskip(NEXT) | instid1(SALU_CYCLE_1)
	s_mul_i32 s3, ttmp9, s3
	s_add_co_i32 s8, s8, s3
	s_cmp_eq_u32 s9, 0
	s_cselect_b32 s18, ttmp9, s8
	s_bfe_u32 s2, s2, 0x10008
	s_ashr_i32 s19, s18, 31
	s_cmp_eq_u32 s2, 0
	s_cbranch_scc1 .LBB59_3
; %bb.2:
	s_load_b32 s2, s[0:1], 0x20
	s_mul_u64 s[4:5], s[4:5], s[18:19]
	s_delay_alu instid0(SALU_CYCLE_1) | instskip(NEXT) | instid1(SALU_CYCLE_1)
	s_lshl_b64 s[4:5], s[4:5], 2
	s_add_nc_u64 s[4:5], s[14:15], s[4:5]
	s_wait_kmcnt 0x0
	s_ashr_i32 s3, s2, 31
	s_delay_alu instid0(SALU_CYCLE_1) | instskip(NEXT) | instid1(SALU_CYCLE_1)
	s_lshl_b64 s[2:3], s[2:3], 2
	s_add_nc_u64 s[16:17], s[4:5], s[2:3]
.LBB59_3:
	s_clause 0x1
	s_load_b128 s[8:11], s[0:1], 0x0
	s_load_b32 s4, s[0:1], 0x38
	s_wait_xcnt 0x0
	s_mul_u64 s[0:1], s[12:13], s[18:19]
	v_mov_b32_e32 v3, 0
	s_lshl_b64 s[0:1], s[0:1], 3
	s_wait_kmcnt 0x0
	v_add3_u32 v8, s11, s11, v0
	s_ashr_i32 s3, s10, 31
	s_mov_b32 s2, s10
	s_add_nc_u64 s[0:1], s[8:9], s[0:1]
	s_lshl_b64 s[2:3], s[2:3], 3
	v_add_nc_u32_e32 v10, s11, v8
	v_lshlrev_b32_e32 v2, 3, v0
	s_add_nc_u64 s[2:3], s[0:1], s[2:3]
	s_ashr_i32 s1, s11, 31
	s_mov_b32 s0, s11
	v_add_nc_u32_e32 v12, s11, v10
	v_add_nc_u64_e32 v[4:5], s[2:3], v[2:3]
	s_bitcmp0_b32 s4, 0
	s_delay_alu instid0(VALU_DEP_2) | instskip(NEXT) | instid1(VALU_DEP_2)
	v_add_nc_u32_e32 v14, s11, v12
	v_lshl_add_u64 v[6:7], s[0:1], 3, v[4:5]
	s_mov_b32 s1, -1
	s_delay_alu instid0(VALU_DEP_2) | instskip(SKIP_4) | instid1(VALU_DEP_1)
	v_add_nc_u32_e32 v16, s11, v14
	s_clause 0x1
	global_load_b64 v[88:89], v0, s[2:3] scale_offset
	global_load_b64 v[90:91], v[6:7], off
	v_add_nc_u32_e32 v18, s11, v16
	v_add_nc_u32_e32 v20, s11, v18
	s_clause 0x3
	global_load_b64 v[92:93], v8, s[2:3] scale_offset
	global_load_b64 v[94:95], v10, s[2:3] scale_offset
	;; [unrolled: 1-line block ×4, first 2 shown]
	v_add_nc_u32_e32 v22, s11, v20
	s_delay_alu instid0(VALU_DEP_1)
	v_add_nc_u32_e32 v24, s11, v22
	s_clause 0x3
	global_load_b64 v[100:101], v16, s[2:3] scale_offset
	global_load_b64 v[102:103], v18, s[2:3] scale_offset
	global_load_b64 v[104:105], v20, s[2:3] scale_offset
	global_load_b64 v[106:107], v22, s[2:3] scale_offset
	v_add_nc_u32_e32 v26, s11, v24
	s_delay_alu instid0(VALU_DEP_1) | instskip(NEXT) | instid1(VALU_DEP_1)
	v_add_nc_u32_e32 v28, s11, v26
	v_add_nc_u32_e32 v30, s11, v28
	s_delay_alu instid0(VALU_DEP_1) | instskip(SKIP_4) | instid1(VALU_DEP_1)
	v_add_nc_u32_e32 v32, s11, v30
	s_clause 0x1
	global_load_b64 v[108:109], v24, s[2:3] scale_offset
	global_load_b64 v[110:111], v26, s[2:3] scale_offset
	v_add_nc_u32_e32 v34, s11, v32
	v_add_nc_u32_e32 v36, s11, v34
	s_clause 0x3
	global_load_b64 v[112:113], v28, s[2:3] scale_offset
	global_load_b64 v[114:115], v30, s[2:3] scale_offset
	global_load_b64 v[116:117], v32, s[2:3] scale_offset
	global_load_b64 v[118:119], v34, s[2:3] scale_offset
	v_add_nc_u32_e32 v38, s11, v36
	s_delay_alu instid0(VALU_DEP_1) | instskip(NEXT) | instid1(VALU_DEP_1)
	v_add_nc_u32_e32 v40, s11, v38
	v_add_nc_u32_e32 v42, s11, v40
	s_delay_alu instid0(VALU_DEP_1) | instskip(SKIP_4) | instid1(VALU_DEP_1)
	v_add_nc_u32_e32 v44, s11, v42
	s_clause 0x1
	global_load_b64 v[120:121], v36, s[2:3] scale_offset
	global_load_b64 v[122:123], v38, s[2:3] scale_offset
	v_add_nc_u32_e32 v46, s11, v44
	;; [unrolled: 16-line block ×3, first 2 shown]
	v_add_nc_u32_e32 v60, s11, v58
	s_clause 0x1
	global_load_b64 v[136:137], v52, s[2:3] scale_offset
	global_load_b64 v[138:139], v54, s[2:3] scale_offset
	v_add_nc_u32_e32 v62, s11, v60
	s_delay_alu instid0(VALU_DEP_1) | instskip(NEXT) | instid1(VALU_DEP_1)
	v_add_nc_u32_e32 v64, s11, v62
	v_add_nc_u32_e32 v66, s11, v64
	s_delay_alu instid0(VALU_DEP_1)
	v_add_nc_u32_e32 v68, s11, v66
	s_clause 0x3
	global_load_b64 v[140:141], v56, s[2:3] scale_offset
	global_load_b64 v[142:143], v58, s[2:3] scale_offset
	;; [unrolled: 1-line block ×4, first 2 shown]
	v_add_nc_u32_e32 v70, s11, v68
	s_delay_alu instid0(VALU_DEP_1)
	v_add_nc_u32_e32 v72, s11, v70
	s_clause 0x3
	global_load_b64 v[148:149], v64, s[2:3] scale_offset
	global_load_b64 v[150:151], v66, s[2:3] scale_offset
	;; [unrolled: 1-line block ×4, first 2 shown]
	s_wait_loadcnt 0x20
	scratch_store_b128 off, v[88:91], off
	s_wait_loadcnt 0x1e
	scratch_store_b128 off, v[92:95], off offset:16
	v_add_nc_u32_e32 v74, s11, v72
	s_delay_alu instid0(VALU_DEP_1) | instskip(NEXT) | instid1(VALU_DEP_1)
	v_add_nc_u32_e32 v76, s11, v74
	v_add_nc_u32_e32 v78, s11, v76
	s_delay_alu instid0(VALU_DEP_1) | instskip(NEXT) | instid1(VALU_DEP_1)
	v_add_nc_u32_e32 v80, s11, v78
	v_add_nc_u32_e32 v82, s11, v80
	s_delay_alu instid0(VALU_DEP_1)
	v_add_nc_u32_e32 v84, s11, v82
	s_clause 0x3
	global_load_b64 v[156:157], v72, s[2:3] scale_offset
	global_load_b64 v[158:159], v74, s[2:3] scale_offset
	;; [unrolled: 1-line block ×4, first 2 shown]
	s_wait_loadcnt 0x20
	scratch_store_b128 off, v[96:99], off offset:32
	s_wait_loadcnt 0x1e
	scratch_store_b128 off, v[100:103], off offset:48
	;; [unrolled: 2-line block ×3, first 2 shown]
	v_add_nc_u32_e32 v86, s11, v84
	s_wait_xcnt 0x8
	s_delay_alu instid0(VALU_DEP_1) | instskip(NEXT) | instid1(VALU_DEP_1)
	v_add_nc_u32_e32 v88, s11, v86
	v_add_nc_u32_e32 v90, s11, v88
	s_wait_xcnt 0x7
	s_delay_alu instid0(VALU_DEP_1)
	v_add_nc_u32_e32 v92, s11, v90
	s_clause 0x3
	global_load_b64 v[164:165], v80, s[2:3] scale_offset
	global_load_b64 v[166:167], v82, s[2:3] scale_offset
	;; [unrolled: 1-line block ×4, first 2 shown]
	s_wait_loadcnt 0x1e
	scratch_store_b128 off, v[108:111], off offset:80
	v_add_nc_u32_e32 v94, s11, v92
	s_wait_xcnt 0x7
	s_delay_alu instid0(VALU_DEP_1)
	v_add_nc_u32_e32 v96, s11, v94
	s_clause 0x1
	global_load_b64 v[172:173], v88, s[2:3] scale_offset
	global_load_b64 v[174:175], v90, s[2:3] scale_offset
	s_wait_loadcnt 0x1e
	scratch_store_b128 off, v[112:115], off offset:96
	s_wait_loadcnt 0x1c
	scratch_store_b128 off, v[116:119], off offset:112
	v_add_nc_u32_e32 v98, s11, v96
	s_wait_loadcnt 0x1a
	scratch_store_b128 off, v[120:123], off offset:128
	s_wait_xcnt 0xb
	v_add_nc_u32_e32 v100, s11, v98
	s_delay_alu instid0(VALU_DEP_1)
	v_add_nc_u32_e32 v102, s11, v100
	s_wait_loadcnt 0x18
	scratch_store_b128 off, v[124:127], off offset:144
	s_wait_loadcnt 0x16
	scratch_store_b128 off, v[128:131], off offset:160
	s_wait_xcnt 0xc
	v_add_nc_u32_e32 v104, s11, v102
	s_delay_alu instid0(VALU_DEP_1) | instskip(SKIP_1) | instid1(VALU_DEP_1)
	v_add_nc_u32_e32 v106, s11, v104
	s_wait_xcnt 0x7
	v_add_nc_u32_e32 v108, s11, v106
	s_delay_alu instid0(VALU_DEP_1) | instskip(SKIP_4) | instid1(VALU_DEP_1)
	v_add_nc_u32_e32 v110, s11, v108
	s_wait_loadcnt 0x14
	scratch_store_b128 off, v[132:135], off offset:176
	s_wait_xcnt 0x5
	v_add_nc_u32_e32 v112, s11, v110
	v_add_nc_u32_e32 v114, s11, v112
	s_wait_loadcnt 0x12
	scratch_store_b128 off, v[136:139], off offset:192
	s_wait_xcnt 0x5
	v_add_nc_u32_e32 v116, s11, v114
	s_delay_alu instid0(VALU_DEP_1) | instskip(SKIP_1) | instid1(VALU_DEP_1)
	v_add_nc_u32_e32 v118, s11, v116
	s_wait_xcnt 0x4
	v_add_nc_u32_e32 v120, s11, v118
	s_wait_loadcnt 0x10
	scratch_store_b128 off, v[140:143], off offset:208
	s_clause 0x1
	global_load_b64 v[124:125], v92, s[2:3] scale_offset
	global_load_b64 v[126:127], v94, s[2:3] scale_offset
	v_add_nc_u32_e32 v122, s11, v120
	s_wait_loadcnt 0x10
	scratch_store_b128 off, v[144:147], off offset:224
	s_wait_loadcnt 0xe
	scratch_store_b128 off, v[148:151], off offset:240
	s_clause 0x3
	global_load_b64 v[128:129], v96, s[2:3] scale_offset
	global_load_b64 v[130:131], v98, s[2:3] scale_offset
	;; [unrolled: 1-line block ×4, first 2 shown]
	s_wait_loadcnt 0x10
	scratch_store_b128 off, v[152:155], off offset:256
	s_wait_loadcnt 0xe
	scratch_store_b128 off, v[156:159], off offset:272
	;; [unrolled: 2-line block ×3, first 2 shown]
	s_clause 0x3
	global_load_b64 v[136:137], v104, s[2:3] scale_offset
	global_load_b64 v[138:139], v106, s[2:3] scale_offset
	;; [unrolled: 1-line block ×4, first 2 shown]
	s_wait_loadcnt 0xe
	scratch_store_b128 off, v[164:167], off offset:304
	s_wait_loadcnt 0xc
	scratch_store_b128 off, v[168:171], off offset:320
	s_clause 0x3
	global_load_b64 v[144:145], v112, s[2:3] scale_offset
	global_load_b64 v[146:147], v114, s[2:3] scale_offset
	;; [unrolled: 1-line block ×4, first 2 shown]
	s_wait_loadcnt 0xe
	scratch_store_b128 off, v[172:175], off offset:336
	s_clause 0x1
	global_load_b64 v[152:153], v120, s[2:3] scale_offset
	global_load_b64 v[154:155], v122, s[2:3] scale_offset
	s_wait_loadcnt 0xe
	scratch_store_b128 off, v[124:127], off offset:352
	s_wait_loadcnt 0xc
	scratch_store_b128 off, v[128:131], off offset:368
	;; [unrolled: 2-line block ×8, first 2 shown]
	s_cbranch_scc1 .LBB59_248
; %bb.4:
	v_cmp_eq_u32_e64 s0, 0, v0
	s_wait_xcnt 0x0
	s_and_saveexec_b32 s1, s0
; %bb.5:
	v_mov_b32_e32 v1, 0
	ds_store_b32 v1, v1 offset:960
; %bb.6:
	s_or_b32 exec_lo, exec_lo, s1
	s_wait_storecnt_dscnt 0x0
	s_barrier_signal -1
	s_barrier_wait -1
	scratch_load_b64 v[124:125], v0, off scale_offset
	s_mov_b32 s4, exec_lo
	s_wait_loadcnt 0x0
	v_cmpx_eq_f64_e32 0, v[124:125]
	s_cbranch_execz .LBB59_10
; %bb.7:
	v_mov_b32_e32 v1, 0
	s_mov_b32 s5, 0
	ds_load_b32 v3, v1 offset:960
	s_wait_dscnt 0x0
	v_readfirstlane_b32 s1, v3
	v_add_nc_u32_e32 v3, 1, v0
	s_cmp_eq_u32 s1, 0
	s_delay_alu instid0(VALU_DEP_1) | instskip(SKIP_1) | instid1(SALU_CYCLE_1)
	v_cmp_gt_i32_e32 vcc_lo, s1, v3
	s_cselect_b32 s8, -1, 0
	s_or_b32 s8, s8, vcc_lo
	s_delay_alu instid0(SALU_CYCLE_1)
	s_and_b32 exec_lo, exec_lo, s8
	s_cbranch_execz .LBB59_10
; %bb.8:
	v_mov_b32_e32 v9, s1
.LBB59_9:                               ; =>This Inner Loop Header: Depth=1
	ds_cmpstore_rtn_b32 v9, v1, v3, v9 offset:960
	s_wait_dscnt 0x0
	v_cmp_ne_u32_e32 vcc_lo, 0, v9
	v_cmp_le_i32_e64 s1, v9, v3
	s_and_b32 s1, vcc_lo, s1
	s_delay_alu instid0(SALU_CYCLE_1) | instskip(NEXT) | instid1(SALU_CYCLE_1)
	s_and_b32 s1, exec_lo, s1
	s_or_b32 s5, s1, s5
	s_delay_alu instid0(SALU_CYCLE_1)
	s_and_not1_b32 exec_lo, exec_lo, s5
	s_cbranch_execnz .LBB59_9
.LBB59_10:
	s_or_b32 exec_lo, exec_lo, s4
	v_mov_b32_e32 v1, 0
	s_barrier_signal -1
	s_barrier_wait -1
	ds_load_b32 v3, v1 offset:960
	s_and_saveexec_b32 s1, s0
	s_cbranch_execz .LBB59_12
; %bb.11:
	s_lshl_b64 s[4:5], s[18:19], 2
	s_delay_alu instid0(SALU_CYCLE_1)
	s_add_nc_u64 s[4:5], s[6:7], s[4:5]
	s_wait_dscnt 0x0
	global_store_b32 v1, v3, s[4:5]
.LBB59_12:
	s_wait_xcnt 0x0
	s_or_b32 exec_lo, exec_lo, s1
	s_wait_dscnt 0x0
	v_cmp_ne_u32_e32 vcc_lo, 0, v3
	s_mov_b32 s1, 0
	s_cbranch_vccnz .LBB59_248
; %bb.13:
	v_lshl_add_u32 v3, v0, 3, 0
	v_add_nc_u32_e32 v1, 0x1e0, v2
	scratch_load_b64 v[124:125], v3, off
	s_wait_loadcnt 0x0
	v_div_scale_f64 v[126:127], null, v[124:125], v[124:125], 1.0
	v_div_scale_f64 v[132:133], vcc_lo, 1.0, v[124:125], 1.0
	s_delay_alu instid0(VALU_DEP_2) | instskip(SKIP_1) | instid1(TRANS32_DEP_1)
	v_rcp_f64_e32 v[128:129], v[126:127]
	v_nop
	v_fma_f64 v[130:131], -v[126:127], v[128:129], 1.0
	s_delay_alu instid0(VALU_DEP_1) | instskip(NEXT) | instid1(VALU_DEP_1)
	v_fmac_f64_e32 v[128:129], v[128:129], v[130:131]
	v_fma_f64 v[130:131], -v[126:127], v[128:129], 1.0
	s_delay_alu instid0(VALU_DEP_1) | instskip(NEXT) | instid1(VALU_DEP_1)
	v_fmac_f64_e32 v[128:129], v[128:129], v[130:131]
	v_mul_f64_e32 v[130:131], v[132:133], v[128:129]
	s_delay_alu instid0(VALU_DEP_1) | instskip(NEXT) | instid1(VALU_DEP_1)
	v_fma_f64 v[126:127], -v[126:127], v[130:131], v[132:133]
	v_div_fmas_f64 v[126:127], v[126:127], v[128:129], v[130:131]
	s_delay_alu instid0(VALU_DEP_1)
	v_div_fixup_f64 v[124:125], v[126:127], v[124:125], 1.0
	scratch_store_b64 v3, v[124:125], off
	scratch_load_b64 v[126:127], off, off offset:8
	s_wait_xcnt 0x1
	v_xor_b32_e32 v125, 0x80000000, v125
	s_wait_loadcnt 0x0
	ds_store_2addr_b64 v2, v[124:125], v[126:127] offset1:60
	s_wait_storecnt_dscnt 0x0
	s_barrier_signal -1
	s_barrier_wait -1
	s_wait_xcnt 0x0
	s_and_saveexec_b32 s1, s0
	s_cbranch_execz .LBB59_15
; %bb.14:
	scratch_load_b64 v[124:125], v3, off
	ds_load_b64 v[126:127], v1
	s_wait_loadcnt_dscnt 0x0
	v_fma_f64 v[124:125], v[124:125], v[126:127], 0
	v_mov_b32_e32 v9, 0
	ds_load_b64 v[128:129], v9 offset:8
	s_wait_dscnt 0x0
	v_mul_f64_e32 v[124:125], v[124:125], v[128:129]
	scratch_store_b64 off, v[124:125], off offset:8
.LBB59_15:
	s_wait_xcnt 0x0
	s_or_b32 exec_lo, exec_lo, s1
	s_wait_storecnt 0x0
	s_barrier_signal -1
	s_barrier_wait -1
	scratch_load_b64 v[124:125], off, off offset:16
	s_mov_b32 s1, exec_lo
	s_wait_loadcnt 0x0
	ds_store_b64 v1, v[124:125]
	s_wait_dscnt 0x0
	s_barrier_signal -1
	s_barrier_wait -1
	v_cmpx_gt_u32_e32 2, v0
	s_cbranch_execz .LBB59_19
; %bb.16:
	scratch_load_b64 v[124:125], v3, off
	ds_load_b64 v[126:127], v1
	s_wait_loadcnt_dscnt 0x0
	v_fma_f64 v[124:125], v[124:125], v[126:127], 0
	s_and_saveexec_b32 s4, s0
	s_cbranch_execz .LBB59_18
; %bb.17:
	scratch_load_b64 v[126:127], off, off offset:8
	v_mov_b32_e32 v3, 0
	ds_load_b64 v[128:129], v3 offset:488
	s_wait_loadcnt_dscnt 0x0
	v_fmac_f64_e32 v[124:125], v[126:127], v[128:129]
.LBB59_18:
	s_or_b32 exec_lo, exec_lo, s4
	v_mov_b32_e32 v3, 0
	ds_load_b64 v[126:127], v3 offset:16
	s_wait_dscnt 0x0
	v_mul_f64_e32 v[124:125], v[124:125], v[126:127]
	scratch_store_b64 off, v[124:125], off offset:16
.LBB59_19:
	s_wait_xcnt 0x0
	s_or_b32 exec_lo, exec_lo, s1
	s_wait_storecnt 0x0
	s_barrier_signal -1
	s_barrier_wait -1
	scratch_load_b64 v[124:125], off, off offset:24
	v_add_nc_u32_e32 v3, -1, v0
	s_mov_b32 s0, exec_lo
	s_wait_loadcnt 0x0
	ds_store_b64 v1, v[124:125]
	s_wait_dscnt 0x0
	s_barrier_signal -1
	s_barrier_wait -1
	v_cmpx_gt_u32_e32 3, v0
	s_cbranch_execz .LBB59_23
; %bb.20:
	v_mov_b64_e32 v[124:125], 0
	v_dual_add_nc_u32 v9, -1, v0 :: v_dual_mov_b32 v13, v2
	v_add_nc_u32_e32 v11, 0x1e0, v2
	s_mov_b32 s1, 0
.LBB59_21:                              ; =>This Inner Loop Header: Depth=1
	scratch_load_b64 v[126:127], v13, off
	ds_load_b64 v[128:129], v11
	v_dual_add_nc_u32 v9, 1, v9 :: v_dual_add_nc_u32 v11, 8, v11
	s_wait_xcnt 0x0
	v_add_nc_u32_e32 v13, 8, v13
	s_delay_alu instid0(VALU_DEP_2)
	v_cmp_lt_u32_e32 vcc_lo, 1, v9
	s_or_b32 s1, vcc_lo, s1
	s_wait_loadcnt_dscnt 0x0
	v_fmac_f64_e32 v[124:125], v[126:127], v[128:129]
	s_and_not1_b32 exec_lo, exec_lo, s1
	s_cbranch_execnz .LBB59_21
; %bb.22:
	s_or_b32 exec_lo, exec_lo, s1
	v_mov_b32_e32 v9, 0
	ds_load_b64 v[126:127], v9 offset:24
	s_wait_dscnt 0x0
	v_mul_f64_e32 v[124:125], v[124:125], v[126:127]
	scratch_store_b64 off, v[124:125], off offset:24
.LBB59_23:
	s_wait_xcnt 0x0
	s_or_b32 exec_lo, exec_lo, s0
	s_wait_storecnt 0x0
	s_barrier_signal -1
	s_barrier_wait -1
	scratch_load_b64 v[124:125], off, off offset:32
	s_mov_b32 s0, exec_lo
	s_wait_loadcnt 0x0
	ds_store_b64 v1, v[124:125]
	s_wait_dscnt 0x0
	s_barrier_signal -1
	s_barrier_wait -1
	v_cmpx_gt_u32_e32 4, v0
	s_cbranch_execz .LBB59_27
; %bb.24:
	v_mov_b64_e32 v[124:125], 0
	v_dual_add_nc_u32 v9, -1, v0 :: v_dual_mov_b32 v13, v2
	v_add_nc_u32_e32 v11, 0x1e0, v2
	s_mov_b32 s1, 0
.LBB59_25:                              ; =>This Inner Loop Header: Depth=1
	scratch_load_b64 v[126:127], v13, off
	ds_load_b64 v[128:129], v11
	v_dual_add_nc_u32 v9, 1, v9 :: v_dual_add_nc_u32 v11, 8, v11
	s_wait_xcnt 0x0
	v_add_nc_u32_e32 v13, 8, v13
	s_delay_alu instid0(VALU_DEP_2)
	v_cmp_lt_u32_e32 vcc_lo, 2, v9
	s_or_b32 s1, vcc_lo, s1
	s_wait_loadcnt_dscnt 0x0
	v_fmac_f64_e32 v[124:125], v[126:127], v[128:129]
	s_and_not1_b32 exec_lo, exec_lo, s1
	s_cbranch_execnz .LBB59_25
; %bb.26:
	s_or_b32 exec_lo, exec_lo, s1
	v_mov_b32_e32 v9, 0
	ds_load_b64 v[126:127], v9 offset:32
	s_wait_dscnt 0x0
	v_mul_f64_e32 v[124:125], v[124:125], v[126:127]
	scratch_store_b64 off, v[124:125], off offset:32
.LBB59_27:
	s_wait_xcnt 0x0
	s_or_b32 exec_lo, exec_lo, s0
	s_wait_storecnt 0x0
	s_barrier_signal -1
	s_barrier_wait -1
	scratch_load_b64 v[124:125], off, off offset:40
	s_mov_b32 s0, exec_lo
	s_wait_loadcnt 0x0
	ds_store_b64 v1, v[124:125]
	s_wait_dscnt 0x0
	s_barrier_signal -1
	s_barrier_wait -1
	v_cmpx_gt_u32_e32 5, v0
	s_cbranch_execz .LBB59_31
; %bb.28:
	v_mov_b64_e32 v[124:125], 0
	v_dual_add_nc_u32 v9, -1, v0 :: v_dual_mov_b32 v13, v2
	v_add_nc_u32_e32 v11, 0x1e0, v2
	s_mov_b32 s1, 0
.LBB59_29:                              ; =>This Inner Loop Header: Depth=1
	scratch_load_b64 v[126:127], v13, off
	ds_load_b64 v[128:129], v11
	v_dual_add_nc_u32 v9, 1, v9 :: v_dual_add_nc_u32 v11, 8, v11
	s_wait_xcnt 0x0
	v_add_nc_u32_e32 v13, 8, v13
	s_delay_alu instid0(VALU_DEP_2)
	v_cmp_lt_u32_e32 vcc_lo, 3, v9
	s_or_b32 s1, vcc_lo, s1
	s_wait_loadcnt_dscnt 0x0
	v_fmac_f64_e32 v[124:125], v[126:127], v[128:129]
	s_and_not1_b32 exec_lo, exec_lo, s1
	s_cbranch_execnz .LBB59_29
; %bb.30:
	s_or_b32 exec_lo, exec_lo, s1
	v_mov_b32_e32 v9, 0
	ds_load_b64 v[126:127], v9 offset:40
	s_wait_dscnt 0x0
	v_mul_f64_e32 v[124:125], v[124:125], v[126:127]
	scratch_store_b64 off, v[124:125], off offset:40
.LBB59_31:
	s_wait_xcnt 0x0
	s_or_b32 exec_lo, exec_lo, s0
	s_wait_storecnt 0x0
	s_barrier_signal -1
	s_barrier_wait -1
	scratch_load_b64 v[124:125], off, off offset:48
	s_mov_b32 s0, exec_lo
	s_wait_loadcnt 0x0
	ds_store_b64 v1, v[124:125]
	s_wait_dscnt 0x0
	s_barrier_signal -1
	s_barrier_wait -1
	v_cmpx_gt_u32_e32 6, v0
	s_cbranch_execz .LBB59_35
; %bb.32:
	v_mov_b64_e32 v[124:125], 0
	v_dual_add_nc_u32 v9, -1, v0 :: v_dual_mov_b32 v13, v2
	v_add_nc_u32_e32 v11, 0x1e0, v2
	s_mov_b32 s1, 0
.LBB59_33:                              ; =>This Inner Loop Header: Depth=1
	scratch_load_b64 v[126:127], v13, off
	ds_load_b64 v[128:129], v11
	v_dual_add_nc_u32 v9, 1, v9 :: v_dual_add_nc_u32 v11, 8, v11
	s_wait_xcnt 0x0
	v_add_nc_u32_e32 v13, 8, v13
	s_delay_alu instid0(VALU_DEP_2)
	v_cmp_lt_u32_e32 vcc_lo, 4, v9
	s_or_b32 s1, vcc_lo, s1
	s_wait_loadcnt_dscnt 0x0
	v_fmac_f64_e32 v[124:125], v[126:127], v[128:129]
	s_and_not1_b32 exec_lo, exec_lo, s1
	s_cbranch_execnz .LBB59_33
; %bb.34:
	s_or_b32 exec_lo, exec_lo, s1
	v_mov_b32_e32 v9, 0
	ds_load_b64 v[126:127], v9 offset:48
	s_wait_dscnt 0x0
	v_mul_f64_e32 v[124:125], v[124:125], v[126:127]
	scratch_store_b64 off, v[124:125], off offset:48
.LBB59_35:
	s_wait_xcnt 0x0
	s_or_b32 exec_lo, exec_lo, s0
	s_wait_storecnt 0x0
	s_barrier_signal -1
	s_barrier_wait -1
	scratch_load_b64 v[124:125], off, off offset:56
	s_mov_b32 s0, exec_lo
	s_wait_loadcnt 0x0
	ds_store_b64 v1, v[124:125]
	s_wait_dscnt 0x0
	s_barrier_signal -1
	s_barrier_wait -1
	v_cmpx_gt_u32_e32 7, v0
	s_cbranch_execz .LBB59_39
; %bb.36:
	v_mov_b64_e32 v[124:125], 0
	v_dual_add_nc_u32 v9, -1, v0 :: v_dual_mov_b32 v13, v2
	v_add_nc_u32_e32 v11, 0x1e0, v2
	s_mov_b32 s1, 0
.LBB59_37:                              ; =>This Inner Loop Header: Depth=1
	scratch_load_b64 v[126:127], v13, off
	ds_load_b64 v[128:129], v11
	v_dual_add_nc_u32 v9, 1, v9 :: v_dual_add_nc_u32 v11, 8, v11
	s_wait_xcnt 0x0
	v_add_nc_u32_e32 v13, 8, v13
	s_delay_alu instid0(VALU_DEP_2)
	v_cmp_lt_u32_e32 vcc_lo, 5, v9
	s_or_b32 s1, vcc_lo, s1
	s_wait_loadcnt_dscnt 0x0
	v_fmac_f64_e32 v[124:125], v[126:127], v[128:129]
	s_and_not1_b32 exec_lo, exec_lo, s1
	s_cbranch_execnz .LBB59_37
; %bb.38:
	s_or_b32 exec_lo, exec_lo, s1
	v_mov_b32_e32 v9, 0
	ds_load_b64 v[126:127], v9 offset:56
	s_wait_dscnt 0x0
	v_mul_f64_e32 v[124:125], v[124:125], v[126:127]
	scratch_store_b64 off, v[124:125], off offset:56
.LBB59_39:
	s_wait_xcnt 0x0
	s_or_b32 exec_lo, exec_lo, s0
	s_wait_storecnt 0x0
	s_barrier_signal -1
	s_barrier_wait -1
	scratch_load_b64 v[124:125], off, off offset:64
	s_mov_b32 s0, exec_lo
	s_wait_loadcnt 0x0
	ds_store_b64 v1, v[124:125]
	s_wait_dscnt 0x0
	s_barrier_signal -1
	s_barrier_wait -1
	v_cmpx_gt_u32_e32 8, v0
	s_cbranch_execz .LBB59_43
; %bb.40:
	v_mov_b64_e32 v[124:125], 0
	v_dual_add_nc_u32 v9, -1, v0 :: v_dual_mov_b32 v13, v2
	v_add_nc_u32_e32 v11, 0x1e0, v2
	s_mov_b32 s1, 0
.LBB59_41:                              ; =>This Inner Loop Header: Depth=1
	scratch_load_b64 v[126:127], v13, off
	ds_load_b64 v[128:129], v11
	v_dual_add_nc_u32 v9, 1, v9 :: v_dual_add_nc_u32 v11, 8, v11
	s_wait_xcnt 0x0
	v_add_nc_u32_e32 v13, 8, v13
	s_delay_alu instid0(VALU_DEP_2)
	v_cmp_lt_u32_e32 vcc_lo, 6, v9
	s_or_b32 s1, vcc_lo, s1
	s_wait_loadcnt_dscnt 0x0
	v_fmac_f64_e32 v[124:125], v[126:127], v[128:129]
	s_and_not1_b32 exec_lo, exec_lo, s1
	s_cbranch_execnz .LBB59_41
; %bb.42:
	s_or_b32 exec_lo, exec_lo, s1
	v_mov_b32_e32 v9, 0
	ds_load_b64 v[126:127], v9 offset:64
	s_wait_dscnt 0x0
	v_mul_f64_e32 v[124:125], v[124:125], v[126:127]
	scratch_store_b64 off, v[124:125], off offset:64
.LBB59_43:
	s_wait_xcnt 0x0
	s_or_b32 exec_lo, exec_lo, s0
	s_wait_storecnt 0x0
	s_barrier_signal -1
	s_barrier_wait -1
	scratch_load_b64 v[124:125], off, off offset:72
	s_mov_b32 s0, exec_lo
	s_wait_loadcnt 0x0
	ds_store_b64 v1, v[124:125]
	s_wait_dscnt 0x0
	s_barrier_signal -1
	s_barrier_wait -1
	v_cmpx_gt_u32_e32 9, v0
	s_cbranch_execz .LBB59_47
; %bb.44:
	v_mov_b64_e32 v[124:125], 0
	v_dual_add_nc_u32 v9, -1, v0 :: v_dual_mov_b32 v13, v2
	v_add_nc_u32_e32 v11, 0x1e0, v2
	s_mov_b32 s1, 0
.LBB59_45:                              ; =>This Inner Loop Header: Depth=1
	scratch_load_b64 v[126:127], v13, off
	ds_load_b64 v[128:129], v11
	v_dual_add_nc_u32 v9, 1, v9 :: v_dual_add_nc_u32 v11, 8, v11
	s_wait_xcnt 0x0
	v_add_nc_u32_e32 v13, 8, v13
	s_delay_alu instid0(VALU_DEP_2)
	v_cmp_lt_u32_e32 vcc_lo, 7, v9
	s_or_b32 s1, vcc_lo, s1
	s_wait_loadcnt_dscnt 0x0
	v_fmac_f64_e32 v[124:125], v[126:127], v[128:129]
	s_and_not1_b32 exec_lo, exec_lo, s1
	s_cbranch_execnz .LBB59_45
; %bb.46:
	s_or_b32 exec_lo, exec_lo, s1
	v_mov_b32_e32 v9, 0
	ds_load_b64 v[126:127], v9 offset:72
	s_wait_dscnt 0x0
	v_mul_f64_e32 v[124:125], v[124:125], v[126:127]
	scratch_store_b64 off, v[124:125], off offset:72
.LBB59_47:
	s_wait_xcnt 0x0
	s_or_b32 exec_lo, exec_lo, s0
	s_wait_storecnt 0x0
	s_barrier_signal -1
	s_barrier_wait -1
	scratch_load_b64 v[124:125], off, off offset:80
	s_mov_b32 s0, exec_lo
	s_wait_loadcnt 0x0
	ds_store_b64 v1, v[124:125]
	s_wait_dscnt 0x0
	s_barrier_signal -1
	s_barrier_wait -1
	v_cmpx_gt_u32_e32 10, v0
	s_cbranch_execz .LBB59_51
; %bb.48:
	v_mov_b64_e32 v[124:125], 0
	v_dual_add_nc_u32 v9, -1, v0 :: v_dual_mov_b32 v13, v2
	v_add_nc_u32_e32 v11, 0x1e0, v2
	s_mov_b32 s1, 0
.LBB59_49:                              ; =>This Inner Loop Header: Depth=1
	scratch_load_b64 v[126:127], v13, off
	ds_load_b64 v[128:129], v11
	v_dual_add_nc_u32 v9, 1, v9 :: v_dual_add_nc_u32 v11, 8, v11
	s_wait_xcnt 0x0
	v_add_nc_u32_e32 v13, 8, v13
	s_delay_alu instid0(VALU_DEP_2)
	v_cmp_lt_u32_e32 vcc_lo, 8, v9
	s_or_b32 s1, vcc_lo, s1
	s_wait_loadcnt_dscnt 0x0
	v_fmac_f64_e32 v[124:125], v[126:127], v[128:129]
	s_and_not1_b32 exec_lo, exec_lo, s1
	s_cbranch_execnz .LBB59_49
; %bb.50:
	s_or_b32 exec_lo, exec_lo, s1
	v_mov_b32_e32 v9, 0
	ds_load_b64 v[126:127], v9 offset:80
	s_wait_dscnt 0x0
	v_mul_f64_e32 v[124:125], v[124:125], v[126:127]
	scratch_store_b64 off, v[124:125], off offset:80
.LBB59_51:
	s_wait_xcnt 0x0
	s_or_b32 exec_lo, exec_lo, s0
	s_wait_storecnt 0x0
	s_barrier_signal -1
	s_barrier_wait -1
	scratch_load_b64 v[124:125], off, off offset:88
	s_mov_b32 s0, exec_lo
	s_wait_loadcnt 0x0
	ds_store_b64 v1, v[124:125]
	s_wait_dscnt 0x0
	s_barrier_signal -1
	s_barrier_wait -1
	v_cmpx_gt_u32_e32 11, v0
	s_cbranch_execz .LBB59_55
; %bb.52:
	v_mov_b64_e32 v[124:125], 0
	v_dual_add_nc_u32 v9, -1, v0 :: v_dual_mov_b32 v13, v2
	v_add_nc_u32_e32 v11, 0x1e0, v2
	s_mov_b32 s1, 0
.LBB59_53:                              ; =>This Inner Loop Header: Depth=1
	scratch_load_b64 v[126:127], v13, off
	ds_load_b64 v[128:129], v11
	v_dual_add_nc_u32 v9, 1, v9 :: v_dual_add_nc_u32 v11, 8, v11
	s_wait_xcnt 0x0
	v_add_nc_u32_e32 v13, 8, v13
	s_delay_alu instid0(VALU_DEP_2)
	v_cmp_lt_u32_e32 vcc_lo, 9, v9
	s_or_b32 s1, vcc_lo, s1
	s_wait_loadcnt_dscnt 0x0
	v_fmac_f64_e32 v[124:125], v[126:127], v[128:129]
	s_and_not1_b32 exec_lo, exec_lo, s1
	s_cbranch_execnz .LBB59_53
; %bb.54:
	s_or_b32 exec_lo, exec_lo, s1
	v_mov_b32_e32 v9, 0
	ds_load_b64 v[126:127], v9 offset:88
	s_wait_dscnt 0x0
	v_mul_f64_e32 v[124:125], v[124:125], v[126:127]
	scratch_store_b64 off, v[124:125], off offset:88
.LBB59_55:
	s_wait_xcnt 0x0
	s_or_b32 exec_lo, exec_lo, s0
	s_wait_storecnt 0x0
	s_barrier_signal -1
	s_barrier_wait -1
	scratch_load_b64 v[124:125], off, off offset:96
	s_mov_b32 s0, exec_lo
	s_wait_loadcnt 0x0
	ds_store_b64 v1, v[124:125]
	s_wait_dscnt 0x0
	s_barrier_signal -1
	s_barrier_wait -1
	v_cmpx_gt_u32_e32 12, v0
	s_cbranch_execz .LBB59_59
; %bb.56:
	v_mov_b64_e32 v[124:125], 0
	v_dual_add_nc_u32 v9, -1, v0 :: v_dual_mov_b32 v13, v2
	v_add_nc_u32_e32 v11, 0x1e0, v2
	s_mov_b32 s1, 0
.LBB59_57:                              ; =>This Inner Loop Header: Depth=1
	scratch_load_b64 v[126:127], v13, off
	ds_load_b64 v[128:129], v11
	v_dual_add_nc_u32 v9, 1, v9 :: v_dual_add_nc_u32 v11, 8, v11
	s_wait_xcnt 0x0
	v_add_nc_u32_e32 v13, 8, v13
	s_delay_alu instid0(VALU_DEP_2)
	v_cmp_lt_u32_e32 vcc_lo, 10, v9
	s_or_b32 s1, vcc_lo, s1
	s_wait_loadcnt_dscnt 0x0
	v_fmac_f64_e32 v[124:125], v[126:127], v[128:129]
	s_and_not1_b32 exec_lo, exec_lo, s1
	s_cbranch_execnz .LBB59_57
; %bb.58:
	s_or_b32 exec_lo, exec_lo, s1
	v_mov_b32_e32 v9, 0
	ds_load_b64 v[126:127], v9 offset:96
	s_wait_dscnt 0x0
	v_mul_f64_e32 v[124:125], v[124:125], v[126:127]
	scratch_store_b64 off, v[124:125], off offset:96
.LBB59_59:
	s_wait_xcnt 0x0
	s_or_b32 exec_lo, exec_lo, s0
	s_wait_storecnt 0x0
	s_barrier_signal -1
	s_barrier_wait -1
	scratch_load_b64 v[124:125], off, off offset:104
	s_mov_b32 s0, exec_lo
	s_wait_loadcnt 0x0
	ds_store_b64 v1, v[124:125]
	s_wait_dscnt 0x0
	s_barrier_signal -1
	s_barrier_wait -1
	v_cmpx_gt_u32_e32 13, v0
	s_cbranch_execz .LBB59_63
; %bb.60:
	v_mov_b64_e32 v[124:125], 0
	v_dual_add_nc_u32 v9, -1, v0 :: v_dual_mov_b32 v13, v2
	v_add_nc_u32_e32 v11, 0x1e0, v2
	s_mov_b32 s1, 0
.LBB59_61:                              ; =>This Inner Loop Header: Depth=1
	scratch_load_b64 v[126:127], v13, off
	ds_load_b64 v[128:129], v11
	v_dual_add_nc_u32 v9, 1, v9 :: v_dual_add_nc_u32 v11, 8, v11
	s_wait_xcnt 0x0
	v_add_nc_u32_e32 v13, 8, v13
	s_delay_alu instid0(VALU_DEP_2)
	v_cmp_lt_u32_e32 vcc_lo, 11, v9
	s_or_b32 s1, vcc_lo, s1
	s_wait_loadcnt_dscnt 0x0
	v_fmac_f64_e32 v[124:125], v[126:127], v[128:129]
	s_and_not1_b32 exec_lo, exec_lo, s1
	s_cbranch_execnz .LBB59_61
; %bb.62:
	s_or_b32 exec_lo, exec_lo, s1
	v_mov_b32_e32 v9, 0
	ds_load_b64 v[126:127], v9 offset:104
	s_wait_dscnt 0x0
	v_mul_f64_e32 v[124:125], v[124:125], v[126:127]
	scratch_store_b64 off, v[124:125], off offset:104
.LBB59_63:
	s_wait_xcnt 0x0
	s_or_b32 exec_lo, exec_lo, s0
	s_wait_storecnt 0x0
	s_barrier_signal -1
	s_barrier_wait -1
	scratch_load_b64 v[124:125], off, off offset:112
	s_mov_b32 s0, exec_lo
	s_wait_loadcnt 0x0
	ds_store_b64 v1, v[124:125]
	s_wait_dscnt 0x0
	s_barrier_signal -1
	s_barrier_wait -1
	v_cmpx_gt_u32_e32 14, v0
	s_cbranch_execz .LBB59_67
; %bb.64:
	v_mov_b64_e32 v[124:125], 0
	v_dual_add_nc_u32 v9, -1, v0 :: v_dual_mov_b32 v13, v2
	v_add_nc_u32_e32 v11, 0x1e0, v2
	s_mov_b32 s1, 0
.LBB59_65:                              ; =>This Inner Loop Header: Depth=1
	scratch_load_b64 v[126:127], v13, off
	ds_load_b64 v[128:129], v11
	v_dual_add_nc_u32 v9, 1, v9 :: v_dual_add_nc_u32 v11, 8, v11
	s_wait_xcnt 0x0
	v_add_nc_u32_e32 v13, 8, v13
	s_delay_alu instid0(VALU_DEP_2)
	v_cmp_lt_u32_e32 vcc_lo, 12, v9
	s_or_b32 s1, vcc_lo, s1
	s_wait_loadcnt_dscnt 0x0
	v_fmac_f64_e32 v[124:125], v[126:127], v[128:129]
	s_and_not1_b32 exec_lo, exec_lo, s1
	s_cbranch_execnz .LBB59_65
; %bb.66:
	s_or_b32 exec_lo, exec_lo, s1
	v_mov_b32_e32 v9, 0
	ds_load_b64 v[126:127], v9 offset:112
	s_wait_dscnt 0x0
	v_mul_f64_e32 v[124:125], v[124:125], v[126:127]
	scratch_store_b64 off, v[124:125], off offset:112
.LBB59_67:
	s_wait_xcnt 0x0
	s_or_b32 exec_lo, exec_lo, s0
	s_wait_storecnt 0x0
	s_barrier_signal -1
	s_barrier_wait -1
	scratch_load_b64 v[124:125], off, off offset:120
	s_mov_b32 s0, exec_lo
	s_wait_loadcnt 0x0
	ds_store_b64 v1, v[124:125]
	s_wait_dscnt 0x0
	s_barrier_signal -1
	s_barrier_wait -1
	v_cmpx_gt_u32_e32 15, v0
	s_cbranch_execz .LBB59_71
; %bb.68:
	v_mov_b64_e32 v[124:125], 0
	v_dual_add_nc_u32 v9, -1, v0 :: v_dual_mov_b32 v13, v2
	v_add_nc_u32_e32 v11, 0x1e0, v2
	s_mov_b32 s1, 0
.LBB59_69:                              ; =>This Inner Loop Header: Depth=1
	scratch_load_b64 v[126:127], v13, off
	ds_load_b64 v[128:129], v11
	v_dual_add_nc_u32 v9, 1, v9 :: v_dual_add_nc_u32 v11, 8, v11
	s_wait_xcnt 0x0
	v_add_nc_u32_e32 v13, 8, v13
	s_delay_alu instid0(VALU_DEP_2)
	v_cmp_lt_u32_e32 vcc_lo, 13, v9
	s_or_b32 s1, vcc_lo, s1
	s_wait_loadcnt_dscnt 0x0
	v_fmac_f64_e32 v[124:125], v[126:127], v[128:129]
	s_and_not1_b32 exec_lo, exec_lo, s1
	s_cbranch_execnz .LBB59_69
; %bb.70:
	s_or_b32 exec_lo, exec_lo, s1
	v_mov_b32_e32 v9, 0
	ds_load_b64 v[126:127], v9 offset:120
	s_wait_dscnt 0x0
	v_mul_f64_e32 v[124:125], v[124:125], v[126:127]
	scratch_store_b64 off, v[124:125], off offset:120
.LBB59_71:
	s_wait_xcnt 0x0
	s_or_b32 exec_lo, exec_lo, s0
	s_wait_storecnt 0x0
	s_barrier_signal -1
	s_barrier_wait -1
	scratch_load_b64 v[124:125], off, off offset:128
	s_mov_b32 s0, exec_lo
	s_wait_loadcnt 0x0
	ds_store_b64 v1, v[124:125]
	s_wait_dscnt 0x0
	s_barrier_signal -1
	s_barrier_wait -1
	v_cmpx_gt_u32_e32 16, v0
	s_cbranch_execz .LBB59_75
; %bb.72:
	v_mov_b64_e32 v[124:125], 0
	v_dual_add_nc_u32 v9, -1, v0 :: v_dual_mov_b32 v13, v2
	v_add_nc_u32_e32 v11, 0x1e0, v2
	s_mov_b32 s1, 0
.LBB59_73:                              ; =>This Inner Loop Header: Depth=1
	scratch_load_b64 v[126:127], v13, off
	ds_load_b64 v[128:129], v11
	v_dual_add_nc_u32 v9, 1, v9 :: v_dual_add_nc_u32 v11, 8, v11
	s_wait_xcnt 0x0
	v_add_nc_u32_e32 v13, 8, v13
	s_delay_alu instid0(VALU_DEP_2)
	v_cmp_lt_u32_e32 vcc_lo, 14, v9
	s_or_b32 s1, vcc_lo, s1
	s_wait_loadcnt_dscnt 0x0
	v_fmac_f64_e32 v[124:125], v[126:127], v[128:129]
	s_and_not1_b32 exec_lo, exec_lo, s1
	s_cbranch_execnz .LBB59_73
; %bb.74:
	s_or_b32 exec_lo, exec_lo, s1
	v_mov_b32_e32 v9, 0
	ds_load_b64 v[126:127], v9 offset:128
	s_wait_dscnt 0x0
	v_mul_f64_e32 v[124:125], v[124:125], v[126:127]
	scratch_store_b64 off, v[124:125], off offset:128
.LBB59_75:
	s_wait_xcnt 0x0
	s_or_b32 exec_lo, exec_lo, s0
	s_wait_storecnt 0x0
	s_barrier_signal -1
	s_barrier_wait -1
	scratch_load_b64 v[124:125], off, off offset:136
	s_mov_b32 s0, exec_lo
	s_wait_loadcnt 0x0
	ds_store_b64 v1, v[124:125]
	s_wait_dscnt 0x0
	s_barrier_signal -1
	s_barrier_wait -1
	v_cmpx_gt_u32_e32 17, v0
	s_cbranch_execz .LBB59_79
; %bb.76:
	v_mov_b64_e32 v[124:125], 0
	v_dual_add_nc_u32 v9, -1, v0 :: v_dual_mov_b32 v13, v2
	v_add_nc_u32_e32 v11, 0x1e0, v2
	s_mov_b32 s1, 0
.LBB59_77:                              ; =>This Inner Loop Header: Depth=1
	scratch_load_b64 v[126:127], v13, off
	ds_load_b64 v[128:129], v11
	v_dual_add_nc_u32 v9, 1, v9 :: v_dual_add_nc_u32 v11, 8, v11
	s_wait_xcnt 0x0
	v_add_nc_u32_e32 v13, 8, v13
	s_delay_alu instid0(VALU_DEP_2)
	v_cmp_lt_u32_e32 vcc_lo, 15, v9
	s_or_b32 s1, vcc_lo, s1
	s_wait_loadcnt_dscnt 0x0
	v_fmac_f64_e32 v[124:125], v[126:127], v[128:129]
	s_and_not1_b32 exec_lo, exec_lo, s1
	s_cbranch_execnz .LBB59_77
; %bb.78:
	s_or_b32 exec_lo, exec_lo, s1
	v_mov_b32_e32 v9, 0
	ds_load_b64 v[126:127], v9 offset:136
	s_wait_dscnt 0x0
	v_mul_f64_e32 v[124:125], v[124:125], v[126:127]
	scratch_store_b64 off, v[124:125], off offset:136
.LBB59_79:
	s_wait_xcnt 0x0
	s_or_b32 exec_lo, exec_lo, s0
	s_wait_storecnt 0x0
	s_barrier_signal -1
	s_barrier_wait -1
	scratch_load_b64 v[124:125], off, off offset:144
	s_mov_b32 s0, exec_lo
	s_wait_loadcnt 0x0
	ds_store_b64 v1, v[124:125]
	s_wait_dscnt 0x0
	s_barrier_signal -1
	s_barrier_wait -1
	v_cmpx_gt_u32_e32 18, v0
	s_cbranch_execz .LBB59_83
; %bb.80:
	v_mov_b64_e32 v[124:125], 0
	v_dual_add_nc_u32 v9, -1, v0 :: v_dual_mov_b32 v13, v2
	v_add_nc_u32_e32 v11, 0x1e0, v2
	s_mov_b32 s1, 0
.LBB59_81:                              ; =>This Inner Loop Header: Depth=1
	scratch_load_b64 v[126:127], v13, off
	ds_load_b64 v[128:129], v11
	v_dual_add_nc_u32 v9, 1, v9 :: v_dual_add_nc_u32 v11, 8, v11
	s_wait_xcnt 0x0
	v_add_nc_u32_e32 v13, 8, v13
	s_delay_alu instid0(VALU_DEP_2)
	v_cmp_lt_u32_e32 vcc_lo, 16, v9
	s_or_b32 s1, vcc_lo, s1
	s_wait_loadcnt_dscnt 0x0
	v_fmac_f64_e32 v[124:125], v[126:127], v[128:129]
	s_and_not1_b32 exec_lo, exec_lo, s1
	s_cbranch_execnz .LBB59_81
; %bb.82:
	s_or_b32 exec_lo, exec_lo, s1
	v_mov_b32_e32 v9, 0
	ds_load_b64 v[126:127], v9 offset:144
	s_wait_dscnt 0x0
	v_mul_f64_e32 v[124:125], v[124:125], v[126:127]
	scratch_store_b64 off, v[124:125], off offset:144
.LBB59_83:
	s_wait_xcnt 0x0
	s_or_b32 exec_lo, exec_lo, s0
	s_wait_storecnt 0x0
	s_barrier_signal -1
	s_barrier_wait -1
	scratch_load_b64 v[124:125], off, off offset:152
	s_mov_b32 s0, exec_lo
	s_wait_loadcnt 0x0
	ds_store_b64 v1, v[124:125]
	s_wait_dscnt 0x0
	s_barrier_signal -1
	s_barrier_wait -1
	v_cmpx_gt_u32_e32 19, v0
	s_cbranch_execz .LBB59_87
; %bb.84:
	v_mov_b64_e32 v[124:125], 0
	v_dual_add_nc_u32 v9, -1, v0 :: v_dual_mov_b32 v13, v2
	v_add_nc_u32_e32 v11, 0x1e0, v2
	s_mov_b32 s1, 0
.LBB59_85:                              ; =>This Inner Loop Header: Depth=1
	scratch_load_b64 v[126:127], v13, off
	ds_load_b64 v[128:129], v11
	v_dual_add_nc_u32 v9, 1, v9 :: v_dual_add_nc_u32 v11, 8, v11
	s_wait_xcnt 0x0
	v_add_nc_u32_e32 v13, 8, v13
	s_delay_alu instid0(VALU_DEP_2)
	v_cmp_lt_u32_e32 vcc_lo, 17, v9
	s_or_b32 s1, vcc_lo, s1
	s_wait_loadcnt_dscnt 0x0
	v_fmac_f64_e32 v[124:125], v[126:127], v[128:129]
	s_and_not1_b32 exec_lo, exec_lo, s1
	s_cbranch_execnz .LBB59_85
; %bb.86:
	s_or_b32 exec_lo, exec_lo, s1
	v_mov_b32_e32 v9, 0
	ds_load_b64 v[126:127], v9 offset:152
	s_wait_dscnt 0x0
	v_mul_f64_e32 v[124:125], v[124:125], v[126:127]
	scratch_store_b64 off, v[124:125], off offset:152
.LBB59_87:
	s_wait_xcnt 0x0
	s_or_b32 exec_lo, exec_lo, s0
	s_wait_storecnt 0x0
	s_barrier_signal -1
	s_barrier_wait -1
	scratch_load_b64 v[124:125], off, off offset:160
	s_mov_b32 s0, exec_lo
	s_wait_loadcnt 0x0
	ds_store_b64 v1, v[124:125]
	s_wait_dscnt 0x0
	s_barrier_signal -1
	s_barrier_wait -1
	v_cmpx_gt_u32_e32 20, v0
	s_cbranch_execz .LBB59_91
; %bb.88:
	v_mov_b64_e32 v[124:125], 0
	v_dual_add_nc_u32 v9, -1, v0 :: v_dual_mov_b32 v13, v2
	v_add_nc_u32_e32 v11, 0x1e0, v2
	s_mov_b32 s1, 0
.LBB59_89:                              ; =>This Inner Loop Header: Depth=1
	scratch_load_b64 v[126:127], v13, off
	ds_load_b64 v[128:129], v11
	v_dual_add_nc_u32 v9, 1, v9 :: v_dual_add_nc_u32 v11, 8, v11
	s_wait_xcnt 0x0
	v_add_nc_u32_e32 v13, 8, v13
	s_delay_alu instid0(VALU_DEP_2)
	v_cmp_lt_u32_e32 vcc_lo, 18, v9
	s_or_b32 s1, vcc_lo, s1
	s_wait_loadcnt_dscnt 0x0
	v_fmac_f64_e32 v[124:125], v[126:127], v[128:129]
	s_and_not1_b32 exec_lo, exec_lo, s1
	s_cbranch_execnz .LBB59_89
; %bb.90:
	s_or_b32 exec_lo, exec_lo, s1
	v_mov_b32_e32 v9, 0
	ds_load_b64 v[126:127], v9 offset:160
	s_wait_dscnt 0x0
	v_mul_f64_e32 v[124:125], v[124:125], v[126:127]
	scratch_store_b64 off, v[124:125], off offset:160
.LBB59_91:
	s_wait_xcnt 0x0
	s_or_b32 exec_lo, exec_lo, s0
	s_wait_storecnt 0x0
	s_barrier_signal -1
	s_barrier_wait -1
	scratch_load_b64 v[124:125], off, off offset:168
	s_mov_b32 s0, exec_lo
	s_wait_loadcnt 0x0
	ds_store_b64 v1, v[124:125]
	s_wait_dscnt 0x0
	s_barrier_signal -1
	s_barrier_wait -1
	v_cmpx_gt_u32_e32 21, v0
	s_cbranch_execz .LBB59_95
; %bb.92:
	v_mov_b64_e32 v[124:125], 0
	v_dual_add_nc_u32 v9, -1, v0 :: v_dual_mov_b32 v13, v2
	v_add_nc_u32_e32 v11, 0x1e0, v2
	s_mov_b32 s1, 0
.LBB59_93:                              ; =>This Inner Loop Header: Depth=1
	scratch_load_b64 v[126:127], v13, off
	ds_load_b64 v[128:129], v11
	v_dual_add_nc_u32 v9, 1, v9 :: v_dual_add_nc_u32 v11, 8, v11
	s_wait_xcnt 0x0
	v_add_nc_u32_e32 v13, 8, v13
	s_delay_alu instid0(VALU_DEP_2)
	v_cmp_lt_u32_e32 vcc_lo, 19, v9
	s_or_b32 s1, vcc_lo, s1
	s_wait_loadcnt_dscnt 0x0
	v_fmac_f64_e32 v[124:125], v[126:127], v[128:129]
	s_and_not1_b32 exec_lo, exec_lo, s1
	s_cbranch_execnz .LBB59_93
; %bb.94:
	s_or_b32 exec_lo, exec_lo, s1
	v_mov_b32_e32 v9, 0
	ds_load_b64 v[126:127], v9 offset:168
	s_wait_dscnt 0x0
	v_mul_f64_e32 v[124:125], v[124:125], v[126:127]
	scratch_store_b64 off, v[124:125], off offset:168
.LBB59_95:
	s_wait_xcnt 0x0
	s_or_b32 exec_lo, exec_lo, s0
	s_wait_storecnt 0x0
	s_barrier_signal -1
	s_barrier_wait -1
	scratch_load_b64 v[124:125], off, off offset:176
	s_mov_b32 s0, exec_lo
	s_wait_loadcnt 0x0
	ds_store_b64 v1, v[124:125]
	s_wait_dscnt 0x0
	s_barrier_signal -1
	s_barrier_wait -1
	v_cmpx_gt_u32_e32 22, v0
	s_cbranch_execz .LBB59_99
; %bb.96:
	v_mov_b64_e32 v[124:125], 0
	v_dual_add_nc_u32 v9, -1, v0 :: v_dual_mov_b32 v13, v2
	v_add_nc_u32_e32 v11, 0x1e0, v2
	s_mov_b32 s1, 0
.LBB59_97:                              ; =>This Inner Loop Header: Depth=1
	scratch_load_b64 v[126:127], v13, off
	ds_load_b64 v[128:129], v11
	v_dual_add_nc_u32 v9, 1, v9 :: v_dual_add_nc_u32 v11, 8, v11
	s_wait_xcnt 0x0
	v_add_nc_u32_e32 v13, 8, v13
	s_delay_alu instid0(VALU_DEP_2)
	v_cmp_lt_u32_e32 vcc_lo, 20, v9
	s_or_b32 s1, vcc_lo, s1
	s_wait_loadcnt_dscnt 0x0
	v_fmac_f64_e32 v[124:125], v[126:127], v[128:129]
	s_and_not1_b32 exec_lo, exec_lo, s1
	s_cbranch_execnz .LBB59_97
; %bb.98:
	s_or_b32 exec_lo, exec_lo, s1
	v_mov_b32_e32 v9, 0
	ds_load_b64 v[126:127], v9 offset:176
	s_wait_dscnt 0x0
	v_mul_f64_e32 v[124:125], v[124:125], v[126:127]
	scratch_store_b64 off, v[124:125], off offset:176
.LBB59_99:
	s_wait_xcnt 0x0
	s_or_b32 exec_lo, exec_lo, s0
	s_wait_storecnt 0x0
	s_barrier_signal -1
	s_barrier_wait -1
	scratch_load_b64 v[124:125], off, off offset:184
	s_mov_b32 s0, exec_lo
	s_wait_loadcnt 0x0
	ds_store_b64 v1, v[124:125]
	s_wait_dscnt 0x0
	s_barrier_signal -1
	s_barrier_wait -1
	v_cmpx_gt_u32_e32 23, v0
	s_cbranch_execz .LBB59_103
; %bb.100:
	v_mov_b64_e32 v[124:125], 0
	v_dual_add_nc_u32 v9, -1, v0 :: v_dual_mov_b32 v13, v2
	v_add_nc_u32_e32 v11, 0x1e0, v2
	s_mov_b32 s1, 0
.LBB59_101:                             ; =>This Inner Loop Header: Depth=1
	scratch_load_b64 v[126:127], v13, off
	ds_load_b64 v[128:129], v11
	v_dual_add_nc_u32 v9, 1, v9 :: v_dual_add_nc_u32 v11, 8, v11
	s_wait_xcnt 0x0
	v_add_nc_u32_e32 v13, 8, v13
	s_delay_alu instid0(VALU_DEP_2)
	v_cmp_lt_u32_e32 vcc_lo, 21, v9
	s_or_b32 s1, vcc_lo, s1
	s_wait_loadcnt_dscnt 0x0
	v_fmac_f64_e32 v[124:125], v[126:127], v[128:129]
	s_and_not1_b32 exec_lo, exec_lo, s1
	s_cbranch_execnz .LBB59_101
; %bb.102:
	s_or_b32 exec_lo, exec_lo, s1
	v_mov_b32_e32 v9, 0
	ds_load_b64 v[126:127], v9 offset:184
	s_wait_dscnt 0x0
	v_mul_f64_e32 v[124:125], v[124:125], v[126:127]
	scratch_store_b64 off, v[124:125], off offset:184
.LBB59_103:
	s_wait_xcnt 0x0
	s_or_b32 exec_lo, exec_lo, s0
	s_wait_storecnt 0x0
	s_barrier_signal -1
	s_barrier_wait -1
	scratch_load_b64 v[124:125], off, off offset:192
	s_mov_b32 s0, exec_lo
	s_wait_loadcnt 0x0
	ds_store_b64 v1, v[124:125]
	s_wait_dscnt 0x0
	s_barrier_signal -1
	s_barrier_wait -1
	v_cmpx_gt_u32_e32 24, v0
	s_cbranch_execz .LBB59_107
; %bb.104:
	v_mov_b64_e32 v[124:125], 0
	v_dual_add_nc_u32 v9, -1, v0 :: v_dual_mov_b32 v13, v2
	v_add_nc_u32_e32 v11, 0x1e0, v2
	s_mov_b32 s1, 0
.LBB59_105:                             ; =>This Inner Loop Header: Depth=1
	scratch_load_b64 v[126:127], v13, off
	ds_load_b64 v[128:129], v11
	v_dual_add_nc_u32 v9, 1, v9 :: v_dual_add_nc_u32 v11, 8, v11
	s_wait_xcnt 0x0
	v_add_nc_u32_e32 v13, 8, v13
	s_delay_alu instid0(VALU_DEP_2)
	v_cmp_lt_u32_e32 vcc_lo, 22, v9
	s_or_b32 s1, vcc_lo, s1
	s_wait_loadcnt_dscnt 0x0
	v_fmac_f64_e32 v[124:125], v[126:127], v[128:129]
	s_and_not1_b32 exec_lo, exec_lo, s1
	s_cbranch_execnz .LBB59_105
; %bb.106:
	s_or_b32 exec_lo, exec_lo, s1
	v_mov_b32_e32 v9, 0
	ds_load_b64 v[126:127], v9 offset:192
	s_wait_dscnt 0x0
	v_mul_f64_e32 v[124:125], v[124:125], v[126:127]
	scratch_store_b64 off, v[124:125], off offset:192
.LBB59_107:
	s_wait_xcnt 0x0
	s_or_b32 exec_lo, exec_lo, s0
	s_wait_storecnt 0x0
	s_barrier_signal -1
	s_barrier_wait -1
	scratch_load_b64 v[124:125], off, off offset:200
	;; [unrolled: 40-line block ×36, first 2 shown]
	s_mov_b32 s0, exec_lo
	s_wait_loadcnt 0x0
	ds_store_b64 v1, v[124:125]
	s_wait_dscnt 0x0
	s_barrier_signal -1
	s_barrier_wait -1
	v_cmpx_ne_u32_e32 59, v0
	s_cbranch_execz .LBB59_247
; %bb.244:
	v_mov_b64_e32 v[124:125], 0
	s_mov_b32 s1, 0
.LBB59_245:                             ; =>This Inner Loop Header: Depth=1
	scratch_load_b64 v[126:127], v2, off
	ds_load_b64 v[128:129], v1
	v_dual_add_nc_u32 v3, 1, v3 :: v_dual_add_nc_u32 v1, 8, v1
	s_wait_xcnt 0x0
	v_add_nc_u32_e32 v2, 8, v2
	s_delay_alu instid0(VALU_DEP_2)
	v_cmp_lt_u32_e32 vcc_lo, 57, v3
	s_or_b32 s1, vcc_lo, s1
	s_wait_loadcnt_dscnt 0x0
	v_fmac_f64_e32 v[124:125], v[126:127], v[128:129]
	s_and_not1_b32 exec_lo, exec_lo, s1
	s_cbranch_execnz .LBB59_245
; %bb.246:
	s_or_b32 exec_lo, exec_lo, s1
	v_mov_b32_e32 v1, 0
	ds_load_b64 v[2:3], v1 offset:472
	s_wait_dscnt 0x0
	v_mul_f64_e32 v[2:3], v[124:125], v[2:3]
	scratch_store_b64 off, v[2:3], off offset:472
.LBB59_247:
	s_wait_xcnt 0x0
	s_or_b32 exec_lo, exec_lo, s0
	s_mov_b32 s1, -1
	s_wait_storecnt 0x0
	s_barrier_signal -1
	s_barrier_wait -1
.LBB59_248:
	s_and_b32 vcc_lo, exec_lo, s1
	s_cbranch_vccz .LBB59_250
; %bb.249:
	v_mov_b32_e32 v1, 0
	s_lshl_b64 s[0:1], s[18:19], 2
	s_delay_alu instid0(SALU_CYCLE_1)
	s_add_nc_u64 s[0:1], s[6:7], s[0:1]
	global_load_b32 v1, v1, s[0:1]
	s_wait_loadcnt 0x0
	v_cmp_ne_u32_e32 vcc_lo, 0, v1
	s_cbranch_vccz .LBB59_251
.LBB59_250:
	s_sendmsg sendmsg(MSG_DEALLOC_VGPRS)
	s_endpgm
.LBB59_251:
	s_wait_xcnt 0x0
	v_lshl_add_u32 v1, v0, 3, 0x1e0
	s_mov_b32 s0, exec_lo
	v_cmpx_eq_u32_e32 59, v0
	s_cbranch_execz .LBB59_253
; %bb.252:
	scratch_load_b64 v[2:3], off, off offset:464
	v_mov_b64_e32 v[124:125], 0
	scratch_store_b64 off, v[124:125], off offset:464
	s_wait_loadcnt 0x0
	ds_store_b64 v1, v[2:3]
.LBB59_253:
	s_wait_xcnt 0x0
	s_or_b32 exec_lo, exec_lo, s0
	s_wait_storecnt_dscnt 0x0
	s_barrier_signal -1
	s_barrier_wait -1
	scratch_load_b128 v[124:127], off, off offset:464
	v_mov_b32_e32 v2, 0
	s_mov_b32 s0, exec_lo
	ds_load_b64 v[128:129], v2 offset:952
	s_wait_loadcnt_dscnt 0x0
	v_fma_f64 v[126:127], v[126:127], v[128:129], 0
	s_delay_alu instid0(VALU_DEP_1)
	v_add_f64_e64 v[124:125], v[124:125], -v[126:127]
	scratch_store_b64 off, v[124:125], off offset:464
	s_wait_xcnt 0x0
	v_cmpx_lt_u32_e32 57, v0
	s_cbranch_execz .LBB59_255
; %bb.254:
	scratch_load_b64 v[124:125], off, off offset:456
	v_mov_b64_e32 v[126:127], 0
	scratch_store_b64 off, v[126:127], off offset:456
	s_wait_loadcnt 0x0
	ds_store_b64 v1, v[124:125]
.LBB59_255:
	s_wait_xcnt 0x0
	s_or_b32 exec_lo, exec_lo, s0
	s_wait_storecnt_dscnt 0x0
	s_barrier_signal -1
	s_barrier_wait -1
	s_clause 0x1
	scratch_load_b128 v[124:127], off, off offset:456
	scratch_load_b64 v[132:133], off, off offset:472
	ds_load_b128 v[128:131], v2 offset:944
	s_mov_b32 s0, exec_lo
	s_wait_loadcnt_dscnt 0x100
	v_fma_f64 v[2:3], v[126:127], v[128:129], 0
	s_wait_loadcnt 0x0
	s_delay_alu instid0(VALU_DEP_1) | instskip(NEXT) | instid1(VALU_DEP_1)
	v_fmac_f64_e32 v[2:3], v[132:133], v[130:131]
	v_add_f64_e64 v[2:3], v[124:125], -v[2:3]
	scratch_store_b64 off, v[2:3], off offset:456
	s_wait_xcnt 0x0
	v_cmpx_lt_u32_e32 56, v0
	s_cbranch_execz .LBB59_257
; %bb.256:
	scratch_load_b64 v[2:3], off, off offset:448
	v_mov_b64_e32 v[124:125], 0
	scratch_store_b64 off, v[124:125], off offset:448
	s_wait_loadcnt 0x0
	ds_store_b64 v1, v[2:3]
.LBB59_257:
	s_wait_xcnt 0x0
	s_or_b32 exec_lo, exec_lo, s0
	s_wait_storecnt_dscnt 0x0
	s_barrier_signal -1
	s_barrier_wait -1
	s_clause 0x1
	scratch_load_b128 v[124:127], off, off offset:448
	scratch_load_b128 v[128:131], off, off offset:464
	v_mov_b32_e32 v2, 0
	ds_load_2addr_b64 v[132:135], v2 offset0:117 offset1:118
	ds_load_b64 v[136:137], v2 offset:952
	s_mov_b32 s0, exec_lo
	s_wait_loadcnt_dscnt 0x101
	v_fma_f64 v[126:127], v[126:127], v[132:133], 0
	s_wait_loadcnt 0x0
	s_delay_alu instid0(VALU_DEP_1) | instskip(SKIP_1) | instid1(VALU_DEP_1)
	v_fmac_f64_e32 v[126:127], v[128:129], v[134:135]
	s_wait_dscnt 0x0
	v_fmac_f64_e32 v[126:127], v[130:131], v[136:137]
	s_delay_alu instid0(VALU_DEP_1)
	v_add_f64_e64 v[124:125], v[124:125], -v[126:127]
	scratch_store_b64 off, v[124:125], off offset:448
	s_wait_xcnt 0x0
	v_cmpx_lt_u32_e32 55, v0
	s_cbranch_execz .LBB59_259
; %bb.258:
	scratch_load_b64 v[124:125], off, off offset:440
	v_mov_b64_e32 v[126:127], 0
	scratch_store_b64 off, v[126:127], off offset:440
	s_wait_loadcnt 0x0
	ds_store_b64 v1, v[124:125]
.LBB59_259:
	s_wait_xcnt 0x0
	s_or_b32 exec_lo, exec_lo, s0
	s_wait_storecnt_dscnt 0x0
	s_barrier_signal -1
	s_barrier_wait -1
	s_clause 0x2
	scratch_load_b128 v[124:127], off, off offset:440
	scratch_load_b128 v[128:131], off, off offset:456
	scratch_load_b64 v[140:141], off, off offset:472
	ds_load_b128 v[132:135], v2 offset:928
	ds_load_b128 v[136:139], v2 offset:944
	s_mov_b32 s0, exec_lo
	s_wait_loadcnt_dscnt 0x201
	v_fma_f64 v[2:3], v[126:127], v[132:133], 0
	s_wait_loadcnt 0x1
	s_delay_alu instid0(VALU_DEP_1) | instskip(SKIP_1) | instid1(VALU_DEP_1)
	v_fmac_f64_e32 v[2:3], v[128:129], v[134:135]
	s_wait_dscnt 0x0
	v_fmac_f64_e32 v[2:3], v[130:131], v[136:137]
	s_wait_loadcnt 0x0
	s_delay_alu instid0(VALU_DEP_1) | instskip(NEXT) | instid1(VALU_DEP_1)
	v_fmac_f64_e32 v[2:3], v[140:141], v[138:139]
	v_add_f64_e64 v[2:3], v[124:125], -v[2:3]
	scratch_store_b64 off, v[2:3], off offset:440
	s_wait_xcnt 0x0
	v_cmpx_lt_u32_e32 54, v0
	s_cbranch_execz .LBB59_261
; %bb.260:
	scratch_load_b64 v[2:3], off, off offset:432
	v_mov_b64_e32 v[124:125], 0
	scratch_store_b64 off, v[124:125], off offset:432
	s_wait_loadcnt 0x0
	ds_store_b64 v1, v[2:3]
.LBB59_261:
	s_wait_xcnt 0x0
	s_or_b32 exec_lo, exec_lo, s0
	s_wait_storecnt_dscnt 0x0
	s_barrier_signal -1
	s_barrier_wait -1
	s_clause 0x2
	scratch_load_b128 v[124:127], off, off offset:432
	scratch_load_b128 v[128:131], off, off offset:448
	;; [unrolled: 1-line block ×3, first 2 shown]
	v_mov_b32_e32 v2, 0
	ds_load_2addr_b64 v[136:139], v2 offset0:115 offset1:116
	ds_load_2addr_b64 v[140:143], v2 offset0:117 offset1:118
	s_mov_b32 s0, exec_lo
	s_wait_loadcnt_dscnt 0x201
	v_fma_f64 v[126:127], v[126:127], v[136:137], 0
	s_wait_loadcnt 0x1
	s_delay_alu instid0(VALU_DEP_1) | instskip(SKIP_4) | instid1(VALU_DEP_1)
	v_fmac_f64_e32 v[126:127], v[128:129], v[138:139]
	ds_load_b64 v[128:129], v2 offset:952
	s_wait_dscnt 0x1
	v_fmac_f64_e32 v[126:127], v[130:131], v[140:141]
	s_wait_loadcnt 0x0
	v_fmac_f64_e32 v[126:127], v[132:133], v[142:143]
	s_wait_dscnt 0x0
	s_delay_alu instid0(VALU_DEP_1) | instskip(NEXT) | instid1(VALU_DEP_1)
	v_fmac_f64_e32 v[126:127], v[134:135], v[128:129]
	v_add_f64_e64 v[124:125], v[124:125], -v[126:127]
	scratch_store_b64 off, v[124:125], off offset:432
	s_wait_xcnt 0x0
	v_cmpx_lt_u32_e32 53, v0
	s_cbranch_execz .LBB59_263
; %bb.262:
	scratch_load_b64 v[124:125], off, off offset:424
	v_mov_b64_e32 v[126:127], 0
	scratch_store_b64 off, v[126:127], off offset:424
	s_wait_loadcnt 0x0
	ds_store_b64 v1, v[124:125]
.LBB59_263:
	s_wait_xcnt 0x0
	s_or_b32 exec_lo, exec_lo, s0
	s_wait_storecnt_dscnt 0x0
	s_barrier_signal -1
	s_barrier_wait -1
	s_clause 0x3
	scratch_load_b128 v[124:127], off, off offset:424
	scratch_load_b128 v[128:131], off, off offset:440
	;; [unrolled: 1-line block ×3, first 2 shown]
	scratch_load_b64 v[144:145], off, off offset:472
	ds_load_b128 v[136:139], v2 offset:912
	ds_load_b128 v[140:143], v2 offset:928
	s_mov_b32 s0, exec_lo
	s_wait_loadcnt_dscnt 0x301
	v_fma_f64 v[136:137], v[126:127], v[136:137], 0
	s_wait_loadcnt 0x2
	s_delay_alu instid0(VALU_DEP_1) | instskip(SKIP_4) | instid1(VALU_DEP_1)
	v_fmac_f64_e32 v[136:137], v[128:129], v[138:139]
	ds_load_b128 v[126:129], v2 offset:944
	s_wait_dscnt 0x1
	v_fmac_f64_e32 v[136:137], v[130:131], v[140:141]
	s_wait_loadcnt 0x1
	v_fmac_f64_e32 v[136:137], v[132:133], v[142:143]
	s_wait_dscnt 0x0
	s_delay_alu instid0(VALU_DEP_1) | instskip(SKIP_1) | instid1(VALU_DEP_1)
	v_fmac_f64_e32 v[136:137], v[134:135], v[126:127]
	s_wait_loadcnt 0x0
	v_fmac_f64_e32 v[136:137], v[144:145], v[128:129]
	s_delay_alu instid0(VALU_DEP_1)
	v_add_f64_e64 v[2:3], v[124:125], -v[136:137]
	scratch_store_b64 off, v[2:3], off offset:424
	s_wait_xcnt 0x0
	v_cmpx_lt_u32_e32 52, v0
	s_cbranch_execz .LBB59_265
; %bb.264:
	scratch_load_b64 v[2:3], off, off offset:416
	v_mov_b64_e32 v[124:125], 0
	scratch_store_b64 off, v[124:125], off offset:416
	s_wait_loadcnt 0x0
	ds_store_b64 v1, v[2:3]
.LBB59_265:
	s_wait_xcnt 0x0
	s_or_b32 exec_lo, exec_lo, s0
	s_wait_storecnt_dscnt 0x0
	s_barrier_signal -1
	s_barrier_wait -1
	s_clause 0x3
	scratch_load_b128 v[124:127], off, off offset:416
	scratch_load_b128 v[128:131], off, off offset:432
	scratch_load_b128 v[132:135], off, off offset:448
	scratch_load_b128 v[136:139], off, off offset:464
	v_mov_b32_e32 v2, 0
	ds_load_2addr_b64 v[140:143], v2 offset0:113 offset1:114
	ds_load_2addr_b64 v[144:147], v2 offset0:115 offset1:116
	s_mov_b32 s0, exec_lo
	s_wait_loadcnt_dscnt 0x301
	v_fma_f64 v[140:141], v[126:127], v[140:141], 0
	s_wait_loadcnt 0x2
	s_delay_alu instid0(VALU_DEP_1) | instskip(SKIP_1) | instid1(VALU_DEP_1)
	v_fmac_f64_e32 v[140:141], v[128:129], v[142:143]
	s_wait_dscnt 0x0
	v_fmac_f64_e32 v[140:141], v[130:131], v[144:145]
	ds_load_2addr_b64 v[126:129], v2 offset0:117 offset1:118
	ds_load_b64 v[130:131], v2 offset:952
	s_wait_loadcnt 0x1
	v_fmac_f64_e32 v[140:141], v[132:133], v[146:147]
	s_wait_dscnt 0x1
	s_delay_alu instid0(VALU_DEP_1) | instskip(SKIP_1) | instid1(VALU_DEP_1)
	v_fmac_f64_e32 v[140:141], v[134:135], v[126:127]
	s_wait_loadcnt 0x0
	v_fmac_f64_e32 v[140:141], v[136:137], v[128:129]
	s_wait_dscnt 0x0
	s_delay_alu instid0(VALU_DEP_1) | instskip(NEXT) | instid1(VALU_DEP_1)
	v_fmac_f64_e32 v[140:141], v[138:139], v[130:131]
	v_add_f64_e64 v[124:125], v[124:125], -v[140:141]
	scratch_store_b64 off, v[124:125], off offset:416
	s_wait_xcnt 0x0
	v_cmpx_lt_u32_e32 51, v0
	s_cbranch_execz .LBB59_267
; %bb.266:
	scratch_load_b64 v[124:125], off, off offset:408
	v_mov_b64_e32 v[126:127], 0
	scratch_store_b64 off, v[126:127], off offset:408
	s_wait_loadcnt 0x0
	ds_store_b64 v1, v[124:125]
.LBB59_267:
	s_wait_xcnt 0x0
	s_or_b32 exec_lo, exec_lo, s0
	s_wait_storecnt_dscnt 0x0
	s_barrier_signal -1
	s_barrier_wait -1
	s_clause 0x4
	scratch_load_b128 v[124:127], off, off offset:408
	scratch_load_b128 v[128:131], off, off offset:424
	;; [unrolled: 1-line block ×4, first 2 shown]
	scratch_load_b64 v[148:149], off, off offset:472
	ds_load_b128 v[140:143], v2 offset:896
	ds_load_b128 v[144:147], v2 offset:912
	s_mov_b32 s0, exec_lo
	s_wait_loadcnt_dscnt 0x401
	v_fma_f64 v[140:141], v[126:127], v[140:141], 0
	s_wait_loadcnt 0x3
	s_delay_alu instid0(VALU_DEP_1) | instskip(SKIP_1) | instid1(VALU_DEP_1)
	v_fmac_f64_e32 v[140:141], v[128:129], v[142:143]
	s_wait_dscnt 0x0
	v_fmac_f64_e32 v[140:141], v[130:131], v[144:145]
	s_wait_loadcnt 0x2
	s_delay_alu instid0(VALU_DEP_1)
	v_fmac_f64_e32 v[140:141], v[132:133], v[146:147]
	ds_load_b128 v[126:129], v2 offset:928
	ds_load_b128 v[130:133], v2 offset:944
	s_wait_dscnt 0x1
	v_fmac_f64_e32 v[140:141], v[134:135], v[126:127]
	s_wait_loadcnt 0x1
	s_delay_alu instid0(VALU_DEP_1) | instskip(SKIP_1) | instid1(VALU_DEP_1)
	v_fmac_f64_e32 v[140:141], v[136:137], v[128:129]
	s_wait_dscnt 0x0
	v_fmac_f64_e32 v[140:141], v[138:139], v[130:131]
	s_wait_loadcnt 0x0
	s_delay_alu instid0(VALU_DEP_1) | instskip(NEXT) | instid1(VALU_DEP_1)
	v_fmac_f64_e32 v[140:141], v[148:149], v[132:133]
	v_add_f64_e64 v[2:3], v[124:125], -v[140:141]
	scratch_store_b64 off, v[2:3], off offset:408
	s_wait_xcnt 0x0
	v_cmpx_lt_u32_e32 50, v0
	s_cbranch_execz .LBB59_269
; %bb.268:
	scratch_load_b64 v[2:3], off, off offset:400
	v_mov_b64_e32 v[124:125], 0
	scratch_store_b64 off, v[124:125], off offset:400
	s_wait_loadcnt 0x0
	ds_store_b64 v1, v[2:3]
.LBB59_269:
	s_wait_xcnt 0x0
	s_or_b32 exec_lo, exec_lo, s0
	s_wait_storecnt_dscnt 0x0
	s_barrier_signal -1
	s_barrier_wait -1
	s_clause 0x4
	scratch_load_b128 v[124:127], off, off offset:400
	scratch_load_b128 v[128:131], off, off offset:416
	;; [unrolled: 1-line block ×5, first 2 shown]
	v_mov_b32_e32 v2, 0
	ds_load_2addr_b64 v[144:147], v2 offset0:111 offset1:112
	ds_load_2addr_b64 v[148:151], v2 offset0:113 offset1:114
	s_mov_b32 s0, exec_lo
	s_wait_loadcnt_dscnt 0x401
	v_fma_f64 v[144:145], v[126:127], v[144:145], 0
	s_wait_loadcnt 0x3
	s_delay_alu instid0(VALU_DEP_1) | instskip(SKIP_1) | instid1(VALU_DEP_1)
	v_fmac_f64_e32 v[144:145], v[128:129], v[146:147]
	s_wait_dscnt 0x0
	v_fmac_f64_e32 v[144:145], v[130:131], v[148:149]
	s_wait_loadcnt 0x2
	s_delay_alu instid0(VALU_DEP_1)
	v_fmac_f64_e32 v[144:145], v[132:133], v[150:151]
	ds_load_2addr_b64 v[126:129], v2 offset0:115 offset1:116
	ds_load_2addr_b64 v[130:133], v2 offset0:117 offset1:118
	s_wait_dscnt 0x1
	v_fmac_f64_e32 v[144:145], v[134:135], v[126:127]
	ds_load_b64 v[126:127], v2 offset:952
	s_wait_loadcnt 0x1
	v_fmac_f64_e32 v[144:145], v[136:137], v[128:129]
	s_wait_dscnt 0x1
	s_delay_alu instid0(VALU_DEP_1) | instskip(SKIP_1) | instid1(VALU_DEP_1)
	v_fmac_f64_e32 v[144:145], v[138:139], v[130:131]
	s_wait_loadcnt 0x0
	v_fmac_f64_e32 v[144:145], v[140:141], v[132:133]
	s_wait_dscnt 0x0
	s_delay_alu instid0(VALU_DEP_1) | instskip(NEXT) | instid1(VALU_DEP_1)
	v_fmac_f64_e32 v[144:145], v[142:143], v[126:127]
	v_add_f64_e64 v[124:125], v[124:125], -v[144:145]
	scratch_store_b64 off, v[124:125], off offset:400
	s_wait_xcnt 0x0
	v_cmpx_lt_u32_e32 49, v0
	s_cbranch_execz .LBB59_271
; %bb.270:
	scratch_load_b64 v[124:125], off, off offset:392
	v_mov_b64_e32 v[126:127], 0
	scratch_store_b64 off, v[126:127], off offset:392
	s_wait_loadcnt 0x0
	ds_store_b64 v1, v[124:125]
.LBB59_271:
	s_wait_xcnt 0x0
	s_or_b32 exec_lo, exec_lo, s0
	s_wait_storecnt_dscnt 0x0
	s_barrier_signal -1
	s_barrier_wait -1
	s_clause 0x5
	scratch_load_b128 v[124:127], off, off offset:392
	scratch_load_b128 v[128:131], off, off offset:408
	;; [unrolled: 1-line block ×5, first 2 shown]
	scratch_load_b64 v[152:153], off, off offset:472
	ds_load_b128 v[144:147], v2 offset:880
	ds_load_b128 v[148:151], v2 offset:896
	s_mov_b32 s0, exec_lo
	s_wait_loadcnt_dscnt 0x501
	v_fma_f64 v[144:145], v[126:127], v[144:145], 0
	s_wait_loadcnt 0x4
	s_delay_alu instid0(VALU_DEP_1) | instskip(SKIP_1) | instid1(VALU_DEP_1)
	v_fmac_f64_e32 v[144:145], v[128:129], v[146:147]
	s_wait_dscnt 0x0
	v_fmac_f64_e32 v[144:145], v[130:131], v[148:149]
	s_wait_loadcnt 0x3
	s_delay_alu instid0(VALU_DEP_1)
	v_fmac_f64_e32 v[144:145], v[132:133], v[150:151]
	ds_load_b128 v[126:129], v2 offset:912
	ds_load_b128 v[130:133], v2 offset:928
	s_wait_dscnt 0x1
	v_fmac_f64_e32 v[144:145], v[134:135], v[126:127]
	s_wait_loadcnt 0x2
	s_delay_alu instid0(VALU_DEP_1) | instskip(SKIP_4) | instid1(VALU_DEP_1)
	v_fmac_f64_e32 v[144:145], v[136:137], v[128:129]
	ds_load_b128 v[126:129], v2 offset:944
	s_wait_dscnt 0x1
	v_fmac_f64_e32 v[144:145], v[138:139], v[130:131]
	s_wait_loadcnt 0x1
	v_fmac_f64_e32 v[144:145], v[140:141], v[132:133]
	s_wait_dscnt 0x0
	s_delay_alu instid0(VALU_DEP_1) | instskip(SKIP_1) | instid1(VALU_DEP_1)
	v_fmac_f64_e32 v[144:145], v[142:143], v[126:127]
	s_wait_loadcnt 0x0
	v_fmac_f64_e32 v[144:145], v[152:153], v[128:129]
	s_delay_alu instid0(VALU_DEP_1)
	v_add_f64_e64 v[2:3], v[124:125], -v[144:145]
	scratch_store_b64 off, v[2:3], off offset:392
	s_wait_xcnt 0x0
	v_cmpx_lt_u32_e32 48, v0
	s_cbranch_execz .LBB59_273
; %bb.272:
	scratch_load_b64 v[2:3], off, off offset:384
	v_mov_b64_e32 v[124:125], 0
	scratch_store_b64 off, v[124:125], off offset:384
	s_wait_loadcnt 0x0
	ds_store_b64 v1, v[2:3]
.LBB59_273:
	s_wait_xcnt 0x0
	s_or_b32 exec_lo, exec_lo, s0
	s_wait_storecnt_dscnt 0x0
	s_barrier_signal -1
	s_barrier_wait -1
	s_clause 0x5
	scratch_load_b128 v[124:127], off, off offset:384
	scratch_load_b128 v[128:131], off, off offset:400
	;; [unrolled: 1-line block ×6, first 2 shown]
	v_mov_b32_e32 v2, 0
	ds_load_2addr_b64 v[148:151], v2 offset0:109 offset1:110
	ds_load_2addr_b64 v[152:155], v2 offset0:111 offset1:112
	s_mov_b32 s0, exec_lo
	s_wait_loadcnt_dscnt 0x501
	v_fma_f64 v[148:149], v[126:127], v[148:149], 0
	s_wait_loadcnt 0x4
	s_delay_alu instid0(VALU_DEP_1) | instskip(SKIP_1) | instid1(VALU_DEP_1)
	v_fmac_f64_e32 v[148:149], v[128:129], v[150:151]
	s_wait_dscnt 0x0
	v_fmac_f64_e32 v[148:149], v[130:131], v[152:153]
	s_wait_loadcnt 0x3
	s_delay_alu instid0(VALU_DEP_1)
	v_fmac_f64_e32 v[148:149], v[132:133], v[154:155]
	ds_load_2addr_b64 v[126:129], v2 offset0:113 offset1:114
	ds_load_2addr_b64 v[130:133], v2 offset0:115 offset1:116
	s_wait_dscnt 0x1
	v_fmac_f64_e32 v[148:149], v[134:135], v[126:127]
	s_wait_loadcnt 0x2
	s_delay_alu instid0(VALU_DEP_1) | instskip(SKIP_1) | instid1(VALU_DEP_1)
	v_fmac_f64_e32 v[148:149], v[136:137], v[128:129]
	s_wait_dscnt 0x0
	v_fmac_f64_e32 v[148:149], v[138:139], v[130:131]
	ds_load_2addr_b64 v[126:129], v2 offset0:117 offset1:118
	ds_load_b64 v[130:131], v2 offset:952
	s_wait_loadcnt 0x1
	v_fmac_f64_e32 v[148:149], v[140:141], v[132:133]
	s_wait_dscnt 0x1
	s_delay_alu instid0(VALU_DEP_1) | instskip(SKIP_1) | instid1(VALU_DEP_1)
	v_fmac_f64_e32 v[148:149], v[142:143], v[126:127]
	s_wait_loadcnt 0x0
	v_fmac_f64_e32 v[148:149], v[144:145], v[128:129]
	s_wait_dscnt 0x0
	s_delay_alu instid0(VALU_DEP_1) | instskip(NEXT) | instid1(VALU_DEP_1)
	v_fmac_f64_e32 v[148:149], v[146:147], v[130:131]
	v_add_f64_e64 v[124:125], v[124:125], -v[148:149]
	scratch_store_b64 off, v[124:125], off offset:384
	s_wait_xcnt 0x0
	v_cmpx_lt_u32_e32 47, v0
	s_cbranch_execz .LBB59_275
; %bb.274:
	scratch_load_b64 v[124:125], off, off offset:376
	v_mov_b64_e32 v[126:127], 0
	scratch_store_b64 off, v[126:127], off offset:376
	s_wait_loadcnt 0x0
	ds_store_b64 v1, v[124:125]
.LBB59_275:
	s_wait_xcnt 0x0
	s_or_b32 exec_lo, exec_lo, s0
	s_wait_storecnt_dscnt 0x0
	s_barrier_signal -1
	s_barrier_wait -1
	s_clause 0x5
	scratch_load_b128 v[124:127], off, off offset:376
	scratch_load_b128 v[128:131], off, off offset:392
	;; [unrolled: 1-line block ×6, first 2 shown]
	ds_load_b128 v[148:151], v2 offset:864
	ds_load_b128 v[152:155], v2 offset:880
	s_mov_b32 s0, exec_lo
	s_wait_loadcnt_dscnt 0x501
	v_fma_f64 v[148:149], v[126:127], v[148:149], 0
	s_wait_loadcnt 0x4
	s_delay_alu instid0(VALU_DEP_1) | instskip(SKIP_4) | instid1(VALU_DEP_1)
	v_fmac_f64_e32 v[148:149], v[128:129], v[150:151]
	scratch_load_b64 v[150:151], off, off offset:472
	s_wait_dscnt 0x0
	v_fmac_f64_e32 v[148:149], v[130:131], v[152:153]
	s_wait_loadcnt 0x4
	v_fmac_f64_e32 v[148:149], v[132:133], v[154:155]
	ds_load_b128 v[126:129], v2 offset:896
	ds_load_b128 v[130:133], v2 offset:912
	s_wait_dscnt 0x1
	v_fmac_f64_e32 v[148:149], v[134:135], v[126:127]
	s_wait_loadcnt 0x3
	s_delay_alu instid0(VALU_DEP_1) | instskip(SKIP_1) | instid1(VALU_DEP_1)
	v_fmac_f64_e32 v[148:149], v[136:137], v[128:129]
	s_wait_dscnt 0x0
	v_fmac_f64_e32 v[148:149], v[138:139], v[130:131]
	s_wait_loadcnt 0x2
	s_delay_alu instid0(VALU_DEP_1)
	v_fmac_f64_e32 v[148:149], v[140:141], v[132:133]
	ds_load_b128 v[126:129], v2 offset:928
	ds_load_b128 v[130:133], v2 offset:944
	s_wait_dscnt 0x1
	v_fmac_f64_e32 v[148:149], v[142:143], v[126:127]
	s_wait_loadcnt 0x1
	s_delay_alu instid0(VALU_DEP_1) | instskip(SKIP_1) | instid1(VALU_DEP_1)
	v_fmac_f64_e32 v[148:149], v[144:145], v[128:129]
	s_wait_dscnt 0x0
	v_fmac_f64_e32 v[148:149], v[146:147], v[130:131]
	s_wait_loadcnt 0x0
	s_delay_alu instid0(VALU_DEP_1) | instskip(NEXT) | instid1(VALU_DEP_1)
	v_fmac_f64_e32 v[148:149], v[150:151], v[132:133]
	v_add_f64_e64 v[2:3], v[124:125], -v[148:149]
	scratch_store_b64 off, v[2:3], off offset:376
	s_wait_xcnt 0x0
	v_cmpx_lt_u32_e32 46, v0
	s_cbranch_execz .LBB59_277
; %bb.276:
	scratch_load_b64 v[2:3], off, off offset:368
	v_mov_b64_e32 v[124:125], 0
	scratch_store_b64 off, v[124:125], off offset:368
	s_wait_loadcnt 0x0
	ds_store_b64 v1, v[2:3]
.LBB59_277:
	s_wait_xcnt 0x0
	s_or_b32 exec_lo, exec_lo, s0
	s_wait_storecnt_dscnt 0x0
	s_barrier_signal -1
	s_barrier_wait -1
	s_clause 0x5
	scratch_load_b128 v[124:127], off, off offset:368
	scratch_load_b128 v[128:131], off, off offset:384
	;; [unrolled: 1-line block ×6, first 2 shown]
	v_mov_b32_e32 v2, 0
	ds_load_2addr_b64 v[148:151], v2 offset0:107 offset1:108
	ds_load_2addr_b64 v[152:155], v2 offset0:109 offset1:110
	s_mov_b32 s0, exec_lo
	s_wait_loadcnt_dscnt 0x501
	v_fma_f64 v[156:157], v[126:127], v[148:149], 0
	s_wait_loadcnt 0x4
	s_delay_alu instid0(VALU_DEP_1) | instskip(SKIP_4) | instid1(VALU_DEP_1)
	v_fmac_f64_e32 v[156:157], v[128:129], v[150:151]
	scratch_load_b128 v[126:129], off, off offset:464
	s_wait_dscnt 0x0
	v_fmac_f64_e32 v[156:157], v[130:131], v[152:153]
	s_wait_loadcnt 0x4
	v_fmac_f64_e32 v[156:157], v[132:133], v[154:155]
	ds_load_2addr_b64 v[130:133], v2 offset0:111 offset1:112
	ds_load_2addr_b64 v[148:151], v2 offset0:113 offset1:114
	s_wait_dscnt 0x1
	v_fmac_f64_e32 v[156:157], v[134:135], v[130:131]
	s_wait_loadcnt 0x3
	s_delay_alu instid0(VALU_DEP_1)
	v_fmac_f64_e32 v[156:157], v[136:137], v[132:133]
	ds_load_2addr_b64 v[130:133], v2 offset0:115 offset1:116
	ds_load_2addr_b64 v[134:137], v2 offset0:117 offset1:118
	s_wait_dscnt 0x2
	v_fmac_f64_e32 v[156:157], v[138:139], v[148:149]
	s_wait_loadcnt 0x2
	s_delay_alu instid0(VALU_DEP_1) | instskip(SKIP_1) | instid1(VALU_DEP_1)
	v_fmac_f64_e32 v[156:157], v[140:141], v[150:151]
	s_wait_dscnt 0x1
	v_fmac_f64_e32 v[156:157], v[142:143], v[130:131]
	s_wait_loadcnt 0x1
	s_delay_alu instid0(VALU_DEP_1) | instskip(SKIP_1) | instid1(VALU_DEP_1)
	v_fmac_f64_e32 v[156:157], v[144:145], v[132:133]
	s_wait_dscnt 0x0
	v_fmac_f64_e32 v[156:157], v[146:147], v[134:135]
	s_wait_loadcnt 0x0
	s_delay_alu instid0(VALU_DEP_1) | instskip(SKIP_3) | instid1(VALU_DEP_1)
	v_fmac_f64_e32 v[156:157], v[126:127], v[136:137]
	ds_load_b64 v[126:127], v2 offset:952
	s_wait_dscnt 0x0
	v_fmac_f64_e32 v[156:157], v[128:129], v[126:127]
	v_add_f64_e64 v[124:125], v[124:125], -v[156:157]
	scratch_store_b64 off, v[124:125], off offset:368
	s_wait_xcnt 0x0
	v_cmpx_lt_u32_e32 45, v0
	s_cbranch_execz .LBB59_279
; %bb.278:
	scratch_load_b64 v[124:125], off, off offset:360
	v_mov_b64_e32 v[126:127], 0
	scratch_store_b64 off, v[126:127], off offset:360
	s_wait_loadcnt 0x0
	ds_store_b64 v1, v[124:125]
.LBB59_279:
	s_wait_xcnt 0x0
	s_or_b32 exec_lo, exec_lo, s0
	s_wait_storecnt_dscnt 0x0
	s_barrier_signal -1
	s_barrier_wait -1
	s_clause 0x5
	scratch_load_b128 v[124:127], off, off offset:360
	scratch_load_b128 v[128:131], off, off offset:376
	scratch_load_b128 v[132:135], off, off offset:392
	scratch_load_b128 v[136:139], off, off offset:408
	scratch_load_b128 v[140:143], off, off offset:424
	scratch_load_b128 v[144:147], off, off offset:440
	ds_load_b128 v[148:151], v2 offset:848
	ds_load_b128 v[152:155], v2 offset:864
	s_mov_b32 s0, exec_lo
	s_wait_loadcnt_dscnt 0x501
	v_fma_f64 v[156:157], v[126:127], v[148:149], 0
	s_wait_loadcnt 0x4
	s_delay_alu instid0(VALU_DEP_1)
	v_fmac_f64_e32 v[156:157], v[128:129], v[150:151]
	scratch_load_b128 v[126:129], off, off offset:456
	s_wait_dscnt 0x0
	v_fmac_f64_e32 v[156:157], v[130:131], v[152:153]
	scratch_load_b64 v[152:153], off, off offset:472
	s_wait_loadcnt 0x5
	v_fmac_f64_e32 v[156:157], v[132:133], v[154:155]
	ds_load_b128 v[130:133], v2 offset:880
	ds_load_b128 v[148:151], v2 offset:896
	s_wait_dscnt 0x1
	v_fmac_f64_e32 v[156:157], v[134:135], v[130:131]
	s_wait_loadcnt 0x4
	s_delay_alu instid0(VALU_DEP_1)
	v_fmac_f64_e32 v[156:157], v[136:137], v[132:133]
	ds_load_b128 v[130:133], v2 offset:912
	ds_load_b128 v[134:137], v2 offset:928
	s_wait_dscnt 0x2
	v_fmac_f64_e32 v[156:157], v[138:139], v[148:149]
	s_wait_loadcnt 0x3
	s_delay_alu instid0(VALU_DEP_1) | instskip(SKIP_1) | instid1(VALU_DEP_1)
	v_fmac_f64_e32 v[156:157], v[140:141], v[150:151]
	s_wait_dscnt 0x1
	v_fmac_f64_e32 v[156:157], v[142:143], v[130:131]
	s_wait_loadcnt 0x2
	s_delay_alu instid0(VALU_DEP_1) | instskip(SKIP_4) | instid1(VALU_DEP_1)
	v_fmac_f64_e32 v[156:157], v[144:145], v[132:133]
	ds_load_b128 v[130:133], v2 offset:944
	s_wait_dscnt 0x1
	v_fmac_f64_e32 v[156:157], v[146:147], v[134:135]
	s_wait_loadcnt 0x1
	v_fmac_f64_e32 v[156:157], v[126:127], v[136:137]
	s_wait_dscnt 0x0
	s_delay_alu instid0(VALU_DEP_1) | instskip(SKIP_1) | instid1(VALU_DEP_1)
	v_fmac_f64_e32 v[156:157], v[128:129], v[130:131]
	s_wait_loadcnt 0x0
	v_fmac_f64_e32 v[156:157], v[152:153], v[132:133]
	s_delay_alu instid0(VALU_DEP_1)
	v_add_f64_e64 v[2:3], v[124:125], -v[156:157]
	scratch_store_b64 off, v[2:3], off offset:360
	s_wait_xcnt 0x0
	v_cmpx_lt_u32_e32 44, v0
	s_cbranch_execz .LBB59_281
; %bb.280:
	scratch_load_b64 v[2:3], off, off offset:352
	v_mov_b64_e32 v[124:125], 0
	scratch_store_b64 off, v[124:125], off offset:352
	s_wait_loadcnt 0x0
	ds_store_b64 v1, v[2:3]
.LBB59_281:
	s_wait_xcnt 0x0
	s_or_b32 exec_lo, exec_lo, s0
	s_wait_storecnt_dscnt 0x0
	s_barrier_signal -1
	s_barrier_wait -1
	s_clause 0x5
	scratch_load_b128 v[124:127], off, off offset:352
	scratch_load_b128 v[128:131], off, off offset:368
	;; [unrolled: 1-line block ×6, first 2 shown]
	v_mov_b32_e32 v2, 0
	ds_load_2addr_b64 v[148:151], v2 offset0:105 offset1:106
	ds_load_2addr_b64 v[152:155], v2 offset0:107 offset1:108
	s_mov_b32 s0, exec_lo
	s_wait_loadcnt_dscnt 0x501
	v_fma_f64 v[156:157], v[126:127], v[148:149], 0
	s_wait_loadcnt 0x4
	s_delay_alu instid0(VALU_DEP_1) | instskip(SKIP_4) | instid1(VALU_DEP_1)
	v_fmac_f64_e32 v[156:157], v[128:129], v[150:151]
	scratch_load_b128 v[126:129], off, off offset:448
	s_wait_dscnt 0x0
	v_fmac_f64_e32 v[156:157], v[130:131], v[152:153]
	s_wait_loadcnt 0x4
	v_fmac_f64_e32 v[156:157], v[132:133], v[154:155]
	scratch_load_b128 v[130:133], off, off offset:464
	ds_load_2addr_b64 v[148:151], v2 offset0:109 offset1:110
	ds_load_2addr_b64 v[152:155], v2 offset0:111 offset1:112
	s_wait_dscnt 0x1
	v_fmac_f64_e32 v[156:157], v[134:135], v[148:149]
	s_wait_loadcnt 0x4
	s_delay_alu instid0(VALU_DEP_1) | instskip(SKIP_1) | instid1(VALU_DEP_1)
	v_fmac_f64_e32 v[156:157], v[136:137], v[150:151]
	s_wait_dscnt 0x0
	v_fmac_f64_e32 v[156:157], v[138:139], v[152:153]
	s_wait_loadcnt 0x3
	s_delay_alu instid0(VALU_DEP_1)
	v_fmac_f64_e32 v[156:157], v[140:141], v[154:155]
	ds_load_2addr_b64 v[134:137], v2 offset0:113 offset1:114
	ds_load_2addr_b64 v[138:141], v2 offset0:115 offset1:116
	s_wait_dscnt 0x1
	v_fmac_f64_e32 v[156:157], v[142:143], v[134:135]
	s_wait_loadcnt 0x2
	s_delay_alu instid0(VALU_DEP_1) | instskip(SKIP_1) | instid1(VALU_DEP_1)
	v_fmac_f64_e32 v[156:157], v[144:145], v[136:137]
	s_wait_dscnt 0x0
	v_fmac_f64_e32 v[156:157], v[146:147], v[138:139]
	s_wait_loadcnt 0x1
	s_delay_alu instid0(VALU_DEP_1)
	v_fmac_f64_e32 v[156:157], v[126:127], v[140:141]
	ds_load_2addr_b64 v[134:137], v2 offset0:117 offset1:118
	ds_load_b64 v[126:127], v2 offset:952
	s_wait_dscnt 0x1
	v_fmac_f64_e32 v[156:157], v[128:129], v[134:135]
	s_wait_loadcnt 0x0
	s_delay_alu instid0(VALU_DEP_1) | instskip(SKIP_1) | instid1(VALU_DEP_1)
	v_fmac_f64_e32 v[156:157], v[130:131], v[136:137]
	s_wait_dscnt 0x0
	v_fmac_f64_e32 v[156:157], v[132:133], v[126:127]
	s_delay_alu instid0(VALU_DEP_1)
	v_add_f64_e64 v[124:125], v[124:125], -v[156:157]
	scratch_store_b64 off, v[124:125], off offset:352
	s_wait_xcnt 0x0
	v_cmpx_lt_u32_e32 43, v0
	s_cbranch_execz .LBB59_283
; %bb.282:
	scratch_load_b64 v[124:125], off, off offset:344
	v_mov_b64_e32 v[126:127], 0
	scratch_store_b64 off, v[126:127], off offset:344
	s_wait_loadcnt 0x0
	ds_store_b64 v1, v[124:125]
.LBB59_283:
	s_wait_xcnt 0x0
	s_or_b32 exec_lo, exec_lo, s0
	s_wait_storecnt_dscnt 0x0
	s_barrier_signal -1
	s_barrier_wait -1
	s_clause 0x5
	scratch_load_b128 v[124:127], off, off offset:344
	scratch_load_b128 v[128:131], off, off offset:360
	;; [unrolled: 1-line block ×6, first 2 shown]
	ds_load_b128 v[148:151], v2 offset:832
	ds_load_b128 v[152:155], v2 offset:848
	s_mov_b32 s0, exec_lo
	s_wait_loadcnt_dscnt 0x501
	v_fma_f64 v[156:157], v[126:127], v[148:149], 0
	s_wait_loadcnt 0x4
	s_delay_alu instid0(VALU_DEP_1) | instskip(SKIP_4) | instid1(VALU_DEP_1)
	v_fmac_f64_e32 v[156:157], v[128:129], v[150:151]
	scratch_load_b128 v[126:129], off, off offset:440
	s_wait_dscnt 0x0
	v_fmac_f64_e32 v[156:157], v[130:131], v[152:153]
	s_wait_loadcnt 0x4
	v_fmac_f64_e32 v[156:157], v[132:133], v[154:155]
	scratch_load_b128 v[130:133], off, off offset:456
	ds_load_b128 v[148:151], v2 offset:864
	ds_load_b128 v[152:155], v2 offset:880
	s_wait_dscnt 0x1
	v_fmac_f64_e32 v[156:157], v[134:135], v[148:149]
	scratch_load_b64 v[148:149], off, off offset:472
	s_wait_loadcnt 0x5
	v_fmac_f64_e32 v[156:157], v[136:137], v[150:151]
	s_wait_dscnt 0x0
	s_delay_alu instid0(VALU_DEP_1) | instskip(SKIP_1) | instid1(VALU_DEP_1)
	v_fmac_f64_e32 v[156:157], v[138:139], v[152:153]
	s_wait_loadcnt 0x4
	v_fmac_f64_e32 v[156:157], v[140:141], v[154:155]
	ds_load_b128 v[134:137], v2 offset:896
	ds_load_b128 v[138:141], v2 offset:912
	s_wait_dscnt 0x1
	v_fmac_f64_e32 v[156:157], v[142:143], v[134:135]
	s_wait_loadcnt 0x3
	s_delay_alu instid0(VALU_DEP_1) | instskip(SKIP_1) | instid1(VALU_DEP_1)
	v_fmac_f64_e32 v[156:157], v[144:145], v[136:137]
	s_wait_dscnt 0x0
	v_fmac_f64_e32 v[156:157], v[146:147], v[138:139]
	s_wait_loadcnt 0x2
	s_delay_alu instid0(VALU_DEP_1)
	v_fmac_f64_e32 v[156:157], v[126:127], v[140:141]
	ds_load_b128 v[134:137], v2 offset:928
	ds_load_b128 v[138:141], v2 offset:944
	s_wait_dscnt 0x1
	v_fmac_f64_e32 v[156:157], v[128:129], v[134:135]
	s_wait_loadcnt 0x1
	s_delay_alu instid0(VALU_DEP_1) | instskip(SKIP_1) | instid1(VALU_DEP_1)
	v_fmac_f64_e32 v[156:157], v[130:131], v[136:137]
	s_wait_dscnt 0x0
	v_fmac_f64_e32 v[156:157], v[132:133], v[138:139]
	s_wait_loadcnt 0x0
	s_delay_alu instid0(VALU_DEP_1) | instskip(NEXT) | instid1(VALU_DEP_1)
	v_fmac_f64_e32 v[156:157], v[148:149], v[140:141]
	v_add_f64_e64 v[2:3], v[124:125], -v[156:157]
	scratch_store_b64 off, v[2:3], off offset:344
	s_wait_xcnt 0x0
	v_cmpx_lt_u32_e32 42, v0
	s_cbranch_execz .LBB59_285
; %bb.284:
	scratch_load_b64 v[2:3], off, off offset:336
	v_mov_b64_e32 v[124:125], 0
	scratch_store_b64 off, v[124:125], off offset:336
	s_wait_loadcnt 0x0
	ds_store_b64 v1, v[2:3]
.LBB59_285:
	s_wait_xcnt 0x0
	s_or_b32 exec_lo, exec_lo, s0
	s_wait_storecnt_dscnt 0x0
	s_barrier_signal -1
	s_barrier_wait -1
	s_clause 0x5
	scratch_load_b128 v[124:127], off, off offset:336
	scratch_load_b128 v[128:131], off, off offset:352
	;; [unrolled: 1-line block ×6, first 2 shown]
	v_mov_b32_e32 v2, 0
	ds_load_2addr_b64 v[148:151], v2 offset0:103 offset1:104
	ds_load_2addr_b64 v[152:155], v2 offset0:105 offset1:106
	s_mov_b32 s0, exec_lo
	s_wait_loadcnt_dscnt 0x501
	v_fma_f64 v[156:157], v[126:127], v[148:149], 0
	s_wait_loadcnt 0x4
	s_delay_alu instid0(VALU_DEP_1) | instskip(SKIP_4) | instid1(VALU_DEP_1)
	v_fmac_f64_e32 v[156:157], v[128:129], v[150:151]
	scratch_load_b128 v[126:129], off, off offset:432
	s_wait_dscnt 0x0
	v_fmac_f64_e32 v[156:157], v[130:131], v[152:153]
	s_wait_loadcnt 0x4
	v_fmac_f64_e32 v[156:157], v[132:133], v[154:155]
	scratch_load_b128 v[130:133], off, off offset:448
	ds_load_2addr_b64 v[148:151], v2 offset0:107 offset1:108
	ds_load_2addr_b64 v[152:155], v2 offset0:109 offset1:110
	s_wait_dscnt 0x1
	v_fmac_f64_e32 v[156:157], v[134:135], v[148:149]
	s_wait_loadcnt 0x4
	s_delay_alu instid0(VALU_DEP_1) | instskip(SKIP_4) | instid1(VALU_DEP_1)
	v_fmac_f64_e32 v[156:157], v[136:137], v[150:151]
	scratch_load_b128 v[134:137], off, off offset:464
	s_wait_dscnt 0x0
	v_fmac_f64_e32 v[156:157], v[138:139], v[152:153]
	s_wait_loadcnt 0x4
	v_fmac_f64_e32 v[156:157], v[140:141], v[154:155]
	ds_load_2addr_b64 v[138:141], v2 offset0:111 offset1:112
	ds_load_2addr_b64 v[148:151], v2 offset0:113 offset1:114
	s_wait_dscnt 0x1
	v_fmac_f64_e32 v[156:157], v[142:143], v[138:139]
	s_wait_loadcnt 0x3
	s_delay_alu instid0(VALU_DEP_1)
	v_fmac_f64_e32 v[156:157], v[144:145], v[140:141]
	ds_load_2addr_b64 v[138:141], v2 offset0:115 offset1:116
	ds_load_2addr_b64 v[142:145], v2 offset0:117 offset1:118
	s_wait_dscnt 0x2
	v_fmac_f64_e32 v[156:157], v[146:147], v[148:149]
	s_wait_loadcnt 0x2
	s_delay_alu instid0(VALU_DEP_1) | instskip(SKIP_4) | instid1(VALU_DEP_1)
	v_fmac_f64_e32 v[156:157], v[126:127], v[150:151]
	ds_load_b64 v[126:127], v2 offset:952
	s_wait_dscnt 0x2
	v_fmac_f64_e32 v[156:157], v[128:129], v[138:139]
	s_wait_loadcnt 0x1
	v_fmac_f64_e32 v[156:157], v[130:131], v[140:141]
	s_wait_dscnt 0x1
	s_delay_alu instid0(VALU_DEP_1) | instskip(SKIP_1) | instid1(VALU_DEP_1)
	v_fmac_f64_e32 v[156:157], v[132:133], v[142:143]
	s_wait_loadcnt 0x0
	v_fmac_f64_e32 v[156:157], v[134:135], v[144:145]
	s_wait_dscnt 0x0
	s_delay_alu instid0(VALU_DEP_1) | instskip(NEXT) | instid1(VALU_DEP_1)
	v_fmac_f64_e32 v[156:157], v[136:137], v[126:127]
	v_add_f64_e64 v[124:125], v[124:125], -v[156:157]
	scratch_store_b64 off, v[124:125], off offset:336
	s_wait_xcnt 0x0
	v_cmpx_lt_u32_e32 41, v0
	s_cbranch_execz .LBB59_287
; %bb.286:
	scratch_load_b64 v[124:125], off, off offset:328
	v_mov_b64_e32 v[126:127], 0
	scratch_store_b64 off, v[126:127], off offset:328
	s_wait_loadcnt 0x0
	ds_store_b64 v1, v[124:125]
.LBB59_287:
	s_wait_xcnt 0x0
	s_or_b32 exec_lo, exec_lo, s0
	s_wait_storecnt_dscnt 0x0
	s_barrier_signal -1
	s_barrier_wait -1
	s_clause 0x5
	scratch_load_b128 v[124:127], off, off offset:328
	scratch_load_b128 v[128:131], off, off offset:344
	;; [unrolled: 1-line block ×6, first 2 shown]
	ds_load_b128 v[148:151], v2 offset:816
	ds_load_b128 v[152:155], v2 offset:832
	s_mov_b32 s0, exec_lo
	s_wait_loadcnt_dscnt 0x501
	v_fma_f64 v[156:157], v[126:127], v[148:149], 0
	s_wait_loadcnt 0x4
	s_delay_alu instid0(VALU_DEP_1) | instskip(SKIP_4) | instid1(VALU_DEP_1)
	v_fmac_f64_e32 v[156:157], v[128:129], v[150:151]
	scratch_load_b128 v[126:129], off, off offset:424
	s_wait_dscnt 0x0
	v_fmac_f64_e32 v[156:157], v[130:131], v[152:153]
	s_wait_loadcnt 0x4
	v_fmac_f64_e32 v[156:157], v[132:133], v[154:155]
	scratch_load_b128 v[130:133], off, off offset:440
	ds_load_b128 v[148:151], v2 offset:848
	ds_load_b128 v[152:155], v2 offset:864
	s_wait_dscnt 0x1
	v_fmac_f64_e32 v[156:157], v[134:135], v[148:149]
	s_wait_loadcnt 0x4
	s_delay_alu instid0(VALU_DEP_1)
	v_fmac_f64_e32 v[156:157], v[136:137], v[150:151]
	scratch_load_b128 v[134:137], off, off offset:456
	s_wait_dscnt 0x0
	v_fmac_f64_e32 v[156:157], v[138:139], v[152:153]
	scratch_load_b64 v[152:153], off, off offset:472
	s_wait_loadcnt 0x5
	v_fmac_f64_e32 v[156:157], v[140:141], v[154:155]
	ds_load_b128 v[138:141], v2 offset:880
	ds_load_b128 v[148:151], v2 offset:896
	s_wait_dscnt 0x1
	v_fmac_f64_e32 v[156:157], v[142:143], v[138:139]
	s_wait_loadcnt 0x4
	s_delay_alu instid0(VALU_DEP_1)
	v_fmac_f64_e32 v[156:157], v[144:145], v[140:141]
	ds_load_b128 v[138:141], v2 offset:912
	ds_load_b128 v[142:145], v2 offset:928
	s_wait_dscnt 0x2
	v_fmac_f64_e32 v[156:157], v[146:147], v[148:149]
	s_wait_loadcnt 0x3
	s_delay_alu instid0(VALU_DEP_1) | instskip(SKIP_1) | instid1(VALU_DEP_1)
	v_fmac_f64_e32 v[156:157], v[126:127], v[150:151]
	s_wait_dscnt 0x1
	v_fmac_f64_e32 v[156:157], v[128:129], v[138:139]
	ds_load_b128 v[126:129], v2 offset:944
	s_wait_loadcnt 0x2
	v_fmac_f64_e32 v[156:157], v[130:131], v[140:141]
	s_wait_dscnt 0x1
	s_delay_alu instid0(VALU_DEP_1) | instskip(SKIP_1) | instid1(VALU_DEP_1)
	v_fmac_f64_e32 v[156:157], v[132:133], v[142:143]
	s_wait_loadcnt 0x1
	v_fmac_f64_e32 v[156:157], v[134:135], v[144:145]
	s_wait_dscnt 0x0
	s_delay_alu instid0(VALU_DEP_1) | instskip(SKIP_1) | instid1(VALU_DEP_1)
	v_fmac_f64_e32 v[156:157], v[136:137], v[126:127]
	s_wait_loadcnt 0x0
	v_fmac_f64_e32 v[156:157], v[152:153], v[128:129]
	s_delay_alu instid0(VALU_DEP_1)
	v_add_f64_e64 v[2:3], v[124:125], -v[156:157]
	scratch_store_b64 off, v[2:3], off offset:328
	s_wait_xcnt 0x0
	v_cmpx_lt_u32_e32 40, v0
	s_cbranch_execz .LBB59_289
; %bb.288:
	scratch_load_b64 v[2:3], off, off offset:320
	v_mov_b64_e32 v[124:125], 0
	scratch_store_b64 off, v[124:125], off offset:320
	s_wait_loadcnt 0x0
	ds_store_b64 v1, v[2:3]
.LBB59_289:
	s_wait_xcnt 0x0
	s_or_b32 exec_lo, exec_lo, s0
	s_wait_storecnt_dscnt 0x0
	s_barrier_signal -1
	s_barrier_wait -1
	s_clause 0x5
	scratch_load_b128 v[124:127], off, off offset:320
	scratch_load_b128 v[128:131], off, off offset:336
	;; [unrolled: 1-line block ×6, first 2 shown]
	v_mov_b32_e32 v2, 0
	ds_load_2addr_b64 v[148:151], v2 offset0:101 offset1:102
	ds_load_2addr_b64 v[152:155], v2 offset0:103 offset1:104
	s_mov_b32 s0, exec_lo
	s_wait_loadcnt_dscnt 0x501
	v_fma_f64 v[156:157], v[126:127], v[148:149], 0
	s_wait_loadcnt 0x4
	s_delay_alu instid0(VALU_DEP_1) | instskip(SKIP_4) | instid1(VALU_DEP_1)
	v_fmac_f64_e32 v[156:157], v[128:129], v[150:151]
	scratch_load_b128 v[126:129], off, off offset:416
	s_wait_dscnt 0x0
	v_fmac_f64_e32 v[156:157], v[130:131], v[152:153]
	s_wait_loadcnt 0x4
	v_fmac_f64_e32 v[156:157], v[132:133], v[154:155]
	scratch_load_b128 v[130:133], off, off offset:432
	ds_load_2addr_b64 v[148:151], v2 offset0:105 offset1:106
	ds_load_2addr_b64 v[152:155], v2 offset0:107 offset1:108
	s_wait_dscnt 0x1
	v_fmac_f64_e32 v[156:157], v[134:135], v[148:149]
	s_wait_loadcnt 0x4
	s_delay_alu instid0(VALU_DEP_1) | instskip(SKIP_4) | instid1(VALU_DEP_1)
	v_fmac_f64_e32 v[156:157], v[136:137], v[150:151]
	scratch_load_b128 v[134:137], off, off offset:448
	s_wait_dscnt 0x0
	v_fmac_f64_e32 v[156:157], v[138:139], v[152:153]
	s_wait_loadcnt 0x4
	v_fmac_f64_e32 v[156:157], v[140:141], v[154:155]
	scratch_load_b128 v[138:141], off, off offset:464
	ds_load_2addr_b64 v[148:151], v2 offset0:109 offset1:110
	ds_load_2addr_b64 v[152:155], v2 offset0:111 offset1:112
	s_wait_dscnt 0x1
	v_fmac_f64_e32 v[156:157], v[142:143], v[148:149]
	s_wait_loadcnt 0x4
	s_delay_alu instid0(VALU_DEP_1) | instskip(SKIP_1) | instid1(VALU_DEP_1)
	v_fmac_f64_e32 v[156:157], v[144:145], v[150:151]
	s_wait_dscnt 0x0
	v_fmac_f64_e32 v[156:157], v[146:147], v[152:153]
	ds_load_2addr_b64 v[142:145], v2 offset0:113 offset1:114
	ds_load_2addr_b64 v[146:149], v2 offset0:115 offset1:116
	s_wait_loadcnt 0x3
	v_fmac_f64_e32 v[156:157], v[126:127], v[154:155]
	s_wait_dscnt 0x1
	s_delay_alu instid0(VALU_DEP_1) | instskip(SKIP_1) | instid1(VALU_DEP_1)
	v_fmac_f64_e32 v[156:157], v[128:129], v[142:143]
	s_wait_loadcnt 0x2
	v_fmac_f64_e32 v[156:157], v[130:131], v[144:145]
	ds_load_2addr_b64 v[126:129], v2 offset0:117 offset1:118
	ds_load_b64 v[130:131], v2 offset:952
	s_wait_dscnt 0x2
	v_fmac_f64_e32 v[156:157], v[132:133], v[146:147]
	s_wait_loadcnt 0x1
	s_delay_alu instid0(VALU_DEP_1) | instskip(SKIP_1) | instid1(VALU_DEP_1)
	v_fmac_f64_e32 v[156:157], v[134:135], v[148:149]
	s_wait_dscnt 0x1
	v_fmac_f64_e32 v[156:157], v[136:137], v[126:127]
	s_wait_loadcnt 0x0
	s_delay_alu instid0(VALU_DEP_1) | instskip(SKIP_1) | instid1(VALU_DEP_1)
	v_fmac_f64_e32 v[156:157], v[138:139], v[128:129]
	s_wait_dscnt 0x0
	v_fmac_f64_e32 v[156:157], v[140:141], v[130:131]
	s_delay_alu instid0(VALU_DEP_1)
	v_add_f64_e64 v[124:125], v[124:125], -v[156:157]
	scratch_store_b64 off, v[124:125], off offset:320
	s_wait_xcnt 0x0
	v_cmpx_lt_u32_e32 39, v0
	s_cbranch_execz .LBB59_291
; %bb.290:
	scratch_load_b64 v[124:125], off, off offset:312
	v_mov_b64_e32 v[126:127], 0
	scratch_store_b64 off, v[126:127], off offset:312
	s_wait_loadcnt 0x0
	ds_store_b64 v1, v[124:125]
.LBB59_291:
	s_wait_xcnt 0x0
	s_or_b32 exec_lo, exec_lo, s0
	s_wait_storecnt_dscnt 0x0
	s_barrier_signal -1
	s_barrier_wait -1
	s_clause 0x5
	scratch_load_b128 v[124:127], off, off offset:312
	scratch_load_b128 v[128:131], off, off offset:328
	;; [unrolled: 1-line block ×6, first 2 shown]
	ds_load_b128 v[148:151], v2 offset:800
	ds_load_b128 v[152:155], v2 offset:816
	s_mov_b32 s0, exec_lo
	s_wait_loadcnt_dscnt 0x501
	v_fma_f64 v[156:157], v[126:127], v[148:149], 0
	s_wait_loadcnt 0x4
	s_delay_alu instid0(VALU_DEP_1) | instskip(SKIP_4) | instid1(VALU_DEP_1)
	v_fmac_f64_e32 v[156:157], v[128:129], v[150:151]
	scratch_load_b128 v[126:129], off, off offset:408
	s_wait_dscnt 0x0
	v_fmac_f64_e32 v[156:157], v[130:131], v[152:153]
	s_wait_loadcnt 0x4
	v_fmac_f64_e32 v[156:157], v[132:133], v[154:155]
	scratch_load_b128 v[130:133], off, off offset:424
	ds_load_b128 v[148:151], v2 offset:832
	ds_load_b128 v[152:155], v2 offset:848
	s_wait_dscnt 0x1
	v_fmac_f64_e32 v[156:157], v[134:135], v[148:149]
	s_wait_loadcnt 0x4
	s_delay_alu instid0(VALU_DEP_1) | instskip(SKIP_4) | instid1(VALU_DEP_1)
	v_fmac_f64_e32 v[156:157], v[136:137], v[150:151]
	scratch_load_b128 v[134:137], off, off offset:440
	s_wait_dscnt 0x0
	v_fmac_f64_e32 v[156:157], v[138:139], v[152:153]
	s_wait_loadcnt 0x4
	v_fmac_f64_e32 v[156:157], v[140:141], v[154:155]
	scratch_load_b128 v[138:141], off, off offset:456
	ds_load_b128 v[148:151], v2 offset:864
	ds_load_b128 v[152:155], v2 offset:880
	s_wait_dscnt 0x1
	v_fmac_f64_e32 v[156:157], v[142:143], v[148:149]
	s_wait_loadcnt 0x4
	s_delay_alu instid0(VALU_DEP_1)
	v_fmac_f64_e32 v[156:157], v[144:145], v[150:151]
	scratch_load_b64 v[150:151], off, off offset:472
	s_wait_dscnt 0x0
	v_fmac_f64_e32 v[156:157], v[146:147], v[152:153]
	ds_load_b128 v[142:145], v2 offset:896
	ds_load_b128 v[146:149], v2 offset:912
	s_wait_loadcnt 0x4
	v_fmac_f64_e32 v[156:157], v[126:127], v[154:155]
	s_wait_dscnt 0x1
	s_delay_alu instid0(VALU_DEP_1) | instskip(SKIP_1) | instid1(VALU_DEP_1)
	v_fmac_f64_e32 v[156:157], v[128:129], v[142:143]
	s_wait_loadcnt 0x3
	v_fmac_f64_e32 v[156:157], v[130:131], v[144:145]
	s_wait_dscnt 0x0
	s_delay_alu instid0(VALU_DEP_1)
	v_fmac_f64_e32 v[156:157], v[132:133], v[146:147]
	ds_load_b128 v[126:129], v2 offset:928
	ds_load_b128 v[130:133], v2 offset:944
	s_wait_loadcnt 0x2
	v_fmac_f64_e32 v[156:157], v[134:135], v[148:149]
	s_wait_dscnt 0x1
	s_delay_alu instid0(VALU_DEP_1) | instskip(SKIP_1) | instid1(VALU_DEP_1)
	v_fmac_f64_e32 v[156:157], v[136:137], v[126:127]
	s_wait_loadcnt 0x1
	v_fmac_f64_e32 v[156:157], v[138:139], v[128:129]
	s_wait_dscnt 0x0
	s_delay_alu instid0(VALU_DEP_1) | instskip(SKIP_1) | instid1(VALU_DEP_1)
	v_fmac_f64_e32 v[156:157], v[140:141], v[130:131]
	s_wait_loadcnt 0x0
	v_fmac_f64_e32 v[156:157], v[150:151], v[132:133]
	s_delay_alu instid0(VALU_DEP_1)
	v_add_f64_e64 v[2:3], v[124:125], -v[156:157]
	scratch_store_b64 off, v[2:3], off offset:312
	s_wait_xcnt 0x0
	v_cmpx_lt_u32_e32 38, v0
	s_cbranch_execz .LBB59_293
; %bb.292:
	scratch_load_b64 v[2:3], off, off offset:304
	v_mov_b64_e32 v[124:125], 0
	scratch_store_b64 off, v[124:125], off offset:304
	s_wait_loadcnt 0x0
	ds_store_b64 v1, v[2:3]
.LBB59_293:
	s_wait_xcnt 0x0
	s_or_b32 exec_lo, exec_lo, s0
	s_wait_storecnt_dscnt 0x0
	s_barrier_signal -1
	s_barrier_wait -1
	s_clause 0x5
	scratch_load_b128 v[124:127], off, off offset:304
	scratch_load_b128 v[128:131], off, off offset:320
	;; [unrolled: 1-line block ×6, first 2 shown]
	v_mov_b32_e32 v2, 0
	ds_load_2addr_b64 v[148:151], v2 offset0:99 offset1:100
	ds_load_2addr_b64 v[152:155], v2 offset0:101 offset1:102
	s_mov_b32 s0, exec_lo
	s_wait_loadcnt_dscnt 0x501
	v_fma_f64 v[156:157], v[126:127], v[148:149], 0
	s_wait_loadcnt 0x4
	s_delay_alu instid0(VALU_DEP_1) | instskip(SKIP_4) | instid1(VALU_DEP_1)
	v_fmac_f64_e32 v[156:157], v[128:129], v[150:151]
	scratch_load_b128 v[126:129], off, off offset:400
	s_wait_dscnt 0x0
	v_fmac_f64_e32 v[156:157], v[130:131], v[152:153]
	s_wait_loadcnt 0x4
	v_fmac_f64_e32 v[156:157], v[132:133], v[154:155]
	scratch_load_b128 v[130:133], off, off offset:416
	ds_load_2addr_b64 v[148:151], v2 offset0:103 offset1:104
	ds_load_2addr_b64 v[152:155], v2 offset0:105 offset1:106
	s_wait_dscnt 0x1
	v_fmac_f64_e32 v[156:157], v[134:135], v[148:149]
	s_wait_loadcnt 0x4
	s_delay_alu instid0(VALU_DEP_1) | instskip(SKIP_4) | instid1(VALU_DEP_1)
	v_fmac_f64_e32 v[156:157], v[136:137], v[150:151]
	scratch_load_b128 v[134:137], off, off offset:432
	s_wait_dscnt 0x0
	v_fmac_f64_e32 v[156:157], v[138:139], v[152:153]
	s_wait_loadcnt 0x4
	v_fmac_f64_e32 v[156:157], v[140:141], v[154:155]
	scratch_load_b128 v[138:141], off, off offset:448
	ds_load_2addr_b64 v[148:151], v2 offset0:107 offset1:108
	ds_load_2addr_b64 v[152:155], v2 offset0:109 offset1:110
	s_wait_dscnt 0x1
	v_fmac_f64_e32 v[156:157], v[142:143], v[148:149]
	s_wait_loadcnt 0x4
	s_delay_alu instid0(VALU_DEP_1)
	v_fmac_f64_e32 v[156:157], v[144:145], v[150:151]
	scratch_load_b128 v[142:145], off, off offset:464
	s_wait_dscnt 0x0
	v_fmac_f64_e32 v[156:157], v[146:147], v[152:153]
	ds_load_2addr_b64 v[146:149], v2 offset0:111 offset1:112
	ds_load_2addr_b64 v[150:153], v2 offset0:113 offset1:114
	s_wait_loadcnt 0x4
	v_fmac_f64_e32 v[156:157], v[126:127], v[154:155]
	s_wait_dscnt 0x1
	s_delay_alu instid0(VALU_DEP_1) | instskip(SKIP_1) | instid1(VALU_DEP_1)
	v_fmac_f64_e32 v[156:157], v[128:129], v[146:147]
	s_wait_loadcnt 0x3
	v_fmac_f64_e32 v[156:157], v[130:131], v[148:149]
	s_wait_dscnt 0x0
	s_delay_alu instid0(VALU_DEP_1)
	v_fmac_f64_e32 v[156:157], v[132:133], v[150:151]
	ds_load_2addr_b64 v[126:129], v2 offset0:115 offset1:116
	ds_load_2addr_b64 v[130:133], v2 offset0:117 offset1:118
	s_wait_loadcnt 0x2
	v_fmac_f64_e32 v[156:157], v[134:135], v[152:153]
	s_wait_dscnt 0x1
	s_delay_alu instid0(VALU_DEP_1) | instskip(SKIP_4) | instid1(VALU_DEP_1)
	v_fmac_f64_e32 v[156:157], v[136:137], v[126:127]
	ds_load_b64 v[126:127], v2 offset:952
	s_wait_loadcnt 0x1
	v_fmac_f64_e32 v[156:157], v[138:139], v[128:129]
	s_wait_dscnt 0x1
	v_fmac_f64_e32 v[156:157], v[140:141], v[130:131]
	s_wait_loadcnt 0x0
	s_delay_alu instid0(VALU_DEP_1) | instskip(SKIP_1) | instid1(VALU_DEP_1)
	v_fmac_f64_e32 v[156:157], v[142:143], v[132:133]
	s_wait_dscnt 0x0
	v_fmac_f64_e32 v[156:157], v[144:145], v[126:127]
	s_delay_alu instid0(VALU_DEP_1)
	v_add_f64_e64 v[124:125], v[124:125], -v[156:157]
	scratch_store_b64 off, v[124:125], off offset:304
	s_wait_xcnt 0x0
	v_cmpx_lt_u32_e32 37, v0
	s_cbranch_execz .LBB59_295
; %bb.294:
	scratch_load_b64 v[124:125], off, off offset:296
	v_mov_b64_e32 v[126:127], 0
	scratch_store_b64 off, v[126:127], off offset:296
	s_wait_loadcnt 0x0
	ds_store_b64 v1, v[124:125]
.LBB59_295:
	s_wait_xcnt 0x0
	s_or_b32 exec_lo, exec_lo, s0
	s_wait_storecnt_dscnt 0x0
	s_barrier_signal -1
	s_barrier_wait -1
	s_clause 0x5
	scratch_load_b128 v[124:127], off, off offset:296
	scratch_load_b128 v[128:131], off, off offset:312
	;; [unrolled: 1-line block ×6, first 2 shown]
	ds_load_b128 v[148:151], v2 offset:784
	ds_load_b128 v[152:155], v2 offset:800
	scratch_load_b128 v[156:159], off, off offset:392
	s_mov_b32 s0, exec_lo
	s_wait_loadcnt_dscnt 0x601
	v_fma_f64 v[160:161], v[126:127], v[148:149], 0
	s_wait_loadcnt 0x5
	s_delay_alu instid0(VALU_DEP_1) | instskip(SKIP_4) | instid1(VALU_DEP_1)
	v_fmac_f64_e32 v[160:161], v[128:129], v[150:151]
	scratch_load_b128 v[126:129], off, off offset:408
	s_wait_dscnt 0x0
	v_fmac_f64_e32 v[160:161], v[130:131], v[152:153]
	s_wait_loadcnt 0x5
	v_fmac_f64_e32 v[160:161], v[132:133], v[154:155]
	ds_load_b128 v[130:133], v2 offset:816
	ds_load_b128 v[148:151], v2 offset:832
	s_wait_dscnt 0x1
	v_fmac_f64_e32 v[160:161], v[134:135], v[130:131]
	s_wait_loadcnt 0x4
	s_delay_alu instid0(VALU_DEP_1)
	v_fmac_f64_e32 v[160:161], v[136:137], v[132:133]
	s_clause 0x1
	scratch_load_b128 v[130:133], off, off offset:424
	scratch_load_b128 v[134:137], off, off offset:440
	s_wait_dscnt 0x0
	v_fmac_f64_e32 v[160:161], v[138:139], v[148:149]
	s_wait_loadcnt 0x5
	s_delay_alu instid0(VALU_DEP_1)
	v_fmac_f64_e32 v[160:161], v[140:141], v[150:151]
	ds_load_b128 v[138:141], v2 offset:848
	ds_load_b128 v[148:151], v2 offset:864
	s_wait_dscnt 0x1
	v_fmac_f64_e32 v[160:161], v[142:143], v[138:139]
	s_wait_loadcnt 0x4
	s_delay_alu instid0(VALU_DEP_1) | instskip(SKIP_4) | instid1(VALU_DEP_1)
	v_fmac_f64_e32 v[160:161], v[144:145], v[140:141]
	scratch_load_b128 v[138:141], off, off offset:456
	s_wait_dscnt 0x0
	v_fmac_f64_e32 v[160:161], v[146:147], v[148:149]
	s_wait_loadcnt 0x4
	v_fmac_f64_e32 v[160:161], v[156:157], v[150:151]
	scratch_load_b64 v[150:151], off, off offset:472
	ds_load_b128 v[142:145], v2 offset:880
	ds_load_b128 v[146:149], v2 offset:896
	s_wait_dscnt 0x1
	v_fmac_f64_e32 v[160:161], v[158:159], v[142:143]
	s_wait_loadcnt 0x4
	s_delay_alu instid0(VALU_DEP_1) | instskip(SKIP_1) | instid1(VALU_DEP_1)
	v_fmac_f64_e32 v[160:161], v[126:127], v[144:145]
	s_wait_dscnt 0x0
	v_fmac_f64_e32 v[160:161], v[128:129], v[146:147]
	ds_load_b128 v[126:129], v2 offset:912
	ds_load_b128 v[142:145], v2 offset:928
	s_wait_loadcnt 0x3
	v_fmac_f64_e32 v[160:161], v[130:131], v[148:149]
	s_wait_dscnt 0x1
	s_delay_alu instid0(VALU_DEP_1) | instskip(SKIP_1) | instid1(VALU_DEP_1)
	v_fmac_f64_e32 v[160:161], v[132:133], v[126:127]
	s_wait_loadcnt 0x2
	v_fmac_f64_e32 v[160:161], v[134:135], v[128:129]
	ds_load_b128 v[126:129], v2 offset:944
	s_wait_dscnt 0x1
	v_fmac_f64_e32 v[160:161], v[136:137], v[142:143]
	s_wait_loadcnt 0x1
	s_delay_alu instid0(VALU_DEP_1) | instskip(SKIP_1) | instid1(VALU_DEP_1)
	v_fmac_f64_e32 v[160:161], v[138:139], v[144:145]
	s_wait_dscnt 0x0
	v_fmac_f64_e32 v[160:161], v[140:141], v[126:127]
	s_wait_loadcnt 0x0
	s_delay_alu instid0(VALU_DEP_1) | instskip(NEXT) | instid1(VALU_DEP_1)
	v_fmac_f64_e32 v[160:161], v[150:151], v[128:129]
	v_add_f64_e64 v[2:3], v[124:125], -v[160:161]
	scratch_store_b64 off, v[2:3], off offset:296
	s_wait_xcnt 0x0
	v_cmpx_lt_u32_e32 36, v0
	s_cbranch_execz .LBB59_297
; %bb.296:
	scratch_load_b64 v[2:3], off, off offset:288
	v_mov_b64_e32 v[124:125], 0
	scratch_store_b64 off, v[124:125], off offset:288
	s_wait_loadcnt 0x0
	ds_store_b64 v1, v[2:3]
.LBB59_297:
	s_wait_xcnt 0x0
	s_or_b32 exec_lo, exec_lo, s0
	s_wait_storecnt_dscnt 0x0
	s_barrier_signal -1
	s_barrier_wait -1
	s_clause 0x5
	scratch_load_b128 v[124:127], off, off offset:288
	scratch_load_b128 v[128:131], off, off offset:304
	scratch_load_b128 v[132:135], off, off offset:320
	scratch_load_b128 v[136:139], off, off offset:336
	scratch_load_b128 v[140:143], off, off offset:352
	scratch_load_b128 v[144:147], off, off offset:368
	v_mov_b32_e32 v2, 0
	ds_load_2addr_b64 v[148:151], v2 offset0:97 offset1:98
	ds_load_2addr_b64 v[152:155], v2 offset0:99 offset1:100
	scratch_load_b128 v[156:159], off, off offset:384
	s_mov_b32 s0, exec_lo
	s_wait_loadcnt_dscnt 0x601
	v_fma_f64 v[160:161], v[126:127], v[148:149], 0
	s_wait_loadcnt 0x5
	s_delay_alu instid0(VALU_DEP_1) | instskip(SKIP_4) | instid1(VALU_DEP_1)
	v_fmac_f64_e32 v[160:161], v[128:129], v[150:151]
	scratch_load_b128 v[126:129], off, off offset:400
	s_wait_dscnt 0x0
	v_fmac_f64_e32 v[160:161], v[130:131], v[152:153]
	s_wait_loadcnt 0x5
	v_fmac_f64_e32 v[160:161], v[132:133], v[154:155]
	ds_load_2addr_b64 v[130:133], v2 offset0:101 offset1:102
	ds_load_2addr_b64 v[148:151], v2 offset0:103 offset1:104
	s_wait_dscnt 0x1
	v_fmac_f64_e32 v[160:161], v[134:135], v[130:131]
	s_wait_loadcnt 0x4
	s_delay_alu instid0(VALU_DEP_1)
	v_fmac_f64_e32 v[160:161], v[136:137], v[132:133]
	s_clause 0x1
	scratch_load_b128 v[130:133], off, off offset:416
	scratch_load_b128 v[134:137], off, off offset:432
	s_wait_dscnt 0x0
	v_fmac_f64_e32 v[160:161], v[138:139], v[148:149]
	s_wait_loadcnt 0x5
	s_delay_alu instid0(VALU_DEP_1)
	v_fmac_f64_e32 v[160:161], v[140:141], v[150:151]
	ds_load_2addr_b64 v[138:141], v2 offset0:105 offset1:106
	ds_load_2addr_b64 v[148:151], v2 offset0:107 offset1:108
	s_wait_dscnt 0x1
	v_fmac_f64_e32 v[160:161], v[142:143], v[138:139]
	s_wait_loadcnt 0x4
	s_delay_alu instid0(VALU_DEP_1)
	v_fmac_f64_e32 v[160:161], v[144:145], v[140:141]
	s_clause 0x1
	scratch_load_b128 v[138:141], off, off offset:448
	scratch_load_b128 v[142:145], off, off offset:464
	s_wait_dscnt 0x0
	v_fmac_f64_e32 v[160:161], v[146:147], v[148:149]
	s_wait_loadcnt 0x5
	s_delay_alu instid0(VALU_DEP_1)
	v_fmac_f64_e32 v[160:161], v[156:157], v[150:151]
	ds_load_2addr_b64 v[146:149], v2 offset0:109 offset1:110
	ds_load_2addr_b64 v[150:153], v2 offset0:111 offset1:112
	s_wait_dscnt 0x1
	v_fmac_f64_e32 v[160:161], v[158:159], v[146:147]
	s_wait_loadcnt 0x4
	s_delay_alu instid0(VALU_DEP_1) | instskip(SKIP_1) | instid1(VALU_DEP_1)
	v_fmac_f64_e32 v[160:161], v[126:127], v[148:149]
	s_wait_dscnt 0x0
	v_fmac_f64_e32 v[160:161], v[128:129], v[150:151]
	ds_load_2addr_b64 v[126:129], v2 offset0:113 offset1:114
	ds_load_2addr_b64 v[146:149], v2 offset0:115 offset1:116
	s_wait_loadcnt 0x3
	v_fmac_f64_e32 v[160:161], v[130:131], v[152:153]
	s_wait_dscnt 0x1
	s_delay_alu instid0(VALU_DEP_1) | instskip(SKIP_1) | instid1(VALU_DEP_1)
	v_fmac_f64_e32 v[160:161], v[132:133], v[126:127]
	s_wait_loadcnt 0x2
	v_fmac_f64_e32 v[160:161], v[134:135], v[128:129]
	ds_load_2addr_b64 v[126:129], v2 offset0:117 offset1:118
	ds_load_b64 v[130:131], v2 offset:952
	s_wait_dscnt 0x2
	v_fmac_f64_e32 v[160:161], v[136:137], v[146:147]
	s_wait_loadcnt 0x1
	s_delay_alu instid0(VALU_DEP_1) | instskip(SKIP_1) | instid1(VALU_DEP_1)
	v_fmac_f64_e32 v[160:161], v[138:139], v[148:149]
	s_wait_dscnt 0x1
	v_fmac_f64_e32 v[160:161], v[140:141], v[126:127]
	s_wait_loadcnt 0x0
	s_delay_alu instid0(VALU_DEP_1) | instskip(SKIP_1) | instid1(VALU_DEP_1)
	v_fmac_f64_e32 v[160:161], v[142:143], v[128:129]
	s_wait_dscnt 0x0
	v_fmac_f64_e32 v[160:161], v[144:145], v[130:131]
	s_delay_alu instid0(VALU_DEP_1)
	v_add_f64_e64 v[124:125], v[124:125], -v[160:161]
	scratch_store_b64 off, v[124:125], off offset:288
	s_wait_xcnt 0x0
	v_cmpx_lt_u32_e32 35, v0
	s_cbranch_execz .LBB59_299
; %bb.298:
	scratch_load_b64 v[124:125], off, off offset:280
	v_mov_b64_e32 v[126:127], 0
	scratch_store_b64 off, v[126:127], off offset:280
	s_wait_loadcnt 0x0
	ds_store_b64 v1, v[124:125]
.LBB59_299:
	s_wait_xcnt 0x0
	s_or_b32 exec_lo, exec_lo, s0
	s_wait_storecnt_dscnt 0x0
	s_barrier_signal -1
	s_barrier_wait -1
	s_clause 0x5
	scratch_load_b128 v[124:127], off, off offset:280
	scratch_load_b128 v[128:131], off, off offset:296
	;; [unrolled: 1-line block ×6, first 2 shown]
	ds_load_b128 v[148:151], v2 offset:768
	ds_load_b128 v[152:155], v2 offset:784
	scratch_load_b128 v[156:159], off, off offset:376
	s_mov_b32 s0, exec_lo
	s_wait_loadcnt_dscnt 0x601
	v_fma_f64 v[160:161], v[126:127], v[148:149], 0
	s_wait_loadcnt 0x5
	s_delay_alu instid0(VALU_DEP_1) | instskip(SKIP_4) | instid1(VALU_DEP_1)
	v_fmac_f64_e32 v[160:161], v[128:129], v[150:151]
	scratch_load_b128 v[126:129], off, off offset:392
	s_wait_dscnt 0x0
	v_fmac_f64_e32 v[160:161], v[130:131], v[152:153]
	s_wait_loadcnt 0x5
	v_fmac_f64_e32 v[160:161], v[132:133], v[154:155]
	ds_load_b128 v[130:133], v2 offset:800
	ds_load_b128 v[148:151], v2 offset:816
	s_wait_dscnt 0x1
	v_fmac_f64_e32 v[160:161], v[134:135], v[130:131]
	s_wait_loadcnt 0x4
	s_delay_alu instid0(VALU_DEP_1)
	v_fmac_f64_e32 v[160:161], v[136:137], v[132:133]
	s_clause 0x1
	scratch_load_b128 v[130:133], off, off offset:408
	scratch_load_b128 v[134:137], off, off offset:424
	s_wait_dscnt 0x0
	v_fmac_f64_e32 v[160:161], v[138:139], v[148:149]
	s_wait_loadcnt 0x5
	s_delay_alu instid0(VALU_DEP_1)
	v_fmac_f64_e32 v[160:161], v[140:141], v[150:151]
	ds_load_b128 v[138:141], v2 offset:832
	ds_load_b128 v[148:151], v2 offset:848
	s_wait_dscnt 0x1
	v_fmac_f64_e32 v[160:161], v[142:143], v[138:139]
	s_wait_loadcnt 0x4
	s_delay_alu instid0(VALU_DEP_1)
	v_fmac_f64_e32 v[160:161], v[144:145], v[140:141]
	s_clause 0x1
	scratch_load_b128 v[138:141], off, off offset:440
	scratch_load_b128 v[142:145], off, off offset:456
	s_wait_dscnt 0x0
	v_fmac_f64_e32 v[160:161], v[146:147], v[148:149]
	s_wait_loadcnt 0x5
	s_delay_alu instid0(VALU_DEP_1)
	v_fmac_f64_e32 v[160:161], v[156:157], v[150:151]
	ds_load_b128 v[146:149], v2 offset:864
	ds_load_b128 v[150:153], v2 offset:880
	scratch_load_b64 v[154:155], off, off offset:472
	s_wait_dscnt 0x1
	v_fmac_f64_e32 v[160:161], v[158:159], v[146:147]
	s_wait_loadcnt 0x5
	s_delay_alu instid0(VALU_DEP_1) | instskip(SKIP_1) | instid1(VALU_DEP_1)
	v_fmac_f64_e32 v[160:161], v[126:127], v[148:149]
	s_wait_dscnt 0x0
	v_fmac_f64_e32 v[160:161], v[128:129], v[150:151]
	ds_load_b128 v[126:129], v2 offset:896
	ds_load_b128 v[146:149], v2 offset:912
	s_wait_loadcnt 0x4
	v_fmac_f64_e32 v[160:161], v[130:131], v[152:153]
	s_wait_dscnt 0x1
	s_delay_alu instid0(VALU_DEP_1) | instskip(SKIP_1) | instid1(VALU_DEP_1)
	v_fmac_f64_e32 v[160:161], v[132:133], v[126:127]
	s_wait_loadcnt 0x3
	v_fmac_f64_e32 v[160:161], v[134:135], v[128:129]
	ds_load_b128 v[126:129], v2 offset:928
	ds_load_b128 v[130:133], v2 offset:944
	s_wait_dscnt 0x2
	v_fmac_f64_e32 v[160:161], v[136:137], v[146:147]
	s_wait_loadcnt 0x2
	s_delay_alu instid0(VALU_DEP_1) | instskip(SKIP_1) | instid1(VALU_DEP_1)
	v_fmac_f64_e32 v[160:161], v[138:139], v[148:149]
	s_wait_dscnt 0x1
	v_fmac_f64_e32 v[160:161], v[140:141], v[126:127]
	s_wait_loadcnt 0x1
	s_delay_alu instid0(VALU_DEP_1) | instskip(SKIP_1) | instid1(VALU_DEP_1)
	v_fmac_f64_e32 v[160:161], v[142:143], v[128:129]
	s_wait_dscnt 0x0
	v_fmac_f64_e32 v[160:161], v[144:145], v[130:131]
	s_wait_loadcnt 0x0
	s_delay_alu instid0(VALU_DEP_1) | instskip(NEXT) | instid1(VALU_DEP_1)
	v_fmac_f64_e32 v[160:161], v[154:155], v[132:133]
	v_add_f64_e64 v[2:3], v[124:125], -v[160:161]
	scratch_store_b64 off, v[2:3], off offset:280
	s_wait_xcnt 0x0
	v_cmpx_lt_u32_e32 34, v0
	s_cbranch_execz .LBB59_301
; %bb.300:
	scratch_load_b64 v[2:3], off, off offset:272
	v_mov_b64_e32 v[124:125], 0
	scratch_store_b64 off, v[124:125], off offset:272
	s_wait_loadcnt 0x0
	ds_store_b64 v1, v[2:3]
.LBB59_301:
	s_wait_xcnt 0x0
	s_or_b32 exec_lo, exec_lo, s0
	s_wait_storecnt_dscnt 0x0
	s_barrier_signal -1
	s_barrier_wait -1
	s_clause 0x5
	scratch_load_b128 v[124:127], off, off offset:272
	scratch_load_b128 v[128:131], off, off offset:288
	;; [unrolled: 1-line block ×6, first 2 shown]
	v_mov_b32_e32 v2, 0
	ds_load_2addr_b64 v[148:151], v2 offset0:95 offset1:96
	ds_load_2addr_b64 v[152:155], v2 offset0:97 offset1:98
	scratch_load_b128 v[156:159], off, off offset:368
	s_mov_b32 s0, exec_lo
	s_wait_loadcnt_dscnt 0x601
	v_fma_f64 v[160:161], v[126:127], v[148:149], 0
	s_wait_loadcnt 0x5
	s_delay_alu instid0(VALU_DEP_1) | instskip(SKIP_4) | instid1(VALU_DEP_1)
	v_fmac_f64_e32 v[160:161], v[128:129], v[150:151]
	scratch_load_b128 v[126:129], off, off offset:384
	s_wait_dscnt 0x0
	v_fmac_f64_e32 v[160:161], v[130:131], v[152:153]
	s_wait_loadcnt 0x5
	v_fmac_f64_e32 v[160:161], v[132:133], v[154:155]
	ds_load_2addr_b64 v[130:133], v2 offset0:99 offset1:100
	ds_load_2addr_b64 v[148:151], v2 offset0:101 offset1:102
	s_wait_dscnt 0x1
	v_fmac_f64_e32 v[160:161], v[134:135], v[130:131]
	s_wait_loadcnt 0x4
	s_delay_alu instid0(VALU_DEP_1)
	v_fmac_f64_e32 v[160:161], v[136:137], v[132:133]
	s_clause 0x1
	scratch_load_b128 v[130:133], off, off offset:400
	scratch_load_b128 v[134:137], off, off offset:416
	s_wait_dscnt 0x0
	v_fmac_f64_e32 v[160:161], v[138:139], v[148:149]
	s_wait_loadcnt 0x5
	s_delay_alu instid0(VALU_DEP_1)
	v_fmac_f64_e32 v[160:161], v[140:141], v[150:151]
	ds_load_2addr_b64 v[138:141], v2 offset0:103 offset1:104
	ds_load_2addr_b64 v[148:151], v2 offset0:105 offset1:106
	s_wait_dscnt 0x1
	v_fmac_f64_e32 v[160:161], v[142:143], v[138:139]
	s_wait_loadcnt 0x4
	s_delay_alu instid0(VALU_DEP_1)
	v_fmac_f64_e32 v[160:161], v[144:145], v[140:141]
	s_clause 0x1
	scratch_load_b128 v[138:141], off, off offset:432
	scratch_load_b128 v[142:145], off, off offset:448
	s_wait_dscnt 0x0
	v_fmac_f64_e32 v[160:161], v[146:147], v[148:149]
	s_wait_loadcnt 0x5
	s_delay_alu instid0(VALU_DEP_1)
	v_fmac_f64_e32 v[160:161], v[156:157], v[150:151]
	ds_load_2addr_b64 v[146:149], v2 offset0:107 offset1:108
	ds_load_2addr_b64 v[150:153], v2 offset0:109 offset1:110
	s_wait_dscnt 0x1
	v_fmac_f64_e32 v[160:161], v[158:159], v[146:147]
	s_wait_loadcnt 0x4
	s_delay_alu instid0(VALU_DEP_1) | instskip(SKIP_4) | instid1(VALU_DEP_1)
	v_fmac_f64_e32 v[160:161], v[126:127], v[148:149]
	scratch_load_b128 v[146:149], off, off offset:464
	s_wait_dscnt 0x0
	v_fmac_f64_e32 v[160:161], v[128:129], v[150:151]
	s_wait_loadcnt 0x4
	v_fmac_f64_e32 v[160:161], v[130:131], v[152:153]
	ds_load_2addr_b64 v[126:129], v2 offset0:111 offset1:112
	ds_load_2addr_b64 v[150:153], v2 offset0:113 offset1:114
	s_wait_dscnt 0x1
	v_fmac_f64_e32 v[160:161], v[132:133], v[126:127]
	s_wait_loadcnt 0x3
	s_delay_alu instid0(VALU_DEP_1)
	v_fmac_f64_e32 v[160:161], v[134:135], v[128:129]
	ds_load_2addr_b64 v[126:129], v2 offset0:115 offset1:116
	ds_load_2addr_b64 v[130:133], v2 offset0:117 offset1:118
	s_wait_dscnt 0x2
	v_fmac_f64_e32 v[160:161], v[136:137], v[150:151]
	s_wait_loadcnt 0x2
	s_delay_alu instid0(VALU_DEP_1) | instskip(SKIP_1) | instid1(VALU_DEP_1)
	v_fmac_f64_e32 v[160:161], v[138:139], v[152:153]
	s_wait_dscnt 0x1
	v_fmac_f64_e32 v[160:161], v[140:141], v[126:127]
	ds_load_b64 v[126:127], v2 offset:952
	s_wait_loadcnt 0x1
	v_fmac_f64_e32 v[160:161], v[142:143], v[128:129]
	s_wait_dscnt 0x1
	s_delay_alu instid0(VALU_DEP_1) | instskip(SKIP_1) | instid1(VALU_DEP_1)
	v_fmac_f64_e32 v[160:161], v[144:145], v[130:131]
	s_wait_loadcnt 0x0
	v_fmac_f64_e32 v[160:161], v[146:147], v[132:133]
	s_wait_dscnt 0x0
	s_delay_alu instid0(VALU_DEP_1) | instskip(NEXT) | instid1(VALU_DEP_1)
	v_fmac_f64_e32 v[160:161], v[148:149], v[126:127]
	v_add_f64_e64 v[124:125], v[124:125], -v[160:161]
	scratch_store_b64 off, v[124:125], off offset:272
	s_wait_xcnt 0x0
	v_cmpx_lt_u32_e32 33, v0
	s_cbranch_execz .LBB59_303
; %bb.302:
	scratch_load_b64 v[124:125], off, off offset:264
	v_mov_b64_e32 v[126:127], 0
	scratch_store_b64 off, v[126:127], off offset:264
	s_wait_loadcnt 0x0
	ds_store_b64 v1, v[124:125]
.LBB59_303:
	s_wait_xcnt 0x0
	s_or_b32 exec_lo, exec_lo, s0
	s_wait_storecnt_dscnt 0x0
	s_barrier_signal -1
	s_barrier_wait -1
	s_clause 0x5
	scratch_load_b128 v[124:127], off, off offset:264
	scratch_load_b128 v[128:131], off, off offset:280
	;; [unrolled: 1-line block ×6, first 2 shown]
	ds_load_b128 v[148:151], v2 offset:752
	ds_load_b128 v[152:155], v2 offset:768
	scratch_load_b128 v[156:159], off, off offset:360
	s_mov_b32 s0, exec_lo
	s_wait_loadcnt_dscnt 0x601
	v_fma_f64 v[160:161], v[126:127], v[148:149], 0
	s_wait_loadcnt 0x5
	s_delay_alu instid0(VALU_DEP_1) | instskip(SKIP_4) | instid1(VALU_DEP_1)
	v_fmac_f64_e32 v[160:161], v[128:129], v[150:151]
	scratch_load_b128 v[126:129], off, off offset:376
	s_wait_dscnt 0x0
	v_fmac_f64_e32 v[160:161], v[130:131], v[152:153]
	s_wait_loadcnt 0x5
	v_fmac_f64_e32 v[160:161], v[132:133], v[154:155]
	ds_load_b128 v[130:133], v2 offset:784
	ds_load_b128 v[148:151], v2 offset:800
	scratch_load_b128 v[152:155], off, off offset:392
	s_wait_dscnt 0x1
	v_fmac_f64_e32 v[160:161], v[134:135], v[130:131]
	s_wait_loadcnt 0x5
	s_delay_alu instid0(VALU_DEP_1) | instskip(SKIP_4) | instid1(VALU_DEP_1)
	v_fmac_f64_e32 v[160:161], v[136:137], v[132:133]
	scratch_load_b128 v[130:133], off, off offset:408
	s_wait_dscnt 0x0
	v_fmac_f64_e32 v[160:161], v[138:139], v[148:149]
	s_wait_loadcnt 0x5
	v_fmac_f64_e32 v[160:161], v[140:141], v[150:151]
	ds_load_b128 v[134:137], v2 offset:816
	ds_load_b128 v[138:141], v2 offset:832
	s_wait_dscnt 0x1
	v_fmac_f64_e32 v[160:161], v[142:143], v[134:135]
	s_wait_loadcnt 0x4
	s_delay_alu instid0(VALU_DEP_1) | instskip(SKIP_4) | instid1(VALU_DEP_1)
	v_fmac_f64_e32 v[160:161], v[144:145], v[136:137]
	scratch_load_b128 v[134:137], off, off offset:424
	s_wait_dscnt 0x0
	v_fmac_f64_e32 v[160:161], v[146:147], v[138:139]
	s_wait_loadcnt 0x4
	v_fmac_f64_e32 v[160:161], v[156:157], v[140:141]
	scratch_load_b128 v[138:141], off, off offset:440
	ds_load_b128 v[142:145], v2 offset:848
	ds_load_b128 v[146:149], v2 offset:864
	scratch_load_b64 v[150:151], off, off offset:472
	s_wait_dscnt 0x1
	v_fmac_f64_e32 v[160:161], v[158:159], v[142:143]
	s_wait_loadcnt 0x5
	s_delay_alu instid0(VALU_DEP_1) | instskip(SKIP_4) | instid1(VALU_DEP_1)
	v_fmac_f64_e32 v[160:161], v[126:127], v[144:145]
	scratch_load_b128 v[142:145], off, off offset:456
	s_wait_dscnt 0x0
	v_fmac_f64_e32 v[160:161], v[128:129], v[146:147]
	s_wait_loadcnt 0x5
	v_fmac_f64_e32 v[160:161], v[152:153], v[148:149]
	ds_load_b128 v[126:129], v2 offset:880
	ds_load_b128 v[146:149], v2 offset:896
	s_wait_dscnt 0x1
	v_fmac_f64_e32 v[160:161], v[154:155], v[126:127]
	s_wait_loadcnt 0x4
	s_delay_alu instid0(VALU_DEP_1) | instskip(SKIP_1) | instid1(VALU_DEP_1)
	v_fmac_f64_e32 v[160:161], v[130:131], v[128:129]
	s_wait_dscnt 0x0
	v_fmac_f64_e32 v[160:161], v[132:133], v[146:147]
	ds_load_b128 v[126:129], v2 offset:912
	ds_load_b128 v[130:133], v2 offset:928
	s_wait_loadcnt 0x3
	v_fmac_f64_e32 v[160:161], v[134:135], v[148:149]
	s_wait_dscnt 0x1
	s_delay_alu instid0(VALU_DEP_1) | instskip(SKIP_1) | instid1(VALU_DEP_1)
	v_fmac_f64_e32 v[160:161], v[136:137], v[126:127]
	s_wait_loadcnt 0x2
	v_fmac_f64_e32 v[160:161], v[138:139], v[128:129]
	ds_load_b128 v[126:129], v2 offset:944
	s_wait_dscnt 0x1
	v_fmac_f64_e32 v[160:161], v[140:141], v[130:131]
	s_wait_loadcnt 0x0
	s_delay_alu instid0(VALU_DEP_1) | instskip(SKIP_1) | instid1(VALU_DEP_1)
	v_fmac_f64_e32 v[160:161], v[142:143], v[132:133]
	s_wait_dscnt 0x0
	v_fmac_f64_e32 v[160:161], v[144:145], v[126:127]
	s_delay_alu instid0(VALU_DEP_1) | instskip(NEXT) | instid1(VALU_DEP_1)
	v_fmac_f64_e32 v[160:161], v[150:151], v[128:129]
	v_add_f64_e64 v[2:3], v[124:125], -v[160:161]
	scratch_store_b64 off, v[2:3], off offset:264
	s_wait_xcnt 0x0
	v_cmpx_lt_u32_e32 32, v0
	s_cbranch_execz .LBB59_305
; %bb.304:
	scratch_load_b64 v[2:3], off, off offset:256
	v_mov_b64_e32 v[124:125], 0
	scratch_store_b64 off, v[124:125], off offset:256
	s_wait_loadcnt 0x0
	ds_store_b64 v1, v[2:3]
.LBB59_305:
	s_wait_xcnt 0x0
	s_or_b32 exec_lo, exec_lo, s0
	s_wait_storecnt_dscnt 0x0
	s_barrier_signal -1
	s_barrier_wait -1
	s_clause 0x5
	scratch_load_b128 v[124:127], off, off offset:256
	scratch_load_b128 v[128:131], off, off offset:272
	;; [unrolled: 1-line block ×6, first 2 shown]
	v_mov_b32_e32 v2, 0
	ds_load_2addr_b64 v[148:151], v2 offset0:93 offset1:94
	ds_load_2addr_b64 v[152:155], v2 offset0:95 offset1:96
	scratch_load_b128 v[156:159], off, off offset:352
	s_mov_b32 s0, exec_lo
	s_wait_loadcnt_dscnt 0x601
	v_fma_f64 v[160:161], v[126:127], v[148:149], 0
	s_wait_loadcnt 0x5
	s_delay_alu instid0(VALU_DEP_1) | instskip(SKIP_4) | instid1(VALU_DEP_1)
	v_fmac_f64_e32 v[160:161], v[128:129], v[150:151]
	scratch_load_b128 v[126:129], off, off offset:368
	s_wait_dscnt 0x0
	v_fmac_f64_e32 v[160:161], v[130:131], v[152:153]
	s_wait_loadcnt 0x5
	v_fmac_f64_e32 v[160:161], v[132:133], v[154:155]
	ds_load_2addr_b64 v[130:133], v2 offset0:97 offset1:98
	ds_load_2addr_b64 v[148:151], v2 offset0:99 offset1:100
	scratch_load_b128 v[152:155], off, off offset:384
	s_wait_dscnt 0x1
	v_fmac_f64_e32 v[160:161], v[134:135], v[130:131]
	s_wait_loadcnt 0x5
	s_delay_alu instid0(VALU_DEP_1) | instskip(SKIP_4) | instid1(VALU_DEP_1)
	v_fmac_f64_e32 v[160:161], v[136:137], v[132:133]
	scratch_load_b128 v[130:133], off, off offset:400
	s_wait_dscnt 0x0
	v_fmac_f64_e32 v[160:161], v[138:139], v[148:149]
	s_wait_loadcnt 0x5
	v_fmac_f64_e32 v[160:161], v[140:141], v[150:151]
	ds_load_2addr_b64 v[134:137], v2 offset0:101 offset1:102
	ds_load_2addr_b64 v[138:141], v2 offset0:103 offset1:104
	s_wait_dscnt 0x1
	v_fmac_f64_e32 v[160:161], v[142:143], v[134:135]
	s_wait_loadcnt 0x4
	s_delay_alu instid0(VALU_DEP_1) | instskip(SKIP_4) | instid1(VALU_DEP_1)
	v_fmac_f64_e32 v[160:161], v[144:145], v[136:137]
	scratch_load_b128 v[134:137], off, off offset:416
	s_wait_dscnt 0x0
	v_fmac_f64_e32 v[160:161], v[146:147], v[138:139]
	s_wait_loadcnt 0x4
	v_fmac_f64_e32 v[160:161], v[156:157], v[140:141]
	scratch_load_b128 v[138:141], off, off offset:432
	ds_load_2addr_b64 v[142:145], v2 offset0:105 offset1:106
	ds_load_2addr_b64 v[146:149], v2 offset0:107 offset1:108
	s_wait_dscnt 0x1
	v_fmac_f64_e32 v[160:161], v[158:159], v[142:143]
	s_wait_loadcnt 0x4
	s_delay_alu instid0(VALU_DEP_1)
	v_fmac_f64_e32 v[160:161], v[126:127], v[144:145]
	scratch_load_b128 v[142:145], off, off offset:448
	s_wait_dscnt 0x0
	v_fmac_f64_e32 v[160:161], v[128:129], v[146:147]
	scratch_load_b128 v[126:129], off, off offset:464
	s_wait_loadcnt 0x5
	v_fmac_f64_e32 v[160:161], v[152:153], v[148:149]
	ds_load_2addr_b64 v[146:149], v2 offset0:109 offset1:110
	ds_load_2addr_b64 v[150:153], v2 offset0:111 offset1:112
	s_wait_dscnt 0x1
	v_fmac_f64_e32 v[160:161], v[154:155], v[146:147]
	s_wait_loadcnt 0x4
	s_delay_alu instid0(VALU_DEP_1) | instskip(SKIP_1) | instid1(VALU_DEP_1)
	v_fmac_f64_e32 v[160:161], v[130:131], v[148:149]
	s_wait_dscnt 0x0
	v_fmac_f64_e32 v[160:161], v[132:133], v[150:151]
	ds_load_2addr_b64 v[130:133], v2 offset0:113 offset1:114
	ds_load_2addr_b64 v[146:149], v2 offset0:115 offset1:116
	s_wait_loadcnt 0x3
	v_fmac_f64_e32 v[160:161], v[134:135], v[152:153]
	s_wait_dscnt 0x1
	s_delay_alu instid0(VALU_DEP_1) | instskip(SKIP_1) | instid1(VALU_DEP_1)
	v_fmac_f64_e32 v[160:161], v[136:137], v[130:131]
	s_wait_loadcnt 0x2
	v_fmac_f64_e32 v[160:161], v[138:139], v[132:133]
	ds_load_2addr_b64 v[130:133], v2 offset0:117 offset1:118
	ds_load_b64 v[134:135], v2 offset:952
	s_wait_dscnt 0x2
	v_fmac_f64_e32 v[160:161], v[140:141], v[146:147]
	s_wait_loadcnt 0x1
	s_delay_alu instid0(VALU_DEP_1) | instskip(SKIP_1) | instid1(VALU_DEP_1)
	v_fmac_f64_e32 v[160:161], v[142:143], v[148:149]
	s_wait_dscnt 0x1
	v_fmac_f64_e32 v[160:161], v[144:145], v[130:131]
	s_wait_loadcnt 0x0
	s_delay_alu instid0(VALU_DEP_1) | instskip(SKIP_1) | instid1(VALU_DEP_1)
	v_fmac_f64_e32 v[160:161], v[126:127], v[132:133]
	s_wait_dscnt 0x0
	v_fmac_f64_e32 v[160:161], v[128:129], v[134:135]
	s_delay_alu instid0(VALU_DEP_1)
	v_add_f64_e64 v[124:125], v[124:125], -v[160:161]
	scratch_store_b64 off, v[124:125], off offset:256
	s_wait_xcnt 0x0
	v_cmpx_lt_u32_e32 31, v0
	s_cbranch_execz .LBB59_307
; %bb.306:
	scratch_load_b64 v[124:125], off, off offset:248
	v_mov_b64_e32 v[126:127], 0
	scratch_store_b64 off, v[126:127], off offset:248
	s_wait_loadcnt 0x0
	ds_store_b64 v1, v[124:125]
.LBB59_307:
	s_wait_xcnt 0x0
	s_or_b32 exec_lo, exec_lo, s0
	s_wait_storecnt_dscnt 0x0
	s_barrier_signal -1
	s_barrier_wait -1
	s_clause 0x5
	scratch_load_b128 v[124:127], off, off offset:248
	scratch_load_b128 v[128:131], off, off offset:264
	;; [unrolled: 1-line block ×6, first 2 shown]
	ds_load_b128 v[148:151], v2 offset:736
	ds_load_b128 v[152:155], v2 offset:752
	scratch_load_b128 v[156:159], off, off offset:344
	s_mov_b32 s0, exec_lo
	s_wait_loadcnt_dscnt 0x601
	v_fma_f64 v[160:161], v[126:127], v[148:149], 0
	s_wait_loadcnt 0x5
	s_delay_alu instid0(VALU_DEP_1) | instskip(SKIP_4) | instid1(VALU_DEP_1)
	v_fmac_f64_e32 v[160:161], v[128:129], v[150:151]
	scratch_load_b128 v[126:129], off, off offset:360
	s_wait_dscnt 0x0
	v_fmac_f64_e32 v[160:161], v[130:131], v[152:153]
	s_wait_loadcnt 0x5
	v_fmac_f64_e32 v[160:161], v[132:133], v[154:155]
	ds_load_b128 v[130:133], v2 offset:768
	ds_load_b128 v[148:151], v2 offset:784
	scratch_load_b128 v[152:155], off, off offset:376
	s_wait_dscnt 0x1
	v_fmac_f64_e32 v[160:161], v[134:135], v[130:131]
	s_wait_loadcnt 0x5
	s_delay_alu instid0(VALU_DEP_1) | instskip(SKIP_4) | instid1(VALU_DEP_1)
	v_fmac_f64_e32 v[160:161], v[136:137], v[132:133]
	scratch_load_b128 v[130:133], off, off offset:392
	s_wait_dscnt 0x0
	v_fmac_f64_e32 v[160:161], v[138:139], v[148:149]
	s_wait_loadcnt 0x5
	v_fmac_f64_e32 v[160:161], v[140:141], v[150:151]
	ds_load_b128 v[134:137], v2 offset:800
	ds_load_b128 v[138:141], v2 offset:816
	s_wait_dscnt 0x1
	v_fmac_f64_e32 v[160:161], v[142:143], v[134:135]
	s_wait_loadcnt 0x4
	s_delay_alu instid0(VALU_DEP_1) | instskip(SKIP_4) | instid1(VALU_DEP_1)
	v_fmac_f64_e32 v[160:161], v[144:145], v[136:137]
	scratch_load_b128 v[134:137], off, off offset:408
	s_wait_dscnt 0x0
	v_fmac_f64_e32 v[160:161], v[146:147], v[138:139]
	s_wait_loadcnt 0x4
	v_fmac_f64_e32 v[160:161], v[156:157], v[140:141]
	scratch_load_b128 v[138:141], off, off offset:424
	ds_load_b128 v[142:145], v2 offset:832
	ds_load_b128 v[146:149], v2 offset:848
	s_wait_dscnt 0x1
	v_fmac_f64_e32 v[160:161], v[158:159], v[142:143]
	s_wait_loadcnt 0x4
	s_delay_alu instid0(VALU_DEP_1)
	v_fmac_f64_e32 v[160:161], v[126:127], v[144:145]
	scratch_load_b128 v[142:145], off, off offset:440
	s_wait_dscnt 0x0
	v_fmac_f64_e32 v[160:161], v[128:129], v[146:147]
	scratch_load_b128 v[126:129], off, off offset:456
	s_wait_loadcnt 0x5
	v_fmac_f64_e32 v[160:161], v[152:153], v[148:149]
	ds_load_b128 v[146:149], v2 offset:864
	ds_load_b128 v[150:153], v2 offset:880
	s_wait_dscnt 0x1
	v_fmac_f64_e32 v[160:161], v[154:155], v[146:147]
	scratch_load_b64 v[154:155], off, off offset:472
	s_wait_loadcnt 0x5
	v_fmac_f64_e32 v[160:161], v[130:131], v[148:149]
	s_wait_dscnt 0x0
	s_delay_alu instid0(VALU_DEP_1)
	v_fmac_f64_e32 v[160:161], v[132:133], v[150:151]
	ds_load_b128 v[130:133], v2 offset:896
	ds_load_b128 v[146:149], v2 offset:912
	s_wait_loadcnt 0x4
	v_fmac_f64_e32 v[160:161], v[134:135], v[152:153]
	s_wait_dscnt 0x1
	s_delay_alu instid0(VALU_DEP_1) | instskip(SKIP_1) | instid1(VALU_DEP_1)
	v_fmac_f64_e32 v[160:161], v[136:137], v[130:131]
	s_wait_loadcnt 0x3
	v_fmac_f64_e32 v[160:161], v[138:139], v[132:133]
	ds_load_b128 v[130:133], v2 offset:928
	ds_load_b128 v[134:137], v2 offset:944
	s_wait_dscnt 0x2
	v_fmac_f64_e32 v[160:161], v[140:141], v[146:147]
	s_wait_loadcnt 0x2
	s_delay_alu instid0(VALU_DEP_1) | instskip(SKIP_1) | instid1(VALU_DEP_1)
	v_fmac_f64_e32 v[160:161], v[142:143], v[148:149]
	s_wait_dscnt 0x1
	v_fmac_f64_e32 v[160:161], v[144:145], v[130:131]
	s_wait_loadcnt 0x1
	s_delay_alu instid0(VALU_DEP_1) | instskip(SKIP_1) | instid1(VALU_DEP_1)
	v_fmac_f64_e32 v[160:161], v[126:127], v[132:133]
	s_wait_dscnt 0x0
	v_fmac_f64_e32 v[160:161], v[128:129], v[134:135]
	s_wait_loadcnt 0x0
	s_delay_alu instid0(VALU_DEP_1) | instskip(NEXT) | instid1(VALU_DEP_1)
	v_fmac_f64_e32 v[160:161], v[154:155], v[136:137]
	v_add_f64_e64 v[2:3], v[124:125], -v[160:161]
	scratch_store_b64 off, v[2:3], off offset:248
	s_wait_xcnt 0x0
	v_cmpx_lt_u32_e32 30, v0
	s_cbranch_execz .LBB59_309
; %bb.308:
	scratch_load_b64 v[2:3], off, off offset:240
	v_mov_b64_e32 v[124:125], 0
	scratch_store_b64 off, v[124:125], off offset:240
	s_wait_loadcnt 0x0
	ds_store_b64 v1, v[2:3]
.LBB59_309:
	s_wait_xcnt 0x0
	s_or_b32 exec_lo, exec_lo, s0
	s_wait_storecnt_dscnt 0x0
	s_barrier_signal -1
	s_barrier_wait -1
	s_clause 0x5
	scratch_load_b128 v[124:127], off, off offset:240
	scratch_load_b128 v[128:131], off, off offset:256
	;; [unrolled: 1-line block ×6, first 2 shown]
	v_mov_b32_e32 v2, 0
	ds_load_2addr_b64 v[148:151], v2 offset0:91 offset1:92
	ds_load_2addr_b64 v[152:155], v2 offset0:93 offset1:94
	scratch_load_b128 v[156:159], off, off offset:336
	s_mov_b32 s0, exec_lo
	s_wait_loadcnt_dscnt 0x601
	v_fma_f64 v[160:161], v[126:127], v[148:149], 0
	s_wait_loadcnt 0x5
	s_delay_alu instid0(VALU_DEP_1) | instskip(SKIP_4) | instid1(VALU_DEP_1)
	v_fmac_f64_e32 v[160:161], v[128:129], v[150:151]
	scratch_load_b128 v[126:129], off, off offset:352
	s_wait_dscnt 0x0
	v_fmac_f64_e32 v[160:161], v[130:131], v[152:153]
	s_wait_loadcnt 0x5
	v_fmac_f64_e32 v[160:161], v[132:133], v[154:155]
	ds_load_2addr_b64 v[130:133], v2 offset0:95 offset1:96
	ds_load_2addr_b64 v[148:151], v2 offset0:97 offset1:98
	scratch_load_b128 v[152:155], off, off offset:368
	s_wait_dscnt 0x1
	v_fmac_f64_e32 v[160:161], v[134:135], v[130:131]
	s_wait_loadcnt 0x5
	s_delay_alu instid0(VALU_DEP_1) | instskip(SKIP_4) | instid1(VALU_DEP_1)
	v_fmac_f64_e32 v[160:161], v[136:137], v[132:133]
	scratch_load_b128 v[130:133], off, off offset:384
	s_wait_dscnt 0x0
	v_fmac_f64_e32 v[160:161], v[138:139], v[148:149]
	s_wait_loadcnt 0x5
	v_fmac_f64_e32 v[160:161], v[140:141], v[150:151]
	ds_load_2addr_b64 v[134:137], v2 offset0:99 offset1:100
	ds_load_2addr_b64 v[138:141], v2 offset0:101 offset1:102
	s_wait_dscnt 0x1
	v_fmac_f64_e32 v[160:161], v[142:143], v[134:135]
	s_wait_loadcnt 0x4
	s_delay_alu instid0(VALU_DEP_1) | instskip(SKIP_4) | instid1(VALU_DEP_1)
	v_fmac_f64_e32 v[160:161], v[144:145], v[136:137]
	scratch_load_b128 v[134:137], off, off offset:400
	s_wait_dscnt 0x0
	v_fmac_f64_e32 v[160:161], v[146:147], v[138:139]
	s_wait_loadcnt 0x4
	v_fmac_f64_e32 v[160:161], v[156:157], v[140:141]
	scratch_load_b128 v[138:141], off, off offset:416
	ds_load_2addr_b64 v[142:145], v2 offset0:103 offset1:104
	ds_load_2addr_b64 v[146:149], v2 offset0:105 offset1:106
	s_wait_dscnt 0x1
	v_fmac_f64_e32 v[160:161], v[158:159], v[142:143]
	s_wait_loadcnt 0x4
	s_delay_alu instid0(VALU_DEP_1)
	v_fmac_f64_e32 v[160:161], v[126:127], v[144:145]
	scratch_load_b128 v[142:145], off, off offset:432
	s_wait_dscnt 0x0
	v_fmac_f64_e32 v[160:161], v[128:129], v[146:147]
	scratch_load_b128 v[126:129], off, off offset:448
	s_wait_loadcnt 0x5
	v_fmac_f64_e32 v[160:161], v[152:153], v[148:149]
	ds_load_2addr_b64 v[146:149], v2 offset0:107 offset1:108
	ds_load_2addr_b64 v[150:153], v2 offset0:109 offset1:110
	s_wait_dscnt 0x1
	v_fmac_f64_e32 v[160:161], v[154:155], v[146:147]
	s_wait_loadcnt 0x4
	s_delay_alu instid0(VALU_DEP_1) | instskip(SKIP_4) | instid1(VALU_DEP_1)
	v_fmac_f64_e32 v[160:161], v[130:131], v[148:149]
	scratch_load_b128 v[146:149], off, off offset:464
	s_wait_dscnt 0x0
	v_fmac_f64_e32 v[160:161], v[132:133], v[150:151]
	s_wait_loadcnt 0x4
	v_fmac_f64_e32 v[160:161], v[134:135], v[152:153]
	ds_load_2addr_b64 v[130:133], v2 offset0:111 offset1:112
	ds_load_2addr_b64 v[150:153], v2 offset0:113 offset1:114
	s_wait_dscnt 0x1
	v_fmac_f64_e32 v[160:161], v[136:137], v[130:131]
	s_wait_loadcnt 0x3
	s_delay_alu instid0(VALU_DEP_1)
	v_fmac_f64_e32 v[160:161], v[138:139], v[132:133]
	ds_load_2addr_b64 v[130:133], v2 offset0:115 offset1:116
	ds_load_2addr_b64 v[134:137], v2 offset0:117 offset1:118
	s_wait_dscnt 0x2
	v_fmac_f64_e32 v[160:161], v[140:141], v[150:151]
	s_wait_loadcnt 0x2
	s_delay_alu instid0(VALU_DEP_1) | instskip(SKIP_1) | instid1(VALU_DEP_1)
	v_fmac_f64_e32 v[160:161], v[142:143], v[152:153]
	s_wait_dscnt 0x1
	v_fmac_f64_e32 v[160:161], v[144:145], v[130:131]
	s_wait_loadcnt 0x1
	s_delay_alu instid0(VALU_DEP_1) | instskip(SKIP_4) | instid1(VALU_DEP_1)
	v_fmac_f64_e32 v[160:161], v[126:127], v[132:133]
	ds_load_b64 v[126:127], v2 offset:952
	s_wait_dscnt 0x1
	v_fmac_f64_e32 v[160:161], v[128:129], v[134:135]
	s_wait_loadcnt 0x0
	v_fmac_f64_e32 v[160:161], v[146:147], v[136:137]
	s_wait_dscnt 0x0
	s_delay_alu instid0(VALU_DEP_1) | instskip(NEXT) | instid1(VALU_DEP_1)
	v_fmac_f64_e32 v[160:161], v[148:149], v[126:127]
	v_add_f64_e64 v[124:125], v[124:125], -v[160:161]
	scratch_store_b64 off, v[124:125], off offset:240
	s_wait_xcnt 0x0
	v_cmpx_lt_u32_e32 29, v0
	s_cbranch_execz .LBB59_311
; %bb.310:
	scratch_load_b64 v[124:125], off, off offset:232
	v_mov_b64_e32 v[126:127], 0
	scratch_store_b64 off, v[126:127], off offset:232
	s_wait_loadcnt 0x0
	ds_store_b64 v1, v[124:125]
.LBB59_311:
	s_wait_xcnt 0x0
	s_or_b32 exec_lo, exec_lo, s0
	s_wait_storecnt_dscnt 0x0
	s_barrier_signal -1
	s_barrier_wait -1
	s_clause 0x5
	scratch_load_b128 v[124:127], off, off offset:232
	scratch_load_b128 v[128:131], off, off offset:248
	;; [unrolled: 1-line block ×6, first 2 shown]
	ds_load_b128 v[148:151], v2 offset:720
	ds_load_b128 v[152:155], v2 offset:736
	scratch_load_b128 v[156:159], off, off offset:328
	s_mov_b32 s0, exec_lo
	s_wait_loadcnt_dscnt 0x601
	v_fma_f64 v[160:161], v[126:127], v[148:149], 0
	s_wait_loadcnt 0x5
	s_delay_alu instid0(VALU_DEP_1) | instskip(SKIP_4) | instid1(VALU_DEP_1)
	v_fmac_f64_e32 v[160:161], v[128:129], v[150:151]
	scratch_load_b128 v[126:129], off, off offset:344
	s_wait_dscnt 0x0
	v_fmac_f64_e32 v[160:161], v[130:131], v[152:153]
	s_wait_loadcnt 0x5
	v_fmac_f64_e32 v[160:161], v[132:133], v[154:155]
	ds_load_b128 v[130:133], v2 offset:752
	ds_load_b128 v[148:151], v2 offset:768
	scratch_load_b128 v[152:155], off, off offset:360
	s_wait_dscnt 0x1
	v_fmac_f64_e32 v[160:161], v[134:135], v[130:131]
	s_wait_loadcnt 0x5
	s_delay_alu instid0(VALU_DEP_1) | instskip(SKIP_4) | instid1(VALU_DEP_1)
	v_fmac_f64_e32 v[160:161], v[136:137], v[132:133]
	scratch_load_b128 v[130:133], off, off offset:376
	s_wait_dscnt 0x0
	v_fmac_f64_e32 v[160:161], v[138:139], v[148:149]
	s_wait_loadcnt 0x5
	v_fmac_f64_e32 v[160:161], v[140:141], v[150:151]
	ds_load_b128 v[134:137], v2 offset:784
	ds_load_b128 v[138:141], v2 offset:800
	scratch_load_b128 v[148:151], off, off offset:392
	s_wait_dscnt 0x1
	v_fmac_f64_e32 v[160:161], v[142:143], v[134:135]
	s_wait_loadcnt 0x5
	s_delay_alu instid0(VALU_DEP_1) | instskip(SKIP_4) | instid1(VALU_DEP_1)
	v_fmac_f64_e32 v[160:161], v[144:145], v[136:137]
	scratch_load_b128 v[134:137], off, off offset:408
	s_wait_dscnt 0x0
	v_fmac_f64_e32 v[160:161], v[146:147], v[138:139]
	s_wait_loadcnt 0x5
	v_fmac_f64_e32 v[160:161], v[156:157], v[140:141]
	ds_load_b128 v[138:141], v2 offset:816
	ds_load_b128 v[142:145], v2 offset:832
	s_wait_dscnt 0x1
	v_fmac_f64_e32 v[160:161], v[158:159], v[138:139]
	s_wait_loadcnt 0x4
	s_delay_alu instid0(VALU_DEP_1)
	v_fmac_f64_e32 v[160:161], v[126:127], v[140:141]
	scratch_load_b128 v[138:141], off, off offset:424
	s_wait_dscnt 0x0
	v_fmac_f64_e32 v[160:161], v[128:129], v[142:143]
	scratch_load_b128 v[126:129], off, off offset:440
	s_wait_loadcnt 0x5
	v_fmac_f64_e32 v[160:161], v[152:153], v[144:145]
	ds_load_b128 v[142:145], v2 offset:848
	ds_load_b128 v[156:159], v2 offset:864
	scratch_load_b64 v[152:153], off, off offset:472
	s_wait_dscnt 0x1
	v_fmac_f64_e32 v[160:161], v[154:155], v[142:143]
	s_wait_loadcnt 0x5
	s_delay_alu instid0(VALU_DEP_1) | instskip(SKIP_4) | instid1(VALU_DEP_1)
	v_fmac_f64_e32 v[160:161], v[130:131], v[144:145]
	scratch_load_b128 v[142:145], off, off offset:456
	s_wait_dscnt 0x0
	v_fmac_f64_e32 v[160:161], v[132:133], v[156:157]
	s_wait_loadcnt 0x5
	v_fmac_f64_e32 v[160:161], v[148:149], v[158:159]
	ds_load_b128 v[130:133], v2 offset:880
	ds_load_b128 v[146:149], v2 offset:896
	s_wait_dscnt 0x1
	v_fmac_f64_e32 v[160:161], v[150:151], v[130:131]
	s_wait_loadcnt 0x4
	s_delay_alu instid0(VALU_DEP_1) | instskip(SKIP_1) | instid1(VALU_DEP_1)
	v_fmac_f64_e32 v[160:161], v[134:135], v[132:133]
	s_wait_dscnt 0x0
	v_fmac_f64_e32 v[160:161], v[136:137], v[146:147]
	ds_load_b128 v[130:133], v2 offset:912
	ds_load_b128 v[134:137], v2 offset:928
	s_wait_loadcnt 0x3
	v_fmac_f64_e32 v[160:161], v[138:139], v[148:149]
	s_wait_dscnt 0x1
	s_delay_alu instid0(VALU_DEP_1) | instskip(SKIP_1) | instid1(VALU_DEP_1)
	v_fmac_f64_e32 v[160:161], v[140:141], v[130:131]
	s_wait_loadcnt 0x2
	v_fmac_f64_e32 v[160:161], v[126:127], v[132:133]
	s_wait_dscnt 0x0
	s_delay_alu instid0(VALU_DEP_1) | instskip(SKIP_4) | instid1(VALU_DEP_1)
	v_fmac_f64_e32 v[160:161], v[128:129], v[134:135]
	ds_load_b128 v[126:129], v2 offset:944
	s_wait_loadcnt 0x0
	v_fmac_f64_e32 v[160:161], v[142:143], v[136:137]
	s_wait_dscnt 0x0
	v_fmac_f64_e32 v[160:161], v[144:145], v[126:127]
	s_delay_alu instid0(VALU_DEP_1) | instskip(NEXT) | instid1(VALU_DEP_1)
	v_fmac_f64_e32 v[160:161], v[152:153], v[128:129]
	v_add_f64_e64 v[2:3], v[124:125], -v[160:161]
	scratch_store_b64 off, v[2:3], off offset:232
	s_wait_xcnt 0x0
	v_cmpx_lt_u32_e32 28, v0
	s_cbranch_execz .LBB59_313
; %bb.312:
	scratch_load_b64 v[2:3], off, off offset:224
	v_mov_b64_e32 v[124:125], 0
	scratch_store_b64 off, v[124:125], off offset:224
	s_wait_loadcnt 0x0
	ds_store_b64 v1, v[2:3]
.LBB59_313:
	s_wait_xcnt 0x0
	s_or_b32 exec_lo, exec_lo, s0
	s_wait_storecnt_dscnt 0x0
	s_barrier_signal -1
	s_barrier_wait -1
	s_clause 0x5
	scratch_load_b128 v[124:127], off, off offset:224
	scratch_load_b128 v[128:131], off, off offset:240
	;; [unrolled: 1-line block ×6, first 2 shown]
	v_mov_b32_e32 v2, 0
	ds_load_2addr_b64 v[148:151], v2 offset0:89 offset1:90
	ds_load_2addr_b64 v[152:155], v2 offset0:91 offset1:92
	scratch_load_b128 v[156:159], off, off offset:320
	s_mov_b32 s0, exec_lo
	s_wait_loadcnt_dscnt 0x601
	v_fma_f64 v[160:161], v[126:127], v[148:149], 0
	s_wait_loadcnt 0x5
	s_delay_alu instid0(VALU_DEP_1) | instskip(SKIP_4) | instid1(VALU_DEP_1)
	v_fmac_f64_e32 v[160:161], v[128:129], v[150:151]
	scratch_load_b128 v[126:129], off, off offset:336
	s_wait_dscnt 0x0
	v_fmac_f64_e32 v[160:161], v[130:131], v[152:153]
	s_wait_loadcnt 0x5
	v_fmac_f64_e32 v[160:161], v[132:133], v[154:155]
	ds_load_2addr_b64 v[130:133], v2 offset0:93 offset1:94
	ds_load_2addr_b64 v[148:151], v2 offset0:95 offset1:96
	scratch_load_b128 v[152:155], off, off offset:352
	s_wait_dscnt 0x1
	v_fmac_f64_e32 v[160:161], v[134:135], v[130:131]
	s_wait_loadcnt 0x5
	s_delay_alu instid0(VALU_DEP_1) | instskip(SKIP_4) | instid1(VALU_DEP_1)
	v_fmac_f64_e32 v[160:161], v[136:137], v[132:133]
	scratch_load_b128 v[130:133], off, off offset:368
	s_wait_dscnt 0x0
	v_fmac_f64_e32 v[160:161], v[138:139], v[148:149]
	s_wait_loadcnt 0x5
	v_fmac_f64_e32 v[160:161], v[140:141], v[150:151]
	ds_load_2addr_b64 v[134:137], v2 offset0:97 offset1:98
	ds_load_2addr_b64 v[138:141], v2 offset0:99 offset1:100
	scratch_load_b128 v[148:151], off, off offset:384
	s_wait_dscnt 0x1
	v_fmac_f64_e32 v[160:161], v[142:143], v[134:135]
	s_wait_loadcnt 0x5
	s_delay_alu instid0(VALU_DEP_1) | instskip(SKIP_4) | instid1(VALU_DEP_1)
	v_fmac_f64_e32 v[160:161], v[144:145], v[136:137]
	scratch_load_b128 v[134:137], off, off offset:400
	s_wait_dscnt 0x0
	v_fmac_f64_e32 v[160:161], v[146:147], v[138:139]
	s_wait_loadcnt 0x5
	v_fmac_f64_e32 v[160:161], v[156:157], v[140:141]
	ds_load_2addr_b64 v[138:141], v2 offset0:101 offset1:102
	ds_load_2addr_b64 v[142:145], v2 offset0:103 offset1:104
	s_wait_dscnt 0x1
	v_fmac_f64_e32 v[160:161], v[158:159], v[138:139]
	s_wait_loadcnt 0x4
	s_delay_alu instid0(VALU_DEP_1)
	v_fmac_f64_e32 v[160:161], v[126:127], v[140:141]
	scratch_load_b128 v[138:141], off, off offset:416
	s_wait_dscnt 0x0
	v_fmac_f64_e32 v[160:161], v[128:129], v[142:143]
	scratch_load_b128 v[126:129], off, off offset:432
	s_wait_loadcnt 0x5
	v_fmac_f64_e32 v[160:161], v[152:153], v[144:145]
	ds_load_2addr_b64 v[142:145], v2 offset0:105 offset1:106
	ds_load_2addr_b64 v[156:159], v2 offset0:107 offset1:108
	s_wait_dscnt 0x1
	v_fmac_f64_e32 v[160:161], v[154:155], v[142:143]
	s_wait_loadcnt 0x4
	s_delay_alu instid0(VALU_DEP_1)
	v_fmac_f64_e32 v[160:161], v[130:131], v[144:145]
	scratch_load_b128 v[142:145], off, off offset:448
	s_wait_dscnt 0x0
	v_fmac_f64_e32 v[160:161], v[132:133], v[156:157]
	scratch_load_b128 v[130:133], off, off offset:464
	s_wait_loadcnt 0x5
	v_fmac_f64_e32 v[160:161], v[148:149], v[158:159]
	ds_load_2addr_b64 v[146:149], v2 offset0:109 offset1:110
	ds_load_2addr_b64 v[152:155], v2 offset0:111 offset1:112
	s_wait_dscnt 0x1
	v_fmac_f64_e32 v[160:161], v[150:151], v[146:147]
	s_wait_loadcnt 0x4
	s_delay_alu instid0(VALU_DEP_1) | instskip(SKIP_1) | instid1(VALU_DEP_1)
	v_fmac_f64_e32 v[160:161], v[134:135], v[148:149]
	s_wait_dscnt 0x0
	v_fmac_f64_e32 v[160:161], v[136:137], v[152:153]
	ds_load_2addr_b64 v[134:137], v2 offset0:113 offset1:114
	ds_load_2addr_b64 v[146:149], v2 offset0:115 offset1:116
	s_wait_loadcnt 0x3
	v_fmac_f64_e32 v[160:161], v[138:139], v[154:155]
	s_wait_dscnt 0x1
	s_delay_alu instid0(VALU_DEP_1) | instskip(SKIP_1) | instid1(VALU_DEP_1)
	v_fmac_f64_e32 v[160:161], v[140:141], v[134:135]
	s_wait_loadcnt 0x2
	v_fmac_f64_e32 v[160:161], v[126:127], v[136:137]
	s_wait_dscnt 0x0
	s_delay_alu instid0(VALU_DEP_1)
	v_fmac_f64_e32 v[160:161], v[128:129], v[146:147]
	ds_load_2addr_b64 v[126:129], v2 offset0:117 offset1:118
	ds_load_b64 v[134:135], v2 offset:952
	s_wait_loadcnt 0x1
	v_fmac_f64_e32 v[160:161], v[142:143], v[148:149]
	s_wait_dscnt 0x1
	s_delay_alu instid0(VALU_DEP_1) | instskip(SKIP_1) | instid1(VALU_DEP_1)
	v_fmac_f64_e32 v[160:161], v[144:145], v[126:127]
	s_wait_loadcnt 0x0
	v_fmac_f64_e32 v[160:161], v[130:131], v[128:129]
	s_wait_dscnt 0x0
	s_delay_alu instid0(VALU_DEP_1) | instskip(NEXT) | instid1(VALU_DEP_1)
	v_fmac_f64_e32 v[160:161], v[132:133], v[134:135]
	v_add_f64_e64 v[124:125], v[124:125], -v[160:161]
	scratch_store_b64 off, v[124:125], off offset:224
	s_wait_xcnt 0x0
	v_cmpx_lt_u32_e32 27, v0
	s_cbranch_execz .LBB59_315
; %bb.314:
	scratch_load_b64 v[124:125], off, off offset:216
	v_mov_b64_e32 v[126:127], 0
	scratch_store_b64 off, v[126:127], off offset:216
	s_wait_loadcnt 0x0
	ds_store_b64 v1, v[124:125]
.LBB59_315:
	s_wait_xcnt 0x0
	s_or_b32 exec_lo, exec_lo, s0
	s_wait_storecnt_dscnt 0x0
	s_barrier_signal -1
	s_barrier_wait -1
	s_clause 0x5
	scratch_load_b128 v[124:127], off, off offset:216
	scratch_load_b128 v[128:131], off, off offset:232
	;; [unrolled: 1-line block ×6, first 2 shown]
	ds_load_b128 v[148:151], v2 offset:704
	ds_load_b128 v[152:155], v2 offset:720
	scratch_load_b128 v[156:159], off, off offset:312
	s_mov_b32 s0, exec_lo
	s_wait_loadcnt_dscnt 0x601
	v_fma_f64 v[160:161], v[126:127], v[148:149], 0
	s_wait_loadcnt 0x5
	s_delay_alu instid0(VALU_DEP_1) | instskip(SKIP_4) | instid1(VALU_DEP_1)
	v_fmac_f64_e32 v[160:161], v[128:129], v[150:151]
	scratch_load_b128 v[126:129], off, off offset:328
	s_wait_dscnt 0x0
	v_fmac_f64_e32 v[160:161], v[130:131], v[152:153]
	s_wait_loadcnt 0x5
	v_fmac_f64_e32 v[160:161], v[132:133], v[154:155]
	ds_load_b128 v[130:133], v2 offset:736
	ds_load_b128 v[148:151], v2 offset:752
	scratch_load_b128 v[152:155], off, off offset:344
	s_wait_dscnt 0x1
	v_fmac_f64_e32 v[160:161], v[134:135], v[130:131]
	s_wait_loadcnt 0x5
	s_delay_alu instid0(VALU_DEP_1) | instskip(SKIP_4) | instid1(VALU_DEP_1)
	v_fmac_f64_e32 v[160:161], v[136:137], v[132:133]
	scratch_load_b128 v[130:133], off, off offset:360
	s_wait_dscnt 0x0
	v_fmac_f64_e32 v[160:161], v[138:139], v[148:149]
	s_wait_loadcnt 0x5
	v_fmac_f64_e32 v[160:161], v[140:141], v[150:151]
	ds_load_b128 v[134:137], v2 offset:768
	ds_load_b128 v[138:141], v2 offset:784
	scratch_load_b128 v[148:151], off, off offset:376
	s_wait_dscnt 0x1
	v_fmac_f64_e32 v[160:161], v[142:143], v[134:135]
	s_wait_loadcnt 0x5
	s_delay_alu instid0(VALU_DEP_1) | instskip(SKIP_4) | instid1(VALU_DEP_1)
	v_fmac_f64_e32 v[160:161], v[144:145], v[136:137]
	scratch_load_b128 v[134:137], off, off offset:392
	s_wait_dscnt 0x0
	v_fmac_f64_e32 v[160:161], v[146:147], v[138:139]
	s_wait_loadcnt 0x5
	v_fmac_f64_e32 v[160:161], v[156:157], v[140:141]
	ds_load_b128 v[138:141], v2 offset:800
	ds_load_b128 v[142:145], v2 offset:816
	s_wait_dscnt 0x1
	v_fmac_f64_e32 v[160:161], v[158:159], v[138:139]
	s_wait_loadcnt 0x4
	s_delay_alu instid0(VALU_DEP_1)
	v_fmac_f64_e32 v[160:161], v[126:127], v[140:141]
	scratch_load_b128 v[138:141], off, off offset:408
	s_wait_dscnt 0x0
	v_fmac_f64_e32 v[160:161], v[128:129], v[142:143]
	scratch_load_b128 v[126:129], off, off offset:424
	s_wait_loadcnt 0x5
	v_fmac_f64_e32 v[160:161], v[152:153], v[144:145]
	ds_load_b128 v[142:145], v2 offset:832
	ds_load_b128 v[156:159], v2 offset:848
	s_wait_dscnt 0x1
	v_fmac_f64_e32 v[160:161], v[154:155], v[142:143]
	s_wait_loadcnt 0x4
	s_delay_alu instid0(VALU_DEP_1)
	v_fmac_f64_e32 v[160:161], v[130:131], v[144:145]
	scratch_load_b128 v[142:145], off, off offset:440
	s_wait_dscnt 0x0
	v_fmac_f64_e32 v[160:161], v[132:133], v[156:157]
	scratch_load_b128 v[130:133], off, off offset:456
	s_wait_loadcnt 0x5
	v_fmac_f64_e32 v[160:161], v[148:149], v[158:159]
	ds_load_b128 v[146:149], v2 offset:864
	ds_load_b128 v[152:155], v2 offset:880
	s_wait_dscnt 0x1
	v_fmac_f64_e32 v[160:161], v[150:151], v[146:147]
	scratch_load_b64 v[150:151], off, off offset:472
	s_wait_loadcnt 0x5
	v_fmac_f64_e32 v[160:161], v[134:135], v[148:149]
	s_wait_dscnt 0x0
	s_delay_alu instid0(VALU_DEP_1)
	v_fmac_f64_e32 v[160:161], v[136:137], v[152:153]
	ds_load_b128 v[134:137], v2 offset:896
	ds_load_b128 v[146:149], v2 offset:912
	s_wait_loadcnt 0x4
	v_fmac_f64_e32 v[160:161], v[138:139], v[154:155]
	s_wait_dscnt 0x1
	s_delay_alu instid0(VALU_DEP_1) | instskip(SKIP_1) | instid1(VALU_DEP_1)
	v_fmac_f64_e32 v[160:161], v[140:141], v[134:135]
	s_wait_loadcnt 0x3
	v_fmac_f64_e32 v[160:161], v[126:127], v[136:137]
	s_wait_dscnt 0x0
	s_delay_alu instid0(VALU_DEP_1)
	v_fmac_f64_e32 v[160:161], v[128:129], v[146:147]
	ds_load_b128 v[126:129], v2 offset:928
	ds_load_b128 v[134:137], v2 offset:944
	s_wait_loadcnt 0x2
	v_fmac_f64_e32 v[160:161], v[142:143], v[148:149]
	s_wait_dscnt 0x1
	s_delay_alu instid0(VALU_DEP_1) | instskip(SKIP_1) | instid1(VALU_DEP_1)
	v_fmac_f64_e32 v[160:161], v[144:145], v[126:127]
	s_wait_loadcnt 0x1
	v_fmac_f64_e32 v[160:161], v[130:131], v[128:129]
	s_wait_dscnt 0x0
	s_delay_alu instid0(VALU_DEP_1) | instskip(SKIP_1) | instid1(VALU_DEP_1)
	v_fmac_f64_e32 v[160:161], v[132:133], v[134:135]
	s_wait_loadcnt 0x0
	v_fmac_f64_e32 v[160:161], v[150:151], v[136:137]
	s_delay_alu instid0(VALU_DEP_1)
	v_add_f64_e64 v[2:3], v[124:125], -v[160:161]
	scratch_store_b64 off, v[2:3], off offset:216
	s_wait_xcnt 0x0
	v_cmpx_lt_u32_e32 26, v0
	s_cbranch_execz .LBB59_317
; %bb.316:
	scratch_load_b64 v[2:3], off, off offset:208
	v_mov_b64_e32 v[124:125], 0
	scratch_store_b64 off, v[124:125], off offset:208
	s_wait_loadcnt 0x0
	ds_store_b64 v1, v[2:3]
.LBB59_317:
	s_wait_xcnt 0x0
	s_or_b32 exec_lo, exec_lo, s0
	s_wait_storecnt_dscnt 0x0
	s_barrier_signal -1
	s_barrier_wait -1
	s_clause 0x5
	scratch_load_b128 v[124:127], off, off offset:208
	scratch_load_b128 v[128:131], off, off offset:224
	scratch_load_b128 v[132:135], off, off offset:240
	scratch_load_b128 v[136:139], off, off offset:256
	scratch_load_b128 v[140:143], off, off offset:272
	scratch_load_b128 v[144:147], off, off offset:288
	v_mov_b32_e32 v2, 0
	ds_load_2addr_b64 v[148:151], v2 offset0:87 offset1:88
	ds_load_2addr_b64 v[152:155], v2 offset0:89 offset1:90
	scratch_load_b128 v[156:159], off, off offset:304
	s_mov_b32 s0, exec_lo
	s_wait_loadcnt_dscnt 0x601
	v_fma_f64 v[160:161], v[126:127], v[148:149], 0
	s_wait_loadcnt 0x5
	s_delay_alu instid0(VALU_DEP_1) | instskip(SKIP_4) | instid1(VALU_DEP_1)
	v_fmac_f64_e32 v[160:161], v[128:129], v[150:151]
	scratch_load_b128 v[126:129], off, off offset:320
	s_wait_dscnt 0x0
	v_fmac_f64_e32 v[160:161], v[130:131], v[152:153]
	s_wait_loadcnt 0x5
	v_fmac_f64_e32 v[160:161], v[132:133], v[154:155]
	ds_load_2addr_b64 v[130:133], v2 offset0:91 offset1:92
	ds_load_2addr_b64 v[148:151], v2 offset0:93 offset1:94
	scratch_load_b128 v[152:155], off, off offset:336
	s_wait_dscnt 0x1
	v_fmac_f64_e32 v[160:161], v[134:135], v[130:131]
	s_wait_loadcnt 0x5
	s_delay_alu instid0(VALU_DEP_1) | instskip(SKIP_4) | instid1(VALU_DEP_1)
	v_fmac_f64_e32 v[160:161], v[136:137], v[132:133]
	scratch_load_b128 v[130:133], off, off offset:352
	s_wait_dscnt 0x0
	v_fmac_f64_e32 v[160:161], v[138:139], v[148:149]
	s_wait_loadcnt 0x5
	v_fmac_f64_e32 v[160:161], v[140:141], v[150:151]
	ds_load_2addr_b64 v[134:137], v2 offset0:95 offset1:96
	ds_load_2addr_b64 v[138:141], v2 offset0:97 offset1:98
	scratch_load_b128 v[148:151], off, off offset:368
	s_wait_dscnt 0x1
	v_fmac_f64_e32 v[160:161], v[142:143], v[134:135]
	s_wait_loadcnt 0x5
	s_delay_alu instid0(VALU_DEP_1) | instskip(SKIP_4) | instid1(VALU_DEP_1)
	v_fmac_f64_e32 v[160:161], v[144:145], v[136:137]
	scratch_load_b128 v[134:137], off, off offset:384
	s_wait_dscnt 0x0
	v_fmac_f64_e32 v[160:161], v[146:147], v[138:139]
	s_wait_loadcnt 0x5
	v_fmac_f64_e32 v[160:161], v[156:157], v[140:141]
	ds_load_2addr_b64 v[138:141], v2 offset0:99 offset1:100
	ds_load_2addr_b64 v[142:145], v2 offset0:101 offset1:102
	s_wait_dscnt 0x1
	v_fmac_f64_e32 v[160:161], v[158:159], v[138:139]
	s_wait_loadcnt 0x4
	s_delay_alu instid0(VALU_DEP_1)
	v_fmac_f64_e32 v[160:161], v[126:127], v[140:141]
	scratch_load_b128 v[138:141], off, off offset:400
	s_wait_dscnt 0x0
	v_fmac_f64_e32 v[160:161], v[128:129], v[142:143]
	scratch_load_b128 v[126:129], off, off offset:416
	s_wait_loadcnt 0x5
	v_fmac_f64_e32 v[160:161], v[152:153], v[144:145]
	ds_load_2addr_b64 v[142:145], v2 offset0:103 offset1:104
	ds_load_2addr_b64 v[156:159], v2 offset0:105 offset1:106
	s_wait_dscnt 0x1
	v_fmac_f64_e32 v[160:161], v[154:155], v[142:143]
	s_wait_loadcnt 0x4
	s_delay_alu instid0(VALU_DEP_1)
	v_fmac_f64_e32 v[160:161], v[130:131], v[144:145]
	scratch_load_b128 v[142:145], off, off offset:432
	s_wait_dscnt 0x0
	v_fmac_f64_e32 v[160:161], v[132:133], v[156:157]
	scratch_load_b128 v[130:133], off, off offset:448
	s_wait_loadcnt 0x5
	v_fmac_f64_e32 v[160:161], v[148:149], v[158:159]
	ds_load_2addr_b64 v[146:149], v2 offset0:107 offset1:108
	ds_load_2addr_b64 v[152:155], v2 offset0:109 offset1:110
	s_wait_dscnt 0x1
	v_fmac_f64_e32 v[160:161], v[150:151], v[146:147]
	s_wait_loadcnt 0x4
	s_delay_alu instid0(VALU_DEP_1)
	v_fmac_f64_e32 v[160:161], v[134:135], v[148:149]
	scratch_load_b128 v[146:149], off, off offset:464
	s_wait_dscnt 0x0
	v_fmac_f64_e32 v[160:161], v[136:137], v[152:153]
	ds_load_2addr_b64 v[134:137], v2 offset0:111 offset1:112
	ds_load_2addr_b64 v[150:153], v2 offset0:113 offset1:114
	s_wait_loadcnt 0x4
	v_fmac_f64_e32 v[160:161], v[138:139], v[154:155]
	s_wait_dscnt 0x1
	s_delay_alu instid0(VALU_DEP_1) | instskip(SKIP_1) | instid1(VALU_DEP_1)
	v_fmac_f64_e32 v[160:161], v[140:141], v[134:135]
	s_wait_loadcnt 0x3
	v_fmac_f64_e32 v[160:161], v[126:127], v[136:137]
	s_wait_dscnt 0x0
	s_delay_alu instid0(VALU_DEP_1)
	v_fmac_f64_e32 v[160:161], v[128:129], v[150:151]
	ds_load_2addr_b64 v[126:129], v2 offset0:115 offset1:116
	ds_load_2addr_b64 v[134:137], v2 offset0:117 offset1:118
	s_wait_loadcnt 0x2
	v_fmac_f64_e32 v[160:161], v[142:143], v[152:153]
	s_wait_dscnt 0x1
	s_delay_alu instid0(VALU_DEP_1) | instskip(SKIP_4) | instid1(VALU_DEP_1)
	v_fmac_f64_e32 v[160:161], v[144:145], v[126:127]
	ds_load_b64 v[126:127], v2 offset:952
	s_wait_loadcnt 0x1
	v_fmac_f64_e32 v[160:161], v[130:131], v[128:129]
	s_wait_dscnt 0x1
	v_fmac_f64_e32 v[160:161], v[132:133], v[134:135]
	s_wait_loadcnt 0x0
	s_delay_alu instid0(VALU_DEP_1) | instskip(SKIP_1) | instid1(VALU_DEP_1)
	v_fmac_f64_e32 v[160:161], v[146:147], v[136:137]
	s_wait_dscnt 0x0
	v_fmac_f64_e32 v[160:161], v[148:149], v[126:127]
	s_delay_alu instid0(VALU_DEP_1)
	v_add_f64_e64 v[124:125], v[124:125], -v[160:161]
	scratch_store_b64 off, v[124:125], off offset:208
	s_wait_xcnt 0x0
	v_cmpx_lt_u32_e32 25, v0
	s_cbranch_execz .LBB59_319
; %bb.318:
	scratch_load_b64 v[124:125], off, off offset:200
	v_mov_b64_e32 v[126:127], 0
	scratch_store_b64 off, v[126:127], off offset:200
	s_wait_loadcnt 0x0
	ds_store_b64 v1, v[124:125]
.LBB59_319:
	s_wait_xcnt 0x0
	s_or_b32 exec_lo, exec_lo, s0
	s_wait_storecnt_dscnt 0x0
	s_barrier_signal -1
	s_barrier_wait -1
	s_clause 0x5
	scratch_load_b128 v[124:127], off, off offset:200
	scratch_load_b128 v[128:131], off, off offset:216
	;; [unrolled: 1-line block ×6, first 2 shown]
	ds_load_b128 v[148:151], v2 offset:688
	ds_load_b128 v[152:155], v2 offset:704
	scratch_load_b128 v[156:159], off, off offset:296
	s_mov_b32 s0, exec_lo
	s_wait_loadcnt_dscnt 0x601
	v_fma_f64 v[160:161], v[126:127], v[148:149], 0
	s_wait_loadcnt 0x5
	s_delay_alu instid0(VALU_DEP_1) | instskip(SKIP_4) | instid1(VALU_DEP_1)
	v_fmac_f64_e32 v[160:161], v[128:129], v[150:151]
	scratch_load_b128 v[126:129], off, off offset:312
	s_wait_dscnt 0x0
	v_fmac_f64_e32 v[160:161], v[130:131], v[152:153]
	s_wait_loadcnt 0x5
	v_fmac_f64_e32 v[160:161], v[132:133], v[154:155]
	ds_load_b128 v[130:133], v2 offset:720
	ds_load_b128 v[148:151], v2 offset:736
	scratch_load_b128 v[152:155], off, off offset:328
	s_wait_dscnt 0x1
	v_fmac_f64_e32 v[160:161], v[134:135], v[130:131]
	s_wait_loadcnt 0x5
	s_delay_alu instid0(VALU_DEP_1) | instskip(SKIP_4) | instid1(VALU_DEP_1)
	v_fmac_f64_e32 v[160:161], v[136:137], v[132:133]
	scratch_load_b128 v[130:133], off, off offset:344
	s_wait_dscnt 0x0
	v_fmac_f64_e32 v[160:161], v[138:139], v[148:149]
	s_wait_loadcnt 0x5
	v_fmac_f64_e32 v[160:161], v[140:141], v[150:151]
	ds_load_b128 v[134:137], v2 offset:752
	ds_load_b128 v[138:141], v2 offset:768
	scratch_load_b128 v[148:151], off, off offset:360
	s_wait_dscnt 0x1
	v_fmac_f64_e32 v[160:161], v[142:143], v[134:135]
	s_wait_loadcnt 0x5
	s_delay_alu instid0(VALU_DEP_1) | instskip(SKIP_4) | instid1(VALU_DEP_1)
	v_fmac_f64_e32 v[160:161], v[144:145], v[136:137]
	scratch_load_b128 v[134:137], off, off offset:376
	s_wait_dscnt 0x0
	v_fmac_f64_e32 v[160:161], v[146:147], v[138:139]
	s_wait_loadcnt 0x5
	v_fmac_f64_e32 v[160:161], v[156:157], v[140:141]
	ds_load_b128 v[138:141], v2 offset:784
	ds_load_b128 v[142:145], v2 offset:800
	s_wait_dscnt 0x1
	v_fmac_f64_e32 v[160:161], v[158:159], v[138:139]
	scratch_load_b128 v[156:159], off, off offset:392
	s_wait_loadcnt 0x5
	v_fmac_f64_e32 v[160:161], v[126:127], v[140:141]
	s_wait_dscnt 0x0
	s_delay_alu instid0(VALU_DEP_1)
	v_fmac_f64_e32 v[160:161], v[128:129], v[142:143]
	scratch_load_b128 v[126:129], off, off offset:408
	s_wait_loadcnt 0x5
	v_fmac_f64_e32 v[160:161], v[152:153], v[144:145]
	ds_load_b128 v[138:141], v2 offset:816
	ds_load_b128 v[142:145], v2 offset:832
	s_wait_dscnt 0x1
	v_fmac_f64_e32 v[160:161], v[154:155], v[138:139]
	s_wait_loadcnt 0x4
	s_delay_alu instid0(VALU_DEP_1)
	v_fmac_f64_e32 v[160:161], v[130:131], v[140:141]
	scratch_load_b128 v[138:141], off, off offset:424
	s_wait_dscnt 0x0
	v_fmac_f64_e32 v[160:161], v[132:133], v[142:143]
	scratch_load_b128 v[130:133], off, off offset:440
	s_wait_loadcnt 0x5
	v_fmac_f64_e32 v[160:161], v[148:149], v[144:145]
	ds_load_b128 v[142:145], v2 offset:848
	ds_load_b128 v[146:149], v2 offset:864
	s_wait_dscnt 0x1
	v_fmac_f64_e32 v[160:161], v[150:151], v[142:143]
	scratch_load_b64 v[150:151], off, off offset:472
	s_wait_loadcnt 0x5
	v_fmac_f64_e32 v[160:161], v[134:135], v[144:145]
	scratch_load_b128 v[142:145], off, off offset:456
	s_wait_dscnt 0x0
	v_fmac_f64_e32 v[160:161], v[136:137], v[146:147]
	s_wait_loadcnt 0x5
	s_delay_alu instid0(VALU_DEP_1)
	v_fmac_f64_e32 v[160:161], v[156:157], v[148:149]
	ds_load_b128 v[134:137], v2 offset:880
	ds_load_b128 v[146:149], v2 offset:896
	s_wait_dscnt 0x1
	v_fmac_f64_e32 v[160:161], v[158:159], v[134:135]
	s_wait_loadcnt 0x4
	s_delay_alu instid0(VALU_DEP_1) | instskip(SKIP_1) | instid1(VALU_DEP_1)
	v_fmac_f64_e32 v[160:161], v[126:127], v[136:137]
	s_wait_dscnt 0x0
	v_fmac_f64_e32 v[160:161], v[128:129], v[146:147]
	ds_load_b128 v[126:129], v2 offset:912
	ds_load_b128 v[134:137], v2 offset:928
	s_wait_loadcnt 0x3
	v_fmac_f64_e32 v[160:161], v[138:139], v[148:149]
	s_wait_dscnt 0x1
	s_delay_alu instid0(VALU_DEP_1) | instskip(SKIP_1) | instid1(VALU_DEP_1)
	v_fmac_f64_e32 v[160:161], v[140:141], v[126:127]
	s_wait_loadcnt 0x2
	v_fmac_f64_e32 v[160:161], v[130:131], v[128:129]
	ds_load_b128 v[126:129], v2 offset:944
	s_wait_dscnt 0x1
	v_fmac_f64_e32 v[160:161], v[132:133], v[134:135]
	s_wait_loadcnt 0x0
	s_delay_alu instid0(VALU_DEP_1) | instskip(SKIP_1) | instid1(VALU_DEP_1)
	v_fmac_f64_e32 v[160:161], v[142:143], v[136:137]
	s_wait_dscnt 0x0
	v_fmac_f64_e32 v[160:161], v[144:145], v[126:127]
	s_delay_alu instid0(VALU_DEP_1) | instskip(NEXT) | instid1(VALU_DEP_1)
	v_fmac_f64_e32 v[160:161], v[150:151], v[128:129]
	v_add_f64_e64 v[2:3], v[124:125], -v[160:161]
	scratch_store_b64 off, v[2:3], off offset:200
	s_wait_xcnt 0x0
	v_cmpx_lt_u32_e32 24, v0
	s_cbranch_execz .LBB59_321
; %bb.320:
	scratch_load_b64 v[2:3], off, off offset:192
	v_mov_b64_e32 v[124:125], 0
	scratch_store_b64 off, v[124:125], off offset:192
	s_wait_loadcnt 0x0
	ds_store_b64 v1, v[2:3]
.LBB59_321:
	s_wait_xcnt 0x0
	s_or_b32 exec_lo, exec_lo, s0
	s_wait_storecnt_dscnt 0x0
	s_barrier_signal -1
	s_barrier_wait -1
	s_clause 0x5
	scratch_load_b128 v[124:127], off, off offset:192
	scratch_load_b128 v[128:131], off, off offset:208
	;; [unrolled: 1-line block ×6, first 2 shown]
	v_mov_b32_e32 v2, 0
	ds_load_2addr_b64 v[148:151], v2 offset0:85 offset1:86
	ds_load_2addr_b64 v[152:155], v2 offset0:87 offset1:88
	scratch_load_b128 v[156:159], off, off offset:288
	s_mov_b32 s0, exec_lo
	s_wait_loadcnt_dscnt 0x601
	v_fma_f64 v[160:161], v[126:127], v[148:149], 0
	s_wait_loadcnt 0x5
	s_delay_alu instid0(VALU_DEP_1) | instskip(SKIP_4) | instid1(VALU_DEP_1)
	v_fmac_f64_e32 v[160:161], v[128:129], v[150:151]
	scratch_load_b128 v[126:129], off, off offset:304
	s_wait_dscnt 0x0
	v_fmac_f64_e32 v[160:161], v[130:131], v[152:153]
	s_wait_loadcnt 0x5
	v_fmac_f64_e32 v[160:161], v[132:133], v[154:155]
	ds_load_2addr_b64 v[130:133], v2 offset0:89 offset1:90
	ds_load_2addr_b64 v[148:151], v2 offset0:91 offset1:92
	scratch_load_b128 v[152:155], off, off offset:320
	s_wait_dscnt 0x1
	v_fmac_f64_e32 v[160:161], v[134:135], v[130:131]
	s_wait_loadcnt 0x5
	s_delay_alu instid0(VALU_DEP_1) | instskip(SKIP_4) | instid1(VALU_DEP_1)
	v_fmac_f64_e32 v[160:161], v[136:137], v[132:133]
	scratch_load_b128 v[130:133], off, off offset:336
	s_wait_dscnt 0x0
	v_fmac_f64_e32 v[160:161], v[138:139], v[148:149]
	s_wait_loadcnt 0x5
	v_fmac_f64_e32 v[160:161], v[140:141], v[150:151]
	ds_load_2addr_b64 v[134:137], v2 offset0:93 offset1:94
	ds_load_2addr_b64 v[138:141], v2 offset0:95 offset1:96
	scratch_load_b128 v[148:151], off, off offset:352
	s_wait_dscnt 0x1
	v_fmac_f64_e32 v[160:161], v[142:143], v[134:135]
	s_wait_loadcnt 0x5
	s_delay_alu instid0(VALU_DEP_1) | instskip(SKIP_4) | instid1(VALU_DEP_1)
	v_fmac_f64_e32 v[160:161], v[144:145], v[136:137]
	scratch_load_b128 v[134:137], off, off offset:368
	s_wait_dscnt 0x0
	v_fmac_f64_e32 v[160:161], v[146:147], v[138:139]
	s_wait_loadcnt 0x5
	v_fmac_f64_e32 v[160:161], v[156:157], v[140:141]
	ds_load_2addr_b64 v[138:141], v2 offset0:97 offset1:98
	ds_load_2addr_b64 v[142:145], v2 offset0:99 offset1:100
	s_wait_dscnt 0x1
	v_fmac_f64_e32 v[160:161], v[158:159], v[138:139]
	scratch_load_b128 v[156:159], off, off offset:384
	s_wait_loadcnt 0x5
	v_fmac_f64_e32 v[160:161], v[126:127], v[140:141]
	s_wait_dscnt 0x0
	s_delay_alu instid0(VALU_DEP_1)
	v_fmac_f64_e32 v[160:161], v[128:129], v[142:143]
	scratch_load_b128 v[126:129], off, off offset:400
	s_wait_loadcnt 0x5
	v_fmac_f64_e32 v[160:161], v[152:153], v[144:145]
	ds_load_2addr_b64 v[138:141], v2 offset0:101 offset1:102
	ds_load_2addr_b64 v[142:145], v2 offset0:103 offset1:104
	s_wait_dscnt 0x1
	v_fmac_f64_e32 v[160:161], v[154:155], v[138:139]
	s_wait_loadcnt 0x4
	s_delay_alu instid0(VALU_DEP_1)
	v_fmac_f64_e32 v[160:161], v[130:131], v[140:141]
	scratch_load_b128 v[138:141], off, off offset:416
	s_wait_dscnt 0x0
	v_fmac_f64_e32 v[160:161], v[132:133], v[142:143]
	scratch_load_b128 v[130:133], off, off offset:432
	s_wait_loadcnt 0x5
	v_fmac_f64_e32 v[160:161], v[148:149], v[144:145]
	ds_load_2addr_b64 v[142:145], v2 offset0:105 offset1:106
	ds_load_2addr_b64 v[146:149], v2 offset0:107 offset1:108
	s_wait_dscnt 0x1
	v_fmac_f64_e32 v[160:161], v[150:151], v[142:143]
	s_wait_loadcnt 0x4
	s_delay_alu instid0(VALU_DEP_1)
	v_fmac_f64_e32 v[160:161], v[134:135], v[144:145]
	scratch_load_b128 v[142:145], off, off offset:448
	s_wait_dscnt 0x0
	v_fmac_f64_e32 v[160:161], v[136:137], v[146:147]
	scratch_load_b128 v[134:137], off, off offset:464
	s_wait_loadcnt 0x5
	v_fmac_f64_e32 v[160:161], v[156:157], v[148:149]
	ds_load_2addr_b64 v[146:149], v2 offset0:109 offset1:110
	ds_load_2addr_b64 v[150:153], v2 offset0:111 offset1:112
	s_wait_dscnt 0x1
	v_fmac_f64_e32 v[160:161], v[158:159], v[146:147]
	s_wait_loadcnt 0x4
	s_delay_alu instid0(VALU_DEP_1) | instskip(SKIP_1) | instid1(VALU_DEP_1)
	v_fmac_f64_e32 v[160:161], v[126:127], v[148:149]
	s_wait_dscnt 0x0
	v_fmac_f64_e32 v[160:161], v[128:129], v[150:151]
	ds_load_2addr_b64 v[126:129], v2 offset0:113 offset1:114
	ds_load_2addr_b64 v[146:149], v2 offset0:115 offset1:116
	s_wait_loadcnt 0x3
	v_fmac_f64_e32 v[160:161], v[138:139], v[152:153]
	s_wait_dscnt 0x1
	s_delay_alu instid0(VALU_DEP_1) | instskip(SKIP_1) | instid1(VALU_DEP_1)
	v_fmac_f64_e32 v[160:161], v[140:141], v[126:127]
	s_wait_loadcnt 0x2
	v_fmac_f64_e32 v[160:161], v[130:131], v[128:129]
	ds_load_2addr_b64 v[126:129], v2 offset0:117 offset1:118
	ds_load_b64 v[130:131], v2 offset:952
	s_wait_dscnt 0x2
	v_fmac_f64_e32 v[160:161], v[132:133], v[146:147]
	s_wait_loadcnt 0x1
	s_delay_alu instid0(VALU_DEP_1) | instskip(SKIP_1) | instid1(VALU_DEP_1)
	v_fmac_f64_e32 v[160:161], v[142:143], v[148:149]
	s_wait_dscnt 0x1
	v_fmac_f64_e32 v[160:161], v[144:145], v[126:127]
	s_wait_loadcnt 0x0
	s_delay_alu instid0(VALU_DEP_1) | instskip(SKIP_1) | instid1(VALU_DEP_1)
	v_fmac_f64_e32 v[160:161], v[134:135], v[128:129]
	s_wait_dscnt 0x0
	v_fmac_f64_e32 v[160:161], v[136:137], v[130:131]
	s_delay_alu instid0(VALU_DEP_1)
	v_add_f64_e64 v[124:125], v[124:125], -v[160:161]
	scratch_store_b64 off, v[124:125], off offset:192
	s_wait_xcnt 0x0
	v_cmpx_lt_u32_e32 23, v0
	s_cbranch_execz .LBB59_323
; %bb.322:
	scratch_load_b64 v[124:125], off, off offset:184
	v_mov_b64_e32 v[126:127], 0
	scratch_store_b64 off, v[126:127], off offset:184
	s_wait_loadcnt 0x0
	ds_store_b64 v1, v[124:125]
.LBB59_323:
	s_wait_xcnt 0x0
	s_or_b32 exec_lo, exec_lo, s0
	s_wait_storecnt_dscnt 0x0
	s_barrier_signal -1
	s_barrier_wait -1
	s_clause 0x5
	scratch_load_b128 v[124:127], off, off offset:184
	scratch_load_b128 v[128:131], off, off offset:200
	;; [unrolled: 1-line block ×6, first 2 shown]
	ds_load_b128 v[148:151], v2 offset:672
	ds_load_b128 v[152:155], v2 offset:688
	scratch_load_b128 v[156:159], off, off offset:280
	s_mov_b32 s0, exec_lo
	s_wait_loadcnt_dscnt 0x601
	v_fma_f64 v[160:161], v[126:127], v[148:149], 0
	s_wait_loadcnt 0x5
	s_delay_alu instid0(VALU_DEP_1) | instskip(SKIP_4) | instid1(VALU_DEP_1)
	v_fmac_f64_e32 v[160:161], v[128:129], v[150:151]
	scratch_load_b128 v[126:129], off, off offset:296
	s_wait_dscnt 0x0
	v_fmac_f64_e32 v[160:161], v[130:131], v[152:153]
	s_wait_loadcnt 0x5
	v_fmac_f64_e32 v[160:161], v[132:133], v[154:155]
	ds_load_b128 v[130:133], v2 offset:704
	ds_load_b128 v[148:151], v2 offset:720
	scratch_load_b128 v[152:155], off, off offset:312
	s_wait_dscnt 0x1
	v_fmac_f64_e32 v[160:161], v[134:135], v[130:131]
	s_wait_loadcnt 0x5
	s_delay_alu instid0(VALU_DEP_1) | instskip(SKIP_4) | instid1(VALU_DEP_1)
	v_fmac_f64_e32 v[160:161], v[136:137], v[132:133]
	scratch_load_b128 v[130:133], off, off offset:328
	s_wait_dscnt 0x0
	v_fmac_f64_e32 v[160:161], v[138:139], v[148:149]
	s_wait_loadcnt 0x5
	v_fmac_f64_e32 v[160:161], v[140:141], v[150:151]
	ds_load_b128 v[134:137], v2 offset:736
	ds_load_b128 v[138:141], v2 offset:752
	scratch_load_b128 v[148:151], off, off offset:344
	s_wait_dscnt 0x1
	v_fmac_f64_e32 v[160:161], v[142:143], v[134:135]
	s_wait_loadcnt 0x5
	s_delay_alu instid0(VALU_DEP_1) | instskip(SKIP_4) | instid1(VALU_DEP_1)
	v_fmac_f64_e32 v[160:161], v[144:145], v[136:137]
	scratch_load_b128 v[134:137], off, off offset:360
	s_wait_dscnt 0x0
	v_fmac_f64_e32 v[160:161], v[146:147], v[138:139]
	s_wait_loadcnt 0x5
	v_fmac_f64_e32 v[160:161], v[156:157], v[140:141]
	ds_load_b128 v[138:141], v2 offset:768
	ds_load_b128 v[142:145], v2 offset:784
	s_wait_dscnt 0x1
	v_fmac_f64_e32 v[160:161], v[158:159], v[138:139]
	scratch_load_b128 v[156:159], off, off offset:376
	s_wait_loadcnt 0x5
	v_fmac_f64_e32 v[160:161], v[126:127], v[140:141]
	s_wait_dscnt 0x0
	s_delay_alu instid0(VALU_DEP_1)
	v_fmac_f64_e32 v[160:161], v[128:129], v[142:143]
	scratch_load_b128 v[126:129], off, off offset:392
	s_wait_loadcnt 0x5
	v_fmac_f64_e32 v[160:161], v[152:153], v[144:145]
	ds_load_b128 v[138:141], v2 offset:800
	ds_load_b128 v[142:145], v2 offset:816
	s_wait_dscnt 0x1
	v_fmac_f64_e32 v[160:161], v[154:155], v[138:139]
	s_wait_loadcnt 0x4
	s_delay_alu instid0(VALU_DEP_1)
	v_fmac_f64_e32 v[160:161], v[130:131], v[140:141]
	scratch_load_b128 v[138:141], off, off offset:408
	s_wait_dscnt 0x0
	v_fmac_f64_e32 v[160:161], v[132:133], v[142:143]
	scratch_load_b128 v[130:133], off, off offset:424
	s_wait_loadcnt 0x5
	v_fmac_f64_e32 v[160:161], v[148:149], v[144:145]
	ds_load_b128 v[142:145], v2 offset:832
	ds_load_b128 v[146:149], v2 offset:848
	s_wait_dscnt 0x1
	v_fmac_f64_e32 v[160:161], v[150:151], v[142:143]
	s_wait_loadcnt 0x4
	s_delay_alu instid0(VALU_DEP_1)
	v_fmac_f64_e32 v[160:161], v[134:135], v[144:145]
	scratch_load_b128 v[142:145], off, off offset:440
	s_wait_dscnt 0x0
	v_fmac_f64_e32 v[160:161], v[136:137], v[146:147]
	scratch_load_b128 v[134:137], off, off offset:456
	s_wait_loadcnt 0x5
	v_fmac_f64_e32 v[160:161], v[156:157], v[148:149]
	ds_load_b128 v[146:149], v2 offset:864
	ds_load_b128 v[150:153], v2 offset:880
	scratch_load_b64 v[154:155], off, off offset:472
	s_wait_dscnt 0x1
	v_fmac_f64_e32 v[160:161], v[158:159], v[146:147]
	s_wait_loadcnt 0x5
	s_delay_alu instid0(VALU_DEP_1) | instskip(SKIP_1) | instid1(VALU_DEP_1)
	v_fmac_f64_e32 v[160:161], v[126:127], v[148:149]
	s_wait_dscnt 0x0
	v_fmac_f64_e32 v[160:161], v[128:129], v[150:151]
	ds_load_b128 v[126:129], v2 offset:896
	ds_load_b128 v[146:149], v2 offset:912
	s_wait_loadcnt 0x4
	v_fmac_f64_e32 v[160:161], v[138:139], v[152:153]
	s_wait_dscnt 0x1
	s_delay_alu instid0(VALU_DEP_1) | instskip(SKIP_1) | instid1(VALU_DEP_1)
	v_fmac_f64_e32 v[160:161], v[140:141], v[126:127]
	s_wait_loadcnt 0x3
	v_fmac_f64_e32 v[160:161], v[130:131], v[128:129]
	s_wait_dscnt 0x0
	s_delay_alu instid0(VALU_DEP_1)
	v_fmac_f64_e32 v[160:161], v[132:133], v[146:147]
	ds_load_b128 v[126:129], v2 offset:928
	ds_load_b128 v[130:133], v2 offset:944
	s_wait_loadcnt 0x2
	v_fmac_f64_e32 v[160:161], v[142:143], v[148:149]
	s_wait_dscnt 0x1
	s_delay_alu instid0(VALU_DEP_1) | instskip(SKIP_1) | instid1(VALU_DEP_1)
	v_fmac_f64_e32 v[160:161], v[144:145], v[126:127]
	s_wait_loadcnt 0x1
	v_fmac_f64_e32 v[160:161], v[134:135], v[128:129]
	s_wait_dscnt 0x0
	s_delay_alu instid0(VALU_DEP_1) | instskip(SKIP_1) | instid1(VALU_DEP_1)
	v_fmac_f64_e32 v[160:161], v[136:137], v[130:131]
	s_wait_loadcnt 0x0
	v_fmac_f64_e32 v[160:161], v[154:155], v[132:133]
	s_delay_alu instid0(VALU_DEP_1)
	v_add_f64_e64 v[2:3], v[124:125], -v[160:161]
	scratch_store_b64 off, v[2:3], off offset:184
	s_wait_xcnt 0x0
	v_cmpx_lt_u32_e32 22, v0
	s_cbranch_execz .LBB59_325
; %bb.324:
	scratch_load_b64 v[2:3], off, off offset:176
	v_mov_b64_e32 v[124:125], 0
	scratch_store_b64 off, v[124:125], off offset:176
	s_wait_loadcnt 0x0
	ds_store_b64 v1, v[2:3]
.LBB59_325:
	s_wait_xcnt 0x0
	s_or_b32 exec_lo, exec_lo, s0
	s_wait_storecnt_dscnt 0x0
	s_barrier_signal -1
	s_barrier_wait -1
	s_clause 0x5
	scratch_load_b128 v[124:127], off, off offset:176
	scratch_load_b128 v[128:131], off, off offset:192
	;; [unrolled: 1-line block ×6, first 2 shown]
	v_mov_b32_e32 v2, 0
	ds_load_2addr_b64 v[148:151], v2 offset0:83 offset1:84
	ds_load_2addr_b64 v[152:155], v2 offset0:85 offset1:86
	scratch_load_b128 v[156:159], off, off offset:272
	s_mov_b32 s0, exec_lo
	s_wait_loadcnt_dscnt 0x601
	v_fma_f64 v[160:161], v[126:127], v[148:149], 0
	s_wait_loadcnt 0x5
	s_delay_alu instid0(VALU_DEP_1) | instskip(SKIP_4) | instid1(VALU_DEP_1)
	v_fmac_f64_e32 v[160:161], v[128:129], v[150:151]
	scratch_load_b128 v[126:129], off, off offset:288
	s_wait_dscnt 0x0
	v_fmac_f64_e32 v[160:161], v[130:131], v[152:153]
	s_wait_loadcnt 0x5
	v_fmac_f64_e32 v[160:161], v[132:133], v[154:155]
	ds_load_2addr_b64 v[130:133], v2 offset0:87 offset1:88
	ds_load_2addr_b64 v[148:151], v2 offset0:89 offset1:90
	scratch_load_b128 v[152:155], off, off offset:304
	s_wait_dscnt 0x1
	v_fmac_f64_e32 v[160:161], v[134:135], v[130:131]
	s_wait_loadcnt 0x5
	s_delay_alu instid0(VALU_DEP_1) | instskip(SKIP_4) | instid1(VALU_DEP_1)
	v_fmac_f64_e32 v[160:161], v[136:137], v[132:133]
	scratch_load_b128 v[130:133], off, off offset:320
	s_wait_dscnt 0x0
	v_fmac_f64_e32 v[160:161], v[138:139], v[148:149]
	s_wait_loadcnt 0x5
	v_fmac_f64_e32 v[160:161], v[140:141], v[150:151]
	ds_load_2addr_b64 v[134:137], v2 offset0:91 offset1:92
	ds_load_2addr_b64 v[138:141], v2 offset0:93 offset1:94
	scratch_load_b128 v[148:151], off, off offset:336
	s_wait_dscnt 0x1
	v_fmac_f64_e32 v[160:161], v[142:143], v[134:135]
	s_wait_loadcnt 0x5
	s_delay_alu instid0(VALU_DEP_1) | instskip(SKIP_4) | instid1(VALU_DEP_1)
	v_fmac_f64_e32 v[160:161], v[144:145], v[136:137]
	scratch_load_b128 v[134:137], off, off offset:352
	s_wait_dscnt 0x0
	v_fmac_f64_e32 v[160:161], v[146:147], v[138:139]
	s_wait_loadcnt 0x5
	v_fmac_f64_e32 v[160:161], v[156:157], v[140:141]
	ds_load_2addr_b64 v[138:141], v2 offset0:95 offset1:96
	ds_load_2addr_b64 v[142:145], v2 offset0:97 offset1:98
	s_wait_dscnt 0x1
	v_fmac_f64_e32 v[160:161], v[158:159], v[138:139]
	scratch_load_b128 v[156:159], off, off offset:368
	s_wait_loadcnt 0x5
	v_fmac_f64_e32 v[160:161], v[126:127], v[140:141]
	s_wait_dscnt 0x0
	s_delay_alu instid0(VALU_DEP_1)
	v_fmac_f64_e32 v[160:161], v[128:129], v[142:143]
	scratch_load_b128 v[126:129], off, off offset:384
	s_wait_loadcnt 0x5
	v_fmac_f64_e32 v[160:161], v[152:153], v[144:145]
	ds_load_2addr_b64 v[138:141], v2 offset0:99 offset1:100
	ds_load_2addr_b64 v[142:145], v2 offset0:101 offset1:102
	s_wait_dscnt 0x1
	v_fmac_f64_e32 v[160:161], v[154:155], v[138:139]
	s_wait_loadcnt 0x4
	s_delay_alu instid0(VALU_DEP_1)
	v_fmac_f64_e32 v[160:161], v[130:131], v[140:141]
	scratch_load_b128 v[138:141], off, off offset:400
	s_wait_dscnt 0x0
	v_fmac_f64_e32 v[160:161], v[132:133], v[142:143]
	scratch_load_b128 v[130:133], off, off offset:416
	s_wait_loadcnt 0x5
	v_fmac_f64_e32 v[160:161], v[148:149], v[144:145]
	ds_load_2addr_b64 v[142:145], v2 offset0:103 offset1:104
	ds_load_2addr_b64 v[146:149], v2 offset0:105 offset1:106
	s_wait_dscnt 0x1
	v_fmac_f64_e32 v[160:161], v[150:151], v[142:143]
	s_wait_loadcnt 0x4
	s_delay_alu instid0(VALU_DEP_1)
	v_fmac_f64_e32 v[160:161], v[134:135], v[144:145]
	scratch_load_b128 v[142:145], off, off offset:432
	s_wait_dscnt 0x0
	v_fmac_f64_e32 v[160:161], v[136:137], v[146:147]
	scratch_load_b128 v[134:137], off, off offset:448
	s_wait_loadcnt 0x5
	v_fmac_f64_e32 v[160:161], v[156:157], v[148:149]
	ds_load_2addr_b64 v[146:149], v2 offset0:107 offset1:108
	ds_load_2addr_b64 v[150:153], v2 offset0:109 offset1:110
	s_wait_dscnt 0x1
	v_fmac_f64_e32 v[160:161], v[158:159], v[146:147]
	s_wait_loadcnt 0x4
	s_delay_alu instid0(VALU_DEP_1) | instskip(SKIP_4) | instid1(VALU_DEP_1)
	v_fmac_f64_e32 v[160:161], v[126:127], v[148:149]
	scratch_load_b128 v[146:149], off, off offset:464
	s_wait_dscnt 0x0
	v_fmac_f64_e32 v[160:161], v[128:129], v[150:151]
	s_wait_loadcnt 0x4
	v_fmac_f64_e32 v[160:161], v[138:139], v[152:153]
	ds_load_2addr_b64 v[126:129], v2 offset0:111 offset1:112
	ds_load_2addr_b64 v[150:153], v2 offset0:113 offset1:114
	s_wait_dscnt 0x1
	v_fmac_f64_e32 v[160:161], v[140:141], v[126:127]
	s_wait_loadcnt 0x3
	s_delay_alu instid0(VALU_DEP_1) | instskip(SKIP_1) | instid1(VALU_DEP_1)
	v_fmac_f64_e32 v[160:161], v[130:131], v[128:129]
	s_wait_dscnt 0x0
	v_fmac_f64_e32 v[160:161], v[132:133], v[150:151]
	ds_load_2addr_b64 v[126:129], v2 offset0:115 offset1:116
	ds_load_2addr_b64 v[130:133], v2 offset0:117 offset1:118
	s_wait_loadcnt 0x2
	v_fmac_f64_e32 v[160:161], v[142:143], v[152:153]
	s_wait_dscnt 0x1
	s_delay_alu instid0(VALU_DEP_1) | instskip(SKIP_4) | instid1(VALU_DEP_1)
	v_fmac_f64_e32 v[160:161], v[144:145], v[126:127]
	ds_load_b64 v[126:127], v2 offset:952
	s_wait_loadcnt 0x1
	v_fmac_f64_e32 v[160:161], v[134:135], v[128:129]
	s_wait_dscnt 0x1
	v_fmac_f64_e32 v[160:161], v[136:137], v[130:131]
	s_wait_loadcnt 0x0
	s_delay_alu instid0(VALU_DEP_1) | instskip(SKIP_1) | instid1(VALU_DEP_1)
	v_fmac_f64_e32 v[160:161], v[146:147], v[132:133]
	s_wait_dscnt 0x0
	v_fmac_f64_e32 v[160:161], v[148:149], v[126:127]
	s_delay_alu instid0(VALU_DEP_1)
	v_add_f64_e64 v[124:125], v[124:125], -v[160:161]
	scratch_store_b64 off, v[124:125], off offset:176
	s_wait_xcnt 0x0
	v_cmpx_lt_u32_e32 21, v0
	s_cbranch_execz .LBB59_327
; %bb.326:
	scratch_load_b64 v[124:125], off, off offset:168
	v_mov_b64_e32 v[126:127], 0
	scratch_store_b64 off, v[126:127], off offset:168
	s_wait_loadcnt 0x0
	ds_store_b64 v1, v[124:125]
.LBB59_327:
	s_wait_xcnt 0x0
	s_or_b32 exec_lo, exec_lo, s0
	s_wait_storecnt_dscnt 0x0
	s_barrier_signal -1
	s_barrier_wait -1
	s_clause 0x5
	scratch_load_b128 v[124:127], off, off offset:168
	scratch_load_b128 v[128:131], off, off offset:184
	;; [unrolled: 1-line block ×6, first 2 shown]
	ds_load_b128 v[148:151], v2 offset:656
	ds_load_b128 v[152:155], v2 offset:672
	scratch_load_b128 v[156:159], off, off offset:264
	s_mov_b32 s0, exec_lo
	s_wait_loadcnt_dscnt 0x601
	v_fma_f64 v[160:161], v[126:127], v[148:149], 0
	s_wait_loadcnt 0x5
	s_delay_alu instid0(VALU_DEP_1) | instskip(SKIP_4) | instid1(VALU_DEP_1)
	v_fmac_f64_e32 v[160:161], v[128:129], v[150:151]
	scratch_load_b128 v[126:129], off, off offset:280
	s_wait_dscnt 0x0
	v_fmac_f64_e32 v[160:161], v[130:131], v[152:153]
	s_wait_loadcnt 0x5
	v_fmac_f64_e32 v[160:161], v[132:133], v[154:155]
	ds_load_b128 v[130:133], v2 offset:688
	ds_load_b128 v[148:151], v2 offset:704
	scratch_load_b128 v[152:155], off, off offset:296
	s_wait_dscnt 0x1
	v_fmac_f64_e32 v[160:161], v[134:135], v[130:131]
	s_wait_loadcnt 0x5
	s_delay_alu instid0(VALU_DEP_1) | instskip(SKIP_4) | instid1(VALU_DEP_1)
	v_fmac_f64_e32 v[160:161], v[136:137], v[132:133]
	scratch_load_b128 v[130:133], off, off offset:312
	s_wait_dscnt 0x0
	v_fmac_f64_e32 v[160:161], v[138:139], v[148:149]
	s_wait_loadcnt 0x5
	v_fmac_f64_e32 v[160:161], v[140:141], v[150:151]
	ds_load_b128 v[134:137], v2 offset:720
	ds_load_b128 v[138:141], v2 offset:736
	scratch_load_b128 v[148:151], off, off offset:328
	s_wait_dscnt 0x1
	v_fmac_f64_e32 v[160:161], v[142:143], v[134:135]
	s_wait_loadcnt 0x5
	s_delay_alu instid0(VALU_DEP_1) | instskip(SKIP_4) | instid1(VALU_DEP_1)
	v_fmac_f64_e32 v[160:161], v[144:145], v[136:137]
	scratch_load_b128 v[134:137], off, off offset:344
	s_wait_dscnt 0x0
	v_fmac_f64_e32 v[160:161], v[146:147], v[138:139]
	s_wait_loadcnt 0x5
	v_fmac_f64_e32 v[160:161], v[156:157], v[140:141]
	ds_load_b128 v[138:141], v2 offset:752
	ds_load_b128 v[142:145], v2 offset:768
	s_wait_dscnt 0x1
	v_fmac_f64_e32 v[160:161], v[158:159], v[138:139]
	scratch_load_b128 v[156:159], off, off offset:360
	s_wait_loadcnt 0x5
	v_fmac_f64_e32 v[160:161], v[126:127], v[140:141]
	s_wait_dscnt 0x0
	s_delay_alu instid0(VALU_DEP_1)
	v_fmac_f64_e32 v[160:161], v[128:129], v[142:143]
	scratch_load_b128 v[126:129], off, off offset:376
	s_wait_loadcnt 0x5
	v_fmac_f64_e32 v[160:161], v[152:153], v[144:145]
	ds_load_b128 v[138:141], v2 offset:784
	ds_load_b128 v[142:145], v2 offset:800
	s_wait_dscnt 0x1
	v_fmac_f64_e32 v[160:161], v[154:155], v[138:139]
	scratch_load_b128 v[152:155], off, off offset:392
	s_wait_loadcnt 0x5
	v_fmac_f64_e32 v[160:161], v[130:131], v[140:141]
	s_wait_dscnt 0x0
	s_delay_alu instid0(VALU_DEP_1)
	v_fmac_f64_e32 v[160:161], v[132:133], v[142:143]
	scratch_load_b128 v[130:133], off, off offset:408
	s_wait_loadcnt 0x5
	v_fmac_f64_e32 v[160:161], v[148:149], v[144:145]
	ds_load_b128 v[138:141], v2 offset:816
	ds_load_b128 v[142:145], v2 offset:832
	s_wait_dscnt 0x1
	v_fmac_f64_e32 v[160:161], v[150:151], v[138:139]
	s_wait_loadcnt 0x4
	s_delay_alu instid0(VALU_DEP_1)
	v_fmac_f64_e32 v[160:161], v[134:135], v[140:141]
	scratch_load_b128 v[138:141], off, off offset:424
	s_wait_dscnt 0x0
	v_fmac_f64_e32 v[160:161], v[136:137], v[142:143]
	scratch_load_b128 v[134:137], off, off offset:440
	s_wait_loadcnt 0x5
	v_fmac_f64_e32 v[160:161], v[156:157], v[144:145]
	ds_load_b128 v[142:145], v2 offset:848
	ds_load_b128 v[146:149], v2 offset:864
	scratch_load_b64 v[150:151], off, off offset:472
	s_wait_dscnt 0x1
	v_fmac_f64_e32 v[160:161], v[158:159], v[142:143]
	s_wait_loadcnt 0x5
	s_delay_alu instid0(VALU_DEP_1) | instskip(SKIP_4) | instid1(VALU_DEP_1)
	v_fmac_f64_e32 v[160:161], v[126:127], v[144:145]
	scratch_load_b128 v[142:145], off, off offset:456
	s_wait_dscnt 0x0
	v_fmac_f64_e32 v[160:161], v[128:129], v[146:147]
	s_wait_loadcnt 0x5
	v_fmac_f64_e32 v[160:161], v[152:153], v[148:149]
	ds_load_b128 v[126:129], v2 offset:880
	ds_load_b128 v[146:149], v2 offset:896
	s_wait_dscnt 0x1
	v_fmac_f64_e32 v[160:161], v[154:155], v[126:127]
	s_wait_loadcnt 0x4
	s_delay_alu instid0(VALU_DEP_1) | instskip(SKIP_1) | instid1(VALU_DEP_1)
	v_fmac_f64_e32 v[160:161], v[130:131], v[128:129]
	s_wait_dscnt 0x0
	v_fmac_f64_e32 v[160:161], v[132:133], v[146:147]
	ds_load_b128 v[126:129], v2 offset:912
	ds_load_b128 v[130:133], v2 offset:928
	s_wait_loadcnt 0x3
	v_fmac_f64_e32 v[160:161], v[138:139], v[148:149]
	s_wait_dscnt 0x1
	s_delay_alu instid0(VALU_DEP_1) | instskip(SKIP_1) | instid1(VALU_DEP_1)
	v_fmac_f64_e32 v[160:161], v[140:141], v[126:127]
	s_wait_loadcnt 0x2
	v_fmac_f64_e32 v[160:161], v[134:135], v[128:129]
	ds_load_b128 v[126:129], v2 offset:944
	s_wait_dscnt 0x1
	v_fmac_f64_e32 v[160:161], v[136:137], v[130:131]
	s_wait_loadcnt 0x0
	s_delay_alu instid0(VALU_DEP_1) | instskip(SKIP_1) | instid1(VALU_DEP_1)
	v_fmac_f64_e32 v[160:161], v[142:143], v[132:133]
	s_wait_dscnt 0x0
	v_fmac_f64_e32 v[160:161], v[144:145], v[126:127]
	s_delay_alu instid0(VALU_DEP_1) | instskip(NEXT) | instid1(VALU_DEP_1)
	v_fmac_f64_e32 v[160:161], v[150:151], v[128:129]
	v_add_f64_e64 v[2:3], v[124:125], -v[160:161]
	scratch_store_b64 off, v[2:3], off offset:168
	s_wait_xcnt 0x0
	v_cmpx_lt_u32_e32 20, v0
	s_cbranch_execz .LBB59_329
; %bb.328:
	scratch_load_b64 v[2:3], off, off offset:160
	v_mov_b64_e32 v[124:125], 0
	scratch_store_b64 off, v[124:125], off offset:160
	s_wait_loadcnt 0x0
	ds_store_b64 v1, v[2:3]
.LBB59_329:
	s_wait_xcnt 0x0
	s_or_b32 exec_lo, exec_lo, s0
	s_wait_storecnt_dscnt 0x0
	s_barrier_signal -1
	s_barrier_wait -1
	s_clause 0x5
	scratch_load_b128 v[124:127], off, off offset:160
	scratch_load_b128 v[128:131], off, off offset:176
	;; [unrolled: 1-line block ×6, first 2 shown]
	v_mov_b32_e32 v2, 0
	ds_load_2addr_b64 v[148:151], v2 offset0:81 offset1:82
	ds_load_2addr_b64 v[152:155], v2 offset0:83 offset1:84
	scratch_load_b128 v[156:159], off, off offset:256
	s_mov_b32 s0, exec_lo
	s_wait_loadcnt_dscnt 0x601
	v_fma_f64 v[160:161], v[126:127], v[148:149], 0
	s_wait_loadcnt 0x5
	s_delay_alu instid0(VALU_DEP_1) | instskip(SKIP_4) | instid1(VALU_DEP_1)
	v_fmac_f64_e32 v[160:161], v[128:129], v[150:151]
	scratch_load_b128 v[126:129], off, off offset:272
	s_wait_dscnt 0x0
	v_fmac_f64_e32 v[160:161], v[130:131], v[152:153]
	s_wait_loadcnt 0x5
	v_fmac_f64_e32 v[160:161], v[132:133], v[154:155]
	ds_load_2addr_b64 v[130:133], v2 offset0:85 offset1:86
	ds_load_2addr_b64 v[148:151], v2 offset0:87 offset1:88
	scratch_load_b128 v[152:155], off, off offset:288
	s_wait_dscnt 0x1
	v_fmac_f64_e32 v[160:161], v[134:135], v[130:131]
	s_wait_loadcnt 0x5
	s_delay_alu instid0(VALU_DEP_1) | instskip(SKIP_4) | instid1(VALU_DEP_1)
	v_fmac_f64_e32 v[160:161], v[136:137], v[132:133]
	scratch_load_b128 v[130:133], off, off offset:304
	s_wait_dscnt 0x0
	v_fmac_f64_e32 v[160:161], v[138:139], v[148:149]
	s_wait_loadcnt 0x5
	v_fmac_f64_e32 v[160:161], v[140:141], v[150:151]
	ds_load_2addr_b64 v[134:137], v2 offset0:89 offset1:90
	ds_load_2addr_b64 v[138:141], v2 offset0:91 offset1:92
	scratch_load_b128 v[148:151], off, off offset:320
	s_wait_dscnt 0x1
	v_fmac_f64_e32 v[160:161], v[142:143], v[134:135]
	s_wait_loadcnt 0x5
	s_delay_alu instid0(VALU_DEP_1) | instskip(SKIP_4) | instid1(VALU_DEP_1)
	v_fmac_f64_e32 v[160:161], v[144:145], v[136:137]
	scratch_load_b128 v[134:137], off, off offset:336
	s_wait_dscnt 0x0
	v_fmac_f64_e32 v[160:161], v[146:147], v[138:139]
	s_wait_loadcnt 0x5
	v_fmac_f64_e32 v[160:161], v[156:157], v[140:141]
	ds_load_2addr_b64 v[138:141], v2 offset0:93 offset1:94
	ds_load_2addr_b64 v[142:145], v2 offset0:95 offset1:96
	s_wait_dscnt 0x1
	v_fmac_f64_e32 v[160:161], v[158:159], v[138:139]
	scratch_load_b128 v[156:159], off, off offset:352
	s_wait_loadcnt 0x5
	v_fmac_f64_e32 v[160:161], v[126:127], v[140:141]
	s_wait_dscnt 0x0
	s_delay_alu instid0(VALU_DEP_1)
	v_fmac_f64_e32 v[160:161], v[128:129], v[142:143]
	scratch_load_b128 v[126:129], off, off offset:368
	s_wait_loadcnt 0x5
	v_fmac_f64_e32 v[160:161], v[152:153], v[144:145]
	ds_load_2addr_b64 v[138:141], v2 offset0:97 offset1:98
	ds_load_2addr_b64 v[142:145], v2 offset0:99 offset1:100
	s_wait_dscnt 0x1
	v_fmac_f64_e32 v[160:161], v[154:155], v[138:139]
	scratch_load_b128 v[152:155], off, off offset:384
	s_wait_loadcnt 0x5
	v_fmac_f64_e32 v[160:161], v[130:131], v[140:141]
	s_wait_dscnt 0x0
	s_delay_alu instid0(VALU_DEP_1)
	v_fmac_f64_e32 v[160:161], v[132:133], v[142:143]
	scratch_load_b128 v[130:133], off, off offset:400
	s_wait_loadcnt 0x5
	v_fmac_f64_e32 v[160:161], v[148:149], v[144:145]
	ds_load_2addr_b64 v[138:141], v2 offset0:101 offset1:102
	ds_load_2addr_b64 v[142:145], v2 offset0:103 offset1:104
	s_wait_dscnt 0x1
	v_fmac_f64_e32 v[160:161], v[150:151], v[138:139]
	s_wait_loadcnt 0x4
	s_delay_alu instid0(VALU_DEP_1)
	v_fmac_f64_e32 v[160:161], v[134:135], v[140:141]
	scratch_load_b128 v[138:141], off, off offset:416
	s_wait_dscnt 0x0
	v_fmac_f64_e32 v[160:161], v[136:137], v[142:143]
	scratch_load_b128 v[134:137], off, off offset:432
	s_wait_loadcnt 0x5
	v_fmac_f64_e32 v[160:161], v[156:157], v[144:145]
	ds_load_2addr_b64 v[142:145], v2 offset0:105 offset1:106
	ds_load_2addr_b64 v[146:149], v2 offset0:107 offset1:108
	s_wait_dscnt 0x1
	v_fmac_f64_e32 v[160:161], v[158:159], v[142:143]
	s_wait_loadcnt 0x4
	s_delay_alu instid0(VALU_DEP_1)
	v_fmac_f64_e32 v[160:161], v[126:127], v[144:145]
	scratch_load_b128 v[142:145], off, off offset:448
	s_wait_dscnt 0x0
	v_fmac_f64_e32 v[160:161], v[128:129], v[146:147]
	scratch_load_b128 v[126:129], off, off offset:464
	s_wait_loadcnt 0x5
	v_fmac_f64_e32 v[160:161], v[152:153], v[148:149]
	ds_load_2addr_b64 v[146:149], v2 offset0:109 offset1:110
	ds_load_2addr_b64 v[150:153], v2 offset0:111 offset1:112
	s_wait_dscnt 0x1
	v_fmac_f64_e32 v[160:161], v[154:155], v[146:147]
	s_wait_loadcnt 0x4
	s_delay_alu instid0(VALU_DEP_1) | instskip(SKIP_1) | instid1(VALU_DEP_1)
	v_fmac_f64_e32 v[160:161], v[130:131], v[148:149]
	s_wait_dscnt 0x0
	v_fmac_f64_e32 v[160:161], v[132:133], v[150:151]
	ds_load_2addr_b64 v[130:133], v2 offset0:113 offset1:114
	ds_load_2addr_b64 v[146:149], v2 offset0:115 offset1:116
	s_wait_loadcnt 0x3
	v_fmac_f64_e32 v[160:161], v[138:139], v[152:153]
	s_wait_dscnt 0x1
	s_delay_alu instid0(VALU_DEP_1) | instskip(SKIP_1) | instid1(VALU_DEP_1)
	v_fmac_f64_e32 v[160:161], v[140:141], v[130:131]
	s_wait_loadcnt 0x2
	v_fmac_f64_e32 v[160:161], v[134:135], v[132:133]
	ds_load_2addr_b64 v[130:133], v2 offset0:117 offset1:118
	ds_load_b64 v[134:135], v2 offset:952
	s_wait_dscnt 0x2
	v_fmac_f64_e32 v[160:161], v[136:137], v[146:147]
	s_wait_loadcnt 0x1
	s_delay_alu instid0(VALU_DEP_1) | instskip(SKIP_1) | instid1(VALU_DEP_1)
	v_fmac_f64_e32 v[160:161], v[142:143], v[148:149]
	s_wait_dscnt 0x1
	v_fmac_f64_e32 v[160:161], v[144:145], v[130:131]
	s_wait_loadcnt 0x0
	s_delay_alu instid0(VALU_DEP_1) | instskip(SKIP_1) | instid1(VALU_DEP_1)
	v_fmac_f64_e32 v[160:161], v[126:127], v[132:133]
	s_wait_dscnt 0x0
	v_fmac_f64_e32 v[160:161], v[128:129], v[134:135]
	s_delay_alu instid0(VALU_DEP_1)
	v_add_f64_e64 v[124:125], v[124:125], -v[160:161]
	scratch_store_b64 off, v[124:125], off offset:160
	s_wait_xcnt 0x0
	v_cmpx_lt_u32_e32 19, v0
	s_cbranch_execz .LBB59_331
; %bb.330:
	scratch_load_b64 v[124:125], off, off offset:152
	v_mov_b64_e32 v[126:127], 0
	scratch_store_b64 off, v[126:127], off offset:152
	s_wait_loadcnt 0x0
	ds_store_b64 v1, v[124:125]
.LBB59_331:
	s_wait_xcnt 0x0
	s_or_b32 exec_lo, exec_lo, s0
	s_wait_storecnt_dscnt 0x0
	s_barrier_signal -1
	s_barrier_wait -1
	s_clause 0x5
	scratch_load_b128 v[124:127], off, off offset:152
	scratch_load_b128 v[128:131], off, off offset:168
	;; [unrolled: 1-line block ×6, first 2 shown]
	ds_load_b128 v[148:151], v2 offset:640
	ds_load_b128 v[152:155], v2 offset:656
	scratch_load_b128 v[156:159], off, off offset:248
	s_mov_b32 s0, exec_lo
	s_wait_loadcnt_dscnt 0x601
	v_fma_f64 v[160:161], v[126:127], v[148:149], 0
	s_wait_loadcnt 0x5
	s_delay_alu instid0(VALU_DEP_1) | instskip(SKIP_4) | instid1(VALU_DEP_1)
	v_fmac_f64_e32 v[160:161], v[128:129], v[150:151]
	scratch_load_b128 v[126:129], off, off offset:264
	s_wait_dscnt 0x0
	v_fmac_f64_e32 v[160:161], v[130:131], v[152:153]
	s_wait_loadcnt 0x5
	v_fmac_f64_e32 v[160:161], v[132:133], v[154:155]
	ds_load_b128 v[130:133], v2 offset:672
	ds_load_b128 v[148:151], v2 offset:688
	scratch_load_b128 v[152:155], off, off offset:280
	s_wait_dscnt 0x1
	v_fmac_f64_e32 v[160:161], v[134:135], v[130:131]
	s_wait_loadcnt 0x5
	s_delay_alu instid0(VALU_DEP_1) | instskip(SKIP_4) | instid1(VALU_DEP_1)
	v_fmac_f64_e32 v[160:161], v[136:137], v[132:133]
	scratch_load_b128 v[130:133], off, off offset:296
	s_wait_dscnt 0x0
	v_fmac_f64_e32 v[160:161], v[138:139], v[148:149]
	s_wait_loadcnt 0x5
	v_fmac_f64_e32 v[160:161], v[140:141], v[150:151]
	ds_load_b128 v[134:137], v2 offset:704
	ds_load_b128 v[138:141], v2 offset:720
	scratch_load_b128 v[148:151], off, off offset:312
	s_wait_dscnt 0x1
	v_fmac_f64_e32 v[160:161], v[142:143], v[134:135]
	s_wait_loadcnt 0x5
	s_delay_alu instid0(VALU_DEP_1) | instskip(SKIP_4) | instid1(VALU_DEP_1)
	v_fmac_f64_e32 v[160:161], v[144:145], v[136:137]
	scratch_load_b128 v[134:137], off, off offset:328
	s_wait_dscnt 0x0
	v_fmac_f64_e32 v[160:161], v[146:147], v[138:139]
	s_wait_loadcnt 0x5
	v_fmac_f64_e32 v[160:161], v[156:157], v[140:141]
	ds_load_b128 v[138:141], v2 offset:736
	ds_load_b128 v[142:145], v2 offset:752
	s_wait_dscnt 0x1
	v_fmac_f64_e32 v[160:161], v[158:159], v[138:139]
	scratch_load_b128 v[156:159], off, off offset:344
	s_wait_loadcnt 0x5
	v_fmac_f64_e32 v[160:161], v[126:127], v[140:141]
	s_wait_dscnt 0x0
	s_delay_alu instid0(VALU_DEP_1)
	v_fmac_f64_e32 v[160:161], v[128:129], v[142:143]
	scratch_load_b128 v[126:129], off, off offset:360
	s_wait_loadcnt 0x5
	v_fmac_f64_e32 v[160:161], v[152:153], v[144:145]
	ds_load_b128 v[138:141], v2 offset:768
	ds_load_b128 v[142:145], v2 offset:784
	s_wait_dscnt 0x1
	v_fmac_f64_e32 v[160:161], v[154:155], v[138:139]
	scratch_load_b128 v[152:155], off, off offset:376
	s_wait_loadcnt 0x5
	v_fmac_f64_e32 v[160:161], v[130:131], v[140:141]
	s_wait_dscnt 0x0
	s_delay_alu instid0(VALU_DEP_1)
	v_fmac_f64_e32 v[160:161], v[132:133], v[142:143]
	scratch_load_b128 v[130:133], off, off offset:392
	s_wait_loadcnt 0x5
	v_fmac_f64_e32 v[160:161], v[148:149], v[144:145]
	ds_load_b128 v[138:141], v2 offset:800
	ds_load_b128 v[142:145], v2 offset:816
	s_wait_dscnt 0x1
	v_fmac_f64_e32 v[160:161], v[150:151], v[138:139]
	s_wait_loadcnt 0x4
	s_delay_alu instid0(VALU_DEP_1)
	v_fmac_f64_e32 v[160:161], v[134:135], v[140:141]
	scratch_load_b128 v[138:141], off, off offset:408
	s_wait_dscnt 0x0
	v_fmac_f64_e32 v[160:161], v[136:137], v[142:143]
	scratch_load_b128 v[134:137], off, off offset:424
	s_wait_loadcnt 0x5
	v_fmac_f64_e32 v[160:161], v[156:157], v[144:145]
	ds_load_b128 v[142:145], v2 offset:832
	ds_load_b128 v[146:149], v2 offset:848
	s_wait_dscnt 0x1
	v_fmac_f64_e32 v[160:161], v[158:159], v[142:143]
	s_wait_loadcnt 0x4
	s_delay_alu instid0(VALU_DEP_1)
	v_fmac_f64_e32 v[160:161], v[126:127], v[144:145]
	scratch_load_b128 v[142:145], off, off offset:440
	s_wait_dscnt 0x0
	v_fmac_f64_e32 v[160:161], v[128:129], v[146:147]
	scratch_load_b128 v[126:129], off, off offset:456
	s_wait_loadcnt 0x5
	v_fmac_f64_e32 v[160:161], v[152:153], v[148:149]
	ds_load_b128 v[146:149], v2 offset:864
	ds_load_b128 v[150:153], v2 offset:880
	s_wait_dscnt 0x1
	v_fmac_f64_e32 v[160:161], v[154:155], v[146:147]
	scratch_load_b64 v[154:155], off, off offset:472
	s_wait_loadcnt 0x5
	v_fmac_f64_e32 v[160:161], v[130:131], v[148:149]
	s_wait_dscnt 0x0
	s_delay_alu instid0(VALU_DEP_1)
	v_fmac_f64_e32 v[160:161], v[132:133], v[150:151]
	ds_load_b128 v[130:133], v2 offset:896
	ds_load_b128 v[146:149], v2 offset:912
	s_wait_loadcnt 0x4
	v_fmac_f64_e32 v[160:161], v[138:139], v[152:153]
	s_wait_dscnt 0x1
	s_delay_alu instid0(VALU_DEP_1) | instskip(SKIP_1) | instid1(VALU_DEP_1)
	v_fmac_f64_e32 v[160:161], v[140:141], v[130:131]
	s_wait_loadcnt 0x3
	v_fmac_f64_e32 v[160:161], v[134:135], v[132:133]
	s_wait_dscnt 0x0
	s_delay_alu instid0(VALU_DEP_1)
	v_fmac_f64_e32 v[160:161], v[136:137], v[146:147]
	ds_load_b128 v[130:133], v2 offset:928
	ds_load_b128 v[134:137], v2 offset:944
	s_wait_loadcnt 0x2
	v_fmac_f64_e32 v[160:161], v[142:143], v[148:149]
	s_wait_dscnt 0x1
	s_delay_alu instid0(VALU_DEP_1) | instskip(SKIP_1) | instid1(VALU_DEP_1)
	v_fmac_f64_e32 v[160:161], v[144:145], v[130:131]
	s_wait_loadcnt 0x1
	v_fmac_f64_e32 v[160:161], v[126:127], v[132:133]
	s_wait_dscnt 0x0
	s_delay_alu instid0(VALU_DEP_1) | instskip(SKIP_1) | instid1(VALU_DEP_1)
	v_fmac_f64_e32 v[160:161], v[128:129], v[134:135]
	s_wait_loadcnt 0x0
	v_fmac_f64_e32 v[160:161], v[154:155], v[136:137]
	s_delay_alu instid0(VALU_DEP_1)
	v_add_f64_e64 v[2:3], v[124:125], -v[160:161]
	scratch_store_b64 off, v[2:3], off offset:152
	s_wait_xcnt 0x0
	v_cmpx_lt_u32_e32 18, v0
	s_cbranch_execz .LBB59_333
; %bb.332:
	scratch_load_b64 v[2:3], off, off offset:144
	v_mov_b64_e32 v[124:125], 0
	scratch_store_b64 off, v[124:125], off offset:144
	s_wait_loadcnt 0x0
	ds_store_b64 v1, v[2:3]
.LBB59_333:
	s_wait_xcnt 0x0
	s_or_b32 exec_lo, exec_lo, s0
	s_wait_storecnt_dscnt 0x0
	s_barrier_signal -1
	s_barrier_wait -1
	s_clause 0x5
	scratch_load_b128 v[124:127], off, off offset:144
	scratch_load_b128 v[128:131], off, off offset:160
	;; [unrolled: 1-line block ×6, first 2 shown]
	v_mov_b32_e32 v2, 0
	ds_load_2addr_b64 v[148:151], v2 offset0:79 offset1:80
	ds_load_2addr_b64 v[152:155], v2 offset0:81 offset1:82
	scratch_load_b128 v[156:159], off, off offset:240
	s_mov_b32 s0, exec_lo
	s_wait_loadcnt_dscnt 0x601
	v_fma_f64 v[160:161], v[126:127], v[148:149], 0
	s_wait_loadcnt 0x5
	s_delay_alu instid0(VALU_DEP_1) | instskip(SKIP_4) | instid1(VALU_DEP_1)
	v_fmac_f64_e32 v[160:161], v[128:129], v[150:151]
	scratch_load_b128 v[126:129], off, off offset:256
	s_wait_dscnt 0x0
	v_fmac_f64_e32 v[160:161], v[130:131], v[152:153]
	s_wait_loadcnt 0x5
	v_fmac_f64_e32 v[160:161], v[132:133], v[154:155]
	ds_load_2addr_b64 v[130:133], v2 offset0:83 offset1:84
	ds_load_2addr_b64 v[148:151], v2 offset0:85 offset1:86
	scratch_load_b128 v[152:155], off, off offset:272
	s_wait_dscnt 0x1
	v_fmac_f64_e32 v[160:161], v[134:135], v[130:131]
	s_wait_loadcnt 0x5
	s_delay_alu instid0(VALU_DEP_1) | instskip(SKIP_4) | instid1(VALU_DEP_1)
	v_fmac_f64_e32 v[160:161], v[136:137], v[132:133]
	scratch_load_b128 v[130:133], off, off offset:288
	s_wait_dscnt 0x0
	v_fmac_f64_e32 v[160:161], v[138:139], v[148:149]
	s_wait_loadcnt 0x5
	v_fmac_f64_e32 v[160:161], v[140:141], v[150:151]
	ds_load_2addr_b64 v[134:137], v2 offset0:87 offset1:88
	ds_load_2addr_b64 v[138:141], v2 offset0:89 offset1:90
	scratch_load_b128 v[148:151], off, off offset:304
	s_wait_dscnt 0x1
	v_fmac_f64_e32 v[160:161], v[142:143], v[134:135]
	s_wait_loadcnt 0x5
	s_delay_alu instid0(VALU_DEP_1) | instskip(SKIP_4) | instid1(VALU_DEP_1)
	v_fmac_f64_e32 v[160:161], v[144:145], v[136:137]
	scratch_load_b128 v[134:137], off, off offset:320
	s_wait_dscnt 0x0
	v_fmac_f64_e32 v[160:161], v[146:147], v[138:139]
	s_wait_loadcnt 0x5
	v_fmac_f64_e32 v[160:161], v[156:157], v[140:141]
	ds_load_2addr_b64 v[138:141], v2 offset0:91 offset1:92
	ds_load_2addr_b64 v[142:145], v2 offset0:93 offset1:94
	s_wait_dscnt 0x1
	v_fmac_f64_e32 v[160:161], v[158:159], v[138:139]
	scratch_load_b128 v[156:159], off, off offset:336
	s_wait_loadcnt 0x5
	v_fmac_f64_e32 v[160:161], v[126:127], v[140:141]
	s_wait_dscnt 0x0
	s_delay_alu instid0(VALU_DEP_1)
	v_fmac_f64_e32 v[160:161], v[128:129], v[142:143]
	scratch_load_b128 v[126:129], off, off offset:352
	s_wait_loadcnt 0x5
	v_fmac_f64_e32 v[160:161], v[152:153], v[144:145]
	ds_load_2addr_b64 v[138:141], v2 offset0:95 offset1:96
	ds_load_2addr_b64 v[142:145], v2 offset0:97 offset1:98
	s_wait_dscnt 0x1
	v_fmac_f64_e32 v[160:161], v[154:155], v[138:139]
	scratch_load_b128 v[152:155], off, off offset:368
	s_wait_loadcnt 0x5
	v_fmac_f64_e32 v[160:161], v[130:131], v[140:141]
	s_wait_dscnt 0x0
	s_delay_alu instid0(VALU_DEP_1)
	v_fmac_f64_e32 v[160:161], v[132:133], v[142:143]
	scratch_load_b128 v[130:133], off, off offset:384
	s_wait_loadcnt 0x5
	v_fmac_f64_e32 v[160:161], v[148:149], v[144:145]
	ds_load_2addr_b64 v[138:141], v2 offset0:99 offset1:100
	ds_load_2addr_b64 v[142:145], v2 offset0:101 offset1:102
	s_wait_dscnt 0x1
	v_fmac_f64_e32 v[160:161], v[150:151], v[138:139]
	s_wait_loadcnt 0x4
	s_delay_alu instid0(VALU_DEP_1)
	v_fmac_f64_e32 v[160:161], v[134:135], v[140:141]
	scratch_load_b128 v[138:141], off, off offset:400
	s_wait_dscnt 0x0
	v_fmac_f64_e32 v[160:161], v[136:137], v[142:143]
	scratch_load_b128 v[134:137], off, off offset:416
	s_wait_loadcnt 0x5
	v_fmac_f64_e32 v[160:161], v[156:157], v[144:145]
	ds_load_2addr_b64 v[142:145], v2 offset0:103 offset1:104
	ds_load_2addr_b64 v[146:149], v2 offset0:105 offset1:106
	s_wait_dscnt 0x1
	v_fmac_f64_e32 v[160:161], v[158:159], v[142:143]
	s_wait_loadcnt 0x4
	s_delay_alu instid0(VALU_DEP_1)
	v_fmac_f64_e32 v[160:161], v[126:127], v[144:145]
	scratch_load_b128 v[142:145], off, off offset:432
	s_wait_dscnt 0x0
	v_fmac_f64_e32 v[160:161], v[128:129], v[146:147]
	scratch_load_b128 v[126:129], off, off offset:448
	s_wait_loadcnt 0x5
	v_fmac_f64_e32 v[160:161], v[152:153], v[148:149]
	ds_load_2addr_b64 v[146:149], v2 offset0:107 offset1:108
	ds_load_2addr_b64 v[150:153], v2 offset0:109 offset1:110
	s_wait_dscnt 0x1
	v_fmac_f64_e32 v[160:161], v[154:155], v[146:147]
	s_wait_loadcnt 0x4
	s_delay_alu instid0(VALU_DEP_1) | instskip(SKIP_4) | instid1(VALU_DEP_1)
	v_fmac_f64_e32 v[160:161], v[130:131], v[148:149]
	scratch_load_b128 v[146:149], off, off offset:464
	s_wait_dscnt 0x0
	v_fmac_f64_e32 v[160:161], v[132:133], v[150:151]
	s_wait_loadcnt 0x4
	v_fmac_f64_e32 v[160:161], v[138:139], v[152:153]
	ds_load_2addr_b64 v[130:133], v2 offset0:111 offset1:112
	ds_load_2addr_b64 v[150:153], v2 offset0:113 offset1:114
	s_wait_dscnt 0x1
	v_fmac_f64_e32 v[160:161], v[140:141], v[130:131]
	s_wait_loadcnt 0x3
	s_delay_alu instid0(VALU_DEP_1) | instskip(SKIP_1) | instid1(VALU_DEP_1)
	v_fmac_f64_e32 v[160:161], v[134:135], v[132:133]
	s_wait_dscnt 0x0
	v_fmac_f64_e32 v[160:161], v[136:137], v[150:151]
	ds_load_2addr_b64 v[130:133], v2 offset0:115 offset1:116
	ds_load_2addr_b64 v[134:137], v2 offset0:117 offset1:118
	s_wait_loadcnt 0x2
	v_fmac_f64_e32 v[160:161], v[142:143], v[152:153]
	s_wait_dscnt 0x1
	s_delay_alu instid0(VALU_DEP_1) | instskip(SKIP_1) | instid1(VALU_DEP_1)
	v_fmac_f64_e32 v[160:161], v[144:145], v[130:131]
	s_wait_loadcnt 0x1
	v_fmac_f64_e32 v[160:161], v[126:127], v[132:133]
	ds_load_b64 v[126:127], v2 offset:952
	s_wait_dscnt 0x1
	v_fmac_f64_e32 v[160:161], v[128:129], v[134:135]
	s_wait_loadcnt 0x0
	s_delay_alu instid0(VALU_DEP_1) | instskip(SKIP_1) | instid1(VALU_DEP_1)
	v_fmac_f64_e32 v[160:161], v[146:147], v[136:137]
	s_wait_dscnt 0x0
	v_fmac_f64_e32 v[160:161], v[148:149], v[126:127]
	s_delay_alu instid0(VALU_DEP_1)
	v_add_f64_e64 v[124:125], v[124:125], -v[160:161]
	scratch_store_b64 off, v[124:125], off offset:144
	s_wait_xcnt 0x0
	v_cmpx_lt_u32_e32 17, v0
	s_cbranch_execz .LBB59_335
; %bb.334:
	scratch_load_b64 v[124:125], off, off offset:136
	v_mov_b64_e32 v[126:127], 0
	scratch_store_b64 off, v[126:127], off offset:136
	s_wait_loadcnt 0x0
	ds_store_b64 v1, v[124:125]
.LBB59_335:
	s_wait_xcnt 0x0
	s_or_b32 exec_lo, exec_lo, s0
	s_wait_storecnt_dscnt 0x0
	s_barrier_signal -1
	s_barrier_wait -1
	s_clause 0x5
	scratch_load_b128 v[124:127], off, off offset:136
	scratch_load_b128 v[128:131], off, off offset:152
	;; [unrolled: 1-line block ×6, first 2 shown]
	ds_load_b128 v[148:151], v2 offset:624
	ds_load_b128 v[152:155], v2 offset:640
	scratch_load_b128 v[156:159], off, off offset:232
	s_mov_b32 s0, exec_lo
	s_wait_loadcnt_dscnt 0x601
	v_fma_f64 v[160:161], v[126:127], v[148:149], 0
	s_wait_loadcnt 0x5
	s_delay_alu instid0(VALU_DEP_1) | instskip(SKIP_4) | instid1(VALU_DEP_1)
	v_fmac_f64_e32 v[160:161], v[128:129], v[150:151]
	scratch_load_b128 v[126:129], off, off offset:248
	s_wait_dscnt 0x0
	v_fmac_f64_e32 v[160:161], v[130:131], v[152:153]
	s_wait_loadcnt 0x5
	v_fmac_f64_e32 v[160:161], v[132:133], v[154:155]
	ds_load_b128 v[130:133], v2 offset:656
	ds_load_b128 v[148:151], v2 offset:672
	scratch_load_b128 v[152:155], off, off offset:264
	s_wait_dscnt 0x1
	v_fmac_f64_e32 v[160:161], v[134:135], v[130:131]
	s_wait_loadcnt 0x5
	s_delay_alu instid0(VALU_DEP_1) | instskip(SKIP_4) | instid1(VALU_DEP_1)
	v_fmac_f64_e32 v[160:161], v[136:137], v[132:133]
	scratch_load_b128 v[130:133], off, off offset:280
	s_wait_dscnt 0x0
	v_fmac_f64_e32 v[160:161], v[138:139], v[148:149]
	s_wait_loadcnt 0x5
	v_fmac_f64_e32 v[160:161], v[140:141], v[150:151]
	ds_load_b128 v[134:137], v2 offset:688
	ds_load_b128 v[138:141], v2 offset:704
	scratch_load_b128 v[148:151], off, off offset:296
	s_wait_dscnt 0x1
	v_fmac_f64_e32 v[160:161], v[142:143], v[134:135]
	s_wait_loadcnt 0x5
	s_delay_alu instid0(VALU_DEP_1) | instskip(SKIP_4) | instid1(VALU_DEP_1)
	v_fmac_f64_e32 v[160:161], v[144:145], v[136:137]
	scratch_load_b128 v[134:137], off, off offset:312
	s_wait_dscnt 0x0
	v_fmac_f64_e32 v[160:161], v[146:147], v[138:139]
	s_wait_loadcnt 0x5
	v_fmac_f64_e32 v[160:161], v[156:157], v[140:141]
	ds_load_b128 v[138:141], v2 offset:720
	ds_load_b128 v[142:145], v2 offset:736
	s_wait_dscnt 0x1
	v_fmac_f64_e32 v[160:161], v[158:159], v[138:139]
	scratch_load_b128 v[156:159], off, off offset:328
	s_wait_loadcnt 0x5
	v_fmac_f64_e32 v[160:161], v[126:127], v[140:141]
	s_wait_dscnt 0x0
	s_delay_alu instid0(VALU_DEP_1)
	v_fmac_f64_e32 v[160:161], v[128:129], v[142:143]
	scratch_load_b128 v[126:129], off, off offset:344
	s_wait_loadcnt 0x5
	v_fmac_f64_e32 v[160:161], v[152:153], v[144:145]
	ds_load_b128 v[138:141], v2 offset:752
	ds_load_b128 v[142:145], v2 offset:768
	s_wait_dscnt 0x1
	v_fmac_f64_e32 v[160:161], v[154:155], v[138:139]
	scratch_load_b128 v[152:155], off, off offset:360
	s_wait_loadcnt 0x5
	v_fmac_f64_e32 v[160:161], v[130:131], v[140:141]
	s_wait_dscnt 0x0
	s_delay_alu instid0(VALU_DEP_1)
	v_fmac_f64_e32 v[160:161], v[132:133], v[142:143]
	scratch_load_b128 v[130:133], off, off offset:376
	s_wait_loadcnt 0x5
	v_fmac_f64_e32 v[160:161], v[148:149], v[144:145]
	ds_load_b128 v[138:141], v2 offset:784
	ds_load_b128 v[142:145], v2 offset:800
	scratch_load_b128 v[146:149], off, off offset:392
	s_wait_dscnt 0x1
	v_fmac_f64_e32 v[160:161], v[150:151], v[138:139]
	s_wait_loadcnt 0x5
	s_delay_alu instid0(VALU_DEP_1) | instskip(SKIP_1) | instid1(VALU_DEP_1)
	v_fmac_f64_e32 v[160:161], v[134:135], v[140:141]
	s_wait_dscnt 0x0
	v_fmac_f64_e32 v[160:161], v[136:137], v[142:143]
	scratch_load_b128 v[134:137], off, off offset:408
	s_wait_loadcnt 0x5
	v_fmac_f64_e32 v[160:161], v[156:157], v[144:145]
	ds_load_b128 v[138:141], v2 offset:816
	ds_load_b128 v[142:145], v2 offset:832
	s_wait_dscnt 0x1
	v_fmac_f64_e32 v[160:161], v[158:159], v[138:139]
	s_wait_loadcnt 0x4
	s_delay_alu instid0(VALU_DEP_1)
	v_fmac_f64_e32 v[160:161], v[126:127], v[140:141]
	scratch_load_b128 v[138:141], off, off offset:424
	s_wait_dscnt 0x0
	v_fmac_f64_e32 v[160:161], v[128:129], v[142:143]
	scratch_load_b128 v[126:129], off, off offset:440
	s_wait_loadcnt 0x5
	v_fmac_f64_e32 v[160:161], v[152:153], v[144:145]
	ds_load_b128 v[142:145], v2 offset:848
	ds_load_b128 v[150:153], v2 offset:864
	s_wait_dscnt 0x1
	v_fmac_f64_e32 v[160:161], v[154:155], v[142:143]
	s_wait_loadcnt 0x4
	s_delay_alu instid0(VALU_DEP_1) | instskip(SKIP_4) | instid1(VALU_DEP_1)
	v_fmac_f64_e32 v[160:161], v[130:131], v[144:145]
	scratch_load_b128 v[142:145], off, off offset:456
	s_wait_dscnt 0x0
	v_fmac_f64_e32 v[160:161], v[132:133], v[150:151]
	s_wait_loadcnt 0x4
	v_fmac_f64_e32 v[160:161], v[146:147], v[152:153]
	scratch_load_b64 v[146:147], off, off offset:472
	ds_load_b128 v[130:133], v2 offset:880
	ds_load_b128 v[150:153], v2 offset:896
	s_wait_dscnt 0x1
	v_fmac_f64_e32 v[160:161], v[148:149], v[130:131]
	s_wait_loadcnt 0x4
	s_delay_alu instid0(VALU_DEP_1) | instskip(SKIP_1) | instid1(VALU_DEP_1)
	v_fmac_f64_e32 v[160:161], v[134:135], v[132:133]
	s_wait_dscnt 0x0
	v_fmac_f64_e32 v[160:161], v[136:137], v[150:151]
	ds_load_b128 v[130:133], v2 offset:912
	ds_load_b128 v[134:137], v2 offset:928
	s_wait_loadcnt 0x3
	v_fmac_f64_e32 v[160:161], v[138:139], v[152:153]
	s_wait_dscnt 0x1
	s_delay_alu instid0(VALU_DEP_1) | instskip(SKIP_1) | instid1(VALU_DEP_1)
	v_fmac_f64_e32 v[160:161], v[140:141], v[130:131]
	s_wait_loadcnt 0x2
	v_fmac_f64_e32 v[160:161], v[126:127], v[132:133]
	s_wait_dscnt 0x0
	s_delay_alu instid0(VALU_DEP_1) | instskip(SKIP_4) | instid1(VALU_DEP_1)
	v_fmac_f64_e32 v[160:161], v[128:129], v[134:135]
	ds_load_b128 v[126:129], v2 offset:944
	s_wait_loadcnt 0x1
	v_fmac_f64_e32 v[160:161], v[142:143], v[136:137]
	s_wait_dscnt 0x0
	v_fmac_f64_e32 v[160:161], v[144:145], v[126:127]
	s_wait_loadcnt 0x0
	s_delay_alu instid0(VALU_DEP_1) | instskip(NEXT) | instid1(VALU_DEP_1)
	v_fmac_f64_e32 v[160:161], v[146:147], v[128:129]
	v_add_f64_e64 v[2:3], v[124:125], -v[160:161]
	scratch_store_b64 off, v[2:3], off offset:136
	s_wait_xcnt 0x0
	v_cmpx_lt_u32_e32 16, v0
	s_cbranch_execz .LBB59_337
; %bb.336:
	scratch_load_b64 v[2:3], off, off offset:128
	v_mov_b64_e32 v[124:125], 0
	scratch_store_b64 off, v[124:125], off offset:128
	s_wait_loadcnt 0x0
	ds_store_b64 v1, v[2:3]
.LBB59_337:
	s_wait_xcnt 0x0
	s_or_b32 exec_lo, exec_lo, s0
	s_wait_storecnt_dscnt 0x0
	s_barrier_signal -1
	s_barrier_wait -1
	s_clause 0x5
	scratch_load_b128 v[124:127], off, off offset:128
	scratch_load_b128 v[128:131], off, off offset:144
	;; [unrolled: 1-line block ×6, first 2 shown]
	v_mov_b32_e32 v2, 0
	ds_load_2addr_b64 v[148:151], v2 offset0:77 offset1:78
	ds_load_2addr_b64 v[152:155], v2 offset0:79 offset1:80
	scratch_load_b128 v[156:159], off, off offset:224
	s_mov_b32 s0, exec_lo
	s_wait_loadcnt_dscnt 0x601
	v_fma_f64 v[160:161], v[126:127], v[148:149], 0
	s_wait_loadcnt 0x5
	s_delay_alu instid0(VALU_DEP_1) | instskip(SKIP_4) | instid1(VALU_DEP_1)
	v_fmac_f64_e32 v[160:161], v[128:129], v[150:151]
	scratch_load_b128 v[126:129], off, off offset:240
	s_wait_dscnt 0x0
	v_fmac_f64_e32 v[160:161], v[130:131], v[152:153]
	s_wait_loadcnt 0x5
	v_fmac_f64_e32 v[160:161], v[132:133], v[154:155]
	ds_load_2addr_b64 v[130:133], v2 offset0:81 offset1:82
	ds_load_2addr_b64 v[148:151], v2 offset0:83 offset1:84
	scratch_load_b128 v[152:155], off, off offset:256
	s_wait_dscnt 0x1
	v_fmac_f64_e32 v[160:161], v[134:135], v[130:131]
	s_wait_loadcnt 0x5
	s_delay_alu instid0(VALU_DEP_1) | instskip(SKIP_4) | instid1(VALU_DEP_1)
	v_fmac_f64_e32 v[160:161], v[136:137], v[132:133]
	scratch_load_b128 v[130:133], off, off offset:272
	s_wait_dscnt 0x0
	v_fmac_f64_e32 v[160:161], v[138:139], v[148:149]
	s_wait_loadcnt 0x5
	v_fmac_f64_e32 v[160:161], v[140:141], v[150:151]
	ds_load_2addr_b64 v[134:137], v2 offset0:85 offset1:86
	ds_load_2addr_b64 v[138:141], v2 offset0:87 offset1:88
	scratch_load_b128 v[148:151], off, off offset:288
	s_wait_dscnt 0x1
	v_fmac_f64_e32 v[160:161], v[142:143], v[134:135]
	s_wait_loadcnt 0x5
	s_delay_alu instid0(VALU_DEP_1) | instskip(SKIP_4) | instid1(VALU_DEP_1)
	v_fmac_f64_e32 v[160:161], v[144:145], v[136:137]
	scratch_load_b128 v[134:137], off, off offset:304
	s_wait_dscnt 0x0
	v_fmac_f64_e32 v[160:161], v[146:147], v[138:139]
	s_wait_loadcnt 0x5
	v_fmac_f64_e32 v[160:161], v[156:157], v[140:141]
	ds_load_2addr_b64 v[138:141], v2 offset0:89 offset1:90
	ds_load_2addr_b64 v[142:145], v2 offset0:91 offset1:92
	s_wait_dscnt 0x1
	v_fmac_f64_e32 v[160:161], v[158:159], v[138:139]
	scratch_load_b128 v[156:159], off, off offset:320
	s_wait_loadcnt 0x5
	v_fmac_f64_e32 v[160:161], v[126:127], v[140:141]
	s_wait_dscnt 0x0
	s_delay_alu instid0(VALU_DEP_1)
	v_fmac_f64_e32 v[160:161], v[128:129], v[142:143]
	scratch_load_b128 v[126:129], off, off offset:336
	s_wait_loadcnt 0x5
	v_fmac_f64_e32 v[160:161], v[152:153], v[144:145]
	ds_load_2addr_b64 v[138:141], v2 offset0:93 offset1:94
	ds_load_2addr_b64 v[142:145], v2 offset0:95 offset1:96
	s_wait_dscnt 0x1
	v_fmac_f64_e32 v[160:161], v[154:155], v[138:139]
	scratch_load_b128 v[152:155], off, off offset:352
	s_wait_loadcnt 0x5
	v_fmac_f64_e32 v[160:161], v[130:131], v[140:141]
	s_wait_dscnt 0x0
	s_delay_alu instid0(VALU_DEP_1)
	v_fmac_f64_e32 v[160:161], v[132:133], v[142:143]
	scratch_load_b128 v[130:133], off, off offset:368
	s_wait_loadcnt 0x5
	v_fmac_f64_e32 v[160:161], v[148:149], v[144:145]
	ds_load_2addr_b64 v[138:141], v2 offset0:97 offset1:98
	ds_load_2addr_b64 v[142:145], v2 offset0:99 offset1:100
	scratch_load_b128 v[146:149], off, off offset:384
	s_wait_dscnt 0x1
	v_fmac_f64_e32 v[160:161], v[150:151], v[138:139]
	s_wait_loadcnt 0x5
	s_delay_alu instid0(VALU_DEP_1) | instskip(SKIP_1) | instid1(VALU_DEP_1)
	v_fmac_f64_e32 v[160:161], v[134:135], v[140:141]
	s_wait_dscnt 0x0
	v_fmac_f64_e32 v[160:161], v[136:137], v[142:143]
	scratch_load_b128 v[134:137], off, off offset:400
	s_wait_loadcnt 0x5
	v_fmac_f64_e32 v[160:161], v[156:157], v[144:145]
	ds_load_2addr_b64 v[138:141], v2 offset0:101 offset1:102
	ds_load_2addr_b64 v[142:145], v2 offset0:103 offset1:104
	s_wait_dscnt 0x1
	v_fmac_f64_e32 v[160:161], v[158:159], v[138:139]
	s_wait_loadcnt 0x4
	s_delay_alu instid0(VALU_DEP_1)
	v_fmac_f64_e32 v[160:161], v[126:127], v[140:141]
	scratch_load_b128 v[138:141], off, off offset:416
	s_wait_dscnt 0x0
	v_fmac_f64_e32 v[160:161], v[128:129], v[142:143]
	scratch_load_b128 v[126:129], off, off offset:432
	s_wait_loadcnt 0x5
	v_fmac_f64_e32 v[160:161], v[152:153], v[144:145]
	ds_load_2addr_b64 v[142:145], v2 offset0:105 offset1:106
	ds_load_2addr_b64 v[150:153], v2 offset0:107 offset1:108
	s_wait_dscnt 0x1
	v_fmac_f64_e32 v[160:161], v[154:155], v[142:143]
	s_wait_loadcnt 0x4
	s_delay_alu instid0(VALU_DEP_1)
	v_fmac_f64_e32 v[160:161], v[130:131], v[144:145]
	scratch_load_b128 v[142:145], off, off offset:448
	s_wait_dscnt 0x0
	v_fmac_f64_e32 v[160:161], v[132:133], v[150:151]
	scratch_load_b128 v[130:133], off, off offset:464
	s_wait_loadcnt 0x5
	v_fmac_f64_e32 v[160:161], v[146:147], v[152:153]
	ds_load_2addr_b64 v[150:153], v2 offset0:109 offset1:110
	ds_load_2addr_b64 v[154:157], v2 offset0:111 offset1:112
	s_wait_dscnt 0x1
	v_fmac_f64_e32 v[160:161], v[148:149], v[150:151]
	s_wait_loadcnt 0x4
	s_delay_alu instid0(VALU_DEP_1) | instskip(SKIP_1) | instid1(VALU_DEP_1)
	v_fmac_f64_e32 v[160:161], v[134:135], v[152:153]
	s_wait_dscnt 0x0
	v_fmac_f64_e32 v[160:161], v[136:137], v[154:155]
	ds_load_2addr_b64 v[134:137], v2 offset0:113 offset1:114
	ds_load_2addr_b64 v[146:149], v2 offset0:115 offset1:116
	s_wait_loadcnt 0x3
	v_fmac_f64_e32 v[160:161], v[138:139], v[156:157]
	s_wait_dscnt 0x1
	s_delay_alu instid0(VALU_DEP_1) | instskip(SKIP_1) | instid1(VALU_DEP_1)
	v_fmac_f64_e32 v[160:161], v[140:141], v[134:135]
	s_wait_loadcnt 0x2
	v_fmac_f64_e32 v[160:161], v[126:127], v[136:137]
	s_wait_dscnt 0x0
	s_delay_alu instid0(VALU_DEP_1)
	v_fmac_f64_e32 v[160:161], v[128:129], v[146:147]
	ds_load_2addr_b64 v[126:129], v2 offset0:117 offset1:118
	ds_load_b64 v[134:135], v2 offset:952
	s_wait_loadcnt 0x1
	v_fmac_f64_e32 v[160:161], v[142:143], v[148:149]
	s_wait_dscnt 0x1
	s_delay_alu instid0(VALU_DEP_1) | instskip(SKIP_1) | instid1(VALU_DEP_1)
	v_fmac_f64_e32 v[160:161], v[144:145], v[126:127]
	s_wait_loadcnt 0x0
	v_fmac_f64_e32 v[160:161], v[130:131], v[128:129]
	s_wait_dscnt 0x0
	s_delay_alu instid0(VALU_DEP_1) | instskip(NEXT) | instid1(VALU_DEP_1)
	v_fmac_f64_e32 v[160:161], v[132:133], v[134:135]
	v_add_f64_e64 v[124:125], v[124:125], -v[160:161]
	scratch_store_b64 off, v[124:125], off offset:128
	s_wait_xcnt 0x0
	v_cmpx_lt_u32_e32 15, v0
	s_cbranch_execz .LBB59_339
; %bb.338:
	scratch_load_b64 v[124:125], off, off offset:120
	v_mov_b64_e32 v[126:127], 0
	scratch_store_b64 off, v[126:127], off offset:120
	s_wait_loadcnt 0x0
	ds_store_b64 v1, v[124:125]
.LBB59_339:
	s_wait_xcnt 0x0
	s_or_b32 exec_lo, exec_lo, s0
	s_wait_storecnt_dscnt 0x0
	s_barrier_signal -1
	s_barrier_wait -1
	s_clause 0x5
	scratch_load_b128 v[124:127], off, off offset:120
	scratch_load_b128 v[128:131], off, off offset:136
	;; [unrolled: 1-line block ×6, first 2 shown]
	ds_load_b128 v[148:151], v2 offset:608
	ds_load_b128 v[152:155], v2 offset:624
	scratch_load_b128 v[156:159], off, off offset:216
	s_mov_b32 s0, exec_lo
	s_wait_loadcnt_dscnt 0x601
	v_fma_f64 v[160:161], v[126:127], v[148:149], 0
	s_wait_loadcnt 0x5
	s_delay_alu instid0(VALU_DEP_1) | instskip(SKIP_4) | instid1(VALU_DEP_1)
	v_fmac_f64_e32 v[160:161], v[128:129], v[150:151]
	scratch_load_b128 v[126:129], off, off offset:232
	s_wait_dscnt 0x0
	v_fmac_f64_e32 v[160:161], v[130:131], v[152:153]
	s_wait_loadcnt 0x5
	v_fmac_f64_e32 v[160:161], v[132:133], v[154:155]
	ds_load_b128 v[130:133], v2 offset:640
	ds_load_b128 v[148:151], v2 offset:656
	scratch_load_b128 v[152:155], off, off offset:248
	s_wait_dscnt 0x1
	v_fmac_f64_e32 v[160:161], v[134:135], v[130:131]
	s_wait_loadcnt 0x5
	s_delay_alu instid0(VALU_DEP_1) | instskip(SKIP_4) | instid1(VALU_DEP_1)
	v_fmac_f64_e32 v[160:161], v[136:137], v[132:133]
	scratch_load_b128 v[130:133], off, off offset:264
	s_wait_dscnt 0x0
	v_fmac_f64_e32 v[160:161], v[138:139], v[148:149]
	s_wait_loadcnt 0x5
	v_fmac_f64_e32 v[160:161], v[140:141], v[150:151]
	ds_load_b128 v[134:137], v2 offset:672
	ds_load_b128 v[138:141], v2 offset:688
	scratch_load_b128 v[148:151], off, off offset:280
	s_wait_dscnt 0x1
	v_fmac_f64_e32 v[160:161], v[142:143], v[134:135]
	s_wait_loadcnt 0x5
	s_delay_alu instid0(VALU_DEP_1) | instskip(SKIP_4) | instid1(VALU_DEP_1)
	v_fmac_f64_e32 v[160:161], v[144:145], v[136:137]
	scratch_load_b128 v[134:137], off, off offset:296
	s_wait_dscnt 0x0
	v_fmac_f64_e32 v[160:161], v[146:147], v[138:139]
	s_wait_loadcnt 0x5
	v_fmac_f64_e32 v[160:161], v[156:157], v[140:141]
	ds_load_b128 v[138:141], v2 offset:704
	ds_load_b128 v[142:145], v2 offset:720
	s_wait_dscnt 0x1
	v_fmac_f64_e32 v[160:161], v[158:159], v[138:139]
	scratch_load_b128 v[156:159], off, off offset:312
	s_wait_loadcnt 0x5
	v_fmac_f64_e32 v[160:161], v[126:127], v[140:141]
	s_wait_dscnt 0x0
	s_delay_alu instid0(VALU_DEP_1)
	v_fmac_f64_e32 v[160:161], v[128:129], v[142:143]
	scratch_load_b128 v[126:129], off, off offset:328
	s_wait_loadcnt 0x5
	v_fmac_f64_e32 v[160:161], v[152:153], v[144:145]
	ds_load_b128 v[138:141], v2 offset:736
	ds_load_b128 v[142:145], v2 offset:752
	s_wait_dscnt 0x1
	v_fmac_f64_e32 v[160:161], v[154:155], v[138:139]
	scratch_load_b128 v[152:155], off, off offset:344
	s_wait_loadcnt 0x5
	v_fmac_f64_e32 v[160:161], v[130:131], v[140:141]
	s_wait_dscnt 0x0
	s_delay_alu instid0(VALU_DEP_1)
	v_fmac_f64_e32 v[160:161], v[132:133], v[142:143]
	scratch_load_b128 v[130:133], off, off offset:360
	s_wait_loadcnt 0x5
	v_fmac_f64_e32 v[160:161], v[148:149], v[144:145]
	ds_load_b128 v[138:141], v2 offset:768
	ds_load_b128 v[142:145], v2 offset:784
	scratch_load_b128 v[146:149], off, off offset:376
	s_wait_dscnt 0x1
	v_fmac_f64_e32 v[160:161], v[150:151], v[138:139]
	s_wait_loadcnt 0x5
	s_delay_alu instid0(VALU_DEP_1) | instskip(SKIP_1) | instid1(VALU_DEP_1)
	v_fmac_f64_e32 v[160:161], v[134:135], v[140:141]
	s_wait_dscnt 0x0
	v_fmac_f64_e32 v[160:161], v[136:137], v[142:143]
	scratch_load_b128 v[134:137], off, off offset:392
	s_wait_loadcnt 0x5
	v_fmac_f64_e32 v[160:161], v[156:157], v[144:145]
	ds_load_b128 v[138:141], v2 offset:800
	ds_load_b128 v[142:145], v2 offset:816
	s_wait_dscnt 0x1
	v_fmac_f64_e32 v[160:161], v[158:159], v[138:139]
	s_wait_loadcnt 0x4
	s_delay_alu instid0(VALU_DEP_1)
	v_fmac_f64_e32 v[160:161], v[126:127], v[140:141]
	scratch_load_b128 v[138:141], off, off offset:408
	s_wait_dscnt 0x0
	v_fmac_f64_e32 v[160:161], v[128:129], v[142:143]
	scratch_load_b128 v[126:129], off, off offset:424
	s_wait_loadcnt 0x5
	v_fmac_f64_e32 v[160:161], v[152:153], v[144:145]
	ds_load_b128 v[142:145], v2 offset:832
	ds_load_b128 v[150:153], v2 offset:848
	s_wait_dscnt 0x1
	v_fmac_f64_e32 v[160:161], v[154:155], v[142:143]
	s_wait_loadcnt 0x4
	s_delay_alu instid0(VALU_DEP_1)
	v_fmac_f64_e32 v[160:161], v[130:131], v[144:145]
	scratch_load_b128 v[142:145], off, off offset:440
	s_wait_dscnt 0x0
	v_fmac_f64_e32 v[160:161], v[132:133], v[150:151]
	scratch_load_b128 v[130:133], off, off offset:456
	s_wait_loadcnt 0x5
	v_fmac_f64_e32 v[160:161], v[146:147], v[152:153]
	ds_load_b128 v[150:153], v2 offset:864
	ds_load_b128 v[154:157], v2 offset:880
	s_wait_dscnt 0x1
	v_fmac_f64_e32 v[160:161], v[148:149], v[150:151]
	scratch_load_b64 v[150:151], off, off offset:472
	s_wait_loadcnt 0x5
	v_fmac_f64_e32 v[160:161], v[134:135], v[152:153]
	s_wait_dscnt 0x0
	s_delay_alu instid0(VALU_DEP_1)
	v_fmac_f64_e32 v[160:161], v[136:137], v[154:155]
	ds_load_b128 v[134:137], v2 offset:896
	ds_load_b128 v[146:149], v2 offset:912
	s_wait_loadcnt 0x4
	v_fmac_f64_e32 v[160:161], v[138:139], v[156:157]
	s_wait_dscnt 0x1
	s_delay_alu instid0(VALU_DEP_1) | instskip(SKIP_1) | instid1(VALU_DEP_1)
	v_fmac_f64_e32 v[160:161], v[140:141], v[134:135]
	s_wait_loadcnt 0x3
	v_fmac_f64_e32 v[160:161], v[126:127], v[136:137]
	s_wait_dscnt 0x0
	s_delay_alu instid0(VALU_DEP_1)
	v_fmac_f64_e32 v[160:161], v[128:129], v[146:147]
	ds_load_b128 v[126:129], v2 offset:928
	ds_load_b128 v[134:137], v2 offset:944
	s_wait_loadcnt 0x2
	v_fmac_f64_e32 v[160:161], v[142:143], v[148:149]
	s_wait_dscnt 0x1
	s_delay_alu instid0(VALU_DEP_1) | instskip(SKIP_1) | instid1(VALU_DEP_1)
	v_fmac_f64_e32 v[160:161], v[144:145], v[126:127]
	s_wait_loadcnt 0x1
	v_fmac_f64_e32 v[160:161], v[130:131], v[128:129]
	s_wait_dscnt 0x0
	s_delay_alu instid0(VALU_DEP_1) | instskip(SKIP_1) | instid1(VALU_DEP_1)
	v_fmac_f64_e32 v[160:161], v[132:133], v[134:135]
	s_wait_loadcnt 0x0
	v_fmac_f64_e32 v[160:161], v[150:151], v[136:137]
	s_delay_alu instid0(VALU_DEP_1)
	v_add_f64_e64 v[2:3], v[124:125], -v[160:161]
	scratch_store_b64 off, v[2:3], off offset:120
	s_wait_xcnt 0x0
	v_cmpx_lt_u32_e32 14, v0
	s_cbranch_execz .LBB59_341
; %bb.340:
	scratch_load_b64 v[2:3], off, off offset:112
	v_mov_b64_e32 v[124:125], 0
	scratch_store_b64 off, v[124:125], off offset:112
	s_wait_loadcnt 0x0
	ds_store_b64 v1, v[2:3]
.LBB59_341:
	s_wait_xcnt 0x0
	s_or_b32 exec_lo, exec_lo, s0
	s_wait_storecnt_dscnt 0x0
	s_barrier_signal -1
	s_barrier_wait -1
	s_clause 0x5
	scratch_load_b128 v[124:127], off, off offset:112
	scratch_load_b128 v[128:131], off, off offset:128
	;; [unrolled: 1-line block ×6, first 2 shown]
	v_mov_b32_e32 v2, 0
	ds_load_2addr_b64 v[148:151], v2 offset0:75 offset1:76
	ds_load_2addr_b64 v[152:155], v2 offset0:77 offset1:78
	scratch_load_b128 v[156:159], off, off offset:208
	s_mov_b32 s0, exec_lo
	s_wait_loadcnt_dscnt 0x601
	v_fma_f64 v[160:161], v[126:127], v[148:149], 0
	s_wait_loadcnt 0x5
	s_delay_alu instid0(VALU_DEP_1) | instskip(SKIP_4) | instid1(VALU_DEP_1)
	v_fmac_f64_e32 v[160:161], v[128:129], v[150:151]
	scratch_load_b128 v[126:129], off, off offset:224
	s_wait_dscnt 0x0
	v_fmac_f64_e32 v[160:161], v[130:131], v[152:153]
	s_wait_loadcnt 0x5
	v_fmac_f64_e32 v[160:161], v[132:133], v[154:155]
	ds_load_2addr_b64 v[130:133], v2 offset0:79 offset1:80
	ds_load_2addr_b64 v[148:151], v2 offset0:81 offset1:82
	scratch_load_b128 v[152:155], off, off offset:240
	s_wait_dscnt 0x1
	v_fmac_f64_e32 v[160:161], v[134:135], v[130:131]
	s_wait_loadcnt 0x5
	s_delay_alu instid0(VALU_DEP_1) | instskip(SKIP_4) | instid1(VALU_DEP_1)
	v_fmac_f64_e32 v[160:161], v[136:137], v[132:133]
	scratch_load_b128 v[130:133], off, off offset:256
	s_wait_dscnt 0x0
	v_fmac_f64_e32 v[160:161], v[138:139], v[148:149]
	s_wait_loadcnt 0x5
	v_fmac_f64_e32 v[160:161], v[140:141], v[150:151]
	ds_load_2addr_b64 v[134:137], v2 offset0:83 offset1:84
	ds_load_2addr_b64 v[138:141], v2 offset0:85 offset1:86
	scratch_load_b128 v[148:151], off, off offset:272
	s_wait_dscnt 0x1
	v_fmac_f64_e32 v[160:161], v[142:143], v[134:135]
	s_wait_loadcnt 0x5
	s_delay_alu instid0(VALU_DEP_1) | instskip(SKIP_4) | instid1(VALU_DEP_1)
	v_fmac_f64_e32 v[160:161], v[144:145], v[136:137]
	scratch_load_b128 v[134:137], off, off offset:288
	s_wait_dscnt 0x0
	v_fmac_f64_e32 v[160:161], v[146:147], v[138:139]
	s_wait_loadcnt 0x5
	v_fmac_f64_e32 v[160:161], v[156:157], v[140:141]
	ds_load_2addr_b64 v[138:141], v2 offset0:87 offset1:88
	ds_load_2addr_b64 v[142:145], v2 offset0:89 offset1:90
	s_wait_dscnt 0x1
	v_fmac_f64_e32 v[160:161], v[158:159], v[138:139]
	scratch_load_b128 v[156:159], off, off offset:304
	s_wait_loadcnt 0x5
	v_fmac_f64_e32 v[160:161], v[126:127], v[140:141]
	s_wait_dscnt 0x0
	s_delay_alu instid0(VALU_DEP_1)
	v_fmac_f64_e32 v[160:161], v[128:129], v[142:143]
	scratch_load_b128 v[126:129], off, off offset:320
	s_wait_loadcnt 0x5
	v_fmac_f64_e32 v[160:161], v[152:153], v[144:145]
	ds_load_2addr_b64 v[138:141], v2 offset0:91 offset1:92
	ds_load_2addr_b64 v[142:145], v2 offset0:93 offset1:94
	s_wait_dscnt 0x1
	v_fmac_f64_e32 v[160:161], v[154:155], v[138:139]
	scratch_load_b128 v[152:155], off, off offset:336
	s_wait_loadcnt 0x5
	v_fmac_f64_e32 v[160:161], v[130:131], v[140:141]
	s_wait_dscnt 0x0
	s_delay_alu instid0(VALU_DEP_1)
	v_fmac_f64_e32 v[160:161], v[132:133], v[142:143]
	scratch_load_b128 v[130:133], off, off offset:352
	s_wait_loadcnt 0x5
	v_fmac_f64_e32 v[160:161], v[148:149], v[144:145]
	ds_load_2addr_b64 v[138:141], v2 offset0:95 offset1:96
	ds_load_2addr_b64 v[142:145], v2 offset0:97 offset1:98
	scratch_load_b128 v[146:149], off, off offset:368
	s_wait_dscnt 0x1
	v_fmac_f64_e32 v[160:161], v[150:151], v[138:139]
	s_wait_loadcnt 0x5
	s_delay_alu instid0(VALU_DEP_1) | instskip(SKIP_1) | instid1(VALU_DEP_1)
	v_fmac_f64_e32 v[160:161], v[134:135], v[140:141]
	s_wait_dscnt 0x0
	v_fmac_f64_e32 v[160:161], v[136:137], v[142:143]
	scratch_load_b128 v[134:137], off, off offset:384
	s_wait_loadcnt 0x5
	v_fmac_f64_e32 v[160:161], v[156:157], v[144:145]
	ds_load_2addr_b64 v[138:141], v2 offset0:99 offset1:100
	ds_load_2addr_b64 v[142:145], v2 offset0:101 offset1:102
	s_wait_dscnt 0x1
	v_fmac_f64_e32 v[160:161], v[158:159], v[138:139]
	s_wait_loadcnt 0x4
	s_delay_alu instid0(VALU_DEP_1)
	v_fmac_f64_e32 v[160:161], v[126:127], v[140:141]
	scratch_load_b128 v[138:141], off, off offset:400
	s_wait_dscnt 0x0
	v_fmac_f64_e32 v[160:161], v[128:129], v[142:143]
	scratch_load_b128 v[126:129], off, off offset:416
	s_wait_loadcnt 0x5
	v_fmac_f64_e32 v[160:161], v[152:153], v[144:145]
	ds_load_2addr_b64 v[142:145], v2 offset0:103 offset1:104
	ds_load_2addr_b64 v[150:153], v2 offset0:105 offset1:106
	s_wait_dscnt 0x1
	v_fmac_f64_e32 v[160:161], v[154:155], v[142:143]
	s_wait_loadcnt 0x4
	s_delay_alu instid0(VALU_DEP_1)
	v_fmac_f64_e32 v[160:161], v[130:131], v[144:145]
	scratch_load_b128 v[142:145], off, off offset:432
	s_wait_dscnt 0x0
	v_fmac_f64_e32 v[160:161], v[132:133], v[150:151]
	scratch_load_b128 v[130:133], off, off offset:448
	s_wait_loadcnt 0x5
	v_fmac_f64_e32 v[160:161], v[146:147], v[152:153]
	ds_load_2addr_b64 v[150:153], v2 offset0:107 offset1:108
	ds_load_2addr_b64 v[154:157], v2 offset0:109 offset1:110
	s_wait_dscnt 0x1
	v_fmac_f64_e32 v[160:161], v[148:149], v[150:151]
	scratch_load_b128 v[146:149], off, off offset:464
	s_wait_loadcnt 0x5
	v_fmac_f64_e32 v[160:161], v[134:135], v[152:153]
	s_wait_dscnt 0x0
	s_delay_alu instid0(VALU_DEP_1)
	v_fmac_f64_e32 v[160:161], v[136:137], v[154:155]
	ds_load_2addr_b64 v[134:137], v2 offset0:111 offset1:112
	ds_load_2addr_b64 v[150:153], v2 offset0:113 offset1:114
	s_wait_loadcnt 0x4
	v_fmac_f64_e32 v[160:161], v[138:139], v[156:157]
	s_wait_dscnt 0x1
	s_delay_alu instid0(VALU_DEP_1) | instskip(SKIP_1) | instid1(VALU_DEP_1)
	v_fmac_f64_e32 v[160:161], v[140:141], v[134:135]
	s_wait_loadcnt 0x3
	v_fmac_f64_e32 v[160:161], v[126:127], v[136:137]
	s_wait_dscnt 0x0
	s_delay_alu instid0(VALU_DEP_1)
	v_fmac_f64_e32 v[160:161], v[128:129], v[150:151]
	ds_load_2addr_b64 v[126:129], v2 offset0:115 offset1:116
	ds_load_2addr_b64 v[134:137], v2 offset0:117 offset1:118
	s_wait_loadcnt 0x2
	v_fmac_f64_e32 v[160:161], v[142:143], v[152:153]
	s_wait_dscnt 0x1
	s_delay_alu instid0(VALU_DEP_1) | instskip(SKIP_4) | instid1(VALU_DEP_1)
	v_fmac_f64_e32 v[160:161], v[144:145], v[126:127]
	ds_load_b64 v[126:127], v2 offset:952
	s_wait_loadcnt 0x1
	v_fmac_f64_e32 v[160:161], v[130:131], v[128:129]
	s_wait_dscnt 0x1
	v_fmac_f64_e32 v[160:161], v[132:133], v[134:135]
	s_wait_loadcnt 0x0
	s_delay_alu instid0(VALU_DEP_1) | instskip(SKIP_1) | instid1(VALU_DEP_1)
	v_fmac_f64_e32 v[160:161], v[146:147], v[136:137]
	s_wait_dscnt 0x0
	v_fmac_f64_e32 v[160:161], v[148:149], v[126:127]
	s_delay_alu instid0(VALU_DEP_1)
	v_add_f64_e64 v[124:125], v[124:125], -v[160:161]
	scratch_store_b64 off, v[124:125], off offset:112
	s_wait_xcnt 0x0
	v_cmpx_lt_u32_e32 13, v0
	s_cbranch_execz .LBB59_343
; %bb.342:
	scratch_load_b64 v[124:125], off, off offset:104
	v_mov_b64_e32 v[126:127], 0
	scratch_store_b64 off, v[126:127], off offset:104
	s_wait_loadcnt 0x0
	ds_store_b64 v1, v[124:125]
.LBB59_343:
	s_wait_xcnt 0x0
	s_or_b32 exec_lo, exec_lo, s0
	s_wait_storecnt_dscnt 0x0
	s_barrier_signal -1
	s_barrier_wait -1
	s_clause 0x5
	scratch_load_b128 v[124:127], off, off offset:104
	scratch_load_b128 v[128:131], off, off offset:120
	scratch_load_b128 v[132:135], off, off offset:136
	scratch_load_b128 v[136:139], off, off offset:152
	scratch_load_b128 v[140:143], off, off offset:168
	scratch_load_b128 v[144:147], off, off offset:184
	ds_load_b128 v[148:151], v2 offset:592
	ds_load_b128 v[152:155], v2 offset:608
	scratch_load_b128 v[156:159], off, off offset:200
	s_mov_b32 s0, exec_lo
	s_wait_loadcnt_dscnt 0x601
	v_fma_f64 v[160:161], v[126:127], v[148:149], 0
	s_wait_loadcnt 0x5
	s_delay_alu instid0(VALU_DEP_1) | instskip(SKIP_4) | instid1(VALU_DEP_1)
	v_fmac_f64_e32 v[160:161], v[128:129], v[150:151]
	scratch_load_b128 v[126:129], off, off offset:216
	s_wait_dscnt 0x0
	v_fmac_f64_e32 v[160:161], v[130:131], v[152:153]
	s_wait_loadcnt 0x5
	v_fmac_f64_e32 v[160:161], v[132:133], v[154:155]
	ds_load_b128 v[130:133], v2 offset:624
	ds_load_b128 v[148:151], v2 offset:640
	scratch_load_b128 v[152:155], off, off offset:232
	s_wait_dscnt 0x1
	v_fmac_f64_e32 v[160:161], v[134:135], v[130:131]
	s_wait_loadcnt 0x5
	s_delay_alu instid0(VALU_DEP_1) | instskip(SKIP_4) | instid1(VALU_DEP_1)
	v_fmac_f64_e32 v[160:161], v[136:137], v[132:133]
	scratch_load_b128 v[130:133], off, off offset:248
	s_wait_dscnt 0x0
	v_fmac_f64_e32 v[160:161], v[138:139], v[148:149]
	s_wait_loadcnt 0x5
	v_fmac_f64_e32 v[160:161], v[140:141], v[150:151]
	ds_load_b128 v[134:137], v2 offset:656
	ds_load_b128 v[138:141], v2 offset:672
	scratch_load_b128 v[148:151], off, off offset:264
	s_wait_dscnt 0x1
	v_fmac_f64_e32 v[160:161], v[142:143], v[134:135]
	s_wait_loadcnt 0x5
	s_delay_alu instid0(VALU_DEP_1) | instskip(SKIP_4) | instid1(VALU_DEP_1)
	v_fmac_f64_e32 v[160:161], v[144:145], v[136:137]
	scratch_load_b128 v[134:137], off, off offset:280
	s_wait_dscnt 0x0
	v_fmac_f64_e32 v[160:161], v[146:147], v[138:139]
	s_wait_loadcnt 0x5
	v_fmac_f64_e32 v[160:161], v[156:157], v[140:141]
	ds_load_b128 v[138:141], v2 offset:688
	ds_load_b128 v[142:145], v2 offset:704
	s_wait_dscnt 0x1
	v_fmac_f64_e32 v[160:161], v[158:159], v[138:139]
	scratch_load_b128 v[156:159], off, off offset:296
	s_wait_loadcnt 0x5
	v_fmac_f64_e32 v[160:161], v[126:127], v[140:141]
	s_wait_dscnt 0x0
	s_delay_alu instid0(VALU_DEP_1)
	v_fmac_f64_e32 v[160:161], v[128:129], v[142:143]
	scratch_load_b128 v[126:129], off, off offset:312
	s_wait_loadcnt 0x5
	v_fmac_f64_e32 v[160:161], v[152:153], v[144:145]
	ds_load_b128 v[138:141], v2 offset:720
	ds_load_b128 v[142:145], v2 offset:736
	s_wait_dscnt 0x1
	v_fmac_f64_e32 v[160:161], v[154:155], v[138:139]
	scratch_load_b128 v[152:155], off, off offset:328
	s_wait_loadcnt 0x5
	v_fmac_f64_e32 v[160:161], v[130:131], v[140:141]
	s_wait_dscnt 0x0
	s_delay_alu instid0(VALU_DEP_1)
	v_fmac_f64_e32 v[160:161], v[132:133], v[142:143]
	scratch_load_b128 v[130:133], off, off offset:344
	s_wait_loadcnt 0x5
	v_fmac_f64_e32 v[160:161], v[148:149], v[144:145]
	ds_load_b128 v[138:141], v2 offset:752
	ds_load_b128 v[142:145], v2 offset:768
	scratch_load_b128 v[146:149], off, off offset:360
	s_wait_dscnt 0x1
	v_fmac_f64_e32 v[160:161], v[150:151], v[138:139]
	s_wait_loadcnt 0x5
	s_delay_alu instid0(VALU_DEP_1) | instskip(SKIP_1) | instid1(VALU_DEP_1)
	v_fmac_f64_e32 v[160:161], v[134:135], v[140:141]
	s_wait_dscnt 0x0
	v_fmac_f64_e32 v[160:161], v[136:137], v[142:143]
	scratch_load_b128 v[134:137], off, off offset:376
	s_wait_loadcnt 0x5
	v_fmac_f64_e32 v[160:161], v[156:157], v[144:145]
	ds_load_b128 v[138:141], v2 offset:784
	ds_load_b128 v[142:145], v2 offset:800
	s_wait_dscnt 0x1
	v_fmac_f64_e32 v[160:161], v[158:159], v[138:139]
	scratch_load_b128 v[156:159], off, off offset:392
	s_wait_loadcnt 0x5
	v_fmac_f64_e32 v[160:161], v[126:127], v[140:141]
	s_wait_dscnt 0x0
	s_delay_alu instid0(VALU_DEP_1)
	v_fmac_f64_e32 v[160:161], v[128:129], v[142:143]
	scratch_load_b128 v[126:129], off, off offset:408
	s_wait_loadcnt 0x5
	v_fmac_f64_e32 v[160:161], v[152:153], v[144:145]
	ds_load_b128 v[138:141], v2 offset:816
	ds_load_b128 v[142:145], v2 offset:832
	s_wait_dscnt 0x1
	v_fmac_f64_e32 v[160:161], v[154:155], v[138:139]
	s_wait_loadcnt 0x4
	s_delay_alu instid0(VALU_DEP_1)
	v_fmac_f64_e32 v[160:161], v[130:131], v[140:141]
	scratch_load_b128 v[138:141], off, off offset:424
	s_wait_dscnt 0x0
	v_fmac_f64_e32 v[160:161], v[132:133], v[142:143]
	scratch_load_b128 v[130:133], off, off offset:440
	s_wait_loadcnt 0x5
	v_fmac_f64_e32 v[160:161], v[146:147], v[144:145]
	ds_load_b128 v[142:145], v2 offset:848
	ds_load_b128 v[150:153], v2 offset:864
	s_wait_dscnt 0x1
	v_fmac_f64_e32 v[160:161], v[148:149], v[142:143]
	s_wait_loadcnt 0x4
	s_delay_alu instid0(VALU_DEP_1)
	v_fmac_f64_e32 v[160:161], v[134:135], v[144:145]
	scratch_load_b128 v[142:145], off, off offset:456
	s_wait_dscnt 0x0
	v_fmac_f64_e32 v[160:161], v[136:137], v[150:151]
	scratch_load_b64 v[150:151], off, off offset:472
	ds_load_b128 v[134:137], v2 offset:880
	ds_load_b128 v[146:149], v2 offset:896
	s_wait_loadcnt 0x5
	v_fmac_f64_e32 v[160:161], v[156:157], v[152:153]
	s_wait_dscnt 0x1
	s_delay_alu instid0(VALU_DEP_1) | instskip(SKIP_1) | instid1(VALU_DEP_1)
	v_fmac_f64_e32 v[160:161], v[158:159], v[134:135]
	s_wait_loadcnt 0x4
	v_fmac_f64_e32 v[160:161], v[126:127], v[136:137]
	s_wait_dscnt 0x0
	s_delay_alu instid0(VALU_DEP_1)
	v_fmac_f64_e32 v[160:161], v[128:129], v[146:147]
	ds_load_b128 v[126:129], v2 offset:912
	ds_load_b128 v[134:137], v2 offset:928
	s_wait_loadcnt 0x3
	v_fmac_f64_e32 v[160:161], v[138:139], v[148:149]
	s_wait_dscnt 0x1
	s_delay_alu instid0(VALU_DEP_1) | instskip(SKIP_1) | instid1(VALU_DEP_1)
	v_fmac_f64_e32 v[160:161], v[140:141], v[126:127]
	s_wait_loadcnt 0x2
	v_fmac_f64_e32 v[160:161], v[130:131], v[128:129]
	ds_load_b128 v[126:129], v2 offset:944
	s_wait_dscnt 0x1
	v_fmac_f64_e32 v[160:161], v[132:133], v[134:135]
	s_wait_loadcnt 0x1
	s_delay_alu instid0(VALU_DEP_1) | instskip(SKIP_1) | instid1(VALU_DEP_1)
	v_fmac_f64_e32 v[160:161], v[142:143], v[136:137]
	s_wait_dscnt 0x0
	v_fmac_f64_e32 v[160:161], v[144:145], v[126:127]
	s_wait_loadcnt 0x0
	s_delay_alu instid0(VALU_DEP_1) | instskip(NEXT) | instid1(VALU_DEP_1)
	v_fmac_f64_e32 v[160:161], v[150:151], v[128:129]
	v_add_f64_e64 v[2:3], v[124:125], -v[160:161]
	scratch_store_b64 off, v[2:3], off offset:104
	s_wait_xcnt 0x0
	v_cmpx_lt_u32_e32 12, v0
	s_cbranch_execz .LBB59_345
; %bb.344:
	scratch_load_b64 v[2:3], off, off offset:96
	v_mov_b64_e32 v[124:125], 0
	scratch_store_b64 off, v[124:125], off offset:96
	s_wait_loadcnt 0x0
	ds_store_b64 v1, v[2:3]
.LBB59_345:
	s_wait_xcnt 0x0
	s_or_b32 exec_lo, exec_lo, s0
	s_wait_storecnt_dscnt 0x0
	s_barrier_signal -1
	s_barrier_wait -1
	s_clause 0x5
	scratch_load_b128 v[124:127], off, off offset:96
	scratch_load_b128 v[128:131], off, off offset:112
	;; [unrolled: 1-line block ×6, first 2 shown]
	v_mov_b32_e32 v2, 0
	ds_load_2addr_b64 v[148:151], v2 offset0:73 offset1:74
	ds_load_2addr_b64 v[152:155], v2 offset0:75 offset1:76
	scratch_load_b128 v[156:159], off, off offset:192
	s_mov_b32 s0, exec_lo
	s_wait_loadcnt_dscnt 0x601
	v_fma_f64 v[160:161], v[126:127], v[148:149], 0
	s_wait_loadcnt 0x5
	s_delay_alu instid0(VALU_DEP_1) | instskip(SKIP_4) | instid1(VALU_DEP_1)
	v_fmac_f64_e32 v[160:161], v[128:129], v[150:151]
	scratch_load_b128 v[126:129], off, off offset:208
	s_wait_dscnt 0x0
	v_fmac_f64_e32 v[160:161], v[130:131], v[152:153]
	s_wait_loadcnt 0x5
	v_fmac_f64_e32 v[160:161], v[132:133], v[154:155]
	ds_load_2addr_b64 v[130:133], v2 offset0:77 offset1:78
	ds_load_2addr_b64 v[148:151], v2 offset0:79 offset1:80
	scratch_load_b128 v[152:155], off, off offset:224
	s_wait_dscnt 0x1
	v_fmac_f64_e32 v[160:161], v[134:135], v[130:131]
	s_wait_loadcnt 0x5
	s_delay_alu instid0(VALU_DEP_1) | instskip(SKIP_4) | instid1(VALU_DEP_1)
	v_fmac_f64_e32 v[160:161], v[136:137], v[132:133]
	scratch_load_b128 v[130:133], off, off offset:240
	s_wait_dscnt 0x0
	v_fmac_f64_e32 v[160:161], v[138:139], v[148:149]
	s_wait_loadcnt 0x5
	v_fmac_f64_e32 v[160:161], v[140:141], v[150:151]
	ds_load_2addr_b64 v[134:137], v2 offset0:81 offset1:82
	ds_load_2addr_b64 v[138:141], v2 offset0:83 offset1:84
	scratch_load_b128 v[148:151], off, off offset:256
	s_wait_dscnt 0x1
	v_fmac_f64_e32 v[160:161], v[142:143], v[134:135]
	s_wait_loadcnt 0x5
	s_delay_alu instid0(VALU_DEP_1) | instskip(SKIP_4) | instid1(VALU_DEP_1)
	v_fmac_f64_e32 v[160:161], v[144:145], v[136:137]
	scratch_load_b128 v[134:137], off, off offset:272
	s_wait_dscnt 0x0
	v_fmac_f64_e32 v[160:161], v[146:147], v[138:139]
	s_wait_loadcnt 0x5
	v_fmac_f64_e32 v[160:161], v[156:157], v[140:141]
	ds_load_2addr_b64 v[138:141], v2 offset0:85 offset1:86
	ds_load_2addr_b64 v[142:145], v2 offset0:87 offset1:88
	s_wait_dscnt 0x1
	v_fmac_f64_e32 v[160:161], v[158:159], v[138:139]
	scratch_load_b128 v[156:159], off, off offset:288
	s_wait_loadcnt 0x5
	v_fmac_f64_e32 v[160:161], v[126:127], v[140:141]
	s_wait_dscnt 0x0
	s_delay_alu instid0(VALU_DEP_1)
	v_fmac_f64_e32 v[160:161], v[128:129], v[142:143]
	scratch_load_b128 v[126:129], off, off offset:304
	s_wait_loadcnt 0x5
	v_fmac_f64_e32 v[160:161], v[152:153], v[144:145]
	ds_load_2addr_b64 v[138:141], v2 offset0:89 offset1:90
	ds_load_2addr_b64 v[142:145], v2 offset0:91 offset1:92
	s_wait_dscnt 0x1
	v_fmac_f64_e32 v[160:161], v[154:155], v[138:139]
	scratch_load_b128 v[152:155], off, off offset:320
	s_wait_loadcnt 0x5
	v_fmac_f64_e32 v[160:161], v[130:131], v[140:141]
	s_wait_dscnt 0x0
	s_delay_alu instid0(VALU_DEP_1)
	v_fmac_f64_e32 v[160:161], v[132:133], v[142:143]
	scratch_load_b128 v[130:133], off, off offset:336
	s_wait_loadcnt 0x5
	v_fmac_f64_e32 v[160:161], v[148:149], v[144:145]
	ds_load_2addr_b64 v[138:141], v2 offset0:93 offset1:94
	ds_load_2addr_b64 v[142:145], v2 offset0:95 offset1:96
	scratch_load_b128 v[146:149], off, off offset:352
	s_wait_dscnt 0x1
	v_fmac_f64_e32 v[160:161], v[150:151], v[138:139]
	s_wait_loadcnt 0x5
	s_delay_alu instid0(VALU_DEP_1) | instskip(SKIP_1) | instid1(VALU_DEP_1)
	v_fmac_f64_e32 v[160:161], v[134:135], v[140:141]
	s_wait_dscnt 0x0
	v_fmac_f64_e32 v[160:161], v[136:137], v[142:143]
	scratch_load_b128 v[134:137], off, off offset:368
	s_wait_loadcnt 0x5
	v_fmac_f64_e32 v[160:161], v[156:157], v[144:145]
	ds_load_2addr_b64 v[138:141], v2 offset0:97 offset1:98
	ds_load_2addr_b64 v[142:145], v2 offset0:99 offset1:100
	s_wait_dscnt 0x1
	v_fmac_f64_e32 v[160:161], v[158:159], v[138:139]
	scratch_load_b128 v[156:159], off, off offset:384
	s_wait_loadcnt 0x5
	v_fmac_f64_e32 v[160:161], v[126:127], v[140:141]
	s_wait_dscnt 0x0
	s_delay_alu instid0(VALU_DEP_1)
	v_fmac_f64_e32 v[160:161], v[128:129], v[142:143]
	scratch_load_b128 v[126:129], off, off offset:400
	s_wait_loadcnt 0x5
	v_fmac_f64_e32 v[160:161], v[152:153], v[144:145]
	ds_load_2addr_b64 v[138:141], v2 offset0:101 offset1:102
	ds_load_2addr_b64 v[142:145], v2 offset0:103 offset1:104
	s_wait_dscnt 0x1
	v_fmac_f64_e32 v[160:161], v[154:155], v[138:139]
	s_wait_loadcnt 0x4
	s_delay_alu instid0(VALU_DEP_1)
	v_fmac_f64_e32 v[160:161], v[130:131], v[140:141]
	scratch_load_b128 v[138:141], off, off offset:416
	s_wait_dscnt 0x0
	v_fmac_f64_e32 v[160:161], v[132:133], v[142:143]
	scratch_load_b128 v[130:133], off, off offset:432
	s_wait_loadcnt 0x5
	v_fmac_f64_e32 v[160:161], v[146:147], v[144:145]
	ds_load_2addr_b64 v[142:145], v2 offset0:105 offset1:106
	ds_load_2addr_b64 v[150:153], v2 offset0:107 offset1:108
	s_wait_dscnt 0x1
	v_fmac_f64_e32 v[160:161], v[148:149], v[142:143]
	s_wait_loadcnt 0x4
	s_delay_alu instid0(VALU_DEP_1)
	v_fmac_f64_e32 v[160:161], v[134:135], v[144:145]
	scratch_load_b128 v[142:145], off, off offset:448
	s_wait_dscnt 0x0
	v_fmac_f64_e32 v[160:161], v[136:137], v[150:151]
	scratch_load_b128 v[134:137], off, off offset:464
	s_wait_loadcnt 0x5
	v_fmac_f64_e32 v[160:161], v[156:157], v[152:153]
	ds_load_2addr_b64 v[146:149], v2 offset0:109 offset1:110
	ds_load_2addr_b64 v[150:153], v2 offset0:111 offset1:112
	s_wait_dscnt 0x1
	v_fmac_f64_e32 v[160:161], v[158:159], v[146:147]
	s_wait_loadcnt 0x4
	s_delay_alu instid0(VALU_DEP_1) | instskip(SKIP_1) | instid1(VALU_DEP_1)
	v_fmac_f64_e32 v[160:161], v[126:127], v[148:149]
	s_wait_dscnt 0x0
	v_fmac_f64_e32 v[160:161], v[128:129], v[150:151]
	ds_load_2addr_b64 v[126:129], v2 offset0:113 offset1:114
	ds_load_2addr_b64 v[146:149], v2 offset0:115 offset1:116
	s_wait_loadcnt 0x3
	v_fmac_f64_e32 v[160:161], v[138:139], v[152:153]
	s_wait_dscnt 0x1
	s_delay_alu instid0(VALU_DEP_1) | instskip(SKIP_1) | instid1(VALU_DEP_1)
	v_fmac_f64_e32 v[160:161], v[140:141], v[126:127]
	s_wait_loadcnt 0x2
	v_fmac_f64_e32 v[160:161], v[130:131], v[128:129]
	ds_load_2addr_b64 v[126:129], v2 offset0:117 offset1:118
	ds_load_b64 v[130:131], v2 offset:952
	s_wait_dscnt 0x2
	v_fmac_f64_e32 v[160:161], v[132:133], v[146:147]
	s_wait_loadcnt 0x1
	s_delay_alu instid0(VALU_DEP_1) | instskip(SKIP_1) | instid1(VALU_DEP_1)
	v_fmac_f64_e32 v[160:161], v[142:143], v[148:149]
	s_wait_dscnt 0x1
	v_fmac_f64_e32 v[160:161], v[144:145], v[126:127]
	s_wait_loadcnt 0x0
	s_delay_alu instid0(VALU_DEP_1) | instskip(SKIP_1) | instid1(VALU_DEP_1)
	v_fmac_f64_e32 v[160:161], v[134:135], v[128:129]
	s_wait_dscnt 0x0
	v_fmac_f64_e32 v[160:161], v[136:137], v[130:131]
	s_delay_alu instid0(VALU_DEP_1)
	v_add_f64_e64 v[124:125], v[124:125], -v[160:161]
	scratch_store_b64 off, v[124:125], off offset:96
	s_wait_xcnt 0x0
	v_cmpx_lt_u32_e32 11, v0
	s_cbranch_execz .LBB59_347
; %bb.346:
	scratch_load_b64 v[124:125], off, off offset:88
	v_mov_b64_e32 v[126:127], 0
	scratch_store_b64 off, v[126:127], off offset:88
	s_wait_loadcnt 0x0
	ds_store_b64 v1, v[124:125]
.LBB59_347:
	s_wait_xcnt 0x0
	s_or_b32 exec_lo, exec_lo, s0
	s_wait_storecnt_dscnt 0x0
	s_barrier_signal -1
	s_barrier_wait -1
	s_clause 0x5
	scratch_load_b128 v[124:127], off, off offset:88
	scratch_load_b128 v[128:131], off, off offset:104
	;; [unrolled: 1-line block ×6, first 2 shown]
	ds_load_b128 v[148:151], v2 offset:576
	ds_load_b128 v[152:155], v2 offset:592
	scratch_load_b128 v[156:159], off, off offset:184
	s_mov_b32 s0, exec_lo
	s_wait_loadcnt_dscnt 0x601
	v_fma_f64 v[160:161], v[126:127], v[148:149], 0
	s_wait_loadcnt 0x5
	s_delay_alu instid0(VALU_DEP_1) | instskip(SKIP_4) | instid1(VALU_DEP_1)
	v_fmac_f64_e32 v[160:161], v[128:129], v[150:151]
	scratch_load_b128 v[126:129], off, off offset:200
	s_wait_dscnt 0x0
	v_fmac_f64_e32 v[160:161], v[130:131], v[152:153]
	s_wait_loadcnt 0x5
	v_fmac_f64_e32 v[160:161], v[132:133], v[154:155]
	ds_load_b128 v[130:133], v2 offset:608
	ds_load_b128 v[148:151], v2 offset:624
	scratch_load_b128 v[152:155], off, off offset:216
	s_wait_dscnt 0x1
	v_fmac_f64_e32 v[160:161], v[134:135], v[130:131]
	s_wait_loadcnt 0x5
	s_delay_alu instid0(VALU_DEP_1) | instskip(SKIP_4) | instid1(VALU_DEP_1)
	v_fmac_f64_e32 v[160:161], v[136:137], v[132:133]
	scratch_load_b128 v[130:133], off, off offset:232
	s_wait_dscnt 0x0
	v_fmac_f64_e32 v[160:161], v[138:139], v[148:149]
	s_wait_loadcnt 0x5
	v_fmac_f64_e32 v[160:161], v[140:141], v[150:151]
	ds_load_b128 v[134:137], v2 offset:640
	ds_load_b128 v[138:141], v2 offset:656
	scratch_load_b128 v[148:151], off, off offset:248
	s_wait_dscnt 0x1
	v_fmac_f64_e32 v[160:161], v[142:143], v[134:135]
	s_wait_loadcnt 0x5
	s_delay_alu instid0(VALU_DEP_1) | instskip(SKIP_4) | instid1(VALU_DEP_1)
	v_fmac_f64_e32 v[160:161], v[144:145], v[136:137]
	scratch_load_b128 v[134:137], off, off offset:264
	s_wait_dscnt 0x0
	v_fmac_f64_e32 v[160:161], v[146:147], v[138:139]
	s_wait_loadcnt 0x5
	v_fmac_f64_e32 v[160:161], v[156:157], v[140:141]
	ds_load_b128 v[138:141], v2 offset:672
	ds_load_b128 v[142:145], v2 offset:688
	s_wait_dscnt 0x1
	v_fmac_f64_e32 v[160:161], v[158:159], v[138:139]
	scratch_load_b128 v[156:159], off, off offset:280
	s_wait_loadcnt 0x5
	v_fmac_f64_e32 v[160:161], v[126:127], v[140:141]
	s_wait_dscnt 0x0
	s_delay_alu instid0(VALU_DEP_1)
	v_fmac_f64_e32 v[160:161], v[128:129], v[142:143]
	scratch_load_b128 v[126:129], off, off offset:296
	s_wait_loadcnt 0x5
	v_fmac_f64_e32 v[160:161], v[152:153], v[144:145]
	ds_load_b128 v[138:141], v2 offset:704
	ds_load_b128 v[142:145], v2 offset:720
	s_wait_dscnt 0x1
	v_fmac_f64_e32 v[160:161], v[154:155], v[138:139]
	scratch_load_b128 v[152:155], off, off offset:312
	s_wait_loadcnt 0x5
	v_fmac_f64_e32 v[160:161], v[130:131], v[140:141]
	s_wait_dscnt 0x0
	s_delay_alu instid0(VALU_DEP_1)
	v_fmac_f64_e32 v[160:161], v[132:133], v[142:143]
	scratch_load_b128 v[130:133], off, off offset:328
	s_wait_loadcnt 0x5
	v_fmac_f64_e32 v[160:161], v[148:149], v[144:145]
	ds_load_b128 v[138:141], v2 offset:736
	ds_load_b128 v[142:145], v2 offset:752
	scratch_load_b128 v[146:149], off, off offset:344
	s_wait_dscnt 0x1
	v_fmac_f64_e32 v[160:161], v[150:151], v[138:139]
	s_wait_loadcnt 0x5
	s_delay_alu instid0(VALU_DEP_1) | instskip(SKIP_1) | instid1(VALU_DEP_1)
	v_fmac_f64_e32 v[160:161], v[134:135], v[140:141]
	s_wait_dscnt 0x0
	v_fmac_f64_e32 v[160:161], v[136:137], v[142:143]
	scratch_load_b128 v[134:137], off, off offset:360
	s_wait_loadcnt 0x5
	v_fmac_f64_e32 v[160:161], v[156:157], v[144:145]
	ds_load_b128 v[138:141], v2 offset:768
	ds_load_b128 v[142:145], v2 offset:784
	s_wait_dscnt 0x1
	v_fmac_f64_e32 v[160:161], v[158:159], v[138:139]
	scratch_load_b128 v[156:159], off, off offset:376
	s_wait_loadcnt 0x5
	v_fmac_f64_e32 v[160:161], v[126:127], v[140:141]
	s_wait_dscnt 0x0
	s_delay_alu instid0(VALU_DEP_1)
	v_fmac_f64_e32 v[160:161], v[128:129], v[142:143]
	scratch_load_b128 v[126:129], off, off offset:392
	s_wait_loadcnt 0x5
	v_fmac_f64_e32 v[160:161], v[152:153], v[144:145]
	ds_load_b128 v[138:141], v2 offset:800
	ds_load_b128 v[142:145], v2 offset:816
	s_wait_dscnt 0x1
	v_fmac_f64_e32 v[160:161], v[154:155], v[138:139]
	s_wait_loadcnt 0x4
	s_delay_alu instid0(VALU_DEP_1)
	v_fmac_f64_e32 v[160:161], v[130:131], v[140:141]
	scratch_load_b128 v[138:141], off, off offset:408
	s_wait_dscnt 0x0
	v_fmac_f64_e32 v[160:161], v[132:133], v[142:143]
	scratch_load_b128 v[130:133], off, off offset:424
	s_wait_loadcnt 0x5
	v_fmac_f64_e32 v[160:161], v[146:147], v[144:145]
	ds_load_b128 v[142:145], v2 offset:832
	ds_load_b128 v[150:153], v2 offset:848
	s_wait_dscnt 0x1
	v_fmac_f64_e32 v[160:161], v[148:149], v[142:143]
	s_wait_loadcnt 0x4
	s_delay_alu instid0(VALU_DEP_1)
	v_fmac_f64_e32 v[160:161], v[134:135], v[144:145]
	scratch_load_b128 v[142:145], off, off offset:440
	s_wait_dscnt 0x0
	v_fmac_f64_e32 v[160:161], v[136:137], v[150:151]
	scratch_load_b128 v[134:137], off, off offset:456
	s_wait_loadcnt 0x5
	v_fmac_f64_e32 v[160:161], v[156:157], v[152:153]
	ds_load_b128 v[146:149], v2 offset:864
	ds_load_b128 v[150:153], v2 offset:880
	scratch_load_b64 v[154:155], off, off offset:472
	s_wait_dscnt 0x1
	v_fmac_f64_e32 v[160:161], v[158:159], v[146:147]
	s_wait_loadcnt 0x5
	s_delay_alu instid0(VALU_DEP_1) | instskip(SKIP_1) | instid1(VALU_DEP_1)
	v_fmac_f64_e32 v[160:161], v[126:127], v[148:149]
	s_wait_dscnt 0x0
	v_fmac_f64_e32 v[160:161], v[128:129], v[150:151]
	ds_load_b128 v[126:129], v2 offset:896
	ds_load_b128 v[146:149], v2 offset:912
	s_wait_loadcnt 0x4
	v_fmac_f64_e32 v[160:161], v[138:139], v[152:153]
	s_wait_dscnt 0x1
	s_delay_alu instid0(VALU_DEP_1) | instskip(SKIP_1) | instid1(VALU_DEP_1)
	v_fmac_f64_e32 v[160:161], v[140:141], v[126:127]
	s_wait_loadcnt 0x3
	v_fmac_f64_e32 v[160:161], v[130:131], v[128:129]
	s_wait_dscnt 0x0
	s_delay_alu instid0(VALU_DEP_1)
	v_fmac_f64_e32 v[160:161], v[132:133], v[146:147]
	ds_load_b128 v[126:129], v2 offset:928
	ds_load_b128 v[130:133], v2 offset:944
	s_wait_loadcnt 0x2
	v_fmac_f64_e32 v[160:161], v[142:143], v[148:149]
	s_wait_dscnt 0x1
	s_delay_alu instid0(VALU_DEP_1) | instskip(SKIP_1) | instid1(VALU_DEP_1)
	v_fmac_f64_e32 v[160:161], v[144:145], v[126:127]
	s_wait_loadcnt 0x1
	v_fmac_f64_e32 v[160:161], v[134:135], v[128:129]
	s_wait_dscnt 0x0
	s_delay_alu instid0(VALU_DEP_1) | instskip(SKIP_1) | instid1(VALU_DEP_1)
	v_fmac_f64_e32 v[160:161], v[136:137], v[130:131]
	s_wait_loadcnt 0x0
	v_fmac_f64_e32 v[160:161], v[154:155], v[132:133]
	s_delay_alu instid0(VALU_DEP_1)
	v_add_f64_e64 v[2:3], v[124:125], -v[160:161]
	scratch_store_b64 off, v[2:3], off offset:88
	s_wait_xcnt 0x0
	v_cmpx_lt_u32_e32 10, v0
	s_cbranch_execz .LBB59_349
; %bb.348:
	scratch_load_b64 v[2:3], off, off offset:80
	v_mov_b64_e32 v[124:125], 0
	scratch_store_b64 off, v[124:125], off offset:80
	s_wait_loadcnt 0x0
	ds_store_b64 v1, v[2:3]
.LBB59_349:
	s_wait_xcnt 0x0
	s_or_b32 exec_lo, exec_lo, s0
	s_wait_storecnt_dscnt 0x0
	s_barrier_signal -1
	s_barrier_wait -1
	s_clause 0x5
	scratch_load_b128 v[124:127], off, off offset:80
	scratch_load_b128 v[128:131], off, off offset:96
	;; [unrolled: 1-line block ×6, first 2 shown]
	v_mov_b32_e32 v2, 0
	ds_load_2addr_b64 v[148:151], v2 offset0:71 offset1:72
	ds_load_2addr_b64 v[152:155], v2 offset0:73 offset1:74
	scratch_load_b128 v[156:159], off, off offset:176
	s_mov_b32 s0, exec_lo
	s_wait_loadcnt_dscnt 0x601
	v_fma_f64 v[160:161], v[126:127], v[148:149], 0
	s_wait_loadcnt 0x5
	s_delay_alu instid0(VALU_DEP_1) | instskip(SKIP_4) | instid1(VALU_DEP_1)
	v_fmac_f64_e32 v[160:161], v[128:129], v[150:151]
	scratch_load_b128 v[126:129], off, off offset:192
	s_wait_dscnt 0x0
	v_fmac_f64_e32 v[160:161], v[130:131], v[152:153]
	s_wait_loadcnt 0x5
	v_fmac_f64_e32 v[160:161], v[132:133], v[154:155]
	ds_load_2addr_b64 v[130:133], v2 offset0:75 offset1:76
	ds_load_2addr_b64 v[148:151], v2 offset0:77 offset1:78
	scratch_load_b128 v[152:155], off, off offset:208
	s_wait_dscnt 0x1
	v_fmac_f64_e32 v[160:161], v[134:135], v[130:131]
	s_wait_loadcnt 0x5
	s_delay_alu instid0(VALU_DEP_1) | instskip(SKIP_4) | instid1(VALU_DEP_1)
	v_fmac_f64_e32 v[160:161], v[136:137], v[132:133]
	scratch_load_b128 v[130:133], off, off offset:224
	s_wait_dscnt 0x0
	v_fmac_f64_e32 v[160:161], v[138:139], v[148:149]
	s_wait_loadcnt 0x5
	v_fmac_f64_e32 v[160:161], v[140:141], v[150:151]
	ds_load_2addr_b64 v[134:137], v2 offset0:79 offset1:80
	ds_load_2addr_b64 v[138:141], v2 offset0:81 offset1:82
	scratch_load_b128 v[148:151], off, off offset:240
	s_wait_dscnt 0x1
	v_fmac_f64_e32 v[160:161], v[142:143], v[134:135]
	s_wait_loadcnt 0x5
	s_delay_alu instid0(VALU_DEP_1) | instskip(SKIP_4) | instid1(VALU_DEP_1)
	v_fmac_f64_e32 v[160:161], v[144:145], v[136:137]
	scratch_load_b128 v[134:137], off, off offset:256
	s_wait_dscnt 0x0
	v_fmac_f64_e32 v[160:161], v[146:147], v[138:139]
	s_wait_loadcnt 0x5
	v_fmac_f64_e32 v[160:161], v[156:157], v[140:141]
	ds_load_2addr_b64 v[138:141], v2 offset0:83 offset1:84
	ds_load_2addr_b64 v[142:145], v2 offset0:85 offset1:86
	s_wait_dscnt 0x1
	v_fmac_f64_e32 v[160:161], v[158:159], v[138:139]
	scratch_load_b128 v[156:159], off, off offset:272
	s_wait_loadcnt 0x5
	v_fmac_f64_e32 v[160:161], v[126:127], v[140:141]
	s_wait_dscnt 0x0
	s_delay_alu instid0(VALU_DEP_1)
	v_fmac_f64_e32 v[160:161], v[128:129], v[142:143]
	scratch_load_b128 v[126:129], off, off offset:288
	s_wait_loadcnt 0x5
	v_fmac_f64_e32 v[160:161], v[152:153], v[144:145]
	ds_load_2addr_b64 v[138:141], v2 offset0:87 offset1:88
	ds_load_2addr_b64 v[142:145], v2 offset0:89 offset1:90
	s_wait_dscnt 0x1
	v_fmac_f64_e32 v[160:161], v[154:155], v[138:139]
	scratch_load_b128 v[152:155], off, off offset:304
	s_wait_loadcnt 0x5
	v_fmac_f64_e32 v[160:161], v[130:131], v[140:141]
	s_wait_dscnt 0x0
	s_delay_alu instid0(VALU_DEP_1)
	v_fmac_f64_e32 v[160:161], v[132:133], v[142:143]
	scratch_load_b128 v[130:133], off, off offset:320
	s_wait_loadcnt 0x5
	v_fmac_f64_e32 v[160:161], v[148:149], v[144:145]
	ds_load_2addr_b64 v[138:141], v2 offset0:91 offset1:92
	ds_load_2addr_b64 v[142:145], v2 offset0:93 offset1:94
	scratch_load_b128 v[146:149], off, off offset:336
	s_wait_dscnt 0x1
	v_fmac_f64_e32 v[160:161], v[150:151], v[138:139]
	s_wait_loadcnt 0x5
	s_delay_alu instid0(VALU_DEP_1) | instskip(SKIP_1) | instid1(VALU_DEP_1)
	v_fmac_f64_e32 v[160:161], v[134:135], v[140:141]
	s_wait_dscnt 0x0
	v_fmac_f64_e32 v[160:161], v[136:137], v[142:143]
	scratch_load_b128 v[134:137], off, off offset:352
	s_wait_loadcnt 0x5
	v_fmac_f64_e32 v[160:161], v[156:157], v[144:145]
	ds_load_2addr_b64 v[138:141], v2 offset0:95 offset1:96
	ds_load_2addr_b64 v[142:145], v2 offset0:97 offset1:98
	s_wait_dscnt 0x1
	v_fmac_f64_e32 v[160:161], v[158:159], v[138:139]
	scratch_load_b128 v[156:159], off, off offset:368
	s_wait_loadcnt 0x5
	v_fmac_f64_e32 v[160:161], v[126:127], v[140:141]
	s_wait_dscnt 0x0
	s_delay_alu instid0(VALU_DEP_1)
	v_fmac_f64_e32 v[160:161], v[128:129], v[142:143]
	scratch_load_b128 v[126:129], off, off offset:384
	s_wait_loadcnt 0x5
	v_fmac_f64_e32 v[160:161], v[152:153], v[144:145]
	ds_load_2addr_b64 v[138:141], v2 offset0:99 offset1:100
	ds_load_2addr_b64 v[142:145], v2 offset0:101 offset1:102
	s_wait_dscnt 0x1
	v_fmac_f64_e32 v[160:161], v[154:155], v[138:139]
	s_wait_loadcnt 0x4
	s_delay_alu instid0(VALU_DEP_1)
	v_fmac_f64_e32 v[160:161], v[130:131], v[140:141]
	scratch_load_b128 v[138:141], off, off offset:400
	s_wait_dscnt 0x0
	v_fmac_f64_e32 v[160:161], v[132:133], v[142:143]
	scratch_load_b128 v[130:133], off, off offset:416
	s_wait_loadcnt 0x5
	v_fmac_f64_e32 v[160:161], v[146:147], v[144:145]
	ds_load_2addr_b64 v[142:145], v2 offset0:103 offset1:104
	ds_load_2addr_b64 v[150:153], v2 offset0:105 offset1:106
	s_wait_dscnt 0x1
	v_fmac_f64_e32 v[160:161], v[148:149], v[142:143]
	s_wait_loadcnt 0x4
	s_delay_alu instid0(VALU_DEP_1)
	v_fmac_f64_e32 v[160:161], v[134:135], v[144:145]
	scratch_load_b128 v[142:145], off, off offset:432
	s_wait_dscnt 0x0
	v_fmac_f64_e32 v[160:161], v[136:137], v[150:151]
	scratch_load_b128 v[134:137], off, off offset:448
	s_wait_loadcnt 0x5
	v_fmac_f64_e32 v[160:161], v[156:157], v[152:153]
	ds_load_2addr_b64 v[146:149], v2 offset0:107 offset1:108
	ds_load_2addr_b64 v[150:153], v2 offset0:109 offset1:110
	s_wait_dscnt 0x1
	v_fmac_f64_e32 v[160:161], v[158:159], v[146:147]
	s_wait_loadcnt 0x4
	s_delay_alu instid0(VALU_DEP_1) | instskip(SKIP_4) | instid1(VALU_DEP_1)
	v_fmac_f64_e32 v[160:161], v[126:127], v[148:149]
	scratch_load_b128 v[146:149], off, off offset:464
	s_wait_dscnt 0x0
	v_fmac_f64_e32 v[160:161], v[128:129], v[150:151]
	s_wait_loadcnt 0x4
	v_fmac_f64_e32 v[160:161], v[138:139], v[152:153]
	ds_load_2addr_b64 v[126:129], v2 offset0:111 offset1:112
	ds_load_2addr_b64 v[150:153], v2 offset0:113 offset1:114
	s_wait_dscnt 0x1
	v_fmac_f64_e32 v[160:161], v[140:141], v[126:127]
	s_wait_loadcnt 0x3
	s_delay_alu instid0(VALU_DEP_1) | instskip(SKIP_1) | instid1(VALU_DEP_1)
	v_fmac_f64_e32 v[160:161], v[130:131], v[128:129]
	s_wait_dscnt 0x0
	v_fmac_f64_e32 v[160:161], v[132:133], v[150:151]
	ds_load_2addr_b64 v[126:129], v2 offset0:115 offset1:116
	ds_load_2addr_b64 v[130:133], v2 offset0:117 offset1:118
	s_wait_loadcnt 0x2
	v_fmac_f64_e32 v[160:161], v[142:143], v[152:153]
	s_wait_dscnt 0x1
	s_delay_alu instid0(VALU_DEP_1) | instskip(SKIP_4) | instid1(VALU_DEP_1)
	v_fmac_f64_e32 v[160:161], v[144:145], v[126:127]
	ds_load_b64 v[126:127], v2 offset:952
	s_wait_loadcnt 0x1
	v_fmac_f64_e32 v[160:161], v[134:135], v[128:129]
	s_wait_dscnt 0x1
	v_fmac_f64_e32 v[160:161], v[136:137], v[130:131]
	s_wait_loadcnt 0x0
	s_delay_alu instid0(VALU_DEP_1) | instskip(SKIP_1) | instid1(VALU_DEP_1)
	v_fmac_f64_e32 v[160:161], v[146:147], v[132:133]
	s_wait_dscnt 0x0
	v_fmac_f64_e32 v[160:161], v[148:149], v[126:127]
	s_delay_alu instid0(VALU_DEP_1)
	v_add_f64_e64 v[124:125], v[124:125], -v[160:161]
	scratch_store_b64 off, v[124:125], off offset:80
	s_wait_xcnt 0x0
	v_cmpx_lt_u32_e32 9, v0
	s_cbranch_execz .LBB59_351
; %bb.350:
	scratch_load_b64 v[124:125], off, off offset:72
	v_mov_b64_e32 v[126:127], 0
	scratch_store_b64 off, v[126:127], off offset:72
	s_wait_loadcnt 0x0
	ds_store_b64 v1, v[124:125]
.LBB59_351:
	s_wait_xcnt 0x0
	s_or_b32 exec_lo, exec_lo, s0
	s_wait_storecnt_dscnt 0x0
	s_barrier_signal -1
	s_barrier_wait -1
	s_clause 0x5
	scratch_load_b128 v[124:127], off, off offset:72
	scratch_load_b128 v[128:131], off, off offset:88
	;; [unrolled: 1-line block ×6, first 2 shown]
	ds_load_b128 v[148:151], v2 offset:560
	ds_load_b128 v[152:155], v2 offset:576
	scratch_load_b128 v[156:159], off, off offset:168
	s_mov_b32 s0, exec_lo
	s_wait_loadcnt_dscnt 0x601
	v_fma_f64 v[160:161], v[126:127], v[148:149], 0
	s_wait_loadcnt 0x5
	s_delay_alu instid0(VALU_DEP_1) | instskip(SKIP_4) | instid1(VALU_DEP_1)
	v_fmac_f64_e32 v[160:161], v[128:129], v[150:151]
	scratch_load_b128 v[126:129], off, off offset:184
	s_wait_dscnt 0x0
	v_fmac_f64_e32 v[160:161], v[130:131], v[152:153]
	s_wait_loadcnt 0x5
	v_fmac_f64_e32 v[160:161], v[132:133], v[154:155]
	ds_load_b128 v[130:133], v2 offset:592
	ds_load_b128 v[148:151], v2 offset:608
	scratch_load_b128 v[152:155], off, off offset:200
	s_wait_dscnt 0x1
	v_fmac_f64_e32 v[160:161], v[134:135], v[130:131]
	s_wait_loadcnt 0x5
	s_delay_alu instid0(VALU_DEP_1) | instskip(SKIP_4) | instid1(VALU_DEP_1)
	v_fmac_f64_e32 v[160:161], v[136:137], v[132:133]
	scratch_load_b128 v[130:133], off, off offset:216
	s_wait_dscnt 0x0
	v_fmac_f64_e32 v[160:161], v[138:139], v[148:149]
	s_wait_loadcnt 0x5
	v_fmac_f64_e32 v[160:161], v[140:141], v[150:151]
	ds_load_b128 v[134:137], v2 offset:624
	ds_load_b128 v[138:141], v2 offset:640
	scratch_load_b128 v[148:151], off, off offset:232
	s_wait_dscnt 0x1
	v_fmac_f64_e32 v[160:161], v[142:143], v[134:135]
	s_wait_loadcnt 0x5
	s_delay_alu instid0(VALU_DEP_1) | instskip(SKIP_4) | instid1(VALU_DEP_1)
	v_fmac_f64_e32 v[160:161], v[144:145], v[136:137]
	scratch_load_b128 v[134:137], off, off offset:248
	s_wait_dscnt 0x0
	v_fmac_f64_e32 v[160:161], v[146:147], v[138:139]
	s_wait_loadcnt 0x5
	v_fmac_f64_e32 v[160:161], v[156:157], v[140:141]
	ds_load_b128 v[138:141], v2 offset:656
	ds_load_b128 v[142:145], v2 offset:672
	s_wait_dscnt 0x1
	v_fmac_f64_e32 v[160:161], v[158:159], v[138:139]
	scratch_load_b128 v[156:159], off, off offset:264
	s_wait_loadcnt 0x5
	v_fmac_f64_e32 v[160:161], v[126:127], v[140:141]
	s_wait_dscnt 0x0
	s_delay_alu instid0(VALU_DEP_1)
	v_fmac_f64_e32 v[160:161], v[128:129], v[142:143]
	scratch_load_b128 v[126:129], off, off offset:280
	s_wait_loadcnt 0x5
	v_fmac_f64_e32 v[160:161], v[152:153], v[144:145]
	ds_load_b128 v[138:141], v2 offset:688
	ds_load_b128 v[142:145], v2 offset:704
	s_wait_dscnt 0x1
	v_fmac_f64_e32 v[160:161], v[154:155], v[138:139]
	scratch_load_b128 v[152:155], off, off offset:296
	s_wait_loadcnt 0x5
	v_fmac_f64_e32 v[160:161], v[130:131], v[140:141]
	s_wait_dscnt 0x0
	s_delay_alu instid0(VALU_DEP_1)
	v_fmac_f64_e32 v[160:161], v[132:133], v[142:143]
	scratch_load_b128 v[130:133], off, off offset:312
	s_wait_loadcnt 0x5
	v_fmac_f64_e32 v[160:161], v[148:149], v[144:145]
	ds_load_b128 v[138:141], v2 offset:720
	ds_load_b128 v[142:145], v2 offset:736
	scratch_load_b128 v[146:149], off, off offset:328
	s_wait_dscnt 0x1
	v_fmac_f64_e32 v[160:161], v[150:151], v[138:139]
	s_wait_loadcnt 0x5
	s_delay_alu instid0(VALU_DEP_1) | instskip(SKIP_1) | instid1(VALU_DEP_1)
	v_fmac_f64_e32 v[160:161], v[134:135], v[140:141]
	s_wait_dscnt 0x0
	v_fmac_f64_e32 v[160:161], v[136:137], v[142:143]
	scratch_load_b128 v[134:137], off, off offset:344
	s_wait_loadcnt 0x5
	v_fmac_f64_e32 v[160:161], v[156:157], v[144:145]
	ds_load_b128 v[138:141], v2 offset:752
	ds_load_b128 v[142:145], v2 offset:768
	s_wait_dscnt 0x1
	v_fmac_f64_e32 v[160:161], v[158:159], v[138:139]
	scratch_load_b128 v[156:159], off, off offset:360
	s_wait_loadcnt 0x5
	v_fmac_f64_e32 v[160:161], v[126:127], v[140:141]
	s_wait_dscnt 0x0
	s_delay_alu instid0(VALU_DEP_1)
	v_fmac_f64_e32 v[160:161], v[128:129], v[142:143]
	scratch_load_b128 v[126:129], off, off offset:376
	s_wait_loadcnt 0x5
	v_fmac_f64_e32 v[160:161], v[152:153], v[144:145]
	ds_load_b128 v[138:141], v2 offset:784
	ds_load_b128 v[142:145], v2 offset:800
	scratch_load_b128 v[150:153], off, off offset:392
	s_wait_dscnt 0x1
	v_fmac_f64_e32 v[160:161], v[154:155], v[138:139]
	s_wait_loadcnt 0x5
	s_delay_alu instid0(VALU_DEP_1) | instskip(SKIP_1) | instid1(VALU_DEP_1)
	v_fmac_f64_e32 v[160:161], v[130:131], v[140:141]
	s_wait_dscnt 0x0
	v_fmac_f64_e32 v[160:161], v[132:133], v[142:143]
	scratch_load_b128 v[130:133], off, off offset:408
	s_wait_loadcnt 0x5
	v_fmac_f64_e32 v[160:161], v[146:147], v[144:145]
	ds_load_b128 v[138:141], v2 offset:816
	ds_load_b128 v[142:145], v2 offset:832
	s_wait_dscnt 0x1
	v_fmac_f64_e32 v[160:161], v[148:149], v[138:139]
	s_wait_loadcnt 0x4
	s_delay_alu instid0(VALU_DEP_1)
	v_fmac_f64_e32 v[160:161], v[134:135], v[140:141]
	scratch_load_b128 v[138:141], off, off offset:424
	s_wait_dscnt 0x0
	v_fmac_f64_e32 v[160:161], v[136:137], v[142:143]
	scratch_load_b128 v[134:137], off, off offset:440
	s_wait_loadcnt 0x5
	v_fmac_f64_e32 v[160:161], v[156:157], v[144:145]
	ds_load_b128 v[142:145], v2 offset:848
	ds_load_b128 v[146:149], v2 offset:864
	s_wait_dscnt 0x1
	v_fmac_f64_e32 v[160:161], v[158:159], v[142:143]
	s_wait_loadcnt 0x4
	s_delay_alu instid0(VALU_DEP_1) | instskip(SKIP_4) | instid1(VALU_DEP_1)
	v_fmac_f64_e32 v[160:161], v[126:127], v[144:145]
	scratch_load_b128 v[142:145], off, off offset:456
	s_wait_dscnt 0x0
	v_fmac_f64_e32 v[160:161], v[128:129], v[146:147]
	s_wait_loadcnt 0x4
	v_fmac_f64_e32 v[160:161], v[150:151], v[148:149]
	scratch_load_b64 v[150:151], off, off offset:472
	ds_load_b128 v[126:129], v2 offset:880
	ds_load_b128 v[146:149], v2 offset:896
	s_wait_dscnt 0x1
	v_fmac_f64_e32 v[160:161], v[152:153], v[126:127]
	s_wait_loadcnt 0x4
	s_delay_alu instid0(VALU_DEP_1) | instskip(SKIP_1) | instid1(VALU_DEP_1)
	v_fmac_f64_e32 v[160:161], v[130:131], v[128:129]
	s_wait_dscnt 0x0
	v_fmac_f64_e32 v[160:161], v[132:133], v[146:147]
	ds_load_b128 v[126:129], v2 offset:912
	ds_load_b128 v[130:133], v2 offset:928
	s_wait_loadcnt 0x3
	v_fmac_f64_e32 v[160:161], v[138:139], v[148:149]
	s_wait_dscnt 0x1
	s_delay_alu instid0(VALU_DEP_1) | instskip(SKIP_1) | instid1(VALU_DEP_1)
	v_fmac_f64_e32 v[160:161], v[140:141], v[126:127]
	s_wait_loadcnt 0x2
	v_fmac_f64_e32 v[160:161], v[134:135], v[128:129]
	ds_load_b128 v[126:129], v2 offset:944
	s_wait_dscnt 0x1
	v_fmac_f64_e32 v[160:161], v[136:137], v[130:131]
	s_wait_loadcnt 0x1
	s_delay_alu instid0(VALU_DEP_1) | instskip(SKIP_1) | instid1(VALU_DEP_1)
	v_fmac_f64_e32 v[160:161], v[142:143], v[132:133]
	s_wait_dscnt 0x0
	v_fmac_f64_e32 v[160:161], v[144:145], v[126:127]
	s_wait_loadcnt 0x0
	s_delay_alu instid0(VALU_DEP_1) | instskip(NEXT) | instid1(VALU_DEP_1)
	v_fmac_f64_e32 v[160:161], v[150:151], v[128:129]
	v_add_f64_e64 v[2:3], v[124:125], -v[160:161]
	scratch_store_b64 off, v[2:3], off offset:72
	s_wait_xcnt 0x0
	v_cmpx_lt_u32_e32 8, v0
	s_cbranch_execz .LBB59_353
; %bb.352:
	scratch_load_b64 v[2:3], off, off offset:64
	v_mov_b64_e32 v[124:125], 0
	scratch_store_b64 off, v[124:125], off offset:64
	s_wait_loadcnt 0x0
	ds_store_b64 v1, v[2:3]
.LBB59_353:
	s_wait_xcnt 0x0
	s_or_b32 exec_lo, exec_lo, s0
	s_wait_storecnt_dscnt 0x0
	s_barrier_signal -1
	s_barrier_wait -1
	s_clause 0x5
	scratch_load_b128 v[124:127], off, off offset:64
	scratch_load_b128 v[128:131], off, off offset:80
	;; [unrolled: 1-line block ×6, first 2 shown]
	v_mov_b32_e32 v2, 0
	ds_load_2addr_b64 v[148:151], v2 offset0:69 offset1:70
	ds_load_2addr_b64 v[152:155], v2 offset0:71 offset1:72
	scratch_load_b128 v[156:159], off, off offset:160
	s_mov_b32 s0, exec_lo
	s_wait_loadcnt_dscnt 0x601
	v_fma_f64 v[160:161], v[126:127], v[148:149], 0
	s_wait_loadcnt 0x5
	s_delay_alu instid0(VALU_DEP_1) | instskip(SKIP_4) | instid1(VALU_DEP_1)
	v_fmac_f64_e32 v[160:161], v[128:129], v[150:151]
	scratch_load_b128 v[126:129], off, off offset:176
	s_wait_dscnt 0x0
	v_fmac_f64_e32 v[160:161], v[130:131], v[152:153]
	s_wait_loadcnt 0x5
	v_fmac_f64_e32 v[160:161], v[132:133], v[154:155]
	ds_load_2addr_b64 v[130:133], v2 offset0:73 offset1:74
	ds_load_2addr_b64 v[148:151], v2 offset0:75 offset1:76
	scratch_load_b128 v[152:155], off, off offset:192
	s_wait_dscnt 0x1
	v_fmac_f64_e32 v[160:161], v[134:135], v[130:131]
	s_wait_loadcnt 0x5
	s_delay_alu instid0(VALU_DEP_1) | instskip(SKIP_4) | instid1(VALU_DEP_1)
	v_fmac_f64_e32 v[160:161], v[136:137], v[132:133]
	scratch_load_b128 v[130:133], off, off offset:208
	s_wait_dscnt 0x0
	v_fmac_f64_e32 v[160:161], v[138:139], v[148:149]
	s_wait_loadcnt 0x5
	v_fmac_f64_e32 v[160:161], v[140:141], v[150:151]
	ds_load_2addr_b64 v[134:137], v2 offset0:77 offset1:78
	ds_load_2addr_b64 v[138:141], v2 offset0:79 offset1:80
	scratch_load_b128 v[148:151], off, off offset:224
	s_wait_dscnt 0x1
	v_fmac_f64_e32 v[160:161], v[142:143], v[134:135]
	s_wait_loadcnt 0x5
	s_delay_alu instid0(VALU_DEP_1) | instskip(SKIP_4) | instid1(VALU_DEP_1)
	v_fmac_f64_e32 v[160:161], v[144:145], v[136:137]
	scratch_load_b128 v[134:137], off, off offset:240
	s_wait_dscnt 0x0
	v_fmac_f64_e32 v[160:161], v[146:147], v[138:139]
	s_wait_loadcnt 0x5
	v_fmac_f64_e32 v[160:161], v[156:157], v[140:141]
	ds_load_2addr_b64 v[138:141], v2 offset0:81 offset1:82
	ds_load_2addr_b64 v[142:145], v2 offset0:83 offset1:84
	s_wait_dscnt 0x1
	v_fmac_f64_e32 v[160:161], v[158:159], v[138:139]
	scratch_load_b128 v[156:159], off, off offset:256
	s_wait_loadcnt 0x5
	v_fmac_f64_e32 v[160:161], v[126:127], v[140:141]
	s_wait_dscnt 0x0
	s_delay_alu instid0(VALU_DEP_1)
	v_fmac_f64_e32 v[160:161], v[128:129], v[142:143]
	scratch_load_b128 v[126:129], off, off offset:272
	s_wait_loadcnt 0x5
	v_fmac_f64_e32 v[160:161], v[152:153], v[144:145]
	ds_load_2addr_b64 v[138:141], v2 offset0:85 offset1:86
	ds_load_2addr_b64 v[142:145], v2 offset0:87 offset1:88
	s_wait_dscnt 0x1
	v_fmac_f64_e32 v[160:161], v[154:155], v[138:139]
	scratch_load_b128 v[152:155], off, off offset:288
	s_wait_loadcnt 0x5
	v_fmac_f64_e32 v[160:161], v[130:131], v[140:141]
	s_wait_dscnt 0x0
	s_delay_alu instid0(VALU_DEP_1)
	v_fmac_f64_e32 v[160:161], v[132:133], v[142:143]
	scratch_load_b128 v[130:133], off, off offset:304
	s_wait_loadcnt 0x5
	v_fmac_f64_e32 v[160:161], v[148:149], v[144:145]
	ds_load_2addr_b64 v[138:141], v2 offset0:89 offset1:90
	ds_load_2addr_b64 v[142:145], v2 offset0:91 offset1:92
	scratch_load_b128 v[146:149], off, off offset:320
	s_wait_dscnt 0x1
	v_fmac_f64_e32 v[160:161], v[150:151], v[138:139]
	s_wait_loadcnt 0x5
	s_delay_alu instid0(VALU_DEP_1) | instskip(SKIP_1) | instid1(VALU_DEP_1)
	v_fmac_f64_e32 v[160:161], v[134:135], v[140:141]
	s_wait_dscnt 0x0
	v_fmac_f64_e32 v[160:161], v[136:137], v[142:143]
	scratch_load_b128 v[134:137], off, off offset:336
	s_wait_loadcnt 0x5
	v_fmac_f64_e32 v[160:161], v[156:157], v[144:145]
	ds_load_2addr_b64 v[138:141], v2 offset0:93 offset1:94
	ds_load_2addr_b64 v[142:145], v2 offset0:95 offset1:96
	s_wait_dscnt 0x1
	v_fmac_f64_e32 v[160:161], v[158:159], v[138:139]
	scratch_load_b128 v[156:159], off, off offset:352
	s_wait_loadcnt 0x5
	v_fmac_f64_e32 v[160:161], v[126:127], v[140:141]
	s_wait_dscnt 0x0
	s_delay_alu instid0(VALU_DEP_1)
	v_fmac_f64_e32 v[160:161], v[128:129], v[142:143]
	scratch_load_b128 v[126:129], off, off offset:368
	s_wait_loadcnt 0x5
	v_fmac_f64_e32 v[160:161], v[152:153], v[144:145]
	ds_load_2addr_b64 v[138:141], v2 offset0:97 offset1:98
	ds_load_2addr_b64 v[142:145], v2 offset0:99 offset1:100
	scratch_load_b128 v[150:153], off, off offset:384
	s_wait_dscnt 0x1
	v_fmac_f64_e32 v[160:161], v[154:155], v[138:139]
	s_wait_loadcnt 0x5
	s_delay_alu instid0(VALU_DEP_1) | instskip(SKIP_1) | instid1(VALU_DEP_1)
	v_fmac_f64_e32 v[160:161], v[130:131], v[140:141]
	s_wait_dscnt 0x0
	v_fmac_f64_e32 v[160:161], v[132:133], v[142:143]
	scratch_load_b128 v[130:133], off, off offset:400
	s_wait_loadcnt 0x5
	v_fmac_f64_e32 v[160:161], v[146:147], v[144:145]
	ds_load_2addr_b64 v[138:141], v2 offset0:101 offset1:102
	ds_load_2addr_b64 v[142:145], v2 offset0:103 offset1:104
	s_wait_dscnt 0x1
	v_fmac_f64_e32 v[160:161], v[148:149], v[138:139]
	s_wait_loadcnt 0x4
	s_delay_alu instid0(VALU_DEP_1)
	v_fmac_f64_e32 v[160:161], v[134:135], v[140:141]
	scratch_load_b128 v[138:141], off, off offset:416
	s_wait_dscnt 0x0
	v_fmac_f64_e32 v[160:161], v[136:137], v[142:143]
	scratch_load_b128 v[134:137], off, off offset:432
	s_wait_loadcnt 0x5
	v_fmac_f64_e32 v[160:161], v[156:157], v[144:145]
	ds_load_2addr_b64 v[142:145], v2 offset0:105 offset1:106
	ds_load_2addr_b64 v[146:149], v2 offset0:107 offset1:108
	s_wait_dscnt 0x1
	v_fmac_f64_e32 v[160:161], v[158:159], v[142:143]
	s_wait_loadcnt 0x4
	s_delay_alu instid0(VALU_DEP_1)
	v_fmac_f64_e32 v[160:161], v[126:127], v[144:145]
	scratch_load_b128 v[142:145], off, off offset:448
	s_wait_dscnt 0x0
	v_fmac_f64_e32 v[160:161], v[128:129], v[146:147]
	scratch_load_b128 v[126:129], off, off offset:464
	s_wait_loadcnt 0x5
	v_fmac_f64_e32 v[160:161], v[150:151], v[148:149]
	ds_load_2addr_b64 v[146:149], v2 offset0:109 offset1:110
	ds_load_2addr_b64 v[154:157], v2 offset0:111 offset1:112
	s_wait_dscnt 0x1
	v_fmac_f64_e32 v[160:161], v[152:153], v[146:147]
	s_wait_loadcnt 0x4
	s_delay_alu instid0(VALU_DEP_1) | instskip(SKIP_1) | instid1(VALU_DEP_1)
	v_fmac_f64_e32 v[160:161], v[130:131], v[148:149]
	s_wait_dscnt 0x0
	v_fmac_f64_e32 v[160:161], v[132:133], v[154:155]
	ds_load_2addr_b64 v[130:133], v2 offset0:113 offset1:114
	ds_load_2addr_b64 v[146:149], v2 offset0:115 offset1:116
	s_wait_loadcnt 0x3
	v_fmac_f64_e32 v[160:161], v[138:139], v[156:157]
	s_wait_dscnt 0x1
	s_delay_alu instid0(VALU_DEP_1) | instskip(SKIP_1) | instid1(VALU_DEP_1)
	v_fmac_f64_e32 v[160:161], v[140:141], v[130:131]
	s_wait_loadcnt 0x2
	v_fmac_f64_e32 v[160:161], v[134:135], v[132:133]
	ds_load_2addr_b64 v[130:133], v2 offset0:117 offset1:118
	ds_load_b64 v[134:135], v2 offset:952
	s_wait_dscnt 0x2
	v_fmac_f64_e32 v[160:161], v[136:137], v[146:147]
	s_wait_loadcnt 0x1
	s_delay_alu instid0(VALU_DEP_1) | instskip(SKIP_1) | instid1(VALU_DEP_1)
	v_fmac_f64_e32 v[160:161], v[142:143], v[148:149]
	s_wait_dscnt 0x1
	v_fmac_f64_e32 v[160:161], v[144:145], v[130:131]
	s_wait_loadcnt 0x0
	s_delay_alu instid0(VALU_DEP_1) | instskip(SKIP_1) | instid1(VALU_DEP_1)
	v_fmac_f64_e32 v[160:161], v[126:127], v[132:133]
	s_wait_dscnt 0x0
	v_fmac_f64_e32 v[160:161], v[128:129], v[134:135]
	s_delay_alu instid0(VALU_DEP_1)
	v_add_f64_e64 v[124:125], v[124:125], -v[160:161]
	scratch_store_b64 off, v[124:125], off offset:64
	s_wait_xcnt 0x0
	v_cmpx_lt_u32_e32 7, v0
	s_cbranch_execz .LBB59_355
; %bb.354:
	scratch_load_b64 v[124:125], off, off offset:56
	v_mov_b64_e32 v[126:127], 0
	scratch_store_b64 off, v[126:127], off offset:56
	s_wait_loadcnt 0x0
	ds_store_b64 v1, v[124:125]
.LBB59_355:
	s_wait_xcnt 0x0
	s_or_b32 exec_lo, exec_lo, s0
	s_wait_storecnt_dscnt 0x0
	s_barrier_signal -1
	s_barrier_wait -1
	s_clause 0x5
	scratch_load_b128 v[124:127], off, off offset:56
	scratch_load_b128 v[128:131], off, off offset:72
	;; [unrolled: 1-line block ×6, first 2 shown]
	ds_load_b128 v[148:151], v2 offset:544
	ds_load_b128 v[152:155], v2 offset:560
	scratch_load_b128 v[156:159], off, off offset:152
	s_mov_b32 s0, exec_lo
	s_wait_loadcnt_dscnt 0x601
	v_fma_f64 v[160:161], v[126:127], v[148:149], 0
	s_wait_loadcnt 0x5
	s_delay_alu instid0(VALU_DEP_1) | instskip(SKIP_4) | instid1(VALU_DEP_1)
	v_fmac_f64_e32 v[160:161], v[128:129], v[150:151]
	scratch_load_b128 v[126:129], off, off offset:168
	s_wait_dscnt 0x0
	v_fmac_f64_e32 v[160:161], v[130:131], v[152:153]
	s_wait_loadcnt 0x5
	v_fmac_f64_e32 v[160:161], v[132:133], v[154:155]
	ds_load_b128 v[130:133], v2 offset:576
	ds_load_b128 v[148:151], v2 offset:592
	scratch_load_b128 v[152:155], off, off offset:184
	s_wait_dscnt 0x1
	v_fmac_f64_e32 v[160:161], v[134:135], v[130:131]
	s_wait_loadcnt 0x5
	s_delay_alu instid0(VALU_DEP_1) | instskip(SKIP_4) | instid1(VALU_DEP_1)
	v_fmac_f64_e32 v[160:161], v[136:137], v[132:133]
	scratch_load_b128 v[130:133], off, off offset:200
	s_wait_dscnt 0x0
	v_fmac_f64_e32 v[160:161], v[138:139], v[148:149]
	s_wait_loadcnt 0x5
	v_fmac_f64_e32 v[160:161], v[140:141], v[150:151]
	ds_load_b128 v[134:137], v2 offset:608
	ds_load_b128 v[138:141], v2 offset:624
	scratch_load_b128 v[148:151], off, off offset:216
	s_wait_dscnt 0x1
	v_fmac_f64_e32 v[160:161], v[142:143], v[134:135]
	s_wait_loadcnt 0x5
	s_delay_alu instid0(VALU_DEP_1) | instskip(SKIP_4) | instid1(VALU_DEP_1)
	v_fmac_f64_e32 v[160:161], v[144:145], v[136:137]
	scratch_load_b128 v[134:137], off, off offset:232
	s_wait_dscnt 0x0
	v_fmac_f64_e32 v[160:161], v[146:147], v[138:139]
	s_wait_loadcnt 0x5
	v_fmac_f64_e32 v[160:161], v[156:157], v[140:141]
	ds_load_b128 v[138:141], v2 offset:640
	ds_load_b128 v[142:145], v2 offset:656
	s_wait_dscnt 0x1
	v_fmac_f64_e32 v[160:161], v[158:159], v[138:139]
	scratch_load_b128 v[156:159], off, off offset:248
	s_wait_loadcnt 0x5
	v_fmac_f64_e32 v[160:161], v[126:127], v[140:141]
	s_wait_dscnt 0x0
	s_delay_alu instid0(VALU_DEP_1)
	v_fmac_f64_e32 v[160:161], v[128:129], v[142:143]
	scratch_load_b128 v[126:129], off, off offset:264
	s_wait_loadcnt 0x5
	v_fmac_f64_e32 v[160:161], v[152:153], v[144:145]
	ds_load_b128 v[138:141], v2 offset:672
	ds_load_b128 v[142:145], v2 offset:688
	s_wait_dscnt 0x1
	v_fmac_f64_e32 v[160:161], v[154:155], v[138:139]
	scratch_load_b128 v[152:155], off, off offset:280
	s_wait_loadcnt 0x5
	v_fmac_f64_e32 v[160:161], v[130:131], v[140:141]
	s_wait_dscnt 0x0
	s_delay_alu instid0(VALU_DEP_1)
	v_fmac_f64_e32 v[160:161], v[132:133], v[142:143]
	scratch_load_b128 v[130:133], off, off offset:296
	s_wait_loadcnt 0x5
	v_fmac_f64_e32 v[160:161], v[148:149], v[144:145]
	ds_load_b128 v[138:141], v2 offset:704
	ds_load_b128 v[142:145], v2 offset:720
	scratch_load_b128 v[146:149], off, off offset:312
	s_wait_dscnt 0x1
	v_fmac_f64_e32 v[160:161], v[150:151], v[138:139]
	s_wait_loadcnt 0x5
	s_delay_alu instid0(VALU_DEP_1) | instskip(SKIP_1) | instid1(VALU_DEP_1)
	v_fmac_f64_e32 v[160:161], v[134:135], v[140:141]
	s_wait_dscnt 0x0
	v_fmac_f64_e32 v[160:161], v[136:137], v[142:143]
	scratch_load_b128 v[134:137], off, off offset:328
	s_wait_loadcnt 0x5
	v_fmac_f64_e32 v[160:161], v[156:157], v[144:145]
	ds_load_b128 v[138:141], v2 offset:736
	ds_load_b128 v[142:145], v2 offset:752
	s_wait_dscnt 0x1
	v_fmac_f64_e32 v[160:161], v[158:159], v[138:139]
	scratch_load_b128 v[156:159], off, off offset:344
	s_wait_loadcnt 0x5
	v_fmac_f64_e32 v[160:161], v[126:127], v[140:141]
	s_wait_dscnt 0x0
	s_delay_alu instid0(VALU_DEP_1)
	v_fmac_f64_e32 v[160:161], v[128:129], v[142:143]
	scratch_load_b128 v[126:129], off, off offset:360
	s_wait_loadcnt 0x5
	v_fmac_f64_e32 v[160:161], v[152:153], v[144:145]
	ds_load_b128 v[138:141], v2 offset:768
	ds_load_b128 v[142:145], v2 offset:784
	scratch_load_b128 v[150:153], off, off offset:376
	s_wait_dscnt 0x1
	v_fmac_f64_e32 v[160:161], v[154:155], v[138:139]
	s_wait_loadcnt 0x5
	s_delay_alu instid0(VALU_DEP_1) | instskip(SKIP_1) | instid1(VALU_DEP_1)
	v_fmac_f64_e32 v[160:161], v[130:131], v[140:141]
	s_wait_dscnt 0x0
	v_fmac_f64_e32 v[160:161], v[132:133], v[142:143]
	scratch_load_b128 v[130:133], off, off offset:392
	s_wait_loadcnt 0x5
	v_fmac_f64_e32 v[160:161], v[146:147], v[144:145]
	ds_load_b128 v[138:141], v2 offset:800
	ds_load_b128 v[142:145], v2 offset:816
	s_wait_dscnt 0x1
	v_fmac_f64_e32 v[160:161], v[148:149], v[138:139]
	s_wait_loadcnt 0x4
	s_delay_alu instid0(VALU_DEP_1)
	v_fmac_f64_e32 v[160:161], v[134:135], v[140:141]
	scratch_load_b128 v[138:141], off, off offset:408
	s_wait_dscnt 0x0
	v_fmac_f64_e32 v[160:161], v[136:137], v[142:143]
	scratch_load_b128 v[134:137], off, off offset:424
	s_wait_loadcnt 0x5
	v_fmac_f64_e32 v[160:161], v[156:157], v[144:145]
	ds_load_b128 v[142:145], v2 offset:832
	ds_load_b128 v[146:149], v2 offset:848
	s_wait_dscnt 0x1
	v_fmac_f64_e32 v[160:161], v[158:159], v[142:143]
	s_wait_loadcnt 0x4
	s_delay_alu instid0(VALU_DEP_1)
	v_fmac_f64_e32 v[160:161], v[126:127], v[144:145]
	scratch_load_b128 v[142:145], off, off offset:440
	s_wait_dscnt 0x0
	v_fmac_f64_e32 v[160:161], v[128:129], v[146:147]
	scratch_load_b128 v[126:129], off, off offset:456
	s_wait_loadcnt 0x5
	v_fmac_f64_e32 v[160:161], v[150:151], v[148:149]
	ds_load_b128 v[146:149], v2 offset:864
	ds_load_b128 v[154:157], v2 offset:880
	scratch_load_b64 v[150:151], off, off offset:472
	s_wait_dscnt 0x1
	v_fmac_f64_e32 v[160:161], v[152:153], v[146:147]
	s_wait_loadcnt 0x5
	s_delay_alu instid0(VALU_DEP_1) | instskip(SKIP_1) | instid1(VALU_DEP_1)
	v_fmac_f64_e32 v[160:161], v[130:131], v[148:149]
	s_wait_dscnt 0x0
	v_fmac_f64_e32 v[160:161], v[132:133], v[154:155]
	ds_load_b128 v[130:133], v2 offset:896
	ds_load_b128 v[146:149], v2 offset:912
	s_wait_loadcnt 0x4
	v_fmac_f64_e32 v[160:161], v[138:139], v[156:157]
	s_wait_dscnt 0x1
	s_delay_alu instid0(VALU_DEP_1) | instskip(SKIP_1) | instid1(VALU_DEP_1)
	v_fmac_f64_e32 v[160:161], v[140:141], v[130:131]
	s_wait_loadcnt 0x3
	v_fmac_f64_e32 v[160:161], v[134:135], v[132:133]
	s_wait_dscnt 0x0
	s_delay_alu instid0(VALU_DEP_1)
	v_fmac_f64_e32 v[160:161], v[136:137], v[146:147]
	ds_load_b128 v[130:133], v2 offset:928
	ds_load_b128 v[134:137], v2 offset:944
	s_wait_loadcnt 0x2
	v_fmac_f64_e32 v[160:161], v[142:143], v[148:149]
	s_wait_dscnt 0x1
	s_delay_alu instid0(VALU_DEP_1) | instskip(SKIP_1) | instid1(VALU_DEP_1)
	v_fmac_f64_e32 v[160:161], v[144:145], v[130:131]
	s_wait_loadcnt 0x1
	v_fmac_f64_e32 v[160:161], v[126:127], v[132:133]
	s_wait_dscnt 0x0
	s_delay_alu instid0(VALU_DEP_1) | instskip(SKIP_1) | instid1(VALU_DEP_1)
	v_fmac_f64_e32 v[160:161], v[128:129], v[134:135]
	s_wait_loadcnt 0x0
	v_fmac_f64_e32 v[160:161], v[150:151], v[136:137]
	s_delay_alu instid0(VALU_DEP_1)
	v_add_f64_e64 v[2:3], v[124:125], -v[160:161]
	scratch_store_b64 off, v[2:3], off offset:56
	s_wait_xcnt 0x0
	v_cmpx_lt_u32_e32 6, v0
	s_cbranch_execz .LBB59_357
; %bb.356:
	scratch_load_b64 v[2:3], off, off offset:48
	v_mov_b64_e32 v[124:125], 0
	scratch_store_b64 off, v[124:125], off offset:48
	s_wait_loadcnt 0x0
	ds_store_b64 v1, v[2:3]
.LBB59_357:
	s_wait_xcnt 0x0
	s_or_b32 exec_lo, exec_lo, s0
	s_wait_storecnt_dscnt 0x0
	s_barrier_signal -1
	s_barrier_wait -1
	s_clause 0x5
	scratch_load_b128 v[124:127], off, off offset:48
	scratch_load_b128 v[128:131], off, off offset:64
	;; [unrolled: 1-line block ×6, first 2 shown]
	v_mov_b32_e32 v2, 0
	ds_load_2addr_b64 v[148:151], v2 offset0:67 offset1:68
	ds_load_2addr_b64 v[152:155], v2 offset0:69 offset1:70
	scratch_load_b128 v[156:159], off, off offset:144
	s_mov_b32 s0, exec_lo
	s_wait_loadcnt_dscnt 0x601
	v_fma_f64 v[160:161], v[126:127], v[148:149], 0
	s_wait_loadcnt 0x5
	s_delay_alu instid0(VALU_DEP_1) | instskip(SKIP_4) | instid1(VALU_DEP_1)
	v_fmac_f64_e32 v[160:161], v[128:129], v[150:151]
	scratch_load_b128 v[126:129], off, off offset:160
	s_wait_dscnt 0x0
	v_fmac_f64_e32 v[160:161], v[130:131], v[152:153]
	s_wait_loadcnt 0x5
	v_fmac_f64_e32 v[160:161], v[132:133], v[154:155]
	ds_load_2addr_b64 v[130:133], v2 offset0:71 offset1:72
	ds_load_2addr_b64 v[148:151], v2 offset0:73 offset1:74
	scratch_load_b128 v[152:155], off, off offset:176
	s_wait_dscnt 0x1
	v_fmac_f64_e32 v[160:161], v[134:135], v[130:131]
	s_wait_loadcnt 0x5
	s_delay_alu instid0(VALU_DEP_1) | instskip(SKIP_4) | instid1(VALU_DEP_1)
	v_fmac_f64_e32 v[160:161], v[136:137], v[132:133]
	scratch_load_b128 v[130:133], off, off offset:192
	s_wait_dscnt 0x0
	v_fmac_f64_e32 v[160:161], v[138:139], v[148:149]
	s_wait_loadcnt 0x5
	v_fmac_f64_e32 v[160:161], v[140:141], v[150:151]
	ds_load_2addr_b64 v[134:137], v2 offset0:75 offset1:76
	ds_load_2addr_b64 v[138:141], v2 offset0:77 offset1:78
	scratch_load_b128 v[148:151], off, off offset:208
	s_wait_dscnt 0x1
	v_fmac_f64_e32 v[160:161], v[142:143], v[134:135]
	s_wait_loadcnt 0x5
	s_delay_alu instid0(VALU_DEP_1) | instskip(SKIP_4) | instid1(VALU_DEP_1)
	v_fmac_f64_e32 v[160:161], v[144:145], v[136:137]
	scratch_load_b128 v[134:137], off, off offset:224
	s_wait_dscnt 0x0
	v_fmac_f64_e32 v[160:161], v[146:147], v[138:139]
	s_wait_loadcnt 0x5
	v_fmac_f64_e32 v[160:161], v[156:157], v[140:141]
	ds_load_2addr_b64 v[138:141], v2 offset0:79 offset1:80
	ds_load_2addr_b64 v[142:145], v2 offset0:81 offset1:82
	s_wait_dscnt 0x1
	v_fmac_f64_e32 v[160:161], v[158:159], v[138:139]
	scratch_load_b128 v[156:159], off, off offset:240
	s_wait_loadcnt 0x5
	v_fmac_f64_e32 v[160:161], v[126:127], v[140:141]
	s_wait_dscnt 0x0
	s_delay_alu instid0(VALU_DEP_1)
	v_fmac_f64_e32 v[160:161], v[128:129], v[142:143]
	scratch_load_b128 v[126:129], off, off offset:256
	s_wait_loadcnt 0x5
	v_fmac_f64_e32 v[160:161], v[152:153], v[144:145]
	ds_load_2addr_b64 v[138:141], v2 offset0:83 offset1:84
	ds_load_2addr_b64 v[142:145], v2 offset0:85 offset1:86
	s_wait_dscnt 0x1
	v_fmac_f64_e32 v[160:161], v[154:155], v[138:139]
	scratch_load_b128 v[152:155], off, off offset:272
	s_wait_loadcnt 0x5
	v_fmac_f64_e32 v[160:161], v[130:131], v[140:141]
	s_wait_dscnt 0x0
	s_delay_alu instid0(VALU_DEP_1)
	v_fmac_f64_e32 v[160:161], v[132:133], v[142:143]
	scratch_load_b128 v[130:133], off, off offset:288
	s_wait_loadcnt 0x5
	v_fmac_f64_e32 v[160:161], v[148:149], v[144:145]
	ds_load_2addr_b64 v[138:141], v2 offset0:87 offset1:88
	ds_load_2addr_b64 v[142:145], v2 offset0:89 offset1:90
	scratch_load_b128 v[146:149], off, off offset:304
	s_wait_dscnt 0x1
	v_fmac_f64_e32 v[160:161], v[150:151], v[138:139]
	s_wait_loadcnt 0x5
	s_delay_alu instid0(VALU_DEP_1) | instskip(SKIP_1) | instid1(VALU_DEP_1)
	v_fmac_f64_e32 v[160:161], v[134:135], v[140:141]
	s_wait_dscnt 0x0
	v_fmac_f64_e32 v[160:161], v[136:137], v[142:143]
	scratch_load_b128 v[134:137], off, off offset:320
	s_wait_loadcnt 0x5
	v_fmac_f64_e32 v[160:161], v[156:157], v[144:145]
	ds_load_2addr_b64 v[138:141], v2 offset0:91 offset1:92
	ds_load_2addr_b64 v[142:145], v2 offset0:93 offset1:94
	s_wait_dscnt 0x1
	v_fmac_f64_e32 v[160:161], v[158:159], v[138:139]
	scratch_load_b128 v[156:159], off, off offset:336
	s_wait_loadcnt 0x5
	v_fmac_f64_e32 v[160:161], v[126:127], v[140:141]
	s_wait_dscnt 0x0
	s_delay_alu instid0(VALU_DEP_1)
	v_fmac_f64_e32 v[160:161], v[128:129], v[142:143]
	scratch_load_b128 v[126:129], off, off offset:352
	s_wait_loadcnt 0x5
	v_fmac_f64_e32 v[160:161], v[152:153], v[144:145]
	ds_load_2addr_b64 v[138:141], v2 offset0:95 offset1:96
	ds_load_2addr_b64 v[142:145], v2 offset0:97 offset1:98
	scratch_load_b128 v[150:153], off, off offset:368
	s_wait_dscnt 0x1
	v_fmac_f64_e32 v[160:161], v[154:155], v[138:139]
	s_wait_loadcnt 0x5
	s_delay_alu instid0(VALU_DEP_1) | instskip(SKIP_1) | instid1(VALU_DEP_1)
	v_fmac_f64_e32 v[160:161], v[130:131], v[140:141]
	s_wait_dscnt 0x0
	v_fmac_f64_e32 v[160:161], v[132:133], v[142:143]
	scratch_load_b128 v[130:133], off, off offset:384
	s_wait_loadcnt 0x5
	v_fmac_f64_e32 v[160:161], v[146:147], v[144:145]
	ds_load_2addr_b64 v[138:141], v2 offset0:99 offset1:100
	ds_load_2addr_b64 v[142:145], v2 offset0:101 offset1:102
	s_wait_dscnt 0x1
	v_fmac_f64_e32 v[160:161], v[148:149], v[138:139]
	s_wait_loadcnt 0x4
	s_delay_alu instid0(VALU_DEP_1)
	v_fmac_f64_e32 v[160:161], v[134:135], v[140:141]
	scratch_load_b128 v[138:141], off, off offset:400
	s_wait_dscnt 0x0
	v_fmac_f64_e32 v[160:161], v[136:137], v[142:143]
	scratch_load_b128 v[134:137], off, off offset:416
	s_wait_loadcnt 0x5
	v_fmac_f64_e32 v[160:161], v[156:157], v[144:145]
	ds_load_2addr_b64 v[142:145], v2 offset0:103 offset1:104
	ds_load_2addr_b64 v[146:149], v2 offset0:105 offset1:106
	s_wait_dscnt 0x1
	v_fmac_f64_e32 v[160:161], v[158:159], v[142:143]
	s_wait_loadcnt 0x4
	s_delay_alu instid0(VALU_DEP_1)
	v_fmac_f64_e32 v[160:161], v[126:127], v[144:145]
	scratch_load_b128 v[142:145], off, off offset:432
	;; [unrolled: 13-line block ×3, first 2 shown]
	s_wait_dscnt 0x0
	v_fmac_f64_e32 v[160:161], v[132:133], v[154:155]
	ds_load_2addr_b64 v[130:133], v2 offset0:111 offset1:112
	ds_load_2addr_b64 v[150:153], v2 offset0:113 offset1:114
	s_wait_loadcnt 0x4
	v_fmac_f64_e32 v[160:161], v[138:139], v[156:157]
	s_wait_dscnt 0x1
	s_delay_alu instid0(VALU_DEP_1) | instskip(SKIP_1) | instid1(VALU_DEP_1)
	v_fmac_f64_e32 v[160:161], v[140:141], v[130:131]
	s_wait_loadcnt 0x3
	v_fmac_f64_e32 v[160:161], v[134:135], v[132:133]
	s_wait_dscnt 0x0
	s_delay_alu instid0(VALU_DEP_1)
	v_fmac_f64_e32 v[160:161], v[136:137], v[150:151]
	ds_load_2addr_b64 v[130:133], v2 offset0:115 offset1:116
	ds_load_2addr_b64 v[134:137], v2 offset0:117 offset1:118
	s_wait_loadcnt 0x2
	v_fmac_f64_e32 v[160:161], v[142:143], v[152:153]
	s_wait_dscnt 0x1
	s_delay_alu instid0(VALU_DEP_1) | instskip(SKIP_1) | instid1(VALU_DEP_1)
	v_fmac_f64_e32 v[160:161], v[144:145], v[130:131]
	s_wait_loadcnt 0x1
	v_fmac_f64_e32 v[160:161], v[126:127], v[132:133]
	ds_load_b64 v[126:127], v2 offset:952
	s_wait_dscnt 0x1
	v_fmac_f64_e32 v[160:161], v[128:129], v[134:135]
	s_wait_loadcnt 0x0
	s_delay_alu instid0(VALU_DEP_1) | instskip(SKIP_1) | instid1(VALU_DEP_1)
	v_fmac_f64_e32 v[160:161], v[146:147], v[136:137]
	s_wait_dscnt 0x0
	v_fmac_f64_e32 v[160:161], v[148:149], v[126:127]
	s_delay_alu instid0(VALU_DEP_1)
	v_add_f64_e64 v[124:125], v[124:125], -v[160:161]
	scratch_store_b64 off, v[124:125], off offset:48
	s_wait_xcnt 0x0
	v_cmpx_lt_u32_e32 5, v0
	s_cbranch_execz .LBB59_359
; %bb.358:
	scratch_load_b64 v[124:125], off, off offset:40
	v_mov_b64_e32 v[126:127], 0
	scratch_store_b64 off, v[126:127], off offset:40
	s_wait_loadcnt 0x0
	ds_store_b64 v1, v[124:125]
.LBB59_359:
	s_wait_xcnt 0x0
	s_or_b32 exec_lo, exec_lo, s0
	s_wait_storecnt_dscnt 0x0
	s_barrier_signal -1
	s_barrier_wait -1
	s_clause 0x5
	scratch_load_b128 v[124:127], off, off offset:40
	scratch_load_b128 v[128:131], off, off offset:56
	;; [unrolled: 1-line block ×6, first 2 shown]
	ds_load_b128 v[148:151], v2 offset:528
	ds_load_b128 v[152:155], v2 offset:544
	scratch_load_b128 v[156:159], off, off offset:136
	s_mov_b32 s0, exec_lo
	s_wait_loadcnt_dscnt 0x601
	v_fma_f64 v[160:161], v[126:127], v[148:149], 0
	s_wait_loadcnt 0x5
	s_delay_alu instid0(VALU_DEP_1) | instskip(SKIP_4) | instid1(VALU_DEP_1)
	v_fmac_f64_e32 v[160:161], v[128:129], v[150:151]
	scratch_load_b128 v[126:129], off, off offset:152
	s_wait_dscnt 0x0
	v_fmac_f64_e32 v[160:161], v[130:131], v[152:153]
	s_wait_loadcnt 0x5
	v_fmac_f64_e32 v[160:161], v[132:133], v[154:155]
	ds_load_b128 v[130:133], v2 offset:560
	ds_load_b128 v[148:151], v2 offset:576
	scratch_load_b128 v[152:155], off, off offset:168
	s_wait_dscnt 0x1
	v_fmac_f64_e32 v[160:161], v[134:135], v[130:131]
	s_wait_loadcnt 0x5
	s_delay_alu instid0(VALU_DEP_1) | instskip(SKIP_4) | instid1(VALU_DEP_1)
	v_fmac_f64_e32 v[160:161], v[136:137], v[132:133]
	scratch_load_b128 v[130:133], off, off offset:184
	s_wait_dscnt 0x0
	v_fmac_f64_e32 v[160:161], v[138:139], v[148:149]
	s_wait_loadcnt 0x5
	v_fmac_f64_e32 v[160:161], v[140:141], v[150:151]
	ds_load_b128 v[134:137], v2 offset:592
	ds_load_b128 v[138:141], v2 offset:608
	scratch_load_b128 v[148:151], off, off offset:200
	s_wait_dscnt 0x1
	v_fmac_f64_e32 v[160:161], v[142:143], v[134:135]
	s_wait_loadcnt 0x5
	s_delay_alu instid0(VALU_DEP_1) | instskip(SKIP_4) | instid1(VALU_DEP_1)
	v_fmac_f64_e32 v[160:161], v[144:145], v[136:137]
	scratch_load_b128 v[134:137], off, off offset:216
	s_wait_dscnt 0x0
	v_fmac_f64_e32 v[160:161], v[146:147], v[138:139]
	s_wait_loadcnt 0x5
	v_fmac_f64_e32 v[160:161], v[156:157], v[140:141]
	ds_load_b128 v[138:141], v2 offset:624
	ds_load_b128 v[142:145], v2 offset:640
	s_wait_dscnt 0x1
	v_fmac_f64_e32 v[160:161], v[158:159], v[138:139]
	scratch_load_b128 v[156:159], off, off offset:232
	s_wait_loadcnt 0x5
	v_fmac_f64_e32 v[160:161], v[126:127], v[140:141]
	s_wait_dscnt 0x0
	s_delay_alu instid0(VALU_DEP_1)
	v_fmac_f64_e32 v[160:161], v[128:129], v[142:143]
	scratch_load_b128 v[126:129], off, off offset:248
	s_wait_loadcnt 0x5
	v_fmac_f64_e32 v[160:161], v[152:153], v[144:145]
	ds_load_b128 v[138:141], v2 offset:656
	ds_load_b128 v[142:145], v2 offset:672
	s_wait_dscnt 0x1
	v_fmac_f64_e32 v[160:161], v[154:155], v[138:139]
	scratch_load_b128 v[152:155], off, off offset:264
	s_wait_loadcnt 0x5
	v_fmac_f64_e32 v[160:161], v[130:131], v[140:141]
	s_wait_dscnt 0x0
	s_delay_alu instid0(VALU_DEP_1)
	v_fmac_f64_e32 v[160:161], v[132:133], v[142:143]
	scratch_load_b128 v[130:133], off, off offset:280
	s_wait_loadcnt 0x5
	v_fmac_f64_e32 v[160:161], v[148:149], v[144:145]
	ds_load_b128 v[138:141], v2 offset:688
	ds_load_b128 v[142:145], v2 offset:704
	scratch_load_b128 v[146:149], off, off offset:296
	s_wait_dscnt 0x1
	v_fmac_f64_e32 v[160:161], v[150:151], v[138:139]
	s_wait_loadcnt 0x5
	s_delay_alu instid0(VALU_DEP_1) | instskip(SKIP_1) | instid1(VALU_DEP_1)
	v_fmac_f64_e32 v[160:161], v[134:135], v[140:141]
	s_wait_dscnt 0x0
	v_fmac_f64_e32 v[160:161], v[136:137], v[142:143]
	scratch_load_b128 v[134:137], off, off offset:312
	s_wait_loadcnt 0x5
	v_fmac_f64_e32 v[160:161], v[156:157], v[144:145]
	ds_load_b128 v[138:141], v2 offset:720
	ds_load_b128 v[142:145], v2 offset:736
	s_wait_dscnt 0x1
	v_fmac_f64_e32 v[160:161], v[158:159], v[138:139]
	scratch_load_b128 v[156:159], off, off offset:328
	s_wait_loadcnt 0x5
	v_fmac_f64_e32 v[160:161], v[126:127], v[140:141]
	s_wait_dscnt 0x0
	s_delay_alu instid0(VALU_DEP_1)
	v_fmac_f64_e32 v[160:161], v[128:129], v[142:143]
	scratch_load_b128 v[126:129], off, off offset:344
	s_wait_loadcnt 0x5
	v_fmac_f64_e32 v[160:161], v[152:153], v[144:145]
	ds_load_b128 v[138:141], v2 offset:752
	ds_load_b128 v[142:145], v2 offset:768
	scratch_load_b128 v[150:153], off, off offset:360
	s_wait_dscnt 0x1
	v_fmac_f64_e32 v[160:161], v[154:155], v[138:139]
	s_wait_loadcnt 0x5
	s_delay_alu instid0(VALU_DEP_1) | instskip(SKIP_1) | instid1(VALU_DEP_1)
	v_fmac_f64_e32 v[160:161], v[130:131], v[140:141]
	s_wait_dscnt 0x0
	v_fmac_f64_e32 v[160:161], v[132:133], v[142:143]
	scratch_load_b128 v[130:133], off, off offset:376
	s_wait_loadcnt 0x5
	v_fmac_f64_e32 v[160:161], v[146:147], v[144:145]
	ds_load_b128 v[138:141], v2 offset:784
	ds_load_b128 v[142:145], v2 offset:800
	s_wait_dscnt 0x1
	v_fmac_f64_e32 v[160:161], v[148:149], v[138:139]
	scratch_load_b128 v[146:149], off, off offset:392
	s_wait_loadcnt 0x5
	v_fmac_f64_e32 v[160:161], v[134:135], v[140:141]
	s_wait_dscnt 0x0
	s_delay_alu instid0(VALU_DEP_1)
	v_fmac_f64_e32 v[160:161], v[136:137], v[142:143]
	scratch_load_b128 v[134:137], off, off offset:408
	s_wait_loadcnt 0x5
	v_fmac_f64_e32 v[160:161], v[156:157], v[144:145]
	ds_load_b128 v[138:141], v2 offset:816
	ds_load_b128 v[142:145], v2 offset:832
	s_wait_dscnt 0x1
	v_fmac_f64_e32 v[160:161], v[158:159], v[138:139]
	s_wait_loadcnt 0x4
	s_delay_alu instid0(VALU_DEP_1)
	v_fmac_f64_e32 v[160:161], v[126:127], v[140:141]
	scratch_load_b128 v[138:141], off, off offset:424
	s_wait_dscnt 0x0
	v_fmac_f64_e32 v[160:161], v[128:129], v[142:143]
	scratch_load_b128 v[126:129], off, off offset:440
	s_wait_loadcnt 0x5
	v_fmac_f64_e32 v[160:161], v[150:151], v[144:145]
	ds_load_b128 v[142:145], v2 offset:848
	ds_load_b128 v[154:157], v2 offset:864
	s_wait_dscnt 0x1
	v_fmac_f64_e32 v[160:161], v[152:153], v[142:143]
	s_wait_loadcnt 0x4
	s_delay_alu instid0(VALU_DEP_1) | instskip(SKIP_4) | instid1(VALU_DEP_1)
	v_fmac_f64_e32 v[160:161], v[130:131], v[144:145]
	scratch_load_b128 v[142:145], off, off offset:456
	s_wait_dscnt 0x0
	v_fmac_f64_e32 v[160:161], v[132:133], v[154:155]
	s_wait_loadcnt 0x4
	v_fmac_f64_e32 v[160:161], v[146:147], v[156:157]
	scratch_load_b64 v[146:147], off, off offset:472
	ds_load_b128 v[130:133], v2 offset:880
	ds_load_b128 v[150:153], v2 offset:896
	s_wait_dscnt 0x1
	v_fmac_f64_e32 v[160:161], v[148:149], v[130:131]
	s_wait_loadcnt 0x4
	s_delay_alu instid0(VALU_DEP_1) | instskip(SKIP_1) | instid1(VALU_DEP_1)
	v_fmac_f64_e32 v[160:161], v[134:135], v[132:133]
	s_wait_dscnt 0x0
	v_fmac_f64_e32 v[160:161], v[136:137], v[150:151]
	ds_load_b128 v[130:133], v2 offset:912
	ds_load_b128 v[134:137], v2 offset:928
	s_wait_loadcnt 0x3
	v_fmac_f64_e32 v[160:161], v[138:139], v[152:153]
	s_wait_dscnt 0x1
	s_delay_alu instid0(VALU_DEP_1) | instskip(SKIP_1) | instid1(VALU_DEP_1)
	v_fmac_f64_e32 v[160:161], v[140:141], v[130:131]
	s_wait_loadcnt 0x2
	v_fmac_f64_e32 v[160:161], v[126:127], v[132:133]
	s_wait_dscnt 0x0
	s_delay_alu instid0(VALU_DEP_1) | instskip(SKIP_4) | instid1(VALU_DEP_1)
	v_fmac_f64_e32 v[160:161], v[128:129], v[134:135]
	ds_load_b128 v[126:129], v2 offset:944
	s_wait_loadcnt 0x1
	v_fmac_f64_e32 v[160:161], v[142:143], v[136:137]
	s_wait_dscnt 0x0
	v_fmac_f64_e32 v[160:161], v[144:145], v[126:127]
	s_wait_loadcnt 0x0
	s_delay_alu instid0(VALU_DEP_1) | instskip(NEXT) | instid1(VALU_DEP_1)
	v_fmac_f64_e32 v[160:161], v[146:147], v[128:129]
	v_add_f64_e64 v[2:3], v[124:125], -v[160:161]
	scratch_store_b64 off, v[2:3], off offset:40
	s_wait_xcnt 0x0
	v_cmpx_lt_u32_e32 4, v0
	s_cbranch_execz .LBB59_361
; %bb.360:
	scratch_load_b64 v[2:3], off, off offset:32
	v_mov_b64_e32 v[124:125], 0
	scratch_store_b64 off, v[124:125], off offset:32
	s_wait_loadcnt 0x0
	ds_store_b64 v1, v[2:3]
.LBB59_361:
	s_wait_xcnt 0x0
	s_or_b32 exec_lo, exec_lo, s0
	s_wait_storecnt_dscnt 0x0
	s_barrier_signal -1
	s_barrier_wait -1
	s_clause 0x5
	scratch_load_b128 v[124:127], off, off offset:32
	scratch_load_b128 v[128:131], off, off offset:48
	;; [unrolled: 1-line block ×6, first 2 shown]
	v_mov_b32_e32 v2, 0
	ds_load_2addr_b64 v[148:151], v2 offset0:65 offset1:66
	ds_load_2addr_b64 v[152:155], v2 offset0:67 offset1:68
	scratch_load_b128 v[156:159], off, off offset:128
	s_mov_b32 s0, exec_lo
	s_wait_loadcnt_dscnt 0x601
	v_fma_f64 v[160:161], v[126:127], v[148:149], 0
	s_wait_loadcnt 0x5
	s_delay_alu instid0(VALU_DEP_1) | instskip(SKIP_4) | instid1(VALU_DEP_1)
	v_fmac_f64_e32 v[160:161], v[128:129], v[150:151]
	scratch_load_b128 v[126:129], off, off offset:144
	s_wait_dscnt 0x0
	v_fmac_f64_e32 v[160:161], v[130:131], v[152:153]
	s_wait_loadcnt 0x5
	v_fmac_f64_e32 v[160:161], v[132:133], v[154:155]
	ds_load_2addr_b64 v[130:133], v2 offset0:69 offset1:70
	ds_load_2addr_b64 v[148:151], v2 offset0:71 offset1:72
	scratch_load_b128 v[152:155], off, off offset:160
	s_wait_dscnt 0x1
	v_fmac_f64_e32 v[160:161], v[134:135], v[130:131]
	s_wait_loadcnt 0x5
	s_delay_alu instid0(VALU_DEP_1) | instskip(SKIP_4) | instid1(VALU_DEP_1)
	v_fmac_f64_e32 v[160:161], v[136:137], v[132:133]
	scratch_load_b128 v[130:133], off, off offset:176
	s_wait_dscnt 0x0
	v_fmac_f64_e32 v[160:161], v[138:139], v[148:149]
	s_wait_loadcnt 0x5
	v_fmac_f64_e32 v[160:161], v[140:141], v[150:151]
	ds_load_2addr_b64 v[134:137], v2 offset0:73 offset1:74
	ds_load_2addr_b64 v[138:141], v2 offset0:75 offset1:76
	scratch_load_b128 v[148:151], off, off offset:192
	s_wait_dscnt 0x1
	v_fmac_f64_e32 v[160:161], v[142:143], v[134:135]
	s_wait_loadcnt 0x5
	s_delay_alu instid0(VALU_DEP_1) | instskip(SKIP_4) | instid1(VALU_DEP_1)
	v_fmac_f64_e32 v[160:161], v[144:145], v[136:137]
	scratch_load_b128 v[134:137], off, off offset:208
	s_wait_dscnt 0x0
	v_fmac_f64_e32 v[160:161], v[146:147], v[138:139]
	s_wait_loadcnt 0x5
	v_fmac_f64_e32 v[160:161], v[156:157], v[140:141]
	ds_load_2addr_b64 v[138:141], v2 offset0:77 offset1:78
	ds_load_2addr_b64 v[142:145], v2 offset0:79 offset1:80
	s_wait_dscnt 0x1
	v_fmac_f64_e32 v[160:161], v[158:159], v[138:139]
	scratch_load_b128 v[156:159], off, off offset:224
	s_wait_loadcnt 0x5
	v_fmac_f64_e32 v[160:161], v[126:127], v[140:141]
	s_wait_dscnt 0x0
	s_delay_alu instid0(VALU_DEP_1)
	v_fmac_f64_e32 v[160:161], v[128:129], v[142:143]
	scratch_load_b128 v[126:129], off, off offset:240
	s_wait_loadcnt 0x5
	v_fmac_f64_e32 v[160:161], v[152:153], v[144:145]
	ds_load_2addr_b64 v[138:141], v2 offset0:81 offset1:82
	ds_load_2addr_b64 v[142:145], v2 offset0:83 offset1:84
	s_wait_dscnt 0x1
	v_fmac_f64_e32 v[160:161], v[154:155], v[138:139]
	scratch_load_b128 v[152:155], off, off offset:256
	s_wait_loadcnt 0x5
	v_fmac_f64_e32 v[160:161], v[130:131], v[140:141]
	s_wait_dscnt 0x0
	s_delay_alu instid0(VALU_DEP_1)
	v_fmac_f64_e32 v[160:161], v[132:133], v[142:143]
	scratch_load_b128 v[130:133], off, off offset:272
	s_wait_loadcnt 0x5
	v_fmac_f64_e32 v[160:161], v[148:149], v[144:145]
	ds_load_2addr_b64 v[138:141], v2 offset0:85 offset1:86
	ds_load_2addr_b64 v[142:145], v2 offset0:87 offset1:88
	scratch_load_b128 v[146:149], off, off offset:288
	s_wait_dscnt 0x1
	v_fmac_f64_e32 v[160:161], v[150:151], v[138:139]
	s_wait_loadcnt 0x5
	s_delay_alu instid0(VALU_DEP_1) | instskip(SKIP_1) | instid1(VALU_DEP_1)
	v_fmac_f64_e32 v[160:161], v[134:135], v[140:141]
	s_wait_dscnt 0x0
	v_fmac_f64_e32 v[160:161], v[136:137], v[142:143]
	scratch_load_b128 v[134:137], off, off offset:304
	s_wait_loadcnt 0x5
	v_fmac_f64_e32 v[160:161], v[156:157], v[144:145]
	ds_load_2addr_b64 v[138:141], v2 offset0:89 offset1:90
	ds_load_2addr_b64 v[142:145], v2 offset0:91 offset1:92
	s_wait_dscnt 0x1
	v_fmac_f64_e32 v[160:161], v[158:159], v[138:139]
	scratch_load_b128 v[156:159], off, off offset:320
	s_wait_loadcnt 0x5
	v_fmac_f64_e32 v[160:161], v[126:127], v[140:141]
	s_wait_dscnt 0x0
	s_delay_alu instid0(VALU_DEP_1)
	v_fmac_f64_e32 v[160:161], v[128:129], v[142:143]
	scratch_load_b128 v[126:129], off, off offset:336
	s_wait_loadcnt 0x5
	v_fmac_f64_e32 v[160:161], v[152:153], v[144:145]
	ds_load_2addr_b64 v[138:141], v2 offset0:93 offset1:94
	ds_load_2addr_b64 v[142:145], v2 offset0:95 offset1:96
	scratch_load_b128 v[150:153], off, off offset:352
	s_wait_dscnt 0x1
	v_fmac_f64_e32 v[160:161], v[154:155], v[138:139]
	s_wait_loadcnt 0x5
	s_delay_alu instid0(VALU_DEP_1) | instskip(SKIP_1) | instid1(VALU_DEP_1)
	v_fmac_f64_e32 v[160:161], v[130:131], v[140:141]
	s_wait_dscnt 0x0
	v_fmac_f64_e32 v[160:161], v[132:133], v[142:143]
	scratch_load_b128 v[130:133], off, off offset:368
	s_wait_loadcnt 0x5
	v_fmac_f64_e32 v[160:161], v[146:147], v[144:145]
	ds_load_2addr_b64 v[138:141], v2 offset0:97 offset1:98
	ds_load_2addr_b64 v[142:145], v2 offset0:99 offset1:100
	s_wait_dscnt 0x1
	v_fmac_f64_e32 v[160:161], v[148:149], v[138:139]
	scratch_load_b128 v[146:149], off, off offset:384
	s_wait_loadcnt 0x5
	v_fmac_f64_e32 v[160:161], v[134:135], v[140:141]
	s_wait_dscnt 0x0
	s_delay_alu instid0(VALU_DEP_1)
	v_fmac_f64_e32 v[160:161], v[136:137], v[142:143]
	scratch_load_b128 v[134:137], off, off offset:400
	s_wait_loadcnt 0x5
	v_fmac_f64_e32 v[160:161], v[156:157], v[144:145]
	ds_load_2addr_b64 v[138:141], v2 offset0:101 offset1:102
	ds_load_2addr_b64 v[142:145], v2 offset0:103 offset1:104
	s_wait_dscnt 0x1
	v_fmac_f64_e32 v[160:161], v[158:159], v[138:139]
	s_wait_loadcnt 0x4
	s_delay_alu instid0(VALU_DEP_1)
	v_fmac_f64_e32 v[160:161], v[126:127], v[140:141]
	scratch_load_b128 v[138:141], off, off offset:416
	s_wait_dscnt 0x0
	v_fmac_f64_e32 v[160:161], v[128:129], v[142:143]
	scratch_load_b128 v[126:129], off, off offset:432
	s_wait_loadcnt 0x5
	v_fmac_f64_e32 v[160:161], v[150:151], v[144:145]
	ds_load_2addr_b64 v[142:145], v2 offset0:105 offset1:106
	ds_load_2addr_b64 v[154:157], v2 offset0:107 offset1:108
	s_wait_dscnt 0x1
	v_fmac_f64_e32 v[160:161], v[152:153], v[142:143]
	s_wait_loadcnt 0x4
	s_delay_alu instid0(VALU_DEP_1)
	v_fmac_f64_e32 v[160:161], v[130:131], v[144:145]
	scratch_load_b128 v[142:145], off, off offset:448
	s_wait_dscnt 0x0
	v_fmac_f64_e32 v[160:161], v[132:133], v[154:155]
	scratch_load_b128 v[130:133], off, off offset:464
	s_wait_loadcnt 0x5
	v_fmac_f64_e32 v[160:161], v[146:147], v[156:157]
	ds_load_2addr_b64 v[150:153], v2 offset0:109 offset1:110
	ds_load_2addr_b64 v[154:157], v2 offset0:111 offset1:112
	s_wait_dscnt 0x1
	v_fmac_f64_e32 v[160:161], v[148:149], v[150:151]
	s_wait_loadcnt 0x4
	s_delay_alu instid0(VALU_DEP_1) | instskip(SKIP_1) | instid1(VALU_DEP_1)
	v_fmac_f64_e32 v[160:161], v[134:135], v[152:153]
	s_wait_dscnt 0x0
	v_fmac_f64_e32 v[160:161], v[136:137], v[154:155]
	ds_load_2addr_b64 v[134:137], v2 offset0:113 offset1:114
	ds_load_2addr_b64 v[146:149], v2 offset0:115 offset1:116
	s_wait_loadcnt 0x3
	v_fmac_f64_e32 v[160:161], v[138:139], v[156:157]
	s_wait_dscnt 0x1
	s_delay_alu instid0(VALU_DEP_1) | instskip(SKIP_1) | instid1(VALU_DEP_1)
	v_fmac_f64_e32 v[160:161], v[140:141], v[134:135]
	s_wait_loadcnt 0x2
	v_fmac_f64_e32 v[160:161], v[126:127], v[136:137]
	s_wait_dscnt 0x0
	s_delay_alu instid0(VALU_DEP_1)
	v_fmac_f64_e32 v[160:161], v[128:129], v[146:147]
	ds_load_2addr_b64 v[126:129], v2 offset0:117 offset1:118
	ds_load_b64 v[134:135], v2 offset:952
	s_wait_loadcnt 0x1
	v_fmac_f64_e32 v[160:161], v[142:143], v[148:149]
	s_wait_dscnt 0x1
	s_delay_alu instid0(VALU_DEP_1) | instskip(SKIP_1) | instid1(VALU_DEP_1)
	v_fmac_f64_e32 v[160:161], v[144:145], v[126:127]
	s_wait_loadcnt 0x0
	v_fmac_f64_e32 v[160:161], v[130:131], v[128:129]
	s_wait_dscnt 0x0
	s_delay_alu instid0(VALU_DEP_1) | instskip(NEXT) | instid1(VALU_DEP_1)
	v_fmac_f64_e32 v[160:161], v[132:133], v[134:135]
	v_add_f64_e64 v[124:125], v[124:125], -v[160:161]
	scratch_store_b64 off, v[124:125], off offset:32
	s_wait_xcnt 0x0
	v_cmpx_lt_u32_e32 3, v0
	s_cbranch_execz .LBB59_363
; %bb.362:
	scratch_load_b64 v[124:125], off, off offset:24
	v_mov_b64_e32 v[126:127], 0
	scratch_store_b64 off, v[126:127], off offset:24
	s_wait_loadcnt 0x0
	ds_store_b64 v1, v[124:125]
.LBB59_363:
	s_wait_xcnt 0x0
	s_or_b32 exec_lo, exec_lo, s0
	s_wait_storecnt_dscnt 0x0
	s_barrier_signal -1
	s_barrier_wait -1
	s_clause 0x5
	scratch_load_b128 v[124:127], off, off offset:24
	scratch_load_b128 v[128:131], off, off offset:40
	;; [unrolled: 1-line block ×6, first 2 shown]
	ds_load_b128 v[148:151], v2 offset:512
	ds_load_b128 v[152:155], v2 offset:528
	scratch_load_b128 v[156:159], off, off offset:120
	s_mov_b32 s0, exec_lo
	s_wait_loadcnt_dscnt 0x601
	v_fma_f64 v[160:161], v[126:127], v[148:149], 0
	s_wait_loadcnt 0x5
	s_delay_alu instid0(VALU_DEP_1) | instskip(SKIP_4) | instid1(VALU_DEP_1)
	v_fmac_f64_e32 v[160:161], v[128:129], v[150:151]
	scratch_load_b128 v[126:129], off, off offset:136
	s_wait_dscnt 0x0
	v_fmac_f64_e32 v[160:161], v[130:131], v[152:153]
	s_wait_loadcnt 0x5
	v_fmac_f64_e32 v[160:161], v[132:133], v[154:155]
	ds_load_b128 v[130:133], v2 offset:544
	ds_load_b128 v[148:151], v2 offset:560
	scratch_load_b128 v[152:155], off, off offset:152
	s_wait_dscnt 0x1
	v_fmac_f64_e32 v[160:161], v[134:135], v[130:131]
	s_wait_loadcnt 0x5
	s_delay_alu instid0(VALU_DEP_1) | instskip(SKIP_4) | instid1(VALU_DEP_1)
	v_fmac_f64_e32 v[160:161], v[136:137], v[132:133]
	scratch_load_b128 v[130:133], off, off offset:168
	s_wait_dscnt 0x0
	v_fmac_f64_e32 v[160:161], v[138:139], v[148:149]
	s_wait_loadcnt 0x5
	v_fmac_f64_e32 v[160:161], v[140:141], v[150:151]
	ds_load_b128 v[134:137], v2 offset:576
	ds_load_b128 v[138:141], v2 offset:592
	scratch_load_b128 v[148:151], off, off offset:184
	s_wait_dscnt 0x1
	v_fmac_f64_e32 v[160:161], v[142:143], v[134:135]
	s_wait_loadcnt 0x5
	s_delay_alu instid0(VALU_DEP_1) | instskip(SKIP_4) | instid1(VALU_DEP_1)
	v_fmac_f64_e32 v[160:161], v[144:145], v[136:137]
	scratch_load_b128 v[134:137], off, off offset:200
	s_wait_dscnt 0x0
	v_fmac_f64_e32 v[160:161], v[146:147], v[138:139]
	s_wait_loadcnt 0x5
	v_fmac_f64_e32 v[160:161], v[156:157], v[140:141]
	ds_load_b128 v[138:141], v2 offset:608
	ds_load_b128 v[142:145], v2 offset:624
	s_wait_dscnt 0x1
	v_fmac_f64_e32 v[160:161], v[158:159], v[138:139]
	scratch_load_b128 v[156:159], off, off offset:216
	s_wait_loadcnt 0x5
	v_fmac_f64_e32 v[160:161], v[126:127], v[140:141]
	s_wait_dscnt 0x0
	s_delay_alu instid0(VALU_DEP_1)
	v_fmac_f64_e32 v[160:161], v[128:129], v[142:143]
	scratch_load_b128 v[126:129], off, off offset:232
	s_wait_loadcnt 0x5
	v_fmac_f64_e32 v[160:161], v[152:153], v[144:145]
	ds_load_b128 v[138:141], v2 offset:640
	ds_load_b128 v[142:145], v2 offset:656
	s_wait_dscnt 0x1
	v_fmac_f64_e32 v[160:161], v[154:155], v[138:139]
	scratch_load_b128 v[152:155], off, off offset:248
	s_wait_loadcnt 0x5
	v_fmac_f64_e32 v[160:161], v[130:131], v[140:141]
	s_wait_dscnt 0x0
	s_delay_alu instid0(VALU_DEP_1)
	v_fmac_f64_e32 v[160:161], v[132:133], v[142:143]
	scratch_load_b128 v[130:133], off, off offset:264
	s_wait_loadcnt 0x5
	v_fmac_f64_e32 v[160:161], v[148:149], v[144:145]
	ds_load_b128 v[138:141], v2 offset:672
	ds_load_b128 v[142:145], v2 offset:688
	scratch_load_b128 v[146:149], off, off offset:280
	s_wait_dscnt 0x1
	v_fmac_f64_e32 v[160:161], v[150:151], v[138:139]
	s_wait_loadcnt 0x5
	s_delay_alu instid0(VALU_DEP_1) | instskip(SKIP_1) | instid1(VALU_DEP_1)
	v_fmac_f64_e32 v[160:161], v[134:135], v[140:141]
	s_wait_dscnt 0x0
	v_fmac_f64_e32 v[160:161], v[136:137], v[142:143]
	scratch_load_b128 v[134:137], off, off offset:296
	s_wait_loadcnt 0x5
	v_fmac_f64_e32 v[160:161], v[156:157], v[144:145]
	ds_load_b128 v[138:141], v2 offset:704
	ds_load_b128 v[142:145], v2 offset:720
	s_wait_dscnt 0x1
	v_fmac_f64_e32 v[160:161], v[158:159], v[138:139]
	scratch_load_b128 v[156:159], off, off offset:312
	s_wait_loadcnt 0x5
	v_fmac_f64_e32 v[160:161], v[126:127], v[140:141]
	s_wait_dscnt 0x0
	s_delay_alu instid0(VALU_DEP_1)
	v_fmac_f64_e32 v[160:161], v[128:129], v[142:143]
	scratch_load_b128 v[126:129], off, off offset:328
	s_wait_loadcnt 0x5
	v_fmac_f64_e32 v[160:161], v[152:153], v[144:145]
	ds_load_b128 v[138:141], v2 offset:736
	ds_load_b128 v[142:145], v2 offset:752
	scratch_load_b128 v[150:153], off, off offset:344
	s_wait_dscnt 0x1
	v_fmac_f64_e32 v[160:161], v[154:155], v[138:139]
	s_wait_loadcnt 0x5
	s_delay_alu instid0(VALU_DEP_1) | instskip(SKIP_1) | instid1(VALU_DEP_1)
	v_fmac_f64_e32 v[160:161], v[130:131], v[140:141]
	s_wait_dscnt 0x0
	v_fmac_f64_e32 v[160:161], v[132:133], v[142:143]
	scratch_load_b128 v[130:133], off, off offset:360
	s_wait_loadcnt 0x5
	v_fmac_f64_e32 v[160:161], v[146:147], v[144:145]
	ds_load_b128 v[138:141], v2 offset:768
	ds_load_b128 v[142:145], v2 offset:784
	s_wait_dscnt 0x1
	v_fmac_f64_e32 v[160:161], v[148:149], v[138:139]
	scratch_load_b128 v[146:149], off, off offset:376
	s_wait_loadcnt 0x5
	v_fmac_f64_e32 v[160:161], v[134:135], v[140:141]
	s_wait_dscnt 0x0
	s_delay_alu instid0(VALU_DEP_1)
	v_fmac_f64_e32 v[160:161], v[136:137], v[142:143]
	scratch_load_b128 v[134:137], off, off offset:392
	s_wait_loadcnt 0x5
	v_fmac_f64_e32 v[160:161], v[156:157], v[144:145]
	ds_load_b128 v[138:141], v2 offset:800
	ds_load_b128 v[142:145], v2 offset:816
	s_wait_dscnt 0x1
	v_fmac_f64_e32 v[160:161], v[158:159], v[138:139]
	s_wait_loadcnt 0x4
	s_delay_alu instid0(VALU_DEP_1)
	v_fmac_f64_e32 v[160:161], v[126:127], v[140:141]
	scratch_load_b128 v[138:141], off, off offset:408
	s_wait_dscnt 0x0
	v_fmac_f64_e32 v[160:161], v[128:129], v[142:143]
	scratch_load_b128 v[126:129], off, off offset:424
	s_wait_loadcnt 0x5
	v_fmac_f64_e32 v[160:161], v[150:151], v[144:145]
	ds_load_b128 v[142:145], v2 offset:832
	ds_load_b128 v[154:157], v2 offset:848
	s_wait_dscnt 0x1
	v_fmac_f64_e32 v[160:161], v[152:153], v[142:143]
	s_wait_loadcnt 0x4
	s_delay_alu instid0(VALU_DEP_1)
	v_fmac_f64_e32 v[160:161], v[130:131], v[144:145]
	scratch_load_b128 v[142:145], off, off offset:440
	s_wait_dscnt 0x0
	v_fmac_f64_e32 v[160:161], v[132:133], v[154:155]
	scratch_load_b128 v[130:133], off, off offset:456
	s_wait_loadcnt 0x5
	v_fmac_f64_e32 v[160:161], v[146:147], v[156:157]
	ds_load_b128 v[150:153], v2 offset:864
	ds_load_b128 v[154:157], v2 offset:880
	s_wait_dscnt 0x1
	v_fmac_f64_e32 v[160:161], v[148:149], v[150:151]
	scratch_load_b64 v[150:151], off, off offset:472
	s_wait_loadcnt 0x5
	v_fmac_f64_e32 v[160:161], v[134:135], v[152:153]
	s_wait_dscnt 0x0
	s_delay_alu instid0(VALU_DEP_1)
	v_fmac_f64_e32 v[160:161], v[136:137], v[154:155]
	ds_load_b128 v[134:137], v2 offset:896
	ds_load_b128 v[146:149], v2 offset:912
	s_wait_loadcnt 0x4
	v_fmac_f64_e32 v[160:161], v[138:139], v[156:157]
	s_wait_dscnt 0x1
	s_delay_alu instid0(VALU_DEP_1) | instskip(SKIP_1) | instid1(VALU_DEP_1)
	v_fmac_f64_e32 v[160:161], v[140:141], v[134:135]
	s_wait_loadcnt 0x3
	v_fmac_f64_e32 v[160:161], v[126:127], v[136:137]
	s_wait_dscnt 0x0
	s_delay_alu instid0(VALU_DEP_1)
	v_fmac_f64_e32 v[160:161], v[128:129], v[146:147]
	ds_load_b128 v[126:129], v2 offset:928
	ds_load_b128 v[134:137], v2 offset:944
	s_wait_loadcnt 0x2
	v_fmac_f64_e32 v[160:161], v[142:143], v[148:149]
	s_wait_dscnt 0x1
	s_delay_alu instid0(VALU_DEP_1) | instskip(SKIP_1) | instid1(VALU_DEP_1)
	v_fmac_f64_e32 v[160:161], v[144:145], v[126:127]
	s_wait_loadcnt 0x1
	v_fmac_f64_e32 v[160:161], v[130:131], v[128:129]
	s_wait_dscnt 0x0
	s_delay_alu instid0(VALU_DEP_1) | instskip(SKIP_1) | instid1(VALU_DEP_1)
	v_fmac_f64_e32 v[160:161], v[132:133], v[134:135]
	s_wait_loadcnt 0x0
	v_fmac_f64_e32 v[160:161], v[150:151], v[136:137]
	s_delay_alu instid0(VALU_DEP_1)
	v_add_f64_e64 v[2:3], v[124:125], -v[160:161]
	scratch_store_b64 off, v[2:3], off offset:24
	s_wait_xcnt 0x0
	v_cmpx_lt_u32_e32 2, v0
	s_cbranch_execz .LBB59_365
; %bb.364:
	scratch_load_b64 v[2:3], off, off offset:16
	v_mov_b64_e32 v[124:125], 0
	scratch_store_b64 off, v[124:125], off offset:16
	s_wait_loadcnt 0x0
	ds_store_b64 v1, v[2:3]
.LBB59_365:
	s_wait_xcnt 0x0
	s_or_b32 exec_lo, exec_lo, s0
	s_wait_storecnt_dscnt 0x0
	s_barrier_signal -1
	s_barrier_wait -1
	s_clause 0x5
	scratch_load_b128 v[124:127], off, off offset:16
	scratch_load_b128 v[128:131], off, off offset:32
	;; [unrolled: 1-line block ×6, first 2 shown]
	v_mov_b32_e32 v2, 0
	ds_load_2addr_b64 v[148:151], v2 offset0:63 offset1:64
	ds_load_2addr_b64 v[152:155], v2 offset0:65 offset1:66
	scratch_load_b128 v[156:159], off, off offset:112
	s_mov_b32 s0, exec_lo
	s_wait_loadcnt_dscnt 0x601
	v_fma_f64 v[160:161], v[126:127], v[148:149], 0
	s_wait_loadcnt 0x5
	s_delay_alu instid0(VALU_DEP_1) | instskip(SKIP_4) | instid1(VALU_DEP_1)
	v_fmac_f64_e32 v[160:161], v[128:129], v[150:151]
	scratch_load_b128 v[126:129], off, off offset:128
	s_wait_dscnt 0x0
	v_fmac_f64_e32 v[160:161], v[130:131], v[152:153]
	s_wait_loadcnt 0x5
	v_fmac_f64_e32 v[160:161], v[132:133], v[154:155]
	ds_load_2addr_b64 v[130:133], v2 offset0:67 offset1:68
	ds_load_2addr_b64 v[148:151], v2 offset0:69 offset1:70
	scratch_load_b128 v[152:155], off, off offset:144
	s_wait_dscnt 0x1
	v_fmac_f64_e32 v[160:161], v[134:135], v[130:131]
	s_wait_loadcnt 0x5
	s_delay_alu instid0(VALU_DEP_1) | instskip(SKIP_4) | instid1(VALU_DEP_1)
	v_fmac_f64_e32 v[160:161], v[136:137], v[132:133]
	scratch_load_b128 v[130:133], off, off offset:160
	s_wait_dscnt 0x0
	v_fmac_f64_e32 v[160:161], v[138:139], v[148:149]
	s_wait_loadcnt 0x5
	v_fmac_f64_e32 v[160:161], v[140:141], v[150:151]
	ds_load_2addr_b64 v[134:137], v2 offset0:71 offset1:72
	ds_load_2addr_b64 v[138:141], v2 offset0:73 offset1:74
	scratch_load_b128 v[148:151], off, off offset:176
	s_wait_dscnt 0x1
	v_fmac_f64_e32 v[160:161], v[142:143], v[134:135]
	s_wait_loadcnt 0x5
	s_delay_alu instid0(VALU_DEP_1) | instskip(SKIP_4) | instid1(VALU_DEP_1)
	v_fmac_f64_e32 v[160:161], v[144:145], v[136:137]
	scratch_load_b128 v[134:137], off, off offset:192
	s_wait_dscnt 0x0
	v_fmac_f64_e32 v[160:161], v[146:147], v[138:139]
	s_wait_loadcnt 0x5
	v_fmac_f64_e32 v[160:161], v[156:157], v[140:141]
	ds_load_2addr_b64 v[138:141], v2 offset0:75 offset1:76
	ds_load_2addr_b64 v[142:145], v2 offset0:77 offset1:78
	s_wait_dscnt 0x1
	v_fmac_f64_e32 v[160:161], v[158:159], v[138:139]
	scratch_load_b128 v[156:159], off, off offset:208
	s_wait_loadcnt 0x5
	v_fmac_f64_e32 v[160:161], v[126:127], v[140:141]
	s_wait_dscnt 0x0
	s_delay_alu instid0(VALU_DEP_1)
	v_fmac_f64_e32 v[160:161], v[128:129], v[142:143]
	scratch_load_b128 v[126:129], off, off offset:224
	s_wait_loadcnt 0x5
	v_fmac_f64_e32 v[160:161], v[152:153], v[144:145]
	ds_load_2addr_b64 v[138:141], v2 offset0:79 offset1:80
	ds_load_2addr_b64 v[142:145], v2 offset0:81 offset1:82
	s_wait_dscnt 0x1
	v_fmac_f64_e32 v[160:161], v[154:155], v[138:139]
	scratch_load_b128 v[152:155], off, off offset:240
	s_wait_loadcnt 0x5
	v_fmac_f64_e32 v[160:161], v[130:131], v[140:141]
	s_wait_dscnt 0x0
	s_delay_alu instid0(VALU_DEP_1)
	v_fmac_f64_e32 v[160:161], v[132:133], v[142:143]
	scratch_load_b128 v[130:133], off, off offset:256
	s_wait_loadcnt 0x5
	v_fmac_f64_e32 v[160:161], v[148:149], v[144:145]
	ds_load_2addr_b64 v[138:141], v2 offset0:83 offset1:84
	ds_load_2addr_b64 v[142:145], v2 offset0:85 offset1:86
	scratch_load_b128 v[146:149], off, off offset:272
	s_wait_dscnt 0x1
	v_fmac_f64_e32 v[160:161], v[150:151], v[138:139]
	s_wait_loadcnt 0x5
	s_delay_alu instid0(VALU_DEP_1) | instskip(SKIP_1) | instid1(VALU_DEP_1)
	v_fmac_f64_e32 v[160:161], v[134:135], v[140:141]
	s_wait_dscnt 0x0
	v_fmac_f64_e32 v[160:161], v[136:137], v[142:143]
	scratch_load_b128 v[134:137], off, off offset:288
	s_wait_loadcnt 0x5
	v_fmac_f64_e32 v[160:161], v[156:157], v[144:145]
	ds_load_2addr_b64 v[138:141], v2 offset0:87 offset1:88
	ds_load_2addr_b64 v[142:145], v2 offset0:89 offset1:90
	s_wait_dscnt 0x1
	v_fmac_f64_e32 v[160:161], v[158:159], v[138:139]
	scratch_load_b128 v[156:159], off, off offset:304
	s_wait_loadcnt 0x5
	v_fmac_f64_e32 v[160:161], v[126:127], v[140:141]
	s_wait_dscnt 0x0
	s_delay_alu instid0(VALU_DEP_1)
	v_fmac_f64_e32 v[160:161], v[128:129], v[142:143]
	scratch_load_b128 v[126:129], off, off offset:320
	s_wait_loadcnt 0x5
	v_fmac_f64_e32 v[160:161], v[152:153], v[144:145]
	ds_load_2addr_b64 v[138:141], v2 offset0:91 offset1:92
	ds_load_2addr_b64 v[142:145], v2 offset0:93 offset1:94
	scratch_load_b128 v[150:153], off, off offset:336
	s_wait_dscnt 0x1
	v_fmac_f64_e32 v[160:161], v[154:155], v[138:139]
	s_wait_loadcnt 0x5
	s_delay_alu instid0(VALU_DEP_1) | instskip(SKIP_1) | instid1(VALU_DEP_1)
	v_fmac_f64_e32 v[160:161], v[130:131], v[140:141]
	s_wait_dscnt 0x0
	v_fmac_f64_e32 v[160:161], v[132:133], v[142:143]
	scratch_load_b128 v[130:133], off, off offset:352
	s_wait_loadcnt 0x5
	v_fmac_f64_e32 v[160:161], v[146:147], v[144:145]
	ds_load_2addr_b64 v[138:141], v2 offset0:95 offset1:96
	ds_load_2addr_b64 v[142:145], v2 offset0:97 offset1:98
	s_wait_dscnt 0x1
	v_fmac_f64_e32 v[160:161], v[148:149], v[138:139]
	scratch_load_b128 v[146:149], off, off offset:368
	s_wait_loadcnt 0x5
	v_fmac_f64_e32 v[160:161], v[134:135], v[140:141]
	s_wait_dscnt 0x0
	s_delay_alu instid0(VALU_DEP_1)
	v_fmac_f64_e32 v[160:161], v[136:137], v[142:143]
	scratch_load_b128 v[134:137], off, off offset:384
	s_wait_loadcnt 0x5
	v_fmac_f64_e32 v[160:161], v[156:157], v[144:145]
	ds_load_2addr_b64 v[138:141], v2 offset0:99 offset1:100
	ds_load_2addr_b64 v[142:145], v2 offset0:101 offset1:102
	s_wait_dscnt 0x1
	v_fmac_f64_e32 v[160:161], v[158:159], v[138:139]
	s_wait_loadcnt 0x4
	s_delay_alu instid0(VALU_DEP_1)
	v_fmac_f64_e32 v[160:161], v[126:127], v[140:141]
	scratch_load_b128 v[138:141], off, off offset:400
	s_wait_dscnt 0x0
	v_fmac_f64_e32 v[160:161], v[128:129], v[142:143]
	scratch_load_b128 v[126:129], off, off offset:416
	s_wait_loadcnt 0x5
	v_fmac_f64_e32 v[160:161], v[150:151], v[144:145]
	ds_load_2addr_b64 v[142:145], v2 offset0:103 offset1:104
	ds_load_2addr_b64 v[154:157], v2 offset0:105 offset1:106
	s_wait_dscnt 0x1
	v_fmac_f64_e32 v[160:161], v[152:153], v[142:143]
	s_wait_loadcnt 0x4
	s_delay_alu instid0(VALU_DEP_1)
	v_fmac_f64_e32 v[160:161], v[130:131], v[144:145]
	scratch_load_b128 v[142:145], off, off offset:432
	s_wait_dscnt 0x0
	v_fmac_f64_e32 v[160:161], v[132:133], v[154:155]
	scratch_load_b128 v[130:133], off, off offset:448
	s_wait_loadcnt 0x5
	v_fmac_f64_e32 v[160:161], v[146:147], v[156:157]
	ds_load_2addr_b64 v[150:153], v2 offset0:107 offset1:108
	ds_load_2addr_b64 v[154:157], v2 offset0:109 offset1:110
	s_wait_dscnt 0x1
	v_fmac_f64_e32 v[160:161], v[148:149], v[150:151]
	scratch_load_b128 v[146:149], off, off offset:464
	s_wait_loadcnt 0x5
	v_fmac_f64_e32 v[160:161], v[134:135], v[152:153]
	s_wait_dscnt 0x0
	s_delay_alu instid0(VALU_DEP_1)
	v_fmac_f64_e32 v[160:161], v[136:137], v[154:155]
	ds_load_2addr_b64 v[134:137], v2 offset0:111 offset1:112
	ds_load_2addr_b64 v[150:153], v2 offset0:113 offset1:114
	s_wait_loadcnt 0x4
	v_fmac_f64_e32 v[160:161], v[138:139], v[156:157]
	s_wait_dscnt 0x1
	s_delay_alu instid0(VALU_DEP_1) | instskip(SKIP_1) | instid1(VALU_DEP_1)
	v_fmac_f64_e32 v[160:161], v[140:141], v[134:135]
	s_wait_loadcnt 0x3
	v_fmac_f64_e32 v[160:161], v[126:127], v[136:137]
	s_wait_dscnt 0x0
	s_delay_alu instid0(VALU_DEP_1)
	v_fmac_f64_e32 v[160:161], v[128:129], v[150:151]
	ds_load_2addr_b64 v[126:129], v2 offset0:115 offset1:116
	ds_load_2addr_b64 v[134:137], v2 offset0:117 offset1:118
	s_wait_loadcnt 0x2
	v_fmac_f64_e32 v[160:161], v[142:143], v[152:153]
	s_wait_dscnt 0x1
	s_delay_alu instid0(VALU_DEP_1) | instskip(SKIP_4) | instid1(VALU_DEP_1)
	v_fmac_f64_e32 v[160:161], v[144:145], v[126:127]
	ds_load_b64 v[126:127], v2 offset:952
	s_wait_loadcnt 0x1
	v_fmac_f64_e32 v[160:161], v[130:131], v[128:129]
	s_wait_dscnt 0x1
	v_fmac_f64_e32 v[160:161], v[132:133], v[134:135]
	s_wait_loadcnt 0x0
	s_delay_alu instid0(VALU_DEP_1) | instskip(SKIP_1) | instid1(VALU_DEP_1)
	v_fmac_f64_e32 v[160:161], v[146:147], v[136:137]
	s_wait_dscnt 0x0
	v_fmac_f64_e32 v[160:161], v[148:149], v[126:127]
	s_delay_alu instid0(VALU_DEP_1)
	v_add_f64_e64 v[124:125], v[124:125], -v[160:161]
	scratch_store_b64 off, v[124:125], off offset:16
	s_wait_xcnt 0x0
	v_cmpx_lt_u32_e32 1, v0
	s_cbranch_execz .LBB59_367
; %bb.366:
	scratch_load_b64 v[124:125], off, off offset:8
	v_mov_b64_e32 v[126:127], 0
	scratch_store_b64 off, v[126:127], off offset:8
	s_wait_loadcnt 0x0
	ds_store_b64 v1, v[124:125]
.LBB59_367:
	s_wait_xcnt 0x0
	s_or_b32 exec_lo, exec_lo, s0
	s_wait_storecnt_dscnt 0x0
	s_barrier_signal -1
	s_barrier_wait -1
	s_clause 0x5
	scratch_load_b128 v[124:127], off, off offset:8
	scratch_load_b128 v[128:131], off, off offset:24
	;; [unrolled: 1-line block ×6, first 2 shown]
	ds_load_b128 v[148:151], v2 offset:496
	ds_load_b128 v[152:155], v2 offset:512
	scratch_load_b128 v[156:159], off, off offset:104
	v_dual_ashrrev_i32 v9, 31, v8 :: v_dual_ashrrev_i32 v11, 31, v10
	v_dual_ashrrev_i32 v13, 31, v12 :: v_dual_ashrrev_i32 v15, 31, v14
	;; [unrolled: 1-line block ×28, first 2 shown]
	v_ashrrev_i32_e32 v121, 31, v120
	s_mov_b32 s0, exec_lo
	v_ashrrev_i32_e32 v75, 31, v74
	s_wait_loadcnt_dscnt 0x601
	v_fma_f64 v[160:161], v[126:127], v[148:149], 0
	s_wait_loadcnt 0x5
	s_delay_alu instid0(VALU_DEP_1) | instskip(SKIP_4) | instid1(VALU_DEP_1)
	v_fmac_f64_e32 v[160:161], v[128:129], v[150:151]
	scratch_load_b128 v[126:129], off, off offset:120
	s_wait_dscnt 0x0
	v_fmac_f64_e32 v[160:161], v[130:131], v[152:153]
	s_wait_loadcnt 0x5
	v_fmac_f64_e32 v[160:161], v[132:133], v[154:155]
	ds_load_b128 v[130:133], v2 offset:528
	ds_load_b128 v[148:151], v2 offset:544
	scratch_load_b128 v[152:155], off, off offset:136
	s_wait_dscnt 0x1
	v_fmac_f64_e32 v[160:161], v[134:135], v[130:131]
	s_wait_loadcnt 0x5
	s_delay_alu instid0(VALU_DEP_1) | instskip(SKIP_4) | instid1(VALU_DEP_1)
	v_fmac_f64_e32 v[160:161], v[136:137], v[132:133]
	scratch_load_b128 v[130:133], off, off offset:152
	s_wait_dscnt 0x0
	v_fmac_f64_e32 v[160:161], v[138:139], v[148:149]
	s_wait_loadcnt 0x5
	v_fmac_f64_e32 v[160:161], v[140:141], v[150:151]
	ds_load_b128 v[134:137], v2 offset:560
	ds_load_b128 v[138:141], v2 offset:576
	scratch_load_b128 v[148:151], off, off offset:168
	s_wait_dscnt 0x1
	v_fmac_f64_e32 v[160:161], v[142:143], v[134:135]
	s_wait_loadcnt 0x5
	s_delay_alu instid0(VALU_DEP_1) | instskip(SKIP_4) | instid1(VALU_DEP_1)
	v_fmac_f64_e32 v[160:161], v[144:145], v[136:137]
	scratch_load_b128 v[134:137], off, off offset:184
	s_wait_dscnt 0x0
	v_fmac_f64_e32 v[160:161], v[146:147], v[138:139]
	s_wait_loadcnt 0x5
	v_fmac_f64_e32 v[160:161], v[156:157], v[140:141]
	ds_load_b128 v[138:141], v2 offset:592
	ds_load_b128 v[142:145], v2 offset:608
	s_wait_dscnt 0x1
	v_fmac_f64_e32 v[160:161], v[158:159], v[138:139]
	scratch_load_b128 v[156:159], off, off offset:200
	s_wait_loadcnt 0x5
	v_fmac_f64_e32 v[160:161], v[126:127], v[140:141]
	s_wait_dscnt 0x0
	s_delay_alu instid0(VALU_DEP_1)
	v_fmac_f64_e32 v[160:161], v[128:129], v[142:143]
	scratch_load_b128 v[126:129], off, off offset:216
	s_wait_loadcnt 0x5
	v_fmac_f64_e32 v[160:161], v[152:153], v[144:145]
	ds_load_b128 v[138:141], v2 offset:624
	ds_load_b128 v[142:145], v2 offset:640
	s_wait_dscnt 0x1
	v_fmac_f64_e32 v[160:161], v[154:155], v[138:139]
	scratch_load_b128 v[152:155], off, off offset:232
	s_wait_loadcnt 0x5
	v_fmac_f64_e32 v[160:161], v[130:131], v[140:141]
	s_wait_dscnt 0x0
	s_delay_alu instid0(VALU_DEP_1)
	v_fmac_f64_e32 v[160:161], v[132:133], v[142:143]
	scratch_load_b128 v[130:133], off, off offset:248
	s_wait_loadcnt 0x5
	v_fmac_f64_e32 v[160:161], v[148:149], v[144:145]
	ds_load_b128 v[138:141], v2 offset:656
	ds_load_b128 v[142:145], v2 offset:672
	scratch_load_b128 v[146:149], off, off offset:264
	s_wait_dscnt 0x1
	v_fmac_f64_e32 v[160:161], v[150:151], v[138:139]
	s_wait_loadcnt 0x5
	s_delay_alu instid0(VALU_DEP_1) | instskip(SKIP_1) | instid1(VALU_DEP_1)
	v_fmac_f64_e32 v[160:161], v[134:135], v[140:141]
	s_wait_dscnt 0x0
	v_fmac_f64_e32 v[160:161], v[136:137], v[142:143]
	scratch_load_b128 v[134:137], off, off offset:280
	s_wait_loadcnt 0x5
	v_fmac_f64_e32 v[160:161], v[156:157], v[144:145]
	ds_load_b128 v[138:141], v2 offset:688
	ds_load_b128 v[142:145], v2 offset:704
	s_wait_dscnt 0x1
	v_fmac_f64_e32 v[160:161], v[158:159], v[138:139]
	scratch_load_b128 v[156:159], off, off offset:296
	s_wait_loadcnt 0x5
	v_fmac_f64_e32 v[160:161], v[126:127], v[140:141]
	s_wait_dscnt 0x0
	s_delay_alu instid0(VALU_DEP_1)
	v_fmac_f64_e32 v[160:161], v[128:129], v[142:143]
	scratch_load_b128 v[126:129], off, off offset:312
	s_wait_loadcnt 0x5
	v_fmac_f64_e32 v[160:161], v[152:153], v[144:145]
	ds_load_b128 v[138:141], v2 offset:720
	ds_load_b128 v[142:145], v2 offset:736
	scratch_load_b128 v[150:153], off, off offset:328
	s_wait_dscnt 0x1
	v_fmac_f64_e32 v[160:161], v[154:155], v[138:139]
	s_wait_loadcnt 0x5
	s_delay_alu instid0(VALU_DEP_1) | instskip(SKIP_1) | instid1(VALU_DEP_1)
	v_fmac_f64_e32 v[160:161], v[130:131], v[140:141]
	s_wait_dscnt 0x0
	v_fmac_f64_e32 v[160:161], v[132:133], v[142:143]
	scratch_load_b128 v[130:133], off, off offset:344
	s_wait_loadcnt 0x5
	v_fmac_f64_e32 v[160:161], v[146:147], v[144:145]
	ds_load_b128 v[138:141], v2 offset:752
	ds_load_b128 v[142:145], v2 offset:768
	s_wait_dscnt 0x1
	v_fmac_f64_e32 v[160:161], v[148:149], v[138:139]
	scratch_load_b128 v[146:149], off, off offset:360
	s_wait_loadcnt 0x5
	v_fmac_f64_e32 v[160:161], v[134:135], v[140:141]
	s_wait_dscnt 0x0
	s_delay_alu instid0(VALU_DEP_1)
	v_fmac_f64_e32 v[160:161], v[136:137], v[142:143]
	scratch_load_b128 v[134:137], off, off offset:376
	s_wait_loadcnt 0x5
	v_fmac_f64_e32 v[160:161], v[156:157], v[144:145]
	ds_load_b128 v[138:141], v2 offset:784
	ds_load_b128 v[142:145], v2 offset:800
	s_wait_dscnt 0x1
	v_fmac_f64_e32 v[160:161], v[158:159], v[138:139]
	s_wait_loadcnt 0x4
	s_delay_alu instid0(VALU_DEP_1)
	v_fmac_f64_e32 v[160:161], v[126:127], v[140:141]
	scratch_load_b128 v[138:141], off, off offset:392
	s_wait_dscnt 0x0
	v_fmac_f64_e32 v[160:161], v[128:129], v[142:143]
	scratch_load_b128 v[126:129], off, off offset:408
	s_wait_loadcnt 0x5
	v_fmac_f64_e32 v[160:161], v[150:151], v[144:145]
	ds_load_b128 v[142:145], v2 offset:816
	ds_load_b128 v[154:157], v2 offset:832
	s_wait_dscnt 0x1
	v_fmac_f64_e32 v[160:161], v[152:153], v[142:143]
	s_wait_loadcnt 0x4
	s_delay_alu instid0(VALU_DEP_1)
	v_fmac_f64_e32 v[160:161], v[130:131], v[144:145]
	scratch_load_b128 v[142:145], off, off offset:424
	s_wait_dscnt 0x0
	v_fmac_f64_e32 v[160:161], v[132:133], v[154:155]
	scratch_load_b128 v[130:133], off, off offset:440
	s_wait_loadcnt 0x5
	v_fmac_f64_e32 v[160:161], v[146:147], v[156:157]
	ds_load_b128 v[150:153], v2 offset:848
	ds_load_b128 v[154:157], v2 offset:864
	s_wait_dscnt 0x1
	v_fmac_f64_e32 v[160:161], v[148:149], v[150:151]
	scratch_load_b128 v[146:149], off, off offset:456
	s_wait_loadcnt 0x5
	v_fmac_f64_e32 v[160:161], v[134:135], v[152:153]
	s_wait_dscnt 0x0
	s_delay_alu instid0(VALU_DEP_1)
	v_fmac_f64_e32 v[160:161], v[136:137], v[154:155]
	scratch_load_b64 v[154:155], off, off offset:472
	ds_load_b128 v[134:137], v2 offset:880
	ds_load_b128 v[150:153], v2 offset:896
	s_wait_loadcnt 0x5
	v_fmac_f64_e32 v[160:161], v[138:139], v[156:157]
	s_wait_dscnt 0x1
	s_delay_alu instid0(VALU_DEP_1) | instskip(SKIP_1) | instid1(VALU_DEP_1)
	v_fmac_f64_e32 v[160:161], v[140:141], v[134:135]
	s_wait_loadcnt 0x4
	v_fmac_f64_e32 v[160:161], v[126:127], v[136:137]
	s_wait_dscnt 0x0
	s_delay_alu instid0(VALU_DEP_1)
	v_fmac_f64_e32 v[160:161], v[128:129], v[150:151]
	ds_load_b128 v[126:129], v2 offset:912
	ds_load_b128 v[134:137], v2 offset:928
	s_wait_loadcnt 0x3
	v_fmac_f64_e32 v[160:161], v[142:143], v[152:153]
	s_wait_dscnt 0x1
	s_delay_alu instid0(VALU_DEP_1) | instskip(SKIP_1) | instid1(VALU_DEP_1)
	v_fmac_f64_e32 v[160:161], v[144:145], v[126:127]
	s_wait_loadcnt 0x2
	v_fmac_f64_e32 v[160:161], v[130:131], v[128:129]
	ds_load_b128 v[126:129], v2 offset:944
	s_wait_dscnt 0x1
	v_fmac_f64_e32 v[160:161], v[132:133], v[134:135]
	s_wait_loadcnt 0x1
	s_delay_alu instid0(VALU_DEP_1) | instskip(SKIP_1) | instid1(VALU_DEP_1)
	v_fmac_f64_e32 v[160:161], v[146:147], v[136:137]
	s_wait_dscnt 0x0
	v_fmac_f64_e32 v[160:161], v[148:149], v[126:127]
	s_wait_loadcnt 0x0
	s_delay_alu instid0(VALU_DEP_1) | instskip(NEXT) | instid1(VALU_DEP_1)
	v_fmac_f64_e32 v[160:161], v[154:155], v[128:129]
	v_add_f64_e64 v[2:3], v[124:125], -v[160:161]
	scratch_store_b64 off, v[2:3], off offset:8
	s_wait_xcnt 0x0
	v_cmpx_ne_u32_e32 0, v0
	s_cbranch_execz .LBB59_369
; %bb.368:
	scratch_load_b64 v[2:3], off, off
	v_mov_b64_e32 v[124:125], 0
	scratch_store_b64 off, v[124:125], off
	s_wait_loadcnt 0x0
	ds_store_b64 v1, v[2:3]
.LBB59_369:
	s_wait_xcnt 0x0
	s_or_b32 exec_lo, exec_lo, s0
	s_wait_storecnt_dscnt 0x0
	s_barrier_signal -1
	s_barrier_wait -1
	s_clause 0x5
	scratch_load_b128 v[126:129], off, off
	scratch_load_b128 v[0:3], off, off offset:16
	scratch_load_b128 v[130:133], off, off offset:32
	;; [unrolled: 1-line block ×5, first 2 shown]
	v_mov_b32_e32 v124, 0
	scratch_load_b128 v[150:153], off, off offset:96
	s_and_b32 vcc_lo, exec_lo, s20
	ds_load_2addr_b64 v[146:149], v124 offset0:61 offset1:62
	s_wait_loadcnt_dscnt 0x600
	v_fma_f64 v[156:157], v[128:129], v[146:147], 0
	s_wait_loadcnt 0x5
	s_delay_alu instid0(VALU_DEP_1)
	v_fmac_f64_e32 v[156:157], v[0:1], v[148:149]
	ds_load_2addr_b64 v[146:149], v124 offset0:63 offset1:64
	s_wait_dscnt 0x0
	v_fmac_f64_e32 v[156:157], v[2:3], v[146:147]
	scratch_load_b128 v[0:3], off, off offset:112
	s_wait_loadcnt 0x5
	v_fmac_f64_e32 v[156:157], v[130:131], v[148:149]
	ds_load_2addr_b64 v[128:131], v124 offset0:65 offset1:66
	scratch_load_b128 v[146:149], off, off offset:128
	s_wait_dscnt 0x0
	v_fmac_f64_e32 v[156:157], v[132:133], v[128:129]
	s_wait_loadcnt 0x5
	s_delay_alu instid0(VALU_DEP_1)
	v_fmac_f64_e32 v[156:157], v[134:135], v[130:131]
	ds_load_2addr_b64 v[128:131], v124 offset0:67 offset1:68
	scratch_load_b128 v[132:135], off, off offset:144
	s_wait_dscnt 0x0
	v_fmac_f64_e32 v[156:157], v[136:137], v[128:129]
	s_wait_loadcnt 0x5
	s_delay_alu instid0(VALU_DEP_1)
	;; [unrolled: 7-line block ×4, first 2 shown]
	v_fmac_f64_e32 v[156:157], v[150:151], v[130:131]
	ds_load_2addr_b64 v[128:131], v124 offset0:73 offset1:74
	s_wait_dscnt 0x0
	v_fmac_f64_e32 v[156:157], v[152:153], v[128:129]
	scratch_load_b128 v[150:153], off, off offset:192
	s_wait_loadcnt 0x5
	v_fmac_f64_e32 v[156:157], v[0:1], v[130:131]
	ds_load_2addr_b64 v[128:131], v124 offset0:75 offset1:76
	s_wait_dscnt 0x0
	v_fmac_f64_e32 v[156:157], v[2:3], v[128:129]
	scratch_load_b128 v[0:3], off, off offset:208
	s_wait_loadcnt 0x5
	v_fmac_f64_e32 v[156:157], v[146:147], v[130:131]
	ds_load_2addr_b64 v[128:131], v124 offset0:77 offset1:78
	scratch_load_b128 v[144:147], off, off offset:224
	s_wait_dscnt 0x0
	v_fmac_f64_e32 v[156:157], v[148:149], v[128:129]
	s_wait_loadcnt 0x5
	s_delay_alu instid0(VALU_DEP_1)
	v_fmac_f64_e32 v[156:157], v[132:133], v[130:131]
	ds_load_2addr_b64 v[128:131], v124 offset0:79 offset1:80
	s_wait_dscnt 0x0
	v_fmac_f64_e32 v[156:157], v[134:135], v[128:129]
	scratch_load_b128 v[132:135], off, off offset:240
	s_wait_loadcnt 0x5
	v_fmac_f64_e32 v[156:157], v[136:137], v[130:131]
	ds_load_2addr_b64 v[128:131], v124 offset0:81 offset1:82
	s_wait_dscnt 0x0
	v_fmac_f64_e32 v[156:157], v[138:139], v[128:129]
	scratch_load_b128 v[136:139], off, off offset:256
	s_wait_loadcnt 0x5
	;; [unrolled: 6-line block ×3, first 2 shown]
	v_fmac_f64_e32 v[156:157], v[150:151], v[130:131]
	ds_load_2addr_b64 v[128:131], v124 offset0:85 offset1:86
	scratch_load_b128 v[148:151], off, off offset:288
	s_wait_dscnt 0x0
	v_fmac_f64_e32 v[156:157], v[152:153], v[128:129]
	scratch_load_b128 v[152:155], off, off offset:400
	s_wait_loadcnt 0x6
	v_fmac_f64_e32 v[156:157], v[0:1], v[130:131]
	ds_load_2addr_b64 v[128:131], v124 offset0:87 offset1:88
	s_wait_dscnt 0x0
	v_fmac_f64_e32 v[156:157], v[2:3], v[128:129]
	scratch_load_b128 v[0:3], off, off offset:304
	s_wait_loadcnt 0x6
	v_fmac_f64_e32 v[156:157], v[144:145], v[130:131]
	ds_load_2addr_b64 v[128:131], v124 offset0:89 offset1:90
	;; [unrolled: 6-line block ×7, first 2 shown]
	s_wait_dscnt 0x0
	v_fmac_f64_e32 v[156:157], v[2:3], v[128:129]
	ds_load_2addr_b64 v[0:3], v124 offset0:101 offset1:102
	s_wait_loadcnt 0x4
	v_fmac_f64_e32 v[156:157], v[144:145], v[130:131]
	scratch_load_b128 v[128:131], off, off offset:416
	s_wait_dscnt 0x0
	v_fmac_f64_e32 v[156:157], v[146:147], v[0:1]
	ds_load_2addr_b64 v[144:147], v124 offset0:107 offset1:108
	s_wait_loadcnt 0x4
	v_fmac_f64_e32 v[156:157], v[132:133], v[2:3]
	ds_load_2addr_b64 v[0:3], v124 offset0:103 offset1:104
	s_wait_dscnt 0x0
	v_fmac_f64_e32 v[156:157], v[134:135], v[0:1]
	scratch_load_b128 v[132:135], off, off offset:432
	s_wait_loadcnt 0x4
	v_fmac_f64_e32 v[156:157], v[136:137], v[2:3]
	ds_load_2addr_b64 v[0:3], v124 offset0:105 offset1:106
	s_wait_dscnt 0x0
	v_fmac_f64_e32 v[156:157], v[138:139], v[0:1]
	scratch_load_b128 v[136:139], off, off offset:448
	s_wait_loadcnt 0x4
	v_fmac_f64_e32 v[156:157], v[140:141], v[2:3]
	scratch_load_b128 v[0:3], off, off offset:464
	v_fmac_f64_e32 v[156:157], v[142:143], v[144:145]
	ds_load_2addr_b64 v[140:143], v124 offset0:109 offset1:110
	s_wait_loadcnt 0x4
	v_fmac_f64_e32 v[156:157], v[148:149], v[146:147]
	s_wait_dscnt 0x0
	s_delay_alu instid0(VALU_DEP_1) | instskip(NEXT) | instid1(VALU_DEP_1)
	v_fmac_f64_e32 v[156:157], v[150:151], v[140:141]
	v_fmac_f64_e32 v[156:157], v[152:153], v[142:143]
	ds_load_2addr_b64 v[140:143], v124 offset0:111 offset1:112
	s_wait_dscnt 0x0
	v_fmac_f64_e32 v[156:157], v[154:155], v[140:141]
	s_wait_loadcnt 0x3
	s_delay_alu instid0(VALU_DEP_1)
	v_fmac_f64_e32 v[156:157], v[128:129], v[142:143]
	ds_load_2addr_b64 v[140:143], v124 offset0:113 offset1:114
	s_wait_dscnt 0x0
	v_fmac_f64_e32 v[156:157], v[130:131], v[140:141]
	ds_load_2addr_b64 v[128:131], v124 offset0:115 offset1:116
	s_wait_loadcnt 0x2
	v_fmac_f64_e32 v[156:157], v[132:133], v[142:143]
	s_wait_dscnt 0x0
	s_delay_alu instid0(VALU_DEP_1) | instskip(SKIP_1) | instid1(VALU_DEP_1)
	v_fmac_f64_e32 v[156:157], v[134:135], v[128:129]
	s_wait_loadcnt 0x1
	v_fmac_f64_e32 v[156:157], v[136:137], v[130:131]
	ds_load_2addr_b64 v[128:131], v124 offset0:117 offset1:118
	s_wait_dscnt 0x0
	v_fmac_f64_e32 v[156:157], v[138:139], v[128:129]
	ds_load_b64 v[128:129], v124 offset:952
	s_wait_loadcnt 0x0
	v_fmac_f64_e32 v[156:157], v[0:1], v[130:131]
	s_wait_dscnt 0x0
	s_delay_alu instid0(VALU_DEP_1) | instskip(NEXT) | instid1(VALU_DEP_1)
	v_fmac_f64_e32 v[156:157], v[2:3], v[128:129]
	v_add_f64_e64 v[158:159], v[126:127], -v[156:157]
	scratch_store_b64 off, v[158:159], off
	s_cbranch_vccz .LBB59_488
; %bb.370:
	global_load_b32 v2, v124, s[16:17] offset:232
	s_wait_loadcnt 0x0
	v_cmp_ne_u32_e32 vcc_lo, 59, v2
	s_cbranch_vccz .LBB59_372
; %bb.371:
	v_lshlrev_b32_e32 v2, 3, v2
	s_wait_xcnt 0x0
	s_delay_alu instid0(VALU_DEP_1)
	v_mov_b32_e32 v124, v2
	scratch_load_b64 v[2:3], v124, off offset:-8
	s_wait_loadcnt 0x0
	scratch_store_b64 off, v[2:3], off offset:464
	scratch_store_b64 v124, v[0:1], off offset:-8
.LBB59_372:
	s_wait_xcnt 0x0
	v_mov_b32_e32 v0, 0
	global_load_b32 v1, v0, s[16:17] offset:228
	s_wait_loadcnt 0x0
	v_cmp_eq_u32_e32 vcc_lo, 58, v1
	s_cbranch_vccnz .LBB59_374
; %bb.373:
	v_lshlrev_b32_e32 v1, 3, v1
	scratch_load_b64 v[2:3], v1, off offset:-8
	scratch_load_b64 v[124:125], off, off offset:456
	s_wait_loadcnt 0x1
	scratch_store_b64 off, v[2:3], off offset:456
	s_wait_loadcnt 0x0
	scratch_store_b64 v1, v[124:125], off offset:-8
.LBB59_374:
	global_load_b32 v0, v0, s[16:17] offset:224
	s_wait_loadcnt 0x0
	v_cmp_eq_u32_e32 vcc_lo, 57, v0
	s_cbranch_vccnz .LBB59_376
; %bb.375:
	s_wait_xcnt 0x0
	v_lshlrev_b32_e32 v0, 3, v0
	s_delay_alu instid0(VALU_DEP_1)
	v_mov_b32_e32 v124, v0
	scratch_load_b64 v[0:1], v124, off offset:-8
	scratch_load_b64 v[2:3], off, off offset:448
	s_wait_loadcnt 0x1
	scratch_store_b64 off, v[0:1], off offset:448
	s_wait_loadcnt 0x0
	scratch_store_b64 v124, v[2:3], off offset:-8
.LBB59_376:
	s_wait_xcnt 0x0
	v_mov_b32_e32 v0, 0
	global_load_b32 v1, v0, s[16:17] offset:220
	s_wait_loadcnt 0x0
	v_cmp_eq_u32_e32 vcc_lo, 56, v1
	s_cbranch_vccnz .LBB59_378
; %bb.377:
	v_lshlrev_b32_e32 v1, 3, v1
	scratch_load_b64 v[2:3], v1, off offset:-8
	scratch_load_b64 v[124:125], off, off offset:440
	s_wait_loadcnt 0x1
	scratch_store_b64 off, v[2:3], off offset:440
	s_wait_loadcnt 0x0
	scratch_store_b64 v1, v[124:125], off offset:-8
.LBB59_378:
	global_load_b32 v0, v0, s[16:17] offset:216
	s_wait_loadcnt 0x0
	v_cmp_eq_u32_e32 vcc_lo, 55, v0
	s_cbranch_vccnz .LBB59_380
; %bb.379:
	s_wait_xcnt 0x0
	v_lshlrev_b32_e32 v0, 3, v0
	s_delay_alu instid0(VALU_DEP_1)
	v_mov_b32_e32 v124, v0
	scratch_load_b64 v[0:1], v124, off offset:-8
	scratch_load_b64 v[2:3], off, off offset:432
	s_wait_loadcnt 0x1
	scratch_store_b64 off, v[0:1], off offset:432
	s_wait_loadcnt 0x0
	scratch_store_b64 v124, v[2:3], off offset:-8
.LBB59_380:
	s_wait_xcnt 0x0
	v_mov_b32_e32 v0, 0
	global_load_b32 v1, v0, s[16:17] offset:212
	s_wait_loadcnt 0x0
	v_cmp_eq_u32_e32 vcc_lo, 54, v1
	s_cbranch_vccnz .LBB59_382
; %bb.381:
	v_lshlrev_b32_e32 v1, 3, v1
	scratch_load_b64 v[2:3], v1, off offset:-8
	scratch_load_b64 v[124:125], off, off offset:424
	s_wait_loadcnt 0x1
	scratch_store_b64 off, v[2:3], off offset:424
	s_wait_loadcnt 0x0
	scratch_store_b64 v1, v[124:125], off offset:-8
.LBB59_382:
	global_load_b32 v0, v0, s[16:17] offset:208
	s_wait_loadcnt 0x0
	v_cmp_eq_u32_e32 vcc_lo, 53, v0
	s_cbranch_vccnz .LBB59_384
; %bb.383:
	s_wait_xcnt 0x0
	v_lshlrev_b32_e32 v0, 3, v0
	s_delay_alu instid0(VALU_DEP_1)
	v_mov_b32_e32 v124, v0
	scratch_load_b64 v[0:1], v124, off offset:-8
	scratch_load_b64 v[2:3], off, off offset:416
	s_wait_loadcnt 0x1
	scratch_store_b64 off, v[0:1], off offset:416
	s_wait_loadcnt 0x0
	scratch_store_b64 v124, v[2:3], off offset:-8
.LBB59_384:
	s_wait_xcnt 0x0
	v_mov_b32_e32 v0, 0
	global_load_b32 v1, v0, s[16:17] offset:204
	s_wait_loadcnt 0x0
	v_cmp_eq_u32_e32 vcc_lo, 52, v1
	s_cbranch_vccnz .LBB59_386
; %bb.385:
	v_lshlrev_b32_e32 v1, 3, v1
	scratch_load_b64 v[2:3], v1, off offset:-8
	scratch_load_b64 v[124:125], off, off offset:408
	s_wait_loadcnt 0x1
	scratch_store_b64 off, v[2:3], off offset:408
	s_wait_loadcnt 0x0
	scratch_store_b64 v1, v[124:125], off offset:-8
.LBB59_386:
	global_load_b32 v0, v0, s[16:17] offset:200
	s_wait_loadcnt 0x0
	v_cmp_eq_u32_e32 vcc_lo, 51, v0
	s_cbranch_vccnz .LBB59_388
; %bb.387:
	s_wait_xcnt 0x0
	v_lshlrev_b32_e32 v0, 3, v0
	s_delay_alu instid0(VALU_DEP_1)
	v_mov_b32_e32 v124, v0
	scratch_load_b64 v[0:1], v124, off offset:-8
	scratch_load_b64 v[2:3], off, off offset:400
	s_wait_loadcnt 0x1
	scratch_store_b64 off, v[0:1], off offset:400
	s_wait_loadcnt 0x0
	scratch_store_b64 v124, v[2:3], off offset:-8
.LBB59_388:
	s_wait_xcnt 0x0
	v_mov_b32_e32 v0, 0
	global_load_b32 v1, v0, s[16:17] offset:196
	s_wait_loadcnt 0x0
	v_cmp_eq_u32_e32 vcc_lo, 50, v1
	s_cbranch_vccnz .LBB59_390
; %bb.389:
	v_lshlrev_b32_e32 v1, 3, v1
	scratch_load_b64 v[2:3], v1, off offset:-8
	scratch_load_b64 v[124:125], off, off offset:392
	s_wait_loadcnt 0x1
	scratch_store_b64 off, v[2:3], off offset:392
	s_wait_loadcnt 0x0
	scratch_store_b64 v1, v[124:125], off offset:-8
.LBB59_390:
	global_load_b32 v0, v0, s[16:17] offset:192
	s_wait_loadcnt 0x0
	v_cmp_eq_u32_e32 vcc_lo, 49, v0
	s_cbranch_vccnz .LBB59_392
; %bb.391:
	s_wait_xcnt 0x0
	v_lshlrev_b32_e32 v0, 3, v0
	s_delay_alu instid0(VALU_DEP_1)
	v_mov_b32_e32 v124, v0
	scratch_load_b64 v[0:1], v124, off offset:-8
	scratch_load_b64 v[2:3], off, off offset:384
	s_wait_loadcnt 0x1
	scratch_store_b64 off, v[0:1], off offset:384
	s_wait_loadcnt 0x0
	scratch_store_b64 v124, v[2:3], off offset:-8
.LBB59_392:
	s_wait_xcnt 0x0
	v_mov_b32_e32 v0, 0
	global_load_b32 v1, v0, s[16:17] offset:188
	s_wait_loadcnt 0x0
	v_cmp_eq_u32_e32 vcc_lo, 48, v1
	s_cbranch_vccnz .LBB59_394
; %bb.393:
	v_lshlrev_b32_e32 v1, 3, v1
	scratch_load_b64 v[2:3], v1, off offset:-8
	scratch_load_b64 v[124:125], off, off offset:376
	s_wait_loadcnt 0x1
	scratch_store_b64 off, v[2:3], off offset:376
	s_wait_loadcnt 0x0
	scratch_store_b64 v1, v[124:125], off offset:-8
.LBB59_394:
	global_load_b32 v0, v0, s[16:17] offset:184
	s_wait_loadcnt 0x0
	v_cmp_eq_u32_e32 vcc_lo, 47, v0
	s_cbranch_vccnz .LBB59_396
; %bb.395:
	s_wait_xcnt 0x0
	v_lshlrev_b32_e32 v0, 3, v0
	s_delay_alu instid0(VALU_DEP_1)
	v_mov_b32_e32 v124, v0
	scratch_load_b64 v[0:1], v124, off offset:-8
	scratch_load_b64 v[2:3], off, off offset:368
	s_wait_loadcnt 0x1
	scratch_store_b64 off, v[0:1], off offset:368
	s_wait_loadcnt 0x0
	scratch_store_b64 v124, v[2:3], off offset:-8
.LBB59_396:
	s_wait_xcnt 0x0
	v_mov_b32_e32 v0, 0
	global_load_b32 v1, v0, s[16:17] offset:180
	s_wait_loadcnt 0x0
	v_cmp_eq_u32_e32 vcc_lo, 46, v1
	s_cbranch_vccnz .LBB59_398
; %bb.397:
	v_lshlrev_b32_e32 v1, 3, v1
	scratch_load_b64 v[2:3], v1, off offset:-8
	scratch_load_b64 v[124:125], off, off offset:360
	s_wait_loadcnt 0x1
	scratch_store_b64 off, v[2:3], off offset:360
	s_wait_loadcnt 0x0
	scratch_store_b64 v1, v[124:125], off offset:-8
.LBB59_398:
	global_load_b32 v0, v0, s[16:17] offset:176
	s_wait_loadcnt 0x0
	v_cmp_eq_u32_e32 vcc_lo, 45, v0
	s_cbranch_vccnz .LBB59_400
; %bb.399:
	s_wait_xcnt 0x0
	v_lshlrev_b32_e32 v0, 3, v0
	s_delay_alu instid0(VALU_DEP_1)
	v_mov_b32_e32 v124, v0
	scratch_load_b64 v[0:1], v124, off offset:-8
	scratch_load_b64 v[2:3], off, off offset:352
	s_wait_loadcnt 0x1
	scratch_store_b64 off, v[0:1], off offset:352
	s_wait_loadcnt 0x0
	scratch_store_b64 v124, v[2:3], off offset:-8
.LBB59_400:
	s_wait_xcnt 0x0
	v_mov_b32_e32 v0, 0
	global_load_b32 v1, v0, s[16:17] offset:172
	s_wait_loadcnt 0x0
	v_cmp_eq_u32_e32 vcc_lo, 44, v1
	s_cbranch_vccnz .LBB59_402
; %bb.401:
	v_lshlrev_b32_e32 v1, 3, v1
	scratch_load_b64 v[2:3], v1, off offset:-8
	scratch_load_b64 v[124:125], off, off offset:344
	s_wait_loadcnt 0x1
	scratch_store_b64 off, v[2:3], off offset:344
	s_wait_loadcnt 0x0
	scratch_store_b64 v1, v[124:125], off offset:-8
.LBB59_402:
	global_load_b32 v0, v0, s[16:17] offset:168
	s_wait_loadcnt 0x0
	v_cmp_eq_u32_e32 vcc_lo, 43, v0
	s_cbranch_vccnz .LBB59_404
; %bb.403:
	s_wait_xcnt 0x0
	v_lshlrev_b32_e32 v0, 3, v0
	s_delay_alu instid0(VALU_DEP_1)
	v_mov_b32_e32 v124, v0
	scratch_load_b64 v[0:1], v124, off offset:-8
	scratch_load_b64 v[2:3], off, off offset:336
	s_wait_loadcnt 0x1
	scratch_store_b64 off, v[0:1], off offset:336
	s_wait_loadcnt 0x0
	scratch_store_b64 v124, v[2:3], off offset:-8
.LBB59_404:
	s_wait_xcnt 0x0
	v_mov_b32_e32 v0, 0
	global_load_b32 v1, v0, s[16:17] offset:164
	s_wait_loadcnt 0x0
	v_cmp_eq_u32_e32 vcc_lo, 42, v1
	s_cbranch_vccnz .LBB59_406
; %bb.405:
	v_lshlrev_b32_e32 v1, 3, v1
	scratch_load_b64 v[2:3], v1, off offset:-8
	scratch_load_b64 v[124:125], off, off offset:328
	s_wait_loadcnt 0x1
	scratch_store_b64 off, v[2:3], off offset:328
	s_wait_loadcnt 0x0
	scratch_store_b64 v1, v[124:125], off offset:-8
.LBB59_406:
	global_load_b32 v0, v0, s[16:17] offset:160
	s_wait_loadcnt 0x0
	v_cmp_eq_u32_e32 vcc_lo, 41, v0
	s_cbranch_vccnz .LBB59_408
; %bb.407:
	s_wait_xcnt 0x0
	v_lshlrev_b32_e32 v0, 3, v0
	s_delay_alu instid0(VALU_DEP_1)
	v_mov_b32_e32 v124, v0
	scratch_load_b64 v[0:1], v124, off offset:-8
	scratch_load_b64 v[2:3], off, off offset:320
	s_wait_loadcnt 0x1
	scratch_store_b64 off, v[0:1], off offset:320
	s_wait_loadcnt 0x0
	scratch_store_b64 v124, v[2:3], off offset:-8
.LBB59_408:
	s_wait_xcnt 0x0
	v_mov_b32_e32 v0, 0
	global_load_b32 v1, v0, s[16:17] offset:156
	s_wait_loadcnt 0x0
	v_cmp_eq_u32_e32 vcc_lo, 40, v1
	s_cbranch_vccnz .LBB59_410
; %bb.409:
	v_lshlrev_b32_e32 v1, 3, v1
	scratch_load_b64 v[2:3], v1, off offset:-8
	scratch_load_b64 v[124:125], off, off offset:312
	s_wait_loadcnt 0x1
	scratch_store_b64 off, v[2:3], off offset:312
	s_wait_loadcnt 0x0
	scratch_store_b64 v1, v[124:125], off offset:-8
.LBB59_410:
	global_load_b32 v0, v0, s[16:17] offset:152
	s_wait_loadcnt 0x0
	v_cmp_eq_u32_e32 vcc_lo, 39, v0
	s_cbranch_vccnz .LBB59_412
; %bb.411:
	s_wait_xcnt 0x0
	v_lshlrev_b32_e32 v0, 3, v0
	s_delay_alu instid0(VALU_DEP_1)
	v_mov_b32_e32 v124, v0
	scratch_load_b64 v[0:1], v124, off offset:-8
	scratch_load_b64 v[2:3], off, off offset:304
	s_wait_loadcnt 0x1
	scratch_store_b64 off, v[0:1], off offset:304
	s_wait_loadcnt 0x0
	scratch_store_b64 v124, v[2:3], off offset:-8
.LBB59_412:
	s_wait_xcnt 0x0
	v_mov_b32_e32 v0, 0
	global_load_b32 v1, v0, s[16:17] offset:148
	s_wait_loadcnt 0x0
	v_cmp_eq_u32_e32 vcc_lo, 38, v1
	s_cbranch_vccnz .LBB59_414
; %bb.413:
	v_lshlrev_b32_e32 v1, 3, v1
	scratch_load_b64 v[2:3], v1, off offset:-8
	scratch_load_b64 v[124:125], off, off offset:296
	s_wait_loadcnt 0x1
	scratch_store_b64 off, v[2:3], off offset:296
	s_wait_loadcnt 0x0
	scratch_store_b64 v1, v[124:125], off offset:-8
.LBB59_414:
	global_load_b32 v0, v0, s[16:17] offset:144
	s_wait_loadcnt 0x0
	v_cmp_eq_u32_e32 vcc_lo, 37, v0
	s_cbranch_vccnz .LBB59_416
; %bb.415:
	s_wait_xcnt 0x0
	v_lshlrev_b32_e32 v0, 3, v0
	s_delay_alu instid0(VALU_DEP_1)
	v_mov_b32_e32 v124, v0
	scratch_load_b64 v[0:1], v124, off offset:-8
	scratch_load_b64 v[2:3], off, off offset:288
	s_wait_loadcnt 0x1
	scratch_store_b64 off, v[0:1], off offset:288
	s_wait_loadcnt 0x0
	scratch_store_b64 v124, v[2:3], off offset:-8
.LBB59_416:
	s_wait_xcnt 0x0
	v_mov_b32_e32 v0, 0
	global_load_b32 v1, v0, s[16:17] offset:140
	s_wait_loadcnt 0x0
	v_cmp_eq_u32_e32 vcc_lo, 36, v1
	s_cbranch_vccnz .LBB59_418
; %bb.417:
	v_lshlrev_b32_e32 v1, 3, v1
	scratch_load_b64 v[2:3], v1, off offset:-8
	scratch_load_b64 v[124:125], off, off offset:280
	s_wait_loadcnt 0x1
	scratch_store_b64 off, v[2:3], off offset:280
	s_wait_loadcnt 0x0
	scratch_store_b64 v1, v[124:125], off offset:-8
.LBB59_418:
	global_load_b32 v0, v0, s[16:17] offset:136
	s_wait_loadcnt 0x0
	v_cmp_eq_u32_e32 vcc_lo, 35, v0
	s_cbranch_vccnz .LBB59_420
; %bb.419:
	s_wait_xcnt 0x0
	v_lshlrev_b32_e32 v0, 3, v0
	s_delay_alu instid0(VALU_DEP_1)
	v_mov_b32_e32 v124, v0
	scratch_load_b64 v[0:1], v124, off offset:-8
	scratch_load_b64 v[2:3], off, off offset:272
	s_wait_loadcnt 0x1
	scratch_store_b64 off, v[0:1], off offset:272
	s_wait_loadcnt 0x0
	scratch_store_b64 v124, v[2:3], off offset:-8
.LBB59_420:
	s_wait_xcnt 0x0
	v_mov_b32_e32 v0, 0
	global_load_b32 v1, v0, s[16:17] offset:132
	s_wait_loadcnt 0x0
	v_cmp_eq_u32_e32 vcc_lo, 34, v1
	s_cbranch_vccnz .LBB59_422
; %bb.421:
	v_lshlrev_b32_e32 v1, 3, v1
	scratch_load_b64 v[2:3], v1, off offset:-8
	scratch_load_b64 v[124:125], off, off offset:264
	s_wait_loadcnt 0x1
	scratch_store_b64 off, v[2:3], off offset:264
	s_wait_loadcnt 0x0
	scratch_store_b64 v1, v[124:125], off offset:-8
.LBB59_422:
	global_load_b32 v0, v0, s[16:17] offset:128
	s_wait_loadcnt 0x0
	v_cmp_eq_u32_e32 vcc_lo, 33, v0
	s_cbranch_vccnz .LBB59_424
; %bb.423:
	s_wait_xcnt 0x0
	v_lshlrev_b32_e32 v0, 3, v0
	s_delay_alu instid0(VALU_DEP_1)
	v_mov_b32_e32 v124, v0
	scratch_load_b64 v[0:1], v124, off offset:-8
	scratch_load_b64 v[2:3], off, off offset:256
	s_wait_loadcnt 0x1
	scratch_store_b64 off, v[0:1], off offset:256
	s_wait_loadcnt 0x0
	scratch_store_b64 v124, v[2:3], off offset:-8
.LBB59_424:
	s_wait_xcnt 0x0
	v_mov_b32_e32 v0, 0
	global_load_b32 v1, v0, s[16:17] offset:124
	s_wait_loadcnt 0x0
	v_cmp_eq_u32_e32 vcc_lo, 32, v1
	s_cbranch_vccnz .LBB59_426
; %bb.425:
	v_lshlrev_b32_e32 v1, 3, v1
	scratch_load_b64 v[2:3], v1, off offset:-8
	scratch_load_b64 v[124:125], off, off offset:248
	s_wait_loadcnt 0x1
	scratch_store_b64 off, v[2:3], off offset:248
	s_wait_loadcnt 0x0
	scratch_store_b64 v1, v[124:125], off offset:-8
.LBB59_426:
	global_load_b32 v0, v0, s[16:17] offset:120
	s_wait_loadcnt 0x0
	v_cmp_eq_u32_e32 vcc_lo, 31, v0
	s_cbranch_vccnz .LBB59_428
; %bb.427:
	s_wait_xcnt 0x0
	v_lshlrev_b32_e32 v0, 3, v0
	s_delay_alu instid0(VALU_DEP_1)
	v_mov_b32_e32 v124, v0
	scratch_load_b64 v[0:1], v124, off offset:-8
	scratch_load_b64 v[2:3], off, off offset:240
	s_wait_loadcnt 0x1
	scratch_store_b64 off, v[0:1], off offset:240
	s_wait_loadcnt 0x0
	scratch_store_b64 v124, v[2:3], off offset:-8
.LBB59_428:
	s_wait_xcnt 0x0
	v_mov_b32_e32 v0, 0
	global_load_b32 v1, v0, s[16:17] offset:116
	s_wait_loadcnt 0x0
	v_cmp_eq_u32_e32 vcc_lo, 30, v1
	s_cbranch_vccnz .LBB59_430
; %bb.429:
	v_lshlrev_b32_e32 v1, 3, v1
	scratch_load_b64 v[2:3], v1, off offset:-8
	scratch_load_b64 v[124:125], off, off offset:232
	s_wait_loadcnt 0x1
	scratch_store_b64 off, v[2:3], off offset:232
	s_wait_loadcnt 0x0
	scratch_store_b64 v1, v[124:125], off offset:-8
.LBB59_430:
	global_load_b32 v0, v0, s[16:17] offset:112
	s_wait_loadcnt 0x0
	v_cmp_eq_u32_e32 vcc_lo, 29, v0
	s_cbranch_vccnz .LBB59_432
; %bb.431:
	s_wait_xcnt 0x0
	v_lshlrev_b32_e32 v0, 3, v0
	s_delay_alu instid0(VALU_DEP_1)
	v_mov_b32_e32 v124, v0
	scratch_load_b64 v[0:1], v124, off offset:-8
	scratch_load_b64 v[2:3], off, off offset:224
	s_wait_loadcnt 0x1
	scratch_store_b64 off, v[0:1], off offset:224
	s_wait_loadcnt 0x0
	scratch_store_b64 v124, v[2:3], off offset:-8
.LBB59_432:
	s_wait_xcnt 0x0
	v_mov_b32_e32 v0, 0
	global_load_b32 v1, v0, s[16:17] offset:108
	s_wait_loadcnt 0x0
	v_cmp_eq_u32_e32 vcc_lo, 28, v1
	s_cbranch_vccnz .LBB59_434
; %bb.433:
	v_lshlrev_b32_e32 v1, 3, v1
	scratch_load_b64 v[2:3], v1, off offset:-8
	scratch_load_b64 v[124:125], off, off offset:216
	s_wait_loadcnt 0x1
	scratch_store_b64 off, v[2:3], off offset:216
	s_wait_loadcnt 0x0
	scratch_store_b64 v1, v[124:125], off offset:-8
.LBB59_434:
	global_load_b32 v0, v0, s[16:17] offset:104
	s_wait_loadcnt 0x0
	v_cmp_eq_u32_e32 vcc_lo, 27, v0
	s_cbranch_vccnz .LBB59_436
; %bb.435:
	s_wait_xcnt 0x0
	v_lshlrev_b32_e32 v0, 3, v0
	s_delay_alu instid0(VALU_DEP_1)
	v_mov_b32_e32 v124, v0
	scratch_load_b64 v[0:1], v124, off offset:-8
	scratch_load_b64 v[2:3], off, off offset:208
	s_wait_loadcnt 0x1
	scratch_store_b64 off, v[0:1], off offset:208
	s_wait_loadcnt 0x0
	scratch_store_b64 v124, v[2:3], off offset:-8
.LBB59_436:
	s_wait_xcnt 0x0
	v_mov_b32_e32 v0, 0
	global_load_b32 v1, v0, s[16:17] offset:100
	s_wait_loadcnt 0x0
	v_cmp_eq_u32_e32 vcc_lo, 26, v1
	s_cbranch_vccnz .LBB59_438
; %bb.437:
	v_lshlrev_b32_e32 v1, 3, v1
	scratch_load_b64 v[2:3], v1, off offset:-8
	scratch_load_b64 v[124:125], off, off offset:200
	s_wait_loadcnt 0x1
	scratch_store_b64 off, v[2:3], off offset:200
	s_wait_loadcnt 0x0
	scratch_store_b64 v1, v[124:125], off offset:-8
.LBB59_438:
	global_load_b32 v0, v0, s[16:17] offset:96
	s_wait_loadcnt 0x0
	v_cmp_eq_u32_e32 vcc_lo, 25, v0
	s_cbranch_vccnz .LBB59_440
; %bb.439:
	s_wait_xcnt 0x0
	v_lshlrev_b32_e32 v0, 3, v0
	s_delay_alu instid0(VALU_DEP_1)
	v_mov_b32_e32 v124, v0
	scratch_load_b64 v[0:1], v124, off offset:-8
	scratch_load_b64 v[2:3], off, off offset:192
	s_wait_loadcnt 0x1
	scratch_store_b64 off, v[0:1], off offset:192
	s_wait_loadcnt 0x0
	scratch_store_b64 v124, v[2:3], off offset:-8
.LBB59_440:
	s_wait_xcnt 0x0
	v_mov_b32_e32 v0, 0
	global_load_b32 v1, v0, s[16:17] offset:92
	s_wait_loadcnt 0x0
	v_cmp_eq_u32_e32 vcc_lo, 24, v1
	s_cbranch_vccnz .LBB59_442
; %bb.441:
	v_lshlrev_b32_e32 v1, 3, v1
	scratch_load_b64 v[2:3], v1, off offset:-8
	scratch_load_b64 v[124:125], off, off offset:184
	s_wait_loadcnt 0x1
	scratch_store_b64 off, v[2:3], off offset:184
	s_wait_loadcnt 0x0
	scratch_store_b64 v1, v[124:125], off offset:-8
.LBB59_442:
	global_load_b32 v0, v0, s[16:17] offset:88
	s_wait_loadcnt 0x0
	v_cmp_eq_u32_e32 vcc_lo, 23, v0
	s_cbranch_vccnz .LBB59_444
; %bb.443:
	s_wait_xcnt 0x0
	v_lshlrev_b32_e32 v0, 3, v0
	s_delay_alu instid0(VALU_DEP_1)
	v_mov_b32_e32 v124, v0
	scratch_load_b64 v[0:1], v124, off offset:-8
	scratch_load_b64 v[2:3], off, off offset:176
	s_wait_loadcnt 0x1
	scratch_store_b64 off, v[0:1], off offset:176
	s_wait_loadcnt 0x0
	scratch_store_b64 v124, v[2:3], off offset:-8
.LBB59_444:
	s_wait_xcnt 0x0
	v_mov_b32_e32 v0, 0
	global_load_b32 v1, v0, s[16:17] offset:84
	s_wait_loadcnt 0x0
	v_cmp_eq_u32_e32 vcc_lo, 22, v1
	s_cbranch_vccnz .LBB59_446
; %bb.445:
	v_lshlrev_b32_e32 v1, 3, v1
	scratch_load_b64 v[2:3], v1, off offset:-8
	scratch_load_b64 v[124:125], off, off offset:168
	s_wait_loadcnt 0x1
	scratch_store_b64 off, v[2:3], off offset:168
	s_wait_loadcnt 0x0
	scratch_store_b64 v1, v[124:125], off offset:-8
.LBB59_446:
	global_load_b32 v0, v0, s[16:17] offset:80
	s_wait_loadcnt 0x0
	v_cmp_eq_u32_e32 vcc_lo, 21, v0
	s_cbranch_vccnz .LBB59_448
; %bb.447:
	s_wait_xcnt 0x0
	v_lshlrev_b32_e32 v0, 3, v0
	s_delay_alu instid0(VALU_DEP_1)
	v_mov_b32_e32 v124, v0
	scratch_load_b64 v[0:1], v124, off offset:-8
	scratch_load_b64 v[2:3], off, off offset:160
	s_wait_loadcnt 0x1
	scratch_store_b64 off, v[0:1], off offset:160
	s_wait_loadcnt 0x0
	scratch_store_b64 v124, v[2:3], off offset:-8
.LBB59_448:
	s_wait_xcnt 0x0
	v_mov_b32_e32 v0, 0
	global_load_b32 v1, v0, s[16:17] offset:76
	s_wait_loadcnt 0x0
	v_cmp_eq_u32_e32 vcc_lo, 20, v1
	s_cbranch_vccnz .LBB59_450
; %bb.449:
	v_lshlrev_b32_e32 v1, 3, v1
	scratch_load_b64 v[2:3], v1, off offset:-8
	scratch_load_b64 v[124:125], off, off offset:152
	s_wait_loadcnt 0x1
	scratch_store_b64 off, v[2:3], off offset:152
	s_wait_loadcnt 0x0
	scratch_store_b64 v1, v[124:125], off offset:-8
.LBB59_450:
	global_load_b32 v0, v0, s[16:17] offset:72
	s_wait_loadcnt 0x0
	v_cmp_eq_u32_e32 vcc_lo, 19, v0
	s_cbranch_vccnz .LBB59_452
; %bb.451:
	s_wait_xcnt 0x0
	v_lshlrev_b32_e32 v0, 3, v0
	s_delay_alu instid0(VALU_DEP_1)
	v_mov_b32_e32 v124, v0
	scratch_load_b64 v[0:1], v124, off offset:-8
	scratch_load_b64 v[2:3], off, off offset:144
	s_wait_loadcnt 0x1
	scratch_store_b64 off, v[0:1], off offset:144
	s_wait_loadcnt 0x0
	scratch_store_b64 v124, v[2:3], off offset:-8
.LBB59_452:
	s_wait_xcnt 0x0
	v_mov_b32_e32 v0, 0
	global_load_b32 v1, v0, s[16:17] offset:68
	s_wait_loadcnt 0x0
	v_cmp_eq_u32_e32 vcc_lo, 18, v1
	s_cbranch_vccnz .LBB59_454
; %bb.453:
	v_lshlrev_b32_e32 v1, 3, v1
	scratch_load_b64 v[2:3], v1, off offset:-8
	scratch_load_b64 v[124:125], off, off offset:136
	s_wait_loadcnt 0x1
	scratch_store_b64 off, v[2:3], off offset:136
	s_wait_loadcnt 0x0
	scratch_store_b64 v1, v[124:125], off offset:-8
.LBB59_454:
	global_load_b32 v0, v0, s[16:17] offset:64
	s_wait_loadcnt 0x0
	v_cmp_eq_u32_e32 vcc_lo, 17, v0
	s_cbranch_vccnz .LBB59_456
; %bb.455:
	s_wait_xcnt 0x0
	v_lshlrev_b32_e32 v0, 3, v0
	s_delay_alu instid0(VALU_DEP_1)
	v_mov_b32_e32 v124, v0
	scratch_load_b64 v[0:1], v124, off offset:-8
	scratch_load_b64 v[2:3], off, off offset:128
	s_wait_loadcnt 0x1
	scratch_store_b64 off, v[0:1], off offset:128
	s_wait_loadcnt 0x0
	scratch_store_b64 v124, v[2:3], off offset:-8
.LBB59_456:
	s_wait_xcnt 0x0
	v_mov_b32_e32 v0, 0
	global_load_b32 v1, v0, s[16:17] offset:60
	s_wait_loadcnt 0x0
	v_cmp_eq_u32_e32 vcc_lo, 16, v1
	s_cbranch_vccnz .LBB59_458
; %bb.457:
	v_lshlrev_b32_e32 v1, 3, v1
	scratch_load_b64 v[2:3], v1, off offset:-8
	scratch_load_b64 v[124:125], off, off offset:120
	s_wait_loadcnt 0x1
	scratch_store_b64 off, v[2:3], off offset:120
	s_wait_loadcnt 0x0
	scratch_store_b64 v1, v[124:125], off offset:-8
.LBB59_458:
	global_load_b32 v0, v0, s[16:17] offset:56
	s_wait_loadcnt 0x0
	v_cmp_eq_u32_e32 vcc_lo, 15, v0
	s_cbranch_vccnz .LBB59_460
; %bb.459:
	s_wait_xcnt 0x0
	v_lshlrev_b32_e32 v0, 3, v0
	s_delay_alu instid0(VALU_DEP_1)
	v_mov_b32_e32 v124, v0
	scratch_load_b64 v[0:1], v124, off offset:-8
	scratch_load_b64 v[2:3], off, off offset:112
	s_wait_loadcnt 0x1
	scratch_store_b64 off, v[0:1], off offset:112
	s_wait_loadcnt 0x0
	scratch_store_b64 v124, v[2:3], off offset:-8
.LBB59_460:
	s_wait_xcnt 0x0
	v_mov_b32_e32 v0, 0
	global_load_b32 v1, v0, s[16:17] offset:52
	s_wait_loadcnt 0x0
	v_cmp_eq_u32_e32 vcc_lo, 14, v1
	s_cbranch_vccnz .LBB59_462
; %bb.461:
	v_lshlrev_b32_e32 v1, 3, v1
	scratch_load_b64 v[2:3], v1, off offset:-8
	scratch_load_b64 v[124:125], off, off offset:104
	s_wait_loadcnt 0x1
	scratch_store_b64 off, v[2:3], off offset:104
	s_wait_loadcnt 0x0
	scratch_store_b64 v1, v[124:125], off offset:-8
.LBB59_462:
	global_load_b32 v0, v0, s[16:17] offset:48
	s_wait_loadcnt 0x0
	v_cmp_eq_u32_e32 vcc_lo, 13, v0
	s_cbranch_vccnz .LBB59_464
; %bb.463:
	s_wait_xcnt 0x0
	v_lshlrev_b32_e32 v0, 3, v0
	s_delay_alu instid0(VALU_DEP_1)
	v_mov_b32_e32 v124, v0
	scratch_load_b64 v[0:1], v124, off offset:-8
	scratch_load_b64 v[2:3], off, off offset:96
	s_wait_loadcnt 0x1
	scratch_store_b64 off, v[0:1], off offset:96
	s_wait_loadcnt 0x0
	scratch_store_b64 v124, v[2:3], off offset:-8
.LBB59_464:
	s_wait_xcnt 0x0
	v_mov_b32_e32 v0, 0
	global_load_b32 v1, v0, s[16:17] offset:44
	s_wait_loadcnt 0x0
	v_cmp_eq_u32_e32 vcc_lo, 12, v1
	s_cbranch_vccnz .LBB59_466
; %bb.465:
	v_lshlrev_b32_e32 v1, 3, v1
	scratch_load_b64 v[2:3], v1, off offset:-8
	scratch_load_b64 v[124:125], off, off offset:88
	s_wait_loadcnt 0x1
	scratch_store_b64 off, v[2:3], off offset:88
	s_wait_loadcnt 0x0
	scratch_store_b64 v1, v[124:125], off offset:-8
.LBB59_466:
	global_load_b32 v0, v0, s[16:17] offset:40
	s_wait_loadcnt 0x0
	v_cmp_eq_u32_e32 vcc_lo, 11, v0
	s_cbranch_vccnz .LBB59_468
; %bb.467:
	s_wait_xcnt 0x0
	v_lshlrev_b32_e32 v0, 3, v0
	s_delay_alu instid0(VALU_DEP_1)
	v_mov_b32_e32 v124, v0
	scratch_load_b64 v[0:1], v124, off offset:-8
	scratch_load_b64 v[2:3], off, off offset:80
	s_wait_loadcnt 0x1
	scratch_store_b64 off, v[0:1], off offset:80
	s_wait_loadcnt 0x0
	scratch_store_b64 v124, v[2:3], off offset:-8
.LBB59_468:
	s_wait_xcnt 0x0
	v_mov_b32_e32 v0, 0
	global_load_b32 v1, v0, s[16:17] offset:36
	s_wait_loadcnt 0x0
	v_cmp_eq_u32_e32 vcc_lo, 10, v1
	s_cbranch_vccnz .LBB59_470
; %bb.469:
	v_lshlrev_b32_e32 v1, 3, v1
	scratch_load_b64 v[2:3], v1, off offset:-8
	scratch_load_b64 v[124:125], off, off offset:72
	s_wait_loadcnt 0x1
	scratch_store_b64 off, v[2:3], off offset:72
	s_wait_loadcnt 0x0
	scratch_store_b64 v1, v[124:125], off offset:-8
.LBB59_470:
	global_load_b32 v0, v0, s[16:17] offset:32
	s_wait_loadcnt 0x0
	v_cmp_eq_u32_e32 vcc_lo, 9, v0
	s_cbranch_vccnz .LBB59_472
; %bb.471:
	s_wait_xcnt 0x0
	v_lshlrev_b32_e32 v0, 3, v0
	s_delay_alu instid0(VALU_DEP_1)
	v_mov_b32_e32 v124, v0
	scratch_load_b64 v[0:1], v124, off offset:-8
	scratch_load_b64 v[2:3], off, off offset:64
	s_wait_loadcnt 0x1
	scratch_store_b64 off, v[0:1], off offset:64
	s_wait_loadcnt 0x0
	scratch_store_b64 v124, v[2:3], off offset:-8
.LBB59_472:
	s_wait_xcnt 0x0
	v_mov_b32_e32 v0, 0
	global_load_b32 v1, v0, s[16:17] offset:28
	s_wait_loadcnt 0x0
	v_cmp_eq_u32_e32 vcc_lo, 8, v1
	s_cbranch_vccnz .LBB59_474
; %bb.473:
	v_lshlrev_b32_e32 v1, 3, v1
	scratch_load_b64 v[2:3], v1, off offset:-8
	scratch_load_b64 v[124:125], off, off offset:56
	s_wait_loadcnt 0x1
	scratch_store_b64 off, v[2:3], off offset:56
	s_wait_loadcnt 0x0
	scratch_store_b64 v1, v[124:125], off offset:-8
.LBB59_474:
	global_load_b32 v0, v0, s[16:17] offset:24
	s_wait_loadcnt 0x0
	v_cmp_eq_u32_e32 vcc_lo, 7, v0
	s_cbranch_vccnz .LBB59_476
; %bb.475:
	s_wait_xcnt 0x0
	v_lshlrev_b32_e32 v0, 3, v0
	s_delay_alu instid0(VALU_DEP_1)
	v_mov_b32_e32 v124, v0
	scratch_load_b64 v[0:1], v124, off offset:-8
	scratch_load_b64 v[2:3], off, off offset:48
	s_wait_loadcnt 0x1
	scratch_store_b64 off, v[0:1], off offset:48
	s_wait_loadcnt 0x0
	scratch_store_b64 v124, v[2:3], off offset:-8
.LBB59_476:
	s_wait_xcnt 0x0
	v_mov_b32_e32 v0, 0
	global_load_b32 v1, v0, s[16:17] offset:20
	s_wait_loadcnt 0x0
	v_cmp_eq_u32_e32 vcc_lo, 6, v1
	s_cbranch_vccnz .LBB59_478
; %bb.477:
	v_lshlrev_b32_e32 v1, 3, v1
	scratch_load_b64 v[2:3], v1, off offset:-8
	scratch_load_b64 v[124:125], off, off offset:40
	s_wait_loadcnt 0x1
	scratch_store_b64 off, v[2:3], off offset:40
	s_wait_loadcnt 0x0
	scratch_store_b64 v1, v[124:125], off offset:-8
.LBB59_478:
	global_load_b32 v0, v0, s[16:17] offset:16
	s_wait_loadcnt 0x0
	v_cmp_eq_u32_e32 vcc_lo, 5, v0
	s_cbranch_vccnz .LBB59_480
; %bb.479:
	s_wait_xcnt 0x0
	v_lshlrev_b32_e32 v0, 3, v0
	s_delay_alu instid0(VALU_DEP_1)
	v_mov_b32_e32 v124, v0
	scratch_load_b64 v[0:1], v124, off offset:-8
	scratch_load_b64 v[2:3], off, off offset:32
	s_wait_loadcnt 0x1
	scratch_store_b64 off, v[0:1], off offset:32
	s_wait_loadcnt 0x0
	scratch_store_b64 v124, v[2:3], off offset:-8
.LBB59_480:
	s_wait_xcnt 0x0
	v_mov_b32_e32 v0, 0
	global_load_b32 v1, v0, s[16:17] offset:12
	s_wait_loadcnt 0x0
	v_cmp_eq_u32_e32 vcc_lo, 4, v1
	s_cbranch_vccnz .LBB59_482
; %bb.481:
	v_lshlrev_b32_e32 v1, 3, v1
	scratch_load_b64 v[2:3], v1, off offset:-8
	scratch_load_b64 v[124:125], off, off offset:24
	s_wait_loadcnt 0x1
	scratch_store_b64 off, v[2:3], off offset:24
	s_wait_loadcnt 0x0
	scratch_store_b64 v1, v[124:125], off offset:-8
.LBB59_482:
	global_load_b32 v0, v0, s[16:17] offset:8
	s_wait_loadcnt 0x0
	v_cmp_eq_u32_e32 vcc_lo, 3, v0
	s_cbranch_vccnz .LBB59_484
; %bb.483:
	s_wait_xcnt 0x0
	v_lshlrev_b32_e32 v0, 3, v0
	s_delay_alu instid0(VALU_DEP_1)
	v_mov_b32_e32 v124, v0
	scratch_load_b64 v[0:1], v124, off offset:-8
	scratch_load_b64 v[2:3], off, off offset:16
	s_wait_loadcnt 0x1
	scratch_store_b64 off, v[0:1], off offset:16
	s_wait_loadcnt 0x0
	scratch_store_b64 v124, v[2:3], off offset:-8
.LBB59_484:
	s_wait_xcnt 0x0
	v_mov_b32_e32 v0, 0
	global_load_b32 v1, v0, s[16:17] offset:4
	s_wait_loadcnt 0x0
	v_cmp_eq_u32_e32 vcc_lo, 2, v1
	s_cbranch_vccnz .LBB59_486
; %bb.485:
	v_lshlrev_b32_e32 v1, 3, v1
	scratch_load_b64 v[2:3], v1, off offset:-8
	scratch_load_b64 v[124:125], off, off offset:8
	s_wait_loadcnt 0x1
	scratch_store_b64 off, v[2:3], off offset:8
	s_wait_loadcnt 0x0
	scratch_store_b64 v1, v[124:125], off offset:-8
.LBB59_486:
	global_load_b32 v0, v0, s[16:17]
	scratch_load_b64 v[158:159], off, off
	s_wait_loadcnt 0x1
	v_cmp_eq_u32_e32 vcc_lo, 1, v0
	s_cbranch_vccnz .LBB59_488
; %bb.487:
	s_wait_xcnt 0x1
	v_lshlrev_b32_e32 v0, 3, v0
	s_delay_alu instid0(VALU_DEP_1)
	v_mov_b32_e32 v2, v0
	scratch_load_b64 v[0:1], v2, off offset:-8
	s_wait_loadcnt 0x0
	scratch_store_b64 off, v[0:1], off
	scratch_store_b64 v2, v[158:159], off offset:-8
	scratch_load_b64 v[158:159], off, off
.LBB59_488:
	v_lshl_add_u64 v[162:163], v[8:9], 3, s[2:3]
	v_lshl_add_u64 v[160:161], v[10:11], 3, s[2:3]
	;; [unrolled: 1-line block ×14, first 2 shown]
	s_wait_xcnt 0x1
	v_lshl_add_u64 v[0:1], v[46:47], 3, s[2:3]
	v_lshl_add_u64 v[2:3], v[48:49], 3, s[2:3]
	;; [unrolled: 1-line block ×29, first 2 shown]
	s_clause 0x7
	scratch_load_b128 v[82:85], off, off offset:8
	scratch_load_b128 v[86:89], off, off offset:24
	;; [unrolled: 1-line block ×8, first 2 shown]
	v_lshl_add_u64 v[138:139], v[30:31], 3, s[2:3]
	v_lshl_add_u64 v[136:137], v[32:33], 3, s[2:3]
	;; [unrolled: 1-line block ×6, first 2 shown]
	s_wait_loadcnt 0x8
	global_store_b64 v[4:5], v[158:159], off
	scratch_load_b128 v[114:117], off, off offset:136
	v_lshl_add_u64 v[134:135], v[34:35], 3, s[2:3]
	v_lshl_add_u64 v[132:133], v[36:37], 3, s[2:3]
	;; [unrolled: 1-line block ×9, first 2 shown]
	scratch_load_b128 v[118:121], off, off offset:184
	s_wait_loadcnt 0x9
	global_store_b64 v[6:7], v[82:83], off
	scratch_load_b128 v[4:7], off, off offset:152
	global_store_b64 v[162:163], v[84:85], off
	s_wait_loadcnt 0x9
	s_clause 0x1
	global_store_b64 v[160:161], v[86:87], off
	global_store_b64 v[156:157], v[88:89], off
	s_wait_loadcnt 0x8
	s_clause 0x1
	global_store_b64 v[154:155], v[90:91], off
	;; [unrolled: 4-line block ×8, first 2 shown]
	global_store_b64 v[128:129], v[116:117], off
	s_clause 0xf
	scratch_load_b128 v[82:85], off, off offset:168
	scratch_load_b128 v[86:89], off, off offset:200
	;; [unrolled: 1-line block ×16, first 2 shown]
	s_wait_loadcnt 0x10
	s_clause 0x1
	global_store_b64 v[126:127], v[4:5], off
	global_store_b64 v[124:125], v[6:7], off
	s_clause 0x2
	scratch_load_b128 v[126:129], off, off offset:440
	scratch_load_b128 v[4:7], off, off offset:456
	scratch_load_b64 v[122:123], off, off offset:472
	s_wait_loadcnt 0x12
	s_clause 0x3
	global_store_b64 v[0:1], v[82:83], off
	global_store_b64 v[2:3], v[84:85], off
	;; [unrolled: 1-line block ×4, first 2 shown]
	s_wait_loadcnt 0x11
	s_clause 0x1
	global_store_b64 v[12:13], v[86:87], off
	global_store_b64 v[14:15], v[88:89], off
	s_wait_loadcnt 0x10
	s_clause 0x1
	global_store_b64 v[16:17], v[154:155], off
	global_store_b64 v[18:19], v[156:157], off
	;; [unrolled: 4-line block ×17, first 2 shown]
	s_wait_loadcnt 0x0
	global_store_b64 v[80:81], v[122:123], off
	s_sendmsg sendmsg(MSG_DEALLOC_VGPRS)
	s_endpgm
	.section	.rodata,"a",@progbits
	.p2align	6, 0x0
	.amdhsa_kernel _ZN9rocsolver6v33100L18getri_kernel_smallILi60EdPdEEvT1_iilPiilS4_bb
		.amdhsa_group_segment_fixed_size 968
		.amdhsa_private_segment_fixed_size 496
		.amdhsa_kernarg_size 60
		.amdhsa_user_sgpr_count 2
		.amdhsa_user_sgpr_dispatch_ptr 0
		.amdhsa_user_sgpr_queue_ptr 0
		.amdhsa_user_sgpr_kernarg_segment_ptr 1
		.amdhsa_user_sgpr_dispatch_id 0
		.amdhsa_user_sgpr_kernarg_preload_length 0
		.amdhsa_user_sgpr_kernarg_preload_offset 0
		.amdhsa_user_sgpr_private_segment_size 0
		.amdhsa_wavefront_size32 1
		.amdhsa_uses_dynamic_stack 0
		.amdhsa_enable_private_segment 1
		.amdhsa_system_sgpr_workgroup_id_x 1
		.amdhsa_system_sgpr_workgroup_id_y 0
		.amdhsa_system_sgpr_workgroup_id_z 0
		.amdhsa_system_sgpr_workgroup_info 0
		.amdhsa_system_vgpr_workitem_id 0
		.amdhsa_next_free_vgpr 176
		.amdhsa_next_free_sgpr 21
		.amdhsa_named_barrier_count 0
		.amdhsa_reserve_vcc 1
		.amdhsa_float_round_mode_32 0
		.amdhsa_float_round_mode_16_64 0
		.amdhsa_float_denorm_mode_32 3
		.amdhsa_float_denorm_mode_16_64 3
		.amdhsa_fp16_overflow 0
		.amdhsa_memory_ordered 1
		.amdhsa_forward_progress 1
		.amdhsa_inst_pref_size 255
		.amdhsa_round_robin_scheduling 0
		.amdhsa_exception_fp_ieee_invalid_op 0
		.amdhsa_exception_fp_denorm_src 0
		.amdhsa_exception_fp_ieee_div_zero 0
		.amdhsa_exception_fp_ieee_overflow 0
		.amdhsa_exception_fp_ieee_underflow 0
		.amdhsa_exception_fp_ieee_inexact 0
		.amdhsa_exception_int_div_zero 0
	.end_amdhsa_kernel
	.section	.text._ZN9rocsolver6v33100L18getri_kernel_smallILi60EdPdEEvT1_iilPiilS4_bb,"axG",@progbits,_ZN9rocsolver6v33100L18getri_kernel_smallILi60EdPdEEvT1_iilPiilS4_bb,comdat
.Lfunc_end59:
	.size	_ZN9rocsolver6v33100L18getri_kernel_smallILi60EdPdEEvT1_iilPiilS4_bb, .Lfunc_end59-_ZN9rocsolver6v33100L18getri_kernel_smallILi60EdPdEEvT1_iilPiilS4_bb
                                        ; -- End function
	.set _ZN9rocsolver6v33100L18getri_kernel_smallILi60EdPdEEvT1_iilPiilS4_bb.num_vgpr, 176
	.set _ZN9rocsolver6v33100L18getri_kernel_smallILi60EdPdEEvT1_iilPiilS4_bb.num_agpr, 0
	.set _ZN9rocsolver6v33100L18getri_kernel_smallILi60EdPdEEvT1_iilPiilS4_bb.numbered_sgpr, 21
	.set _ZN9rocsolver6v33100L18getri_kernel_smallILi60EdPdEEvT1_iilPiilS4_bb.num_named_barrier, 0
	.set _ZN9rocsolver6v33100L18getri_kernel_smallILi60EdPdEEvT1_iilPiilS4_bb.private_seg_size, 496
	.set _ZN9rocsolver6v33100L18getri_kernel_smallILi60EdPdEEvT1_iilPiilS4_bb.uses_vcc, 1
	.set _ZN9rocsolver6v33100L18getri_kernel_smallILi60EdPdEEvT1_iilPiilS4_bb.uses_flat_scratch, 1
	.set _ZN9rocsolver6v33100L18getri_kernel_smallILi60EdPdEEvT1_iilPiilS4_bb.has_dyn_sized_stack, 0
	.set _ZN9rocsolver6v33100L18getri_kernel_smallILi60EdPdEEvT1_iilPiilS4_bb.has_recursion, 0
	.set _ZN9rocsolver6v33100L18getri_kernel_smallILi60EdPdEEvT1_iilPiilS4_bb.has_indirect_call, 0
	.section	.AMDGPU.csdata,"",@progbits
; Kernel info:
; codeLenInByte = 62792
; TotalNumSgprs: 23
; NumVgprs: 176
; ScratchSize: 496
; MemoryBound: 0
; FloatMode: 240
; IeeeMode: 1
; LDSByteSize: 968 bytes/workgroup (compile time only)
; SGPRBlocks: 0
; VGPRBlocks: 10
; NumSGPRsForWavesPerEU: 23
; NumVGPRsForWavesPerEU: 176
; NamedBarCnt: 0
; Occupancy: 5
; WaveLimiterHint : 1
; COMPUTE_PGM_RSRC2:SCRATCH_EN: 1
; COMPUTE_PGM_RSRC2:USER_SGPR: 2
; COMPUTE_PGM_RSRC2:TRAP_HANDLER: 0
; COMPUTE_PGM_RSRC2:TGID_X_EN: 1
; COMPUTE_PGM_RSRC2:TGID_Y_EN: 0
; COMPUTE_PGM_RSRC2:TGID_Z_EN: 0
; COMPUTE_PGM_RSRC2:TIDIG_COMP_CNT: 0
	.section	.text._ZN9rocsolver6v33100L18getri_kernel_smallILi61EdPdEEvT1_iilPiilS4_bb,"axG",@progbits,_ZN9rocsolver6v33100L18getri_kernel_smallILi61EdPdEEvT1_iilPiilS4_bb,comdat
	.globl	_ZN9rocsolver6v33100L18getri_kernel_smallILi61EdPdEEvT1_iilPiilS4_bb ; -- Begin function _ZN9rocsolver6v33100L18getri_kernel_smallILi61EdPdEEvT1_iilPiilS4_bb
	.p2align	8
	.type	_ZN9rocsolver6v33100L18getri_kernel_smallILi61EdPdEEvT1_iilPiilS4_bb,@function
_ZN9rocsolver6v33100L18getri_kernel_smallILi61EdPdEEvT1_iilPiilS4_bb: ; @_ZN9rocsolver6v33100L18getri_kernel_smallILi61EdPdEEvT1_iilPiilS4_bb
; %bb.0:
	s_mov_b32 s2, exec_lo
	v_cmpx_gt_u32_e32 61, v0
	s_cbranch_execz .LBB60_254
; %bb.1:
	s_clause 0x2
	s_load_b32 s2, s[0:1], 0x38
	s_load_b128 s[12:15], s[0:1], 0x10
	s_load_b128 s[4:7], s[0:1], 0x28
	s_getreg_b32 s9, hwreg(HW_REG_IB_STS2, 6, 4)
	s_wait_kmcnt 0x0
	s_bitcmp1_b32 s2, 8
	s_cselect_b32 s18, -1, 0
	s_bfe_u32 s3, ttmp6, 0x4000c
	s_and_b32 s8, ttmp6, 15
	s_add_co_i32 s3, s3, 1
	s_delay_alu instid0(SALU_CYCLE_1) | instskip(NEXT) | instid1(SALU_CYCLE_1)
	s_mul_i32 s3, ttmp9, s3
	s_add_co_i32 s8, s8, s3
	s_cmp_eq_u32 s9, 0
	s_cselect_b32 s16, ttmp9, s8
	s_bfe_u32 s2, s2, 0x10008
	s_ashr_i32 s17, s16, 31
	s_cmp_eq_u32 s2, 0
                                        ; implicit-def: $sgpr2_sgpr3
	s_cbranch_scc1 .LBB60_3
; %bb.2:
	s_load_b32 s2, s[0:1], 0x20
	s_mul_u64 s[4:5], s[4:5], s[16:17]
	s_delay_alu instid0(SALU_CYCLE_1) | instskip(NEXT) | instid1(SALU_CYCLE_1)
	s_lshl_b64 s[4:5], s[4:5], 2
	s_add_nc_u64 s[4:5], s[14:15], s[4:5]
	s_wait_kmcnt 0x0
	s_ashr_i32 s3, s2, 31
	s_delay_alu instid0(SALU_CYCLE_1) | instskip(NEXT) | instid1(SALU_CYCLE_1)
	s_lshl_b64 s[2:3], s[2:3], 2
	s_add_nc_u64 s[2:3], s[4:5], s[2:3]
.LBB60_3:
	s_clause 0x1
	s_load_b128 s[8:11], s[0:1], 0x0
	s_load_b32 s14, s[0:1], 0x38
	s_wait_xcnt 0x0
	s_mul_u64 s[0:1], s[12:13], s[16:17]
	v_mov_b32_e32 v3, 0
	s_lshl_b64 s[0:1], s[0:1], 3
	s_wait_kmcnt 0x0
	v_add3_u32 v8, s11, s11, v0
	s_ashr_i32 s5, s10, 31
	s_mov_b32 s4, s10
	s_add_nc_u64 s[0:1], s[8:9], s[0:1]
	s_lshl_b64 s[4:5], s[4:5], 3
	v_add_nc_u32_e32 v10, s11, v8
	s_add_nc_u64 s[4:5], s[0:1], s[4:5]
	s_ashr_i32 s1, s11, 31
	s_mov_b32 s0, s11
	s_bitcmp0_b32 s14, 0
	v_add_nc_u32_e32 v12, s11, v10
	s_delay_alu instid0(VALU_DEP_1) | instskip(NEXT) | instid1(VALU_DEP_1)
	v_add_nc_u32_e32 v14, s11, v12
	v_add_nc_u32_e32 v16, s11, v14
	s_delay_alu instid0(VALU_DEP_1) | instskip(NEXT) | instid1(VALU_DEP_1)
	v_add_nc_u32_e32 v18, s11, v16
	v_dual_lshlrev_b32 v2, 3, v0 :: v_dual_add_nc_u32 v20, s11, v18
	s_delay_alu instid0(VALU_DEP_1) | instskip(NEXT) | instid1(VALU_DEP_2)
	v_add_nc_u64_e32 v[4:5], s[4:5], v[2:3]
	v_add_nc_u32_e32 v22, s11, v20
	s_delay_alu instid0(VALU_DEP_2) | instskip(SKIP_1) | instid1(VALU_DEP_2)
	v_lshl_add_u64 v[6:7], s[0:1], 3, v[4:5]
	s_mov_b32 s1, -1
	v_add_nc_u32_e32 v24, s11, v22
	s_clause 0x5
	global_load_b64 v[90:91], v0, s[4:5] scale_offset
	global_load_b64 v[92:93], v[6:7], off
	global_load_b64 v[94:95], v8, s[4:5] scale_offset
	global_load_b64 v[96:97], v10, s[4:5] scale_offset
	;; [unrolled: 1-line block ×4, first 2 shown]
	v_add_nc_u32_e32 v26, s11, v24
	s_delay_alu instid0(VALU_DEP_1) | instskip(NEXT) | instid1(VALU_DEP_1)
	v_add_nc_u32_e32 v28, s11, v26
	v_add_nc_u32_e32 v30, s11, v28
	s_delay_alu instid0(VALU_DEP_1)
	v_add_nc_u32_e32 v32, s11, v30
	s_clause 0x5
	global_load_b64 v[102:103], v16, s[4:5] scale_offset
	global_load_b64 v[104:105], v18, s[4:5] scale_offset
	global_load_b64 v[106:107], v20, s[4:5] scale_offset
	global_load_b64 v[108:109], v22, s[4:5] scale_offset
	global_load_b64 v[110:111], v24, s[4:5] scale_offset
	global_load_b64 v[112:113], v26, s[4:5] scale_offset
	v_add_nc_u32_e32 v34, s11, v32
	s_delay_alu instid0(VALU_DEP_1) | instskip(NEXT) | instid1(VALU_DEP_1)
	v_add_nc_u32_e32 v36, s11, v34
	v_add_nc_u32_e32 v38, s11, v36
	s_delay_alu instid0(VALU_DEP_1)
	v_add_nc_u32_e32 v40, s11, v38
	s_clause 0x3
	global_load_b64 v[114:115], v28, s[4:5] scale_offset
	global_load_b64 v[116:117], v30, s[4:5] scale_offset
	;; [unrolled: 1-line block ×4, first 2 shown]
	v_add_nc_u32_e32 v42, s11, v40
	s_delay_alu instid0(VALU_DEP_1)
	v_add_nc_u32_e32 v44, s11, v42
	s_clause 0x3
	global_load_b64 v[122:123], v36, s[4:5] scale_offset
	global_load_b64 v[124:125], v38, s[4:5] scale_offset
	;; [unrolled: 1-line block ×4, first 2 shown]
	v_add_nc_u32_e32 v46, s11, v44
	s_delay_alu instid0(VALU_DEP_1) | instskip(NEXT) | instid1(VALU_DEP_1)
	v_add_nc_u32_e32 v48, s11, v46
	v_add_nc_u32_e32 v50, s11, v48
	s_delay_alu instid0(VALU_DEP_1) | instskip(SKIP_4) | instid1(VALU_DEP_1)
	v_add_nc_u32_e32 v52, s11, v50
	s_clause 0x1
	global_load_b64 v[130:131], v44, s[4:5] scale_offset
	global_load_b64 v[132:133], v46, s[4:5] scale_offset
	v_add_nc_u32_e32 v54, s11, v52
	v_add_nc_u32_e32 v56, s11, v54
	s_clause 0x3
	global_load_b64 v[134:135], v48, s[4:5] scale_offset
	global_load_b64 v[136:137], v50, s[4:5] scale_offset
	;; [unrolled: 1-line block ×4, first 2 shown]
	v_add_nc_u32_e32 v58, s11, v56
	s_delay_alu instid0(VALU_DEP_1) | instskip(NEXT) | instid1(VALU_DEP_1)
	v_add_nc_u32_e32 v60, s11, v58
	v_add_nc_u32_e32 v62, s11, v60
	s_delay_alu instid0(VALU_DEP_1) | instskip(NEXT) | instid1(VALU_DEP_1)
	v_add_nc_u32_e32 v64, s11, v62
	v_add_nc_u32_e32 v66, s11, v64
	s_delay_alu instid0(VALU_DEP_1)
	v_add_nc_u32_e32 v68, s11, v66
	s_clause 0x3
	global_load_b64 v[142:143], v56, s[4:5] scale_offset
	global_load_b64 v[144:145], v58, s[4:5] scale_offset
	;; [unrolled: 1-line block ×4, first 2 shown]
	v_add_nc_u32_e32 v70, s11, v68
	s_delay_alu instid0(VALU_DEP_1) | instskip(NEXT) | instid1(VALU_DEP_1)
	v_add_nc_u32_e32 v72, s11, v70
	v_add_nc_u32_e32 v74, s11, v72
	s_delay_alu instid0(VALU_DEP_1) | instskip(NEXT) | instid1(VALU_DEP_1)
	v_add_nc_u32_e32 v76, s11, v74
	;; [unrolled: 3-line block ×4, first 2 shown]
	v_add_nc_u32_e32 v86, s11, v84
	s_delay_alu instid0(VALU_DEP_1)
	v_add_nc_u32_e32 v88, s11, v86
	s_wait_loadcnt 0x1c
	scratch_store_b128 off, v[90:93], off
	s_wait_xcnt 0x0
	v_add_nc_u32_e32 v90, s11, v88
	s_clause 0x3
	global_load_b64 v[150:151], v64, s[4:5] scale_offset
	global_load_b64 v[152:153], v66, s[4:5] scale_offset
	;; [unrolled: 1-line block ×4, first 2 shown]
	s_wait_loadcnt 0x1e
	scratch_store_b128 off, v[94:97], off offset:16
	s_wait_loadcnt 0x1c
	scratch_store_b128 off, v[98:101], off offset:32
	s_clause 0x3
	global_load_b64 v[158:159], v72, s[4:5] scale_offset
	global_load_b64 v[160:161], v74, s[4:5] scale_offset
	;; [unrolled: 1-line block ×4, first 2 shown]
	v_add_nc_u32_e32 v92, s11, v90
	s_wait_xcnt 0x5
	s_delay_alu instid0(VALU_DEP_1)
	v_add_nc_u32_e32 v94, s11, v92
	s_wait_loadcnt 0x1e
	scratch_store_b128 off, v[102:105], off offset:48
	v_add_nc_u32_e32 v96, s11, v94
	s_wait_loadcnt 0x1c
	scratch_store_b128 off, v[106:109], off offset:64
	s_wait_loadcnt 0x1a
	scratch_store_b128 off, v[110:113], off offset:80
	s_clause 0x3
	global_load_b64 v[166:167], v80, s[4:5] scale_offset
	global_load_b64 v[168:169], v82, s[4:5] scale_offset
	;; [unrolled: 1-line block ×4, first 2 shown]
	s_wait_xcnt 0xb
	v_add_nc_u32_e32 v98, s11, v96
	s_wait_loadcnt 0x1c
	scratch_store_b128 off, v[114:117], off offset:96
	s_wait_loadcnt 0x1a
	scratch_store_b128 off, v[118:121], off offset:112
	v_add_nc_u32_e32 v100, s11, v98
	s_clause 0x3
	global_load_b64 v[174:175], v88, s[4:5] scale_offset
	global_load_b64 v[176:177], v90, s[4:5] scale_offset
	;; [unrolled: 1-line block ×4, first 2 shown]
	s_wait_xcnt 0xc
	v_add_nc_u32_e32 v102, s11, v100
	s_wait_loadcnt 0x1c
	scratch_store_b128 off, v[122:125], off offset:128
	s_wait_loadcnt 0x1a
	scratch_store_b128 off, v[126:129], off offset:144
	v_add_nc_u32_e32 v104, s11, v102
	s_wait_xcnt 0xd
	s_delay_alu instid0(VALU_DEP_1) | instskip(NEXT) | instid1(VALU_DEP_1)
	v_add_nc_u32_e32 v106, s11, v104
	v_add_nc_u32_e32 v108, s11, v106
	s_wait_xcnt 0xc
	s_delay_alu instid0(VALU_DEP_1) | instskip(SKIP_4) | instid1(VALU_DEP_1)
	v_add_nc_u32_e32 v110, s11, v108
	s_wait_loadcnt 0x18
	scratch_store_b128 off, v[130:133], off offset:160
	v_add_nc_u32_e32 v112, s11, v110
	s_wait_xcnt 0x8
	v_add_nc_u32_e32 v114, s11, v112
	s_wait_loadcnt 0x16
	scratch_store_b128 off, v[134:137], off offset:176
	s_wait_loadcnt 0x14
	scratch_store_b128 off, v[138:141], off offset:192
	v_add_nc_u32_e32 v116, s11, v114
	s_wait_xcnt 0x9
	s_delay_alu instid0(VALU_DEP_1) | instskip(NEXT) | instid1(VALU_DEP_1)
	v_add_nc_u32_e32 v118, s11, v116
	v_add_nc_u32_e32 v120, s11, v118
	s_wait_xcnt 0x4
	s_delay_alu instid0(VALU_DEP_1) | instskip(NEXT) | instid1(VALU_DEP_1)
	v_add_nc_u32_e32 v122, s11, v120
	v_add_nc_u32_e32 v124, s11, v122
	s_wait_loadcnt 0x12
	scratch_store_b128 off, v[142:145], off offset:208
	s_wait_loadcnt 0x10
	scratch_store_b128 off, v[146:149], off offset:224
	s_wait_loadcnt 0xe
	scratch_store_b128 off, v[150:153], off offset:240
	s_clause 0x3
	global_load_b64 v[126:127], v96, s[4:5] scale_offset
	global_load_b64 v[128:129], v98, s[4:5] scale_offset
	;; [unrolled: 1-line block ×4, first 2 shown]
	s_wait_loadcnt 0x10
	scratch_store_b128 off, v[154:157], off offset:256
	s_wait_loadcnt 0xe
	scratch_store_b128 off, v[158:161], off offset:272
	;; [unrolled: 2-line block ×3, first 2 shown]
	s_clause 0x3
	global_load_b64 v[134:135], v104, s[4:5] scale_offset
	global_load_b64 v[136:137], v106, s[4:5] scale_offset
	;; [unrolled: 1-line block ×4, first 2 shown]
	s_wait_loadcnt 0xe
	scratch_store_b128 off, v[166:169], off offset:304
	s_wait_loadcnt 0xc
	scratch_store_b128 off, v[170:173], off offset:320
	s_clause 0x3
	global_load_b64 v[142:143], v112, s[4:5] scale_offset
	global_load_b64 v[144:145], v114, s[4:5] scale_offset
	;; [unrolled: 1-line block ×4, first 2 shown]
	s_wait_loadcnt 0xe
	scratch_store_b128 off, v[174:177], off offset:336
	s_wait_loadcnt 0xc
	scratch_store_b128 off, v[178:181], off offset:352
	s_clause 0x2
	global_load_b64 v[150:151], v120, s[4:5] scale_offset
	global_load_b64 v[152:153], v122, s[4:5] scale_offset
	;; [unrolled: 1-line block ×3, first 2 shown]
	s_wait_loadcnt 0xd
	scratch_store_b128 off, v[126:129], off offset:368
	s_wait_loadcnt 0xb
	scratch_store_b128 off, v[130:133], off offset:384
	;; [unrolled: 2-line block ×7, first 2 shown]
	s_wait_loadcnt 0x0
	scratch_store_b64 off, v[154:155], off offset:480
	s_cbranch_scc1 .LBB60_252
; %bb.4:
	v_cmp_eq_u32_e64 s0, 0, v0
	s_wait_xcnt 0x0
	s_and_saveexec_b32 s1, s0
; %bb.5:
	v_mov_b32_e32 v1, 0
	ds_store_b32 v1, v1 offset:488
; %bb.6:
	s_or_b32 exec_lo, exec_lo, s1
	s_wait_storecnt_dscnt 0x0
	s_barrier_signal -1
	s_barrier_wait -1
	scratch_load_b64 v[126:127], v0, off scale_offset
	s_mov_b32 s8, exec_lo
	s_wait_loadcnt 0x0
	v_cmpx_eq_f64_e32 0, v[126:127]
	s_cbranch_execz .LBB60_10
; %bb.7:
	v_mov_b32_e32 v1, 0
	s_mov_b32 s9, 0
	ds_load_b32 v3, v1 offset:488
	s_wait_dscnt 0x0
	v_readfirstlane_b32 s1, v3
	v_add_nc_u32_e32 v3, 1, v0
	s_cmp_eq_u32 s1, 0
	s_delay_alu instid0(VALU_DEP_1) | instskip(SKIP_1) | instid1(SALU_CYCLE_1)
	v_cmp_gt_i32_e32 vcc_lo, s1, v3
	s_cselect_b32 s10, -1, 0
	s_or_b32 s10, s10, vcc_lo
	s_delay_alu instid0(SALU_CYCLE_1)
	s_and_b32 exec_lo, exec_lo, s10
	s_cbranch_execz .LBB60_10
; %bb.8:
	v_mov_b32_e32 v9, s1
.LBB60_9:                               ; =>This Inner Loop Header: Depth=1
	ds_cmpstore_rtn_b32 v9, v1, v3, v9 offset:488
	s_wait_dscnt 0x0
	v_cmp_ne_u32_e32 vcc_lo, 0, v9
	v_cmp_le_i32_e64 s1, v9, v3
	s_and_b32 s1, vcc_lo, s1
	s_delay_alu instid0(SALU_CYCLE_1) | instskip(NEXT) | instid1(SALU_CYCLE_1)
	s_and_b32 s1, exec_lo, s1
	s_or_b32 s9, s1, s9
	s_delay_alu instid0(SALU_CYCLE_1)
	s_and_not1_b32 exec_lo, exec_lo, s9
	s_cbranch_execnz .LBB60_9
.LBB60_10:
	s_or_b32 exec_lo, exec_lo, s8
	v_mov_b32_e32 v1, 0
	s_barrier_signal -1
	s_barrier_wait -1
	ds_load_b32 v3, v1 offset:488
	s_and_saveexec_b32 s1, s0
	s_cbranch_execz .LBB60_12
; %bb.11:
	s_lshl_b64 s[8:9], s[16:17], 2
	s_delay_alu instid0(SALU_CYCLE_1)
	s_add_nc_u64 s[8:9], s[6:7], s[8:9]
	s_wait_dscnt 0x0
	global_store_b32 v1, v3, s[8:9]
.LBB60_12:
	s_wait_xcnt 0x0
	s_or_b32 exec_lo, exec_lo, s1
	s_wait_dscnt 0x0
	v_cmp_ne_u32_e32 vcc_lo, 0, v3
	s_mov_b32 s1, 0
	s_cbranch_vccnz .LBB60_252
; %bb.13:
	v_lshl_add_u32 v3, v0, 3, 0
	v_add_nc_u32_e32 v1, 0x1f0, v2
	scratch_load_b64 v[126:127], v3, off
	s_wait_loadcnt 0x0
	v_div_scale_f64 v[128:129], null, v[126:127], v[126:127], 1.0
	v_div_scale_f64 v[134:135], vcc_lo, 1.0, v[126:127], 1.0
	s_delay_alu instid0(VALU_DEP_2) | instskip(SKIP_1) | instid1(TRANS32_DEP_1)
	v_rcp_f64_e32 v[130:131], v[128:129]
	v_nop
	v_fma_f64 v[132:133], -v[128:129], v[130:131], 1.0
	s_delay_alu instid0(VALU_DEP_1) | instskip(NEXT) | instid1(VALU_DEP_1)
	v_fmac_f64_e32 v[130:131], v[130:131], v[132:133]
	v_fma_f64 v[132:133], -v[128:129], v[130:131], 1.0
	s_delay_alu instid0(VALU_DEP_1) | instskip(NEXT) | instid1(VALU_DEP_1)
	v_fmac_f64_e32 v[130:131], v[130:131], v[132:133]
	v_mul_f64_e32 v[132:133], v[134:135], v[130:131]
	s_delay_alu instid0(VALU_DEP_1) | instskip(NEXT) | instid1(VALU_DEP_1)
	v_fma_f64 v[128:129], -v[128:129], v[132:133], v[134:135]
	v_div_fmas_f64 v[128:129], v[128:129], v[130:131], v[132:133]
	s_delay_alu instid0(VALU_DEP_1)
	v_div_fixup_f64 v[126:127], v[128:129], v[126:127], 1.0
	scratch_store_b64 v3, v[126:127], off
	scratch_load_b64 v[128:129], off, off offset:8
	s_wait_xcnt 0x1
	v_xor_b32_e32 v127, 0x80000000, v127
	s_wait_loadcnt 0x0
	ds_store_2addr_b64 v2, v[126:127], v[128:129] offset1:62
	s_wait_storecnt_dscnt 0x0
	s_barrier_signal -1
	s_barrier_wait -1
	s_wait_xcnt 0x0
	s_and_saveexec_b32 s1, s0
	s_cbranch_execz .LBB60_15
; %bb.14:
	scratch_load_b64 v[126:127], v3, off
	ds_load_b64 v[128:129], v1
	s_wait_loadcnt_dscnt 0x0
	v_fma_f64 v[126:127], v[126:127], v[128:129], 0
	v_mov_b32_e32 v9, 0
	ds_load_b64 v[130:131], v9 offset:8
	s_wait_dscnt 0x0
	v_mul_f64_e32 v[126:127], v[126:127], v[130:131]
	scratch_store_b64 off, v[126:127], off offset:8
.LBB60_15:
	s_wait_xcnt 0x0
	s_or_b32 exec_lo, exec_lo, s1
	s_wait_storecnt 0x0
	s_barrier_signal -1
	s_barrier_wait -1
	scratch_load_b64 v[126:127], off, off offset:16
	s_mov_b32 s1, exec_lo
	s_wait_loadcnt 0x0
	ds_store_b64 v1, v[126:127]
	s_wait_dscnt 0x0
	s_barrier_signal -1
	s_barrier_wait -1
	v_cmpx_gt_u32_e32 2, v0
	s_cbranch_execz .LBB60_19
; %bb.16:
	scratch_load_b64 v[126:127], v3, off
	ds_load_b64 v[128:129], v1
	s_wait_loadcnt_dscnt 0x0
	v_fma_f64 v[126:127], v[126:127], v[128:129], 0
	s_and_saveexec_b32 s8, s0
	s_cbranch_execz .LBB60_18
; %bb.17:
	scratch_load_b64 v[128:129], off, off offset:8
	v_mov_b32_e32 v3, 0
	ds_load_b64 v[130:131], v3 offset:504
	s_wait_loadcnt_dscnt 0x0
	v_fmac_f64_e32 v[126:127], v[128:129], v[130:131]
.LBB60_18:
	s_or_b32 exec_lo, exec_lo, s8
	v_mov_b32_e32 v3, 0
	ds_load_b64 v[128:129], v3 offset:16
	s_wait_dscnt 0x0
	v_mul_f64_e32 v[126:127], v[126:127], v[128:129]
	scratch_store_b64 off, v[126:127], off offset:16
.LBB60_19:
	s_wait_xcnt 0x0
	s_or_b32 exec_lo, exec_lo, s1
	s_wait_storecnt 0x0
	s_barrier_signal -1
	s_barrier_wait -1
	scratch_load_b64 v[126:127], off, off offset:24
	v_add_nc_u32_e32 v3, -1, v0
	s_mov_b32 s0, exec_lo
	s_wait_loadcnt 0x0
	ds_store_b64 v1, v[126:127]
	s_wait_dscnt 0x0
	s_barrier_signal -1
	s_barrier_wait -1
	v_cmpx_gt_u32_e32 3, v0
	s_cbranch_execz .LBB60_23
; %bb.20:
	v_mov_b64_e32 v[126:127], 0
	v_dual_add_nc_u32 v9, -1, v0 :: v_dual_mov_b32 v13, v2
	v_add_nc_u32_e32 v11, 0x1f0, v2
	s_mov_b32 s1, 0
.LBB60_21:                              ; =>This Inner Loop Header: Depth=1
	scratch_load_b64 v[128:129], v13, off
	ds_load_b64 v[130:131], v11
	v_dual_add_nc_u32 v9, 1, v9 :: v_dual_add_nc_u32 v11, 8, v11
	s_wait_xcnt 0x0
	v_add_nc_u32_e32 v13, 8, v13
	s_delay_alu instid0(VALU_DEP_2)
	v_cmp_lt_u32_e32 vcc_lo, 1, v9
	s_or_b32 s1, vcc_lo, s1
	s_wait_loadcnt_dscnt 0x0
	v_fmac_f64_e32 v[126:127], v[128:129], v[130:131]
	s_and_not1_b32 exec_lo, exec_lo, s1
	s_cbranch_execnz .LBB60_21
; %bb.22:
	s_or_b32 exec_lo, exec_lo, s1
	v_mov_b32_e32 v9, 0
	ds_load_b64 v[128:129], v9 offset:24
	s_wait_dscnt 0x0
	v_mul_f64_e32 v[126:127], v[126:127], v[128:129]
	scratch_store_b64 off, v[126:127], off offset:24
.LBB60_23:
	s_wait_xcnt 0x0
	s_or_b32 exec_lo, exec_lo, s0
	s_wait_storecnt 0x0
	s_barrier_signal -1
	s_barrier_wait -1
	scratch_load_b64 v[126:127], off, off offset:32
	s_mov_b32 s0, exec_lo
	s_wait_loadcnt 0x0
	ds_store_b64 v1, v[126:127]
	s_wait_dscnt 0x0
	s_barrier_signal -1
	s_barrier_wait -1
	v_cmpx_gt_u32_e32 4, v0
	s_cbranch_execz .LBB60_27
; %bb.24:
	v_mov_b64_e32 v[126:127], 0
	v_dual_add_nc_u32 v9, -1, v0 :: v_dual_mov_b32 v13, v2
	v_add_nc_u32_e32 v11, 0x1f0, v2
	s_mov_b32 s1, 0
.LBB60_25:                              ; =>This Inner Loop Header: Depth=1
	scratch_load_b64 v[128:129], v13, off
	ds_load_b64 v[130:131], v11
	v_dual_add_nc_u32 v9, 1, v9 :: v_dual_add_nc_u32 v11, 8, v11
	s_wait_xcnt 0x0
	v_add_nc_u32_e32 v13, 8, v13
	s_delay_alu instid0(VALU_DEP_2)
	v_cmp_lt_u32_e32 vcc_lo, 2, v9
	s_or_b32 s1, vcc_lo, s1
	s_wait_loadcnt_dscnt 0x0
	v_fmac_f64_e32 v[126:127], v[128:129], v[130:131]
	s_and_not1_b32 exec_lo, exec_lo, s1
	s_cbranch_execnz .LBB60_25
; %bb.26:
	s_or_b32 exec_lo, exec_lo, s1
	v_mov_b32_e32 v9, 0
	ds_load_b64 v[128:129], v9 offset:32
	s_wait_dscnt 0x0
	v_mul_f64_e32 v[126:127], v[126:127], v[128:129]
	scratch_store_b64 off, v[126:127], off offset:32
.LBB60_27:
	s_wait_xcnt 0x0
	s_or_b32 exec_lo, exec_lo, s0
	s_wait_storecnt 0x0
	s_barrier_signal -1
	s_barrier_wait -1
	scratch_load_b64 v[126:127], off, off offset:40
	;; [unrolled: 40-line block ×20, first 2 shown]
	s_mov_b32 s0, exec_lo
	s_wait_loadcnt 0x0
	ds_store_b64 v1, v[126:127]
	s_wait_dscnt 0x0
	s_barrier_signal -1
	s_barrier_wait -1
	v_cmpx_gt_u32_e32 23, v0
	s_cbranch_execz .LBB60_103
; %bb.100:
	v_mov_b64_e32 v[126:127], 0
	v_dual_add_nc_u32 v9, -1, v0 :: v_dual_mov_b32 v13, v2
	v_add_nc_u32_e32 v11, 0x1f0, v2
	s_mov_b32 s1, 0
.LBB60_101:                             ; =>This Inner Loop Header: Depth=1
	scratch_load_b64 v[128:129], v13, off
	ds_load_b64 v[130:131], v11
	v_dual_add_nc_u32 v9, 1, v9 :: v_dual_add_nc_u32 v11, 8, v11
	s_wait_xcnt 0x0
	v_add_nc_u32_e32 v13, 8, v13
	s_delay_alu instid0(VALU_DEP_2)
	v_cmp_lt_u32_e32 vcc_lo, 21, v9
	s_or_b32 s1, vcc_lo, s1
	s_wait_loadcnt_dscnt 0x0
	v_fmac_f64_e32 v[126:127], v[128:129], v[130:131]
	s_and_not1_b32 exec_lo, exec_lo, s1
	s_cbranch_execnz .LBB60_101
; %bb.102:
	s_or_b32 exec_lo, exec_lo, s1
	v_mov_b32_e32 v9, 0
	ds_load_b64 v[128:129], v9 offset:184
	s_wait_dscnt 0x0
	v_mul_f64_e32 v[126:127], v[126:127], v[128:129]
	scratch_store_b64 off, v[126:127], off offset:184
.LBB60_103:
	s_wait_xcnt 0x0
	s_or_b32 exec_lo, exec_lo, s0
	s_wait_storecnt 0x0
	s_barrier_signal -1
	s_barrier_wait -1
	scratch_load_b64 v[126:127], off, off offset:192
	s_mov_b32 s0, exec_lo
	s_wait_loadcnt 0x0
	ds_store_b64 v1, v[126:127]
	s_wait_dscnt 0x0
	s_barrier_signal -1
	s_barrier_wait -1
	v_cmpx_gt_u32_e32 24, v0
	s_cbranch_execz .LBB60_107
; %bb.104:
	v_mov_b64_e32 v[126:127], 0
	v_dual_add_nc_u32 v9, -1, v0 :: v_dual_mov_b32 v13, v2
	v_add_nc_u32_e32 v11, 0x1f0, v2
	s_mov_b32 s1, 0
.LBB60_105:                             ; =>This Inner Loop Header: Depth=1
	scratch_load_b64 v[128:129], v13, off
	ds_load_b64 v[130:131], v11
	v_dual_add_nc_u32 v9, 1, v9 :: v_dual_add_nc_u32 v11, 8, v11
	s_wait_xcnt 0x0
	v_add_nc_u32_e32 v13, 8, v13
	s_delay_alu instid0(VALU_DEP_2)
	v_cmp_lt_u32_e32 vcc_lo, 22, v9
	s_or_b32 s1, vcc_lo, s1
	s_wait_loadcnt_dscnt 0x0
	v_fmac_f64_e32 v[126:127], v[128:129], v[130:131]
	s_and_not1_b32 exec_lo, exec_lo, s1
	s_cbranch_execnz .LBB60_105
; %bb.106:
	s_or_b32 exec_lo, exec_lo, s1
	v_mov_b32_e32 v9, 0
	ds_load_b64 v[128:129], v9 offset:192
	s_wait_dscnt 0x0
	v_mul_f64_e32 v[126:127], v[126:127], v[128:129]
	scratch_store_b64 off, v[126:127], off offset:192
.LBB60_107:
	s_wait_xcnt 0x0
	s_or_b32 exec_lo, exec_lo, s0
	s_wait_storecnt 0x0
	s_barrier_signal -1
	s_barrier_wait -1
	scratch_load_b64 v[126:127], off, off offset:200
	;; [unrolled: 40-line block ×37, first 2 shown]
	s_mov_b32 s0, exec_lo
	s_wait_loadcnt 0x0
	ds_store_b64 v1, v[126:127]
	s_wait_dscnt 0x0
	s_barrier_signal -1
	s_barrier_wait -1
	v_cmpx_ne_u32_e32 60, v0
	s_cbranch_execz .LBB60_251
; %bb.248:
	v_mov_b64_e32 v[126:127], 0
	s_mov_b32 s1, 0
.LBB60_249:                             ; =>This Inner Loop Header: Depth=1
	scratch_load_b64 v[128:129], v2, off
	ds_load_b64 v[130:131], v1
	v_dual_add_nc_u32 v3, 1, v3 :: v_dual_add_nc_u32 v1, 8, v1
	s_wait_xcnt 0x0
	v_add_nc_u32_e32 v2, 8, v2
	s_delay_alu instid0(VALU_DEP_2)
	v_cmp_lt_u32_e32 vcc_lo, 58, v3
	s_or_b32 s1, vcc_lo, s1
	s_wait_loadcnt_dscnt 0x0
	v_fmac_f64_e32 v[126:127], v[128:129], v[130:131]
	s_and_not1_b32 exec_lo, exec_lo, s1
	s_cbranch_execnz .LBB60_249
; %bb.250:
	s_or_b32 exec_lo, exec_lo, s1
	v_mov_b32_e32 v1, 0
	ds_load_b64 v[2:3], v1 offset:480
	s_wait_dscnt 0x0
	v_mul_f64_e32 v[2:3], v[126:127], v[2:3]
	scratch_store_b64 off, v[2:3], off offset:480
.LBB60_251:
	s_wait_xcnt 0x0
	s_or_b32 exec_lo, exec_lo, s0
	s_mov_b32 s1, -1
	s_wait_storecnt 0x0
	s_barrier_signal -1
	s_barrier_wait -1
.LBB60_252:
	s_and_b32 vcc_lo, exec_lo, s1
	s_cbranch_vccz .LBB60_254
; %bb.253:
	v_mov_b32_e32 v1, 0
	s_lshl_b64 s[0:1], s[16:17], 2
	s_delay_alu instid0(SALU_CYCLE_1)
	s_add_nc_u64 s[0:1], s[6:7], s[0:1]
	global_load_b32 v1, v1, s[0:1]
	s_wait_loadcnt 0x0
	v_cmp_ne_u32_e32 vcc_lo, 0, v1
	s_cbranch_vccz .LBB60_255
.LBB60_254:
	s_sendmsg sendmsg(MSG_DEALLOC_VGPRS)
	s_endpgm
.LBB60_255:
	s_wait_xcnt 0x0
	v_lshl_add_u32 v1, v0, 3, 0x1f0
	s_mov_b32 s0, exec_lo
	v_cmpx_eq_u32_e32 60, v0
	s_cbranch_execz .LBB60_257
; %bb.256:
	scratch_load_b64 v[2:3], off, off offset:472
	v_mov_b64_e32 v[126:127], 0
	scratch_store_b64 off, v[126:127], off offset:472
	s_wait_loadcnt 0x0
	ds_store_b64 v1, v[2:3]
.LBB60_257:
	s_wait_xcnt 0x0
	s_or_b32 exec_lo, exec_lo, s0
	s_wait_storecnt_dscnt 0x0
	s_barrier_signal -1
	s_barrier_wait -1
	scratch_load_b128 v[126:129], off, off offset:472
	v_mov_b32_e32 v2, 0
	s_mov_b32 s0, exec_lo
	ds_load_b64 v[130:131], v2 offset:976
	s_wait_loadcnt_dscnt 0x0
	v_fma_f64 v[128:129], v[128:129], v[130:131], 0
	s_delay_alu instid0(VALU_DEP_1)
	v_add_f64_e64 v[126:127], v[126:127], -v[128:129]
	scratch_store_b64 off, v[126:127], off offset:472
	s_wait_xcnt 0x0
	v_cmpx_lt_u32_e32 58, v0
	s_cbranch_execz .LBB60_259
; %bb.258:
	scratch_load_b64 v[126:127], off, off offset:464
	v_mov_b64_e32 v[128:129], 0
	scratch_store_b64 off, v[128:129], off offset:464
	s_wait_loadcnt 0x0
	ds_store_b64 v1, v[126:127]
.LBB60_259:
	s_wait_xcnt 0x0
	s_or_b32 exec_lo, exec_lo, s0
	s_wait_storecnt_dscnt 0x0
	s_barrier_signal -1
	s_barrier_wait -1
	s_clause 0x1
	scratch_load_b128 v[126:129], off, off offset:464
	scratch_load_b64 v[134:135], off, off offset:480
	ds_load_2addr_b64 v[130:133], v2 offset0:121 offset1:122
	s_mov_b32 s0, exec_lo
	s_wait_loadcnt_dscnt 0x100
	v_fma_f64 v[2:3], v[128:129], v[130:131], 0
	s_wait_loadcnt 0x0
	s_delay_alu instid0(VALU_DEP_1) | instskip(NEXT) | instid1(VALU_DEP_1)
	v_fmac_f64_e32 v[2:3], v[134:135], v[132:133]
	v_add_f64_e64 v[2:3], v[126:127], -v[2:3]
	scratch_store_b64 off, v[2:3], off offset:464
	s_wait_xcnt 0x0
	v_cmpx_lt_u32_e32 57, v0
	s_cbranch_execz .LBB60_261
; %bb.260:
	scratch_load_b64 v[2:3], off, off offset:456
	v_mov_b64_e32 v[126:127], 0
	scratch_store_b64 off, v[126:127], off offset:456
	s_wait_loadcnt 0x0
	ds_store_b64 v1, v[2:3]
.LBB60_261:
	s_wait_xcnt 0x0
	s_or_b32 exec_lo, exec_lo, s0
	s_wait_storecnt_dscnt 0x0
	s_barrier_signal -1
	s_barrier_wait -1
	s_clause 0x1
	scratch_load_b128 v[126:129], off, off offset:456
	scratch_load_b128 v[130:133], off, off offset:472
	v_mov_b32_e32 v2, 0
	ds_load_b128 v[134:137], v2 offset:960
	ds_load_b64 v[138:139], v2 offset:976
	s_mov_b32 s0, exec_lo
	s_wait_loadcnt_dscnt 0x101
	v_fma_f64 v[128:129], v[128:129], v[134:135], 0
	s_wait_loadcnt 0x0
	s_delay_alu instid0(VALU_DEP_1) | instskip(SKIP_1) | instid1(VALU_DEP_1)
	v_fmac_f64_e32 v[128:129], v[130:131], v[136:137]
	s_wait_dscnt 0x0
	v_fmac_f64_e32 v[128:129], v[132:133], v[138:139]
	s_delay_alu instid0(VALU_DEP_1)
	v_add_f64_e64 v[126:127], v[126:127], -v[128:129]
	scratch_store_b64 off, v[126:127], off offset:456
	s_wait_xcnt 0x0
	v_cmpx_lt_u32_e32 56, v0
	s_cbranch_execz .LBB60_263
; %bb.262:
	scratch_load_b64 v[126:127], off, off offset:448
	v_mov_b64_e32 v[128:129], 0
	scratch_store_b64 off, v[128:129], off offset:448
	s_wait_loadcnt 0x0
	ds_store_b64 v1, v[126:127]
.LBB60_263:
	s_wait_xcnt 0x0
	s_or_b32 exec_lo, exec_lo, s0
	s_wait_storecnt_dscnt 0x0
	s_barrier_signal -1
	s_barrier_wait -1
	s_clause 0x2
	scratch_load_b128 v[126:129], off, off offset:448
	scratch_load_b128 v[130:133], off, off offset:464
	scratch_load_b64 v[142:143], off, off offset:480
	ds_load_2addr_b64 v[134:137], v2 offset0:119 offset1:120
	ds_load_2addr_b64 v[138:141], v2 offset0:121 offset1:122
	s_mov_b32 s0, exec_lo
	s_wait_loadcnt_dscnt 0x201
	v_fma_f64 v[2:3], v[128:129], v[134:135], 0
	s_wait_loadcnt 0x1
	s_delay_alu instid0(VALU_DEP_1) | instskip(SKIP_1) | instid1(VALU_DEP_1)
	v_fmac_f64_e32 v[2:3], v[130:131], v[136:137]
	s_wait_dscnt 0x0
	v_fmac_f64_e32 v[2:3], v[132:133], v[138:139]
	s_wait_loadcnt 0x0
	s_delay_alu instid0(VALU_DEP_1) | instskip(NEXT) | instid1(VALU_DEP_1)
	v_fmac_f64_e32 v[2:3], v[142:143], v[140:141]
	v_add_f64_e64 v[2:3], v[126:127], -v[2:3]
	scratch_store_b64 off, v[2:3], off offset:448
	s_wait_xcnt 0x0
	v_cmpx_lt_u32_e32 55, v0
	s_cbranch_execz .LBB60_265
; %bb.264:
	scratch_load_b64 v[2:3], off, off offset:440
	v_mov_b64_e32 v[126:127], 0
	scratch_store_b64 off, v[126:127], off offset:440
	s_wait_loadcnt 0x0
	ds_store_b64 v1, v[2:3]
.LBB60_265:
	s_wait_xcnt 0x0
	s_or_b32 exec_lo, exec_lo, s0
	s_wait_storecnt_dscnt 0x0
	s_barrier_signal -1
	s_barrier_wait -1
	s_clause 0x2
	scratch_load_b128 v[126:129], off, off offset:440
	scratch_load_b128 v[130:133], off, off offset:456
	;; [unrolled: 1-line block ×3, first 2 shown]
	v_mov_b32_e32 v2, 0
	ds_load_b128 v[138:141], v2 offset:944
	ds_load_b128 v[142:145], v2 offset:960
	s_mov_b32 s0, exec_lo
	s_wait_loadcnt_dscnt 0x201
	v_fma_f64 v[128:129], v[128:129], v[138:139], 0
	s_wait_loadcnt 0x1
	s_delay_alu instid0(VALU_DEP_1) | instskip(SKIP_4) | instid1(VALU_DEP_1)
	v_fmac_f64_e32 v[128:129], v[130:131], v[140:141]
	ds_load_b64 v[130:131], v2 offset:976
	s_wait_dscnt 0x1
	v_fmac_f64_e32 v[128:129], v[132:133], v[142:143]
	s_wait_loadcnt 0x0
	v_fmac_f64_e32 v[128:129], v[134:135], v[144:145]
	s_wait_dscnt 0x0
	s_delay_alu instid0(VALU_DEP_1) | instskip(NEXT) | instid1(VALU_DEP_1)
	v_fmac_f64_e32 v[128:129], v[136:137], v[130:131]
	v_add_f64_e64 v[126:127], v[126:127], -v[128:129]
	scratch_store_b64 off, v[126:127], off offset:440
	s_wait_xcnt 0x0
	v_cmpx_lt_u32_e32 54, v0
	s_cbranch_execz .LBB60_267
; %bb.266:
	scratch_load_b64 v[126:127], off, off offset:432
	v_mov_b64_e32 v[128:129], 0
	scratch_store_b64 off, v[128:129], off offset:432
	s_wait_loadcnt 0x0
	ds_store_b64 v1, v[126:127]
.LBB60_267:
	s_wait_xcnt 0x0
	s_or_b32 exec_lo, exec_lo, s0
	s_wait_storecnt_dscnt 0x0
	s_barrier_signal -1
	s_barrier_wait -1
	s_clause 0x3
	scratch_load_b128 v[126:129], off, off offset:432
	scratch_load_b128 v[130:133], off, off offset:448
	scratch_load_b128 v[134:137], off, off offset:464
	scratch_load_b64 v[146:147], off, off offset:480
	ds_load_2addr_b64 v[138:141], v2 offset0:117 offset1:118
	ds_load_2addr_b64 v[142:145], v2 offset0:119 offset1:120
	s_mov_b32 s0, exec_lo
	s_wait_loadcnt_dscnt 0x301
	v_fma_f64 v[138:139], v[128:129], v[138:139], 0
	s_wait_loadcnt 0x2
	s_delay_alu instid0(VALU_DEP_1) | instskip(SKIP_4) | instid1(VALU_DEP_1)
	v_fmac_f64_e32 v[138:139], v[130:131], v[140:141]
	ds_load_2addr_b64 v[128:131], v2 offset0:121 offset1:122
	s_wait_dscnt 0x1
	v_fmac_f64_e32 v[138:139], v[132:133], v[142:143]
	s_wait_loadcnt 0x1
	v_fmac_f64_e32 v[138:139], v[134:135], v[144:145]
	s_wait_dscnt 0x0
	s_delay_alu instid0(VALU_DEP_1) | instskip(SKIP_1) | instid1(VALU_DEP_1)
	v_fmac_f64_e32 v[138:139], v[136:137], v[128:129]
	s_wait_loadcnt 0x0
	v_fmac_f64_e32 v[138:139], v[146:147], v[130:131]
	s_delay_alu instid0(VALU_DEP_1)
	v_add_f64_e64 v[2:3], v[126:127], -v[138:139]
	scratch_store_b64 off, v[2:3], off offset:432
	s_wait_xcnt 0x0
	v_cmpx_lt_u32_e32 53, v0
	s_cbranch_execz .LBB60_269
; %bb.268:
	scratch_load_b64 v[2:3], off, off offset:424
	v_mov_b64_e32 v[126:127], 0
	scratch_store_b64 off, v[126:127], off offset:424
	s_wait_loadcnt 0x0
	ds_store_b64 v1, v[2:3]
.LBB60_269:
	s_wait_xcnt 0x0
	s_or_b32 exec_lo, exec_lo, s0
	s_wait_storecnt_dscnt 0x0
	s_barrier_signal -1
	s_barrier_wait -1
	s_clause 0x3
	scratch_load_b128 v[126:129], off, off offset:424
	scratch_load_b128 v[130:133], off, off offset:440
	;; [unrolled: 1-line block ×4, first 2 shown]
	v_mov_b32_e32 v2, 0
	ds_load_b128 v[142:145], v2 offset:928
	ds_load_b128 v[146:149], v2 offset:944
	s_mov_b32 s0, exec_lo
	s_wait_loadcnt_dscnt 0x301
	v_fma_f64 v[142:143], v[128:129], v[142:143], 0
	s_wait_loadcnt 0x2
	s_delay_alu instid0(VALU_DEP_1) | instskip(SKIP_1) | instid1(VALU_DEP_1)
	v_fmac_f64_e32 v[142:143], v[130:131], v[144:145]
	s_wait_dscnt 0x0
	v_fmac_f64_e32 v[142:143], v[132:133], v[146:147]
	ds_load_b128 v[128:131], v2 offset:960
	ds_load_b64 v[132:133], v2 offset:976
	s_wait_loadcnt 0x1
	v_fmac_f64_e32 v[142:143], v[134:135], v[148:149]
	s_wait_dscnt 0x1
	s_delay_alu instid0(VALU_DEP_1) | instskip(SKIP_1) | instid1(VALU_DEP_1)
	v_fmac_f64_e32 v[142:143], v[136:137], v[128:129]
	s_wait_loadcnt 0x0
	v_fmac_f64_e32 v[142:143], v[138:139], v[130:131]
	s_wait_dscnt 0x0
	s_delay_alu instid0(VALU_DEP_1) | instskip(NEXT) | instid1(VALU_DEP_1)
	v_fmac_f64_e32 v[142:143], v[140:141], v[132:133]
	v_add_f64_e64 v[126:127], v[126:127], -v[142:143]
	scratch_store_b64 off, v[126:127], off offset:424
	s_wait_xcnt 0x0
	v_cmpx_lt_u32_e32 52, v0
	s_cbranch_execz .LBB60_271
; %bb.270:
	scratch_load_b64 v[126:127], off, off offset:416
	v_mov_b64_e32 v[128:129], 0
	scratch_store_b64 off, v[128:129], off offset:416
	s_wait_loadcnt 0x0
	ds_store_b64 v1, v[126:127]
.LBB60_271:
	s_wait_xcnt 0x0
	s_or_b32 exec_lo, exec_lo, s0
	s_wait_storecnt_dscnt 0x0
	s_barrier_signal -1
	s_barrier_wait -1
	s_clause 0x4
	scratch_load_b128 v[126:129], off, off offset:416
	scratch_load_b128 v[130:133], off, off offset:432
	;; [unrolled: 1-line block ×4, first 2 shown]
	scratch_load_b64 v[150:151], off, off offset:480
	ds_load_2addr_b64 v[142:145], v2 offset0:115 offset1:116
	ds_load_2addr_b64 v[146:149], v2 offset0:117 offset1:118
	s_mov_b32 s0, exec_lo
	s_wait_loadcnt_dscnt 0x401
	v_fma_f64 v[142:143], v[128:129], v[142:143], 0
	s_wait_loadcnt 0x3
	s_delay_alu instid0(VALU_DEP_1) | instskip(SKIP_1) | instid1(VALU_DEP_1)
	v_fmac_f64_e32 v[142:143], v[130:131], v[144:145]
	s_wait_dscnt 0x0
	v_fmac_f64_e32 v[142:143], v[132:133], v[146:147]
	s_wait_loadcnt 0x2
	s_delay_alu instid0(VALU_DEP_1)
	v_fmac_f64_e32 v[142:143], v[134:135], v[148:149]
	ds_load_2addr_b64 v[128:131], v2 offset0:119 offset1:120
	ds_load_2addr_b64 v[132:135], v2 offset0:121 offset1:122
	s_wait_dscnt 0x1
	v_fmac_f64_e32 v[142:143], v[136:137], v[128:129]
	s_wait_loadcnt 0x1
	s_delay_alu instid0(VALU_DEP_1) | instskip(SKIP_1) | instid1(VALU_DEP_1)
	v_fmac_f64_e32 v[142:143], v[138:139], v[130:131]
	s_wait_dscnt 0x0
	v_fmac_f64_e32 v[142:143], v[140:141], v[132:133]
	s_wait_loadcnt 0x0
	s_delay_alu instid0(VALU_DEP_1) | instskip(NEXT) | instid1(VALU_DEP_1)
	v_fmac_f64_e32 v[142:143], v[150:151], v[134:135]
	v_add_f64_e64 v[2:3], v[126:127], -v[142:143]
	scratch_store_b64 off, v[2:3], off offset:416
	s_wait_xcnt 0x0
	v_cmpx_lt_u32_e32 51, v0
	s_cbranch_execz .LBB60_273
; %bb.272:
	scratch_load_b64 v[2:3], off, off offset:408
	v_mov_b64_e32 v[126:127], 0
	scratch_store_b64 off, v[126:127], off offset:408
	s_wait_loadcnt 0x0
	ds_store_b64 v1, v[2:3]
.LBB60_273:
	s_wait_xcnt 0x0
	s_or_b32 exec_lo, exec_lo, s0
	s_wait_storecnt_dscnt 0x0
	s_barrier_signal -1
	s_barrier_wait -1
	s_clause 0x4
	scratch_load_b128 v[126:129], off, off offset:408
	scratch_load_b128 v[130:133], off, off offset:424
	;; [unrolled: 1-line block ×5, first 2 shown]
	v_mov_b32_e32 v2, 0
	ds_load_b128 v[146:149], v2 offset:912
	ds_load_b128 v[150:153], v2 offset:928
	s_mov_b32 s0, exec_lo
	s_wait_loadcnt_dscnt 0x401
	v_fma_f64 v[146:147], v[128:129], v[146:147], 0
	s_wait_loadcnt 0x3
	s_delay_alu instid0(VALU_DEP_1) | instskip(SKIP_1) | instid1(VALU_DEP_1)
	v_fmac_f64_e32 v[146:147], v[130:131], v[148:149]
	s_wait_dscnt 0x0
	v_fmac_f64_e32 v[146:147], v[132:133], v[150:151]
	s_wait_loadcnt 0x2
	s_delay_alu instid0(VALU_DEP_1)
	v_fmac_f64_e32 v[146:147], v[134:135], v[152:153]
	ds_load_b128 v[128:131], v2 offset:944
	ds_load_b128 v[132:135], v2 offset:960
	s_wait_dscnt 0x1
	v_fmac_f64_e32 v[146:147], v[136:137], v[128:129]
	ds_load_b64 v[128:129], v2 offset:976
	s_wait_loadcnt 0x1
	v_fmac_f64_e32 v[146:147], v[138:139], v[130:131]
	s_wait_dscnt 0x1
	s_delay_alu instid0(VALU_DEP_1) | instskip(SKIP_1) | instid1(VALU_DEP_1)
	v_fmac_f64_e32 v[146:147], v[140:141], v[132:133]
	s_wait_loadcnt 0x0
	v_fmac_f64_e32 v[146:147], v[142:143], v[134:135]
	s_wait_dscnt 0x0
	s_delay_alu instid0(VALU_DEP_1) | instskip(NEXT) | instid1(VALU_DEP_1)
	v_fmac_f64_e32 v[146:147], v[144:145], v[128:129]
	v_add_f64_e64 v[126:127], v[126:127], -v[146:147]
	scratch_store_b64 off, v[126:127], off offset:408
	s_wait_xcnt 0x0
	v_cmpx_lt_u32_e32 50, v0
	s_cbranch_execz .LBB60_275
; %bb.274:
	scratch_load_b64 v[126:127], off, off offset:400
	v_mov_b64_e32 v[128:129], 0
	scratch_store_b64 off, v[128:129], off offset:400
	s_wait_loadcnt 0x0
	ds_store_b64 v1, v[126:127]
.LBB60_275:
	s_wait_xcnt 0x0
	s_or_b32 exec_lo, exec_lo, s0
	s_wait_storecnt_dscnt 0x0
	s_barrier_signal -1
	s_barrier_wait -1
	s_clause 0x5
	scratch_load_b128 v[126:129], off, off offset:400
	scratch_load_b128 v[130:133], off, off offset:416
	;; [unrolled: 1-line block ×5, first 2 shown]
	scratch_load_b64 v[154:155], off, off offset:480
	ds_load_2addr_b64 v[146:149], v2 offset0:113 offset1:114
	ds_load_2addr_b64 v[150:153], v2 offset0:115 offset1:116
	s_mov_b32 s0, exec_lo
	s_wait_loadcnt_dscnt 0x501
	v_fma_f64 v[146:147], v[128:129], v[146:147], 0
	s_wait_loadcnt 0x4
	s_delay_alu instid0(VALU_DEP_1) | instskip(SKIP_1) | instid1(VALU_DEP_1)
	v_fmac_f64_e32 v[146:147], v[130:131], v[148:149]
	s_wait_dscnt 0x0
	v_fmac_f64_e32 v[146:147], v[132:133], v[150:151]
	s_wait_loadcnt 0x3
	s_delay_alu instid0(VALU_DEP_1)
	v_fmac_f64_e32 v[146:147], v[134:135], v[152:153]
	ds_load_2addr_b64 v[128:131], v2 offset0:117 offset1:118
	ds_load_2addr_b64 v[132:135], v2 offset0:119 offset1:120
	s_wait_dscnt 0x1
	v_fmac_f64_e32 v[146:147], v[136:137], v[128:129]
	s_wait_loadcnt 0x2
	s_delay_alu instid0(VALU_DEP_1) | instskip(SKIP_4) | instid1(VALU_DEP_1)
	v_fmac_f64_e32 v[146:147], v[138:139], v[130:131]
	ds_load_2addr_b64 v[128:131], v2 offset0:121 offset1:122
	s_wait_dscnt 0x1
	v_fmac_f64_e32 v[146:147], v[140:141], v[132:133]
	s_wait_loadcnt 0x1
	v_fmac_f64_e32 v[146:147], v[142:143], v[134:135]
	s_wait_dscnt 0x0
	s_delay_alu instid0(VALU_DEP_1) | instskip(SKIP_1) | instid1(VALU_DEP_1)
	v_fmac_f64_e32 v[146:147], v[144:145], v[128:129]
	s_wait_loadcnt 0x0
	v_fmac_f64_e32 v[146:147], v[154:155], v[130:131]
	s_delay_alu instid0(VALU_DEP_1)
	v_add_f64_e64 v[2:3], v[126:127], -v[146:147]
	scratch_store_b64 off, v[2:3], off offset:400
	s_wait_xcnt 0x0
	v_cmpx_lt_u32_e32 49, v0
	s_cbranch_execz .LBB60_277
; %bb.276:
	scratch_load_b64 v[2:3], off, off offset:392
	v_mov_b64_e32 v[126:127], 0
	scratch_store_b64 off, v[126:127], off offset:392
	s_wait_loadcnt 0x0
	ds_store_b64 v1, v[2:3]
.LBB60_277:
	s_wait_xcnt 0x0
	s_or_b32 exec_lo, exec_lo, s0
	s_wait_storecnt_dscnt 0x0
	s_barrier_signal -1
	s_barrier_wait -1
	s_clause 0x5
	scratch_load_b128 v[126:129], off, off offset:392
	scratch_load_b128 v[130:133], off, off offset:408
	scratch_load_b128 v[134:137], off, off offset:424
	scratch_load_b128 v[138:141], off, off offset:440
	scratch_load_b128 v[142:145], off, off offset:456
	scratch_load_b128 v[146:149], off, off offset:472
	v_mov_b32_e32 v2, 0
	ds_load_b128 v[150:153], v2 offset:896
	ds_load_b128 v[154:157], v2 offset:912
	s_mov_b32 s0, exec_lo
	s_wait_loadcnt_dscnt 0x501
	v_fma_f64 v[150:151], v[128:129], v[150:151], 0
	s_wait_loadcnt 0x4
	s_delay_alu instid0(VALU_DEP_1) | instskip(SKIP_1) | instid1(VALU_DEP_1)
	v_fmac_f64_e32 v[150:151], v[130:131], v[152:153]
	s_wait_dscnt 0x0
	v_fmac_f64_e32 v[150:151], v[132:133], v[154:155]
	s_wait_loadcnt 0x3
	s_delay_alu instid0(VALU_DEP_1)
	v_fmac_f64_e32 v[150:151], v[134:135], v[156:157]
	ds_load_b128 v[128:131], v2 offset:928
	ds_load_b128 v[132:135], v2 offset:944
	s_wait_dscnt 0x1
	v_fmac_f64_e32 v[150:151], v[136:137], v[128:129]
	s_wait_loadcnt 0x2
	s_delay_alu instid0(VALU_DEP_1) | instskip(SKIP_1) | instid1(VALU_DEP_1)
	v_fmac_f64_e32 v[150:151], v[138:139], v[130:131]
	s_wait_dscnt 0x0
	v_fmac_f64_e32 v[150:151], v[140:141], v[132:133]
	ds_load_b128 v[128:131], v2 offset:960
	ds_load_b64 v[132:133], v2 offset:976
	s_wait_loadcnt 0x1
	v_fmac_f64_e32 v[150:151], v[142:143], v[134:135]
	s_wait_dscnt 0x1
	s_delay_alu instid0(VALU_DEP_1) | instskip(SKIP_1) | instid1(VALU_DEP_1)
	v_fmac_f64_e32 v[150:151], v[144:145], v[128:129]
	s_wait_loadcnt 0x0
	v_fmac_f64_e32 v[150:151], v[146:147], v[130:131]
	s_wait_dscnt 0x0
	s_delay_alu instid0(VALU_DEP_1) | instskip(NEXT) | instid1(VALU_DEP_1)
	v_fmac_f64_e32 v[150:151], v[148:149], v[132:133]
	v_add_f64_e64 v[126:127], v[126:127], -v[150:151]
	scratch_store_b64 off, v[126:127], off offset:392
	s_wait_xcnt 0x0
	v_cmpx_lt_u32_e32 48, v0
	s_cbranch_execz .LBB60_279
; %bb.278:
	scratch_load_b64 v[126:127], off, off offset:384
	v_mov_b64_e32 v[128:129], 0
	scratch_store_b64 off, v[128:129], off offset:384
	s_wait_loadcnt 0x0
	ds_store_b64 v1, v[126:127]
.LBB60_279:
	s_wait_xcnt 0x0
	s_or_b32 exec_lo, exec_lo, s0
	s_wait_storecnt_dscnt 0x0
	s_barrier_signal -1
	s_barrier_wait -1
	s_clause 0x5
	scratch_load_b128 v[126:129], off, off offset:384
	scratch_load_b128 v[130:133], off, off offset:400
	;; [unrolled: 1-line block ×6, first 2 shown]
	ds_load_2addr_b64 v[150:153], v2 offset0:111 offset1:112
	ds_load_2addr_b64 v[154:157], v2 offset0:113 offset1:114
	s_mov_b32 s0, exec_lo
	s_wait_loadcnt_dscnt 0x501
	v_fma_f64 v[150:151], v[128:129], v[150:151], 0
	s_wait_loadcnt 0x4
	s_delay_alu instid0(VALU_DEP_1) | instskip(SKIP_4) | instid1(VALU_DEP_1)
	v_fmac_f64_e32 v[150:151], v[130:131], v[152:153]
	scratch_load_b64 v[152:153], off, off offset:480
	s_wait_dscnt 0x0
	v_fmac_f64_e32 v[150:151], v[132:133], v[154:155]
	s_wait_loadcnt 0x4
	v_fmac_f64_e32 v[150:151], v[134:135], v[156:157]
	ds_load_2addr_b64 v[128:131], v2 offset0:115 offset1:116
	ds_load_2addr_b64 v[132:135], v2 offset0:117 offset1:118
	s_wait_dscnt 0x1
	v_fmac_f64_e32 v[150:151], v[136:137], v[128:129]
	s_wait_loadcnt 0x3
	s_delay_alu instid0(VALU_DEP_1) | instskip(SKIP_1) | instid1(VALU_DEP_1)
	v_fmac_f64_e32 v[150:151], v[138:139], v[130:131]
	s_wait_dscnt 0x0
	v_fmac_f64_e32 v[150:151], v[140:141], v[132:133]
	s_wait_loadcnt 0x2
	s_delay_alu instid0(VALU_DEP_1)
	v_fmac_f64_e32 v[150:151], v[142:143], v[134:135]
	ds_load_2addr_b64 v[128:131], v2 offset0:119 offset1:120
	ds_load_2addr_b64 v[132:135], v2 offset0:121 offset1:122
	s_wait_dscnt 0x1
	v_fmac_f64_e32 v[150:151], v[144:145], v[128:129]
	s_wait_loadcnt 0x1
	s_delay_alu instid0(VALU_DEP_1) | instskip(SKIP_1) | instid1(VALU_DEP_1)
	v_fmac_f64_e32 v[150:151], v[146:147], v[130:131]
	s_wait_dscnt 0x0
	v_fmac_f64_e32 v[150:151], v[148:149], v[132:133]
	s_wait_loadcnt 0x0
	s_delay_alu instid0(VALU_DEP_1) | instskip(NEXT) | instid1(VALU_DEP_1)
	v_fmac_f64_e32 v[150:151], v[152:153], v[134:135]
	v_add_f64_e64 v[2:3], v[126:127], -v[150:151]
	scratch_store_b64 off, v[2:3], off offset:384
	s_wait_xcnt 0x0
	v_cmpx_lt_u32_e32 47, v0
	s_cbranch_execz .LBB60_281
; %bb.280:
	scratch_load_b64 v[2:3], off, off offset:376
	v_mov_b64_e32 v[126:127], 0
	scratch_store_b64 off, v[126:127], off offset:376
	s_wait_loadcnt 0x0
	ds_store_b64 v1, v[2:3]
.LBB60_281:
	s_wait_xcnt 0x0
	s_or_b32 exec_lo, exec_lo, s0
	s_wait_storecnt_dscnt 0x0
	s_barrier_signal -1
	s_barrier_wait -1
	s_clause 0x5
	scratch_load_b128 v[126:129], off, off offset:376
	scratch_load_b128 v[130:133], off, off offset:392
	;; [unrolled: 1-line block ×6, first 2 shown]
	v_mov_b32_e32 v2, 0
	ds_load_b128 v[150:153], v2 offset:880
	ds_load_b128 v[154:157], v2 offset:896
	s_mov_b32 s0, exec_lo
	s_wait_loadcnt_dscnt 0x501
	v_fma_f64 v[158:159], v[128:129], v[150:151], 0
	s_wait_loadcnt 0x4
	s_delay_alu instid0(VALU_DEP_1) | instskip(SKIP_4) | instid1(VALU_DEP_1)
	v_fmac_f64_e32 v[158:159], v[130:131], v[152:153]
	scratch_load_b128 v[128:131], off, off offset:472
	s_wait_dscnt 0x0
	v_fmac_f64_e32 v[158:159], v[132:133], v[154:155]
	s_wait_loadcnt 0x4
	v_fmac_f64_e32 v[158:159], v[134:135], v[156:157]
	ds_load_b128 v[132:135], v2 offset:912
	ds_load_b128 v[150:153], v2 offset:928
	s_wait_dscnt 0x1
	v_fmac_f64_e32 v[158:159], v[136:137], v[132:133]
	s_wait_loadcnt 0x3
	s_delay_alu instid0(VALU_DEP_1)
	v_fmac_f64_e32 v[158:159], v[138:139], v[134:135]
	ds_load_b128 v[132:135], v2 offset:944
	ds_load_b128 v[136:139], v2 offset:960
	s_wait_dscnt 0x2
	v_fmac_f64_e32 v[158:159], v[140:141], v[150:151]
	s_wait_loadcnt 0x2
	s_delay_alu instid0(VALU_DEP_1) | instskip(SKIP_1) | instid1(VALU_DEP_1)
	v_fmac_f64_e32 v[158:159], v[142:143], v[152:153]
	s_wait_dscnt 0x1
	v_fmac_f64_e32 v[158:159], v[144:145], v[132:133]
	s_wait_loadcnt 0x1
	s_delay_alu instid0(VALU_DEP_1) | instskip(SKIP_1) | instid1(VALU_DEP_1)
	v_fmac_f64_e32 v[158:159], v[146:147], v[134:135]
	s_wait_dscnt 0x0
	v_fmac_f64_e32 v[158:159], v[148:149], v[136:137]
	s_wait_loadcnt 0x0
	s_delay_alu instid0(VALU_DEP_1) | instskip(SKIP_3) | instid1(VALU_DEP_1)
	v_fmac_f64_e32 v[158:159], v[128:129], v[138:139]
	ds_load_b64 v[128:129], v2 offset:976
	s_wait_dscnt 0x0
	v_fmac_f64_e32 v[158:159], v[130:131], v[128:129]
	v_add_f64_e64 v[126:127], v[126:127], -v[158:159]
	scratch_store_b64 off, v[126:127], off offset:376
	s_wait_xcnt 0x0
	v_cmpx_lt_u32_e32 46, v0
	s_cbranch_execz .LBB60_283
; %bb.282:
	scratch_load_b64 v[126:127], off, off offset:368
	v_mov_b64_e32 v[128:129], 0
	scratch_store_b64 off, v[128:129], off offset:368
	s_wait_loadcnt 0x0
	ds_store_b64 v1, v[126:127]
.LBB60_283:
	s_wait_xcnt 0x0
	s_or_b32 exec_lo, exec_lo, s0
	s_wait_storecnt_dscnt 0x0
	s_barrier_signal -1
	s_barrier_wait -1
	s_clause 0x5
	scratch_load_b128 v[126:129], off, off offset:368
	scratch_load_b128 v[130:133], off, off offset:384
	;; [unrolled: 1-line block ×6, first 2 shown]
	ds_load_2addr_b64 v[150:153], v2 offset0:109 offset1:110
	ds_load_2addr_b64 v[154:157], v2 offset0:111 offset1:112
	s_mov_b32 s0, exec_lo
	s_wait_loadcnt_dscnt 0x501
	v_fma_f64 v[158:159], v[128:129], v[150:151], 0
	s_wait_loadcnt 0x4
	s_delay_alu instid0(VALU_DEP_1)
	v_fmac_f64_e32 v[158:159], v[130:131], v[152:153]
	scratch_load_b128 v[128:131], off, off offset:464
	s_wait_dscnt 0x0
	v_fmac_f64_e32 v[158:159], v[132:133], v[154:155]
	scratch_load_b64 v[154:155], off, off offset:480
	s_wait_loadcnt 0x5
	v_fmac_f64_e32 v[158:159], v[134:135], v[156:157]
	ds_load_2addr_b64 v[132:135], v2 offset0:113 offset1:114
	ds_load_2addr_b64 v[150:153], v2 offset0:115 offset1:116
	s_wait_dscnt 0x1
	v_fmac_f64_e32 v[158:159], v[136:137], v[132:133]
	s_wait_loadcnt 0x4
	s_delay_alu instid0(VALU_DEP_1)
	v_fmac_f64_e32 v[158:159], v[138:139], v[134:135]
	ds_load_2addr_b64 v[132:135], v2 offset0:117 offset1:118
	ds_load_2addr_b64 v[136:139], v2 offset0:119 offset1:120
	s_wait_dscnt 0x2
	v_fmac_f64_e32 v[158:159], v[140:141], v[150:151]
	s_wait_loadcnt 0x3
	s_delay_alu instid0(VALU_DEP_1) | instskip(SKIP_1) | instid1(VALU_DEP_1)
	v_fmac_f64_e32 v[158:159], v[142:143], v[152:153]
	s_wait_dscnt 0x1
	v_fmac_f64_e32 v[158:159], v[144:145], v[132:133]
	s_wait_loadcnt 0x2
	s_delay_alu instid0(VALU_DEP_1) | instskip(SKIP_4) | instid1(VALU_DEP_1)
	v_fmac_f64_e32 v[158:159], v[146:147], v[134:135]
	ds_load_2addr_b64 v[132:135], v2 offset0:121 offset1:122
	s_wait_dscnt 0x1
	v_fmac_f64_e32 v[158:159], v[148:149], v[136:137]
	s_wait_loadcnt 0x1
	v_fmac_f64_e32 v[158:159], v[128:129], v[138:139]
	s_wait_dscnt 0x0
	s_delay_alu instid0(VALU_DEP_1) | instskip(SKIP_1) | instid1(VALU_DEP_1)
	v_fmac_f64_e32 v[158:159], v[130:131], v[132:133]
	s_wait_loadcnt 0x0
	v_fmac_f64_e32 v[158:159], v[154:155], v[134:135]
	s_delay_alu instid0(VALU_DEP_1)
	v_add_f64_e64 v[2:3], v[126:127], -v[158:159]
	scratch_store_b64 off, v[2:3], off offset:368
	s_wait_xcnt 0x0
	v_cmpx_lt_u32_e32 45, v0
	s_cbranch_execz .LBB60_285
; %bb.284:
	scratch_load_b64 v[2:3], off, off offset:360
	v_mov_b64_e32 v[126:127], 0
	scratch_store_b64 off, v[126:127], off offset:360
	s_wait_loadcnt 0x0
	ds_store_b64 v1, v[2:3]
.LBB60_285:
	s_wait_xcnt 0x0
	s_or_b32 exec_lo, exec_lo, s0
	s_wait_storecnt_dscnt 0x0
	s_barrier_signal -1
	s_barrier_wait -1
	s_clause 0x5
	scratch_load_b128 v[126:129], off, off offset:360
	scratch_load_b128 v[130:133], off, off offset:376
	;; [unrolled: 1-line block ×6, first 2 shown]
	v_mov_b32_e32 v2, 0
	ds_load_b128 v[150:153], v2 offset:864
	ds_load_b128 v[154:157], v2 offset:880
	s_mov_b32 s0, exec_lo
	s_wait_loadcnt_dscnt 0x501
	v_fma_f64 v[158:159], v[128:129], v[150:151], 0
	s_wait_loadcnt 0x4
	s_delay_alu instid0(VALU_DEP_1) | instskip(SKIP_4) | instid1(VALU_DEP_1)
	v_fmac_f64_e32 v[158:159], v[130:131], v[152:153]
	scratch_load_b128 v[128:131], off, off offset:456
	s_wait_dscnt 0x0
	v_fmac_f64_e32 v[158:159], v[132:133], v[154:155]
	s_wait_loadcnt 0x4
	v_fmac_f64_e32 v[158:159], v[134:135], v[156:157]
	scratch_load_b128 v[132:135], off, off offset:472
	ds_load_b128 v[150:153], v2 offset:896
	ds_load_b128 v[154:157], v2 offset:912
	s_wait_dscnt 0x1
	v_fmac_f64_e32 v[158:159], v[136:137], v[150:151]
	s_wait_loadcnt 0x4
	s_delay_alu instid0(VALU_DEP_1) | instskip(SKIP_1) | instid1(VALU_DEP_1)
	v_fmac_f64_e32 v[158:159], v[138:139], v[152:153]
	s_wait_dscnt 0x0
	v_fmac_f64_e32 v[158:159], v[140:141], v[154:155]
	s_wait_loadcnt 0x3
	s_delay_alu instid0(VALU_DEP_1)
	v_fmac_f64_e32 v[158:159], v[142:143], v[156:157]
	ds_load_b128 v[136:139], v2 offset:928
	ds_load_b128 v[140:143], v2 offset:944
	s_wait_dscnt 0x1
	v_fmac_f64_e32 v[158:159], v[144:145], v[136:137]
	s_wait_loadcnt 0x2
	s_delay_alu instid0(VALU_DEP_1) | instskip(SKIP_1) | instid1(VALU_DEP_1)
	v_fmac_f64_e32 v[158:159], v[146:147], v[138:139]
	s_wait_dscnt 0x0
	v_fmac_f64_e32 v[158:159], v[148:149], v[140:141]
	s_wait_loadcnt 0x1
	s_delay_alu instid0(VALU_DEP_1)
	v_fmac_f64_e32 v[158:159], v[128:129], v[142:143]
	ds_load_b128 v[136:139], v2 offset:960
	ds_load_b64 v[128:129], v2 offset:976
	s_wait_dscnt 0x1
	v_fmac_f64_e32 v[158:159], v[130:131], v[136:137]
	s_wait_loadcnt 0x0
	s_delay_alu instid0(VALU_DEP_1) | instskip(SKIP_1) | instid1(VALU_DEP_1)
	v_fmac_f64_e32 v[158:159], v[132:133], v[138:139]
	s_wait_dscnt 0x0
	v_fmac_f64_e32 v[158:159], v[134:135], v[128:129]
	s_delay_alu instid0(VALU_DEP_1)
	v_add_f64_e64 v[126:127], v[126:127], -v[158:159]
	scratch_store_b64 off, v[126:127], off offset:360
	s_wait_xcnt 0x0
	v_cmpx_lt_u32_e32 44, v0
	s_cbranch_execz .LBB60_287
; %bb.286:
	scratch_load_b64 v[126:127], off, off offset:352
	v_mov_b64_e32 v[128:129], 0
	scratch_store_b64 off, v[128:129], off offset:352
	s_wait_loadcnt 0x0
	ds_store_b64 v1, v[126:127]
.LBB60_287:
	s_wait_xcnt 0x0
	s_or_b32 exec_lo, exec_lo, s0
	s_wait_storecnt_dscnt 0x0
	s_barrier_signal -1
	s_barrier_wait -1
	s_clause 0x5
	scratch_load_b128 v[126:129], off, off offset:352
	scratch_load_b128 v[130:133], off, off offset:368
	;; [unrolled: 1-line block ×6, first 2 shown]
	ds_load_2addr_b64 v[150:153], v2 offset0:107 offset1:108
	ds_load_2addr_b64 v[154:157], v2 offset0:109 offset1:110
	s_mov_b32 s0, exec_lo
	s_wait_loadcnt_dscnt 0x501
	v_fma_f64 v[158:159], v[128:129], v[150:151], 0
	s_wait_loadcnt 0x4
	s_delay_alu instid0(VALU_DEP_1) | instskip(SKIP_4) | instid1(VALU_DEP_1)
	v_fmac_f64_e32 v[158:159], v[130:131], v[152:153]
	scratch_load_b128 v[128:131], off, off offset:448
	s_wait_dscnt 0x0
	v_fmac_f64_e32 v[158:159], v[132:133], v[154:155]
	s_wait_loadcnt 0x4
	v_fmac_f64_e32 v[158:159], v[134:135], v[156:157]
	scratch_load_b128 v[132:135], off, off offset:464
	ds_load_2addr_b64 v[150:153], v2 offset0:111 offset1:112
	ds_load_2addr_b64 v[154:157], v2 offset0:113 offset1:114
	s_wait_dscnt 0x1
	v_fmac_f64_e32 v[158:159], v[136:137], v[150:151]
	scratch_load_b64 v[150:151], off, off offset:480
	s_wait_loadcnt 0x5
	v_fmac_f64_e32 v[158:159], v[138:139], v[152:153]
	s_wait_dscnt 0x0
	s_delay_alu instid0(VALU_DEP_1) | instskip(SKIP_1) | instid1(VALU_DEP_1)
	v_fmac_f64_e32 v[158:159], v[140:141], v[154:155]
	s_wait_loadcnt 0x4
	v_fmac_f64_e32 v[158:159], v[142:143], v[156:157]
	ds_load_2addr_b64 v[136:139], v2 offset0:115 offset1:116
	ds_load_2addr_b64 v[140:143], v2 offset0:117 offset1:118
	s_wait_dscnt 0x1
	v_fmac_f64_e32 v[158:159], v[144:145], v[136:137]
	s_wait_loadcnt 0x3
	s_delay_alu instid0(VALU_DEP_1) | instskip(SKIP_1) | instid1(VALU_DEP_1)
	v_fmac_f64_e32 v[158:159], v[146:147], v[138:139]
	s_wait_dscnt 0x0
	v_fmac_f64_e32 v[158:159], v[148:149], v[140:141]
	s_wait_loadcnt 0x2
	s_delay_alu instid0(VALU_DEP_1)
	v_fmac_f64_e32 v[158:159], v[128:129], v[142:143]
	ds_load_2addr_b64 v[136:139], v2 offset0:119 offset1:120
	ds_load_2addr_b64 v[140:143], v2 offset0:121 offset1:122
	s_wait_dscnt 0x1
	v_fmac_f64_e32 v[158:159], v[130:131], v[136:137]
	s_wait_loadcnt 0x1
	s_delay_alu instid0(VALU_DEP_1) | instskip(SKIP_1) | instid1(VALU_DEP_1)
	v_fmac_f64_e32 v[158:159], v[132:133], v[138:139]
	s_wait_dscnt 0x0
	v_fmac_f64_e32 v[158:159], v[134:135], v[140:141]
	s_wait_loadcnt 0x0
	s_delay_alu instid0(VALU_DEP_1) | instskip(NEXT) | instid1(VALU_DEP_1)
	v_fmac_f64_e32 v[158:159], v[150:151], v[142:143]
	v_add_f64_e64 v[2:3], v[126:127], -v[158:159]
	scratch_store_b64 off, v[2:3], off offset:352
	s_wait_xcnt 0x0
	v_cmpx_lt_u32_e32 43, v0
	s_cbranch_execz .LBB60_289
; %bb.288:
	scratch_load_b64 v[2:3], off, off offset:344
	v_mov_b64_e32 v[126:127], 0
	scratch_store_b64 off, v[126:127], off offset:344
	s_wait_loadcnt 0x0
	ds_store_b64 v1, v[2:3]
.LBB60_289:
	s_wait_xcnt 0x0
	s_or_b32 exec_lo, exec_lo, s0
	s_wait_storecnt_dscnt 0x0
	s_barrier_signal -1
	s_barrier_wait -1
	s_clause 0x5
	scratch_load_b128 v[126:129], off, off offset:344
	scratch_load_b128 v[130:133], off, off offset:360
	;; [unrolled: 1-line block ×6, first 2 shown]
	v_mov_b32_e32 v2, 0
	ds_load_b128 v[150:153], v2 offset:848
	ds_load_b128 v[154:157], v2 offset:864
	s_mov_b32 s0, exec_lo
	s_wait_loadcnt_dscnt 0x501
	v_fma_f64 v[158:159], v[128:129], v[150:151], 0
	s_wait_loadcnt 0x4
	s_delay_alu instid0(VALU_DEP_1) | instskip(SKIP_4) | instid1(VALU_DEP_1)
	v_fmac_f64_e32 v[158:159], v[130:131], v[152:153]
	scratch_load_b128 v[128:131], off, off offset:440
	s_wait_dscnt 0x0
	v_fmac_f64_e32 v[158:159], v[132:133], v[154:155]
	s_wait_loadcnt 0x4
	v_fmac_f64_e32 v[158:159], v[134:135], v[156:157]
	scratch_load_b128 v[132:135], off, off offset:456
	ds_load_b128 v[150:153], v2 offset:880
	ds_load_b128 v[154:157], v2 offset:896
	s_wait_dscnt 0x1
	v_fmac_f64_e32 v[158:159], v[136:137], v[150:151]
	s_wait_loadcnt 0x4
	s_delay_alu instid0(VALU_DEP_1) | instskip(SKIP_4) | instid1(VALU_DEP_1)
	v_fmac_f64_e32 v[158:159], v[138:139], v[152:153]
	scratch_load_b128 v[136:139], off, off offset:472
	s_wait_dscnt 0x0
	v_fmac_f64_e32 v[158:159], v[140:141], v[154:155]
	s_wait_loadcnt 0x4
	v_fmac_f64_e32 v[158:159], v[142:143], v[156:157]
	ds_load_b128 v[140:143], v2 offset:912
	ds_load_b128 v[150:153], v2 offset:928
	s_wait_dscnt 0x1
	v_fmac_f64_e32 v[158:159], v[144:145], v[140:141]
	s_wait_loadcnt 0x3
	s_delay_alu instid0(VALU_DEP_1)
	v_fmac_f64_e32 v[158:159], v[146:147], v[142:143]
	ds_load_b128 v[140:143], v2 offset:944
	ds_load_b128 v[144:147], v2 offset:960
	s_wait_dscnt 0x2
	v_fmac_f64_e32 v[158:159], v[148:149], v[150:151]
	s_wait_loadcnt 0x2
	s_delay_alu instid0(VALU_DEP_1) | instskip(SKIP_4) | instid1(VALU_DEP_1)
	v_fmac_f64_e32 v[158:159], v[128:129], v[152:153]
	ds_load_b64 v[128:129], v2 offset:976
	s_wait_dscnt 0x2
	v_fmac_f64_e32 v[158:159], v[130:131], v[140:141]
	s_wait_loadcnt 0x1
	v_fmac_f64_e32 v[158:159], v[132:133], v[142:143]
	s_wait_dscnt 0x1
	s_delay_alu instid0(VALU_DEP_1) | instskip(SKIP_1) | instid1(VALU_DEP_1)
	v_fmac_f64_e32 v[158:159], v[134:135], v[144:145]
	s_wait_loadcnt 0x0
	v_fmac_f64_e32 v[158:159], v[136:137], v[146:147]
	s_wait_dscnt 0x0
	s_delay_alu instid0(VALU_DEP_1) | instskip(NEXT) | instid1(VALU_DEP_1)
	v_fmac_f64_e32 v[158:159], v[138:139], v[128:129]
	v_add_f64_e64 v[126:127], v[126:127], -v[158:159]
	scratch_store_b64 off, v[126:127], off offset:344
	s_wait_xcnt 0x0
	v_cmpx_lt_u32_e32 42, v0
	s_cbranch_execz .LBB60_291
; %bb.290:
	scratch_load_b64 v[126:127], off, off offset:336
	v_mov_b64_e32 v[128:129], 0
	scratch_store_b64 off, v[128:129], off offset:336
	s_wait_loadcnt 0x0
	ds_store_b64 v1, v[126:127]
.LBB60_291:
	s_wait_xcnt 0x0
	s_or_b32 exec_lo, exec_lo, s0
	s_wait_storecnt_dscnt 0x0
	s_barrier_signal -1
	s_barrier_wait -1
	s_clause 0x5
	scratch_load_b128 v[126:129], off, off offset:336
	scratch_load_b128 v[130:133], off, off offset:352
	;; [unrolled: 1-line block ×6, first 2 shown]
	ds_load_2addr_b64 v[150:153], v2 offset0:105 offset1:106
	ds_load_2addr_b64 v[154:157], v2 offset0:107 offset1:108
	s_mov_b32 s0, exec_lo
	s_wait_loadcnt_dscnt 0x501
	v_fma_f64 v[158:159], v[128:129], v[150:151], 0
	s_wait_loadcnt 0x4
	s_delay_alu instid0(VALU_DEP_1) | instskip(SKIP_4) | instid1(VALU_DEP_1)
	v_fmac_f64_e32 v[158:159], v[130:131], v[152:153]
	scratch_load_b128 v[128:131], off, off offset:432
	s_wait_dscnt 0x0
	v_fmac_f64_e32 v[158:159], v[132:133], v[154:155]
	s_wait_loadcnt 0x4
	v_fmac_f64_e32 v[158:159], v[134:135], v[156:157]
	scratch_load_b128 v[132:135], off, off offset:448
	ds_load_2addr_b64 v[150:153], v2 offset0:109 offset1:110
	ds_load_2addr_b64 v[154:157], v2 offset0:111 offset1:112
	s_wait_dscnt 0x1
	v_fmac_f64_e32 v[158:159], v[136:137], v[150:151]
	s_wait_loadcnt 0x4
	s_delay_alu instid0(VALU_DEP_1)
	v_fmac_f64_e32 v[158:159], v[138:139], v[152:153]
	scratch_load_b128 v[136:139], off, off offset:464
	s_wait_dscnt 0x0
	v_fmac_f64_e32 v[158:159], v[140:141], v[154:155]
	scratch_load_b64 v[154:155], off, off offset:480
	s_wait_loadcnt 0x5
	v_fmac_f64_e32 v[158:159], v[142:143], v[156:157]
	ds_load_2addr_b64 v[140:143], v2 offset0:113 offset1:114
	ds_load_2addr_b64 v[150:153], v2 offset0:115 offset1:116
	s_wait_dscnt 0x1
	v_fmac_f64_e32 v[158:159], v[144:145], v[140:141]
	s_wait_loadcnt 0x4
	s_delay_alu instid0(VALU_DEP_1)
	v_fmac_f64_e32 v[158:159], v[146:147], v[142:143]
	ds_load_2addr_b64 v[140:143], v2 offset0:117 offset1:118
	ds_load_2addr_b64 v[144:147], v2 offset0:119 offset1:120
	s_wait_dscnt 0x2
	v_fmac_f64_e32 v[158:159], v[148:149], v[150:151]
	s_wait_loadcnt 0x3
	s_delay_alu instid0(VALU_DEP_1) | instskip(SKIP_1) | instid1(VALU_DEP_1)
	v_fmac_f64_e32 v[158:159], v[128:129], v[152:153]
	s_wait_dscnt 0x1
	v_fmac_f64_e32 v[158:159], v[130:131], v[140:141]
	ds_load_2addr_b64 v[128:131], v2 offset0:121 offset1:122
	s_wait_loadcnt 0x2
	v_fmac_f64_e32 v[158:159], v[132:133], v[142:143]
	s_wait_dscnt 0x1
	s_delay_alu instid0(VALU_DEP_1) | instskip(SKIP_1) | instid1(VALU_DEP_1)
	v_fmac_f64_e32 v[158:159], v[134:135], v[144:145]
	s_wait_loadcnt 0x1
	v_fmac_f64_e32 v[158:159], v[136:137], v[146:147]
	s_wait_dscnt 0x0
	s_delay_alu instid0(VALU_DEP_1) | instskip(SKIP_1) | instid1(VALU_DEP_1)
	v_fmac_f64_e32 v[158:159], v[138:139], v[128:129]
	s_wait_loadcnt 0x0
	v_fmac_f64_e32 v[158:159], v[154:155], v[130:131]
	s_delay_alu instid0(VALU_DEP_1)
	v_add_f64_e64 v[2:3], v[126:127], -v[158:159]
	scratch_store_b64 off, v[2:3], off offset:336
	s_wait_xcnt 0x0
	v_cmpx_lt_u32_e32 41, v0
	s_cbranch_execz .LBB60_293
; %bb.292:
	scratch_load_b64 v[2:3], off, off offset:328
	v_mov_b64_e32 v[126:127], 0
	scratch_store_b64 off, v[126:127], off offset:328
	s_wait_loadcnt 0x0
	ds_store_b64 v1, v[2:3]
.LBB60_293:
	s_wait_xcnt 0x0
	s_or_b32 exec_lo, exec_lo, s0
	s_wait_storecnt_dscnt 0x0
	s_barrier_signal -1
	s_barrier_wait -1
	s_clause 0x5
	scratch_load_b128 v[126:129], off, off offset:328
	scratch_load_b128 v[130:133], off, off offset:344
	;; [unrolled: 1-line block ×6, first 2 shown]
	v_mov_b32_e32 v2, 0
	ds_load_b128 v[150:153], v2 offset:832
	ds_load_b128 v[154:157], v2 offset:848
	s_mov_b32 s0, exec_lo
	s_wait_loadcnt_dscnt 0x501
	v_fma_f64 v[158:159], v[128:129], v[150:151], 0
	s_wait_loadcnt 0x4
	s_delay_alu instid0(VALU_DEP_1) | instskip(SKIP_4) | instid1(VALU_DEP_1)
	v_fmac_f64_e32 v[158:159], v[130:131], v[152:153]
	scratch_load_b128 v[128:131], off, off offset:424
	s_wait_dscnt 0x0
	v_fmac_f64_e32 v[158:159], v[132:133], v[154:155]
	s_wait_loadcnt 0x4
	v_fmac_f64_e32 v[158:159], v[134:135], v[156:157]
	scratch_load_b128 v[132:135], off, off offset:440
	ds_load_b128 v[150:153], v2 offset:864
	ds_load_b128 v[154:157], v2 offset:880
	s_wait_dscnt 0x1
	v_fmac_f64_e32 v[158:159], v[136:137], v[150:151]
	s_wait_loadcnt 0x4
	s_delay_alu instid0(VALU_DEP_1) | instskip(SKIP_4) | instid1(VALU_DEP_1)
	v_fmac_f64_e32 v[158:159], v[138:139], v[152:153]
	scratch_load_b128 v[136:139], off, off offset:456
	s_wait_dscnt 0x0
	v_fmac_f64_e32 v[158:159], v[140:141], v[154:155]
	s_wait_loadcnt 0x4
	v_fmac_f64_e32 v[158:159], v[142:143], v[156:157]
	scratch_load_b128 v[140:143], off, off offset:472
	ds_load_b128 v[150:153], v2 offset:896
	ds_load_b128 v[154:157], v2 offset:912
	s_wait_dscnt 0x1
	v_fmac_f64_e32 v[158:159], v[144:145], v[150:151]
	s_wait_loadcnt 0x4
	s_delay_alu instid0(VALU_DEP_1) | instskip(SKIP_1) | instid1(VALU_DEP_1)
	v_fmac_f64_e32 v[158:159], v[146:147], v[152:153]
	s_wait_dscnt 0x0
	v_fmac_f64_e32 v[158:159], v[148:149], v[154:155]
	ds_load_b128 v[144:147], v2 offset:928
	ds_load_b128 v[148:151], v2 offset:944
	s_wait_loadcnt 0x3
	v_fmac_f64_e32 v[158:159], v[128:129], v[156:157]
	s_wait_dscnt 0x1
	s_delay_alu instid0(VALU_DEP_1) | instskip(SKIP_1) | instid1(VALU_DEP_1)
	v_fmac_f64_e32 v[158:159], v[130:131], v[144:145]
	s_wait_loadcnt 0x2
	v_fmac_f64_e32 v[158:159], v[132:133], v[146:147]
	ds_load_b128 v[128:131], v2 offset:960
	ds_load_b64 v[132:133], v2 offset:976
	s_wait_dscnt 0x2
	v_fmac_f64_e32 v[158:159], v[134:135], v[148:149]
	s_wait_loadcnt 0x1
	s_delay_alu instid0(VALU_DEP_1) | instskip(SKIP_1) | instid1(VALU_DEP_1)
	v_fmac_f64_e32 v[158:159], v[136:137], v[150:151]
	s_wait_dscnt 0x1
	v_fmac_f64_e32 v[158:159], v[138:139], v[128:129]
	s_wait_loadcnt 0x0
	s_delay_alu instid0(VALU_DEP_1) | instskip(SKIP_1) | instid1(VALU_DEP_1)
	v_fmac_f64_e32 v[158:159], v[140:141], v[130:131]
	s_wait_dscnt 0x0
	v_fmac_f64_e32 v[158:159], v[142:143], v[132:133]
	s_delay_alu instid0(VALU_DEP_1)
	v_add_f64_e64 v[126:127], v[126:127], -v[158:159]
	scratch_store_b64 off, v[126:127], off offset:328
	s_wait_xcnt 0x0
	v_cmpx_lt_u32_e32 40, v0
	s_cbranch_execz .LBB60_295
; %bb.294:
	scratch_load_b64 v[126:127], off, off offset:320
	v_mov_b64_e32 v[128:129], 0
	scratch_store_b64 off, v[128:129], off offset:320
	s_wait_loadcnt 0x0
	ds_store_b64 v1, v[126:127]
.LBB60_295:
	s_wait_xcnt 0x0
	s_or_b32 exec_lo, exec_lo, s0
	s_wait_storecnt_dscnt 0x0
	s_barrier_signal -1
	s_barrier_wait -1
	s_clause 0x5
	scratch_load_b128 v[126:129], off, off offset:320
	scratch_load_b128 v[130:133], off, off offset:336
	;; [unrolled: 1-line block ×6, first 2 shown]
	ds_load_2addr_b64 v[150:153], v2 offset0:103 offset1:104
	ds_load_2addr_b64 v[154:157], v2 offset0:105 offset1:106
	s_mov_b32 s0, exec_lo
	s_wait_loadcnt_dscnt 0x501
	v_fma_f64 v[158:159], v[128:129], v[150:151], 0
	s_wait_loadcnt 0x4
	s_delay_alu instid0(VALU_DEP_1) | instskip(SKIP_4) | instid1(VALU_DEP_1)
	v_fmac_f64_e32 v[158:159], v[130:131], v[152:153]
	scratch_load_b128 v[128:131], off, off offset:416
	s_wait_dscnt 0x0
	v_fmac_f64_e32 v[158:159], v[132:133], v[154:155]
	s_wait_loadcnt 0x4
	v_fmac_f64_e32 v[158:159], v[134:135], v[156:157]
	scratch_load_b128 v[132:135], off, off offset:432
	ds_load_2addr_b64 v[150:153], v2 offset0:107 offset1:108
	ds_load_2addr_b64 v[154:157], v2 offset0:109 offset1:110
	s_wait_dscnt 0x1
	v_fmac_f64_e32 v[158:159], v[136:137], v[150:151]
	s_wait_loadcnt 0x4
	s_delay_alu instid0(VALU_DEP_1) | instskip(SKIP_4) | instid1(VALU_DEP_1)
	v_fmac_f64_e32 v[158:159], v[138:139], v[152:153]
	scratch_load_b128 v[136:139], off, off offset:448
	s_wait_dscnt 0x0
	v_fmac_f64_e32 v[158:159], v[140:141], v[154:155]
	s_wait_loadcnt 0x4
	v_fmac_f64_e32 v[158:159], v[142:143], v[156:157]
	scratch_load_b128 v[140:143], off, off offset:464
	ds_load_2addr_b64 v[150:153], v2 offset0:111 offset1:112
	ds_load_2addr_b64 v[154:157], v2 offset0:113 offset1:114
	s_wait_dscnt 0x1
	v_fmac_f64_e32 v[158:159], v[144:145], v[150:151]
	s_wait_loadcnt 0x4
	s_delay_alu instid0(VALU_DEP_1)
	v_fmac_f64_e32 v[158:159], v[146:147], v[152:153]
	scratch_load_b64 v[152:153], off, off offset:480
	s_wait_dscnt 0x0
	v_fmac_f64_e32 v[158:159], v[148:149], v[154:155]
	ds_load_2addr_b64 v[144:147], v2 offset0:115 offset1:116
	ds_load_2addr_b64 v[148:151], v2 offset0:117 offset1:118
	s_wait_loadcnt 0x4
	v_fmac_f64_e32 v[158:159], v[128:129], v[156:157]
	s_wait_dscnt 0x1
	s_delay_alu instid0(VALU_DEP_1) | instskip(SKIP_1) | instid1(VALU_DEP_1)
	v_fmac_f64_e32 v[158:159], v[130:131], v[144:145]
	s_wait_loadcnt 0x3
	v_fmac_f64_e32 v[158:159], v[132:133], v[146:147]
	s_wait_dscnt 0x0
	s_delay_alu instid0(VALU_DEP_1)
	v_fmac_f64_e32 v[158:159], v[134:135], v[148:149]
	ds_load_2addr_b64 v[128:131], v2 offset0:119 offset1:120
	ds_load_2addr_b64 v[132:135], v2 offset0:121 offset1:122
	s_wait_loadcnt 0x2
	v_fmac_f64_e32 v[158:159], v[136:137], v[150:151]
	s_wait_dscnt 0x1
	s_delay_alu instid0(VALU_DEP_1) | instskip(SKIP_1) | instid1(VALU_DEP_1)
	v_fmac_f64_e32 v[158:159], v[138:139], v[128:129]
	s_wait_loadcnt 0x1
	v_fmac_f64_e32 v[158:159], v[140:141], v[130:131]
	s_wait_dscnt 0x0
	s_delay_alu instid0(VALU_DEP_1) | instskip(SKIP_1) | instid1(VALU_DEP_1)
	v_fmac_f64_e32 v[158:159], v[142:143], v[132:133]
	s_wait_loadcnt 0x0
	v_fmac_f64_e32 v[158:159], v[152:153], v[134:135]
	s_delay_alu instid0(VALU_DEP_1)
	v_add_f64_e64 v[2:3], v[126:127], -v[158:159]
	scratch_store_b64 off, v[2:3], off offset:320
	s_wait_xcnt 0x0
	v_cmpx_lt_u32_e32 39, v0
	s_cbranch_execz .LBB60_297
; %bb.296:
	scratch_load_b64 v[2:3], off, off offset:312
	v_mov_b64_e32 v[126:127], 0
	scratch_store_b64 off, v[126:127], off offset:312
	s_wait_loadcnt 0x0
	ds_store_b64 v1, v[2:3]
.LBB60_297:
	s_wait_xcnt 0x0
	s_or_b32 exec_lo, exec_lo, s0
	s_wait_storecnt_dscnt 0x0
	s_barrier_signal -1
	s_barrier_wait -1
	s_clause 0x5
	scratch_load_b128 v[126:129], off, off offset:312
	scratch_load_b128 v[130:133], off, off offset:328
	;; [unrolled: 1-line block ×6, first 2 shown]
	v_mov_b32_e32 v2, 0
	ds_load_b128 v[150:153], v2 offset:816
	ds_load_b128 v[154:157], v2 offset:832
	s_mov_b32 s0, exec_lo
	s_wait_loadcnt_dscnt 0x501
	v_fma_f64 v[158:159], v[128:129], v[150:151], 0
	s_wait_loadcnt 0x4
	s_delay_alu instid0(VALU_DEP_1) | instskip(SKIP_4) | instid1(VALU_DEP_1)
	v_fmac_f64_e32 v[158:159], v[130:131], v[152:153]
	scratch_load_b128 v[128:131], off, off offset:408
	s_wait_dscnt 0x0
	v_fmac_f64_e32 v[158:159], v[132:133], v[154:155]
	s_wait_loadcnt 0x4
	v_fmac_f64_e32 v[158:159], v[134:135], v[156:157]
	scratch_load_b128 v[132:135], off, off offset:424
	ds_load_b128 v[150:153], v2 offset:848
	ds_load_b128 v[154:157], v2 offset:864
	s_wait_dscnt 0x1
	v_fmac_f64_e32 v[158:159], v[136:137], v[150:151]
	s_wait_loadcnt 0x4
	s_delay_alu instid0(VALU_DEP_1) | instskip(SKIP_4) | instid1(VALU_DEP_1)
	v_fmac_f64_e32 v[158:159], v[138:139], v[152:153]
	scratch_load_b128 v[136:139], off, off offset:440
	s_wait_dscnt 0x0
	v_fmac_f64_e32 v[158:159], v[140:141], v[154:155]
	s_wait_loadcnt 0x4
	v_fmac_f64_e32 v[158:159], v[142:143], v[156:157]
	scratch_load_b128 v[140:143], off, off offset:456
	ds_load_b128 v[150:153], v2 offset:880
	ds_load_b128 v[154:157], v2 offset:896
	s_wait_dscnt 0x1
	v_fmac_f64_e32 v[158:159], v[144:145], v[150:151]
	s_wait_loadcnt 0x4
	s_delay_alu instid0(VALU_DEP_1)
	v_fmac_f64_e32 v[158:159], v[146:147], v[152:153]
	scratch_load_b128 v[144:147], off, off offset:472
	s_wait_dscnt 0x0
	v_fmac_f64_e32 v[158:159], v[148:149], v[154:155]
	ds_load_b128 v[148:151], v2 offset:912
	ds_load_b128 v[152:155], v2 offset:928
	s_wait_loadcnt 0x4
	v_fmac_f64_e32 v[158:159], v[128:129], v[156:157]
	s_wait_dscnt 0x1
	s_delay_alu instid0(VALU_DEP_1) | instskip(SKIP_1) | instid1(VALU_DEP_1)
	v_fmac_f64_e32 v[158:159], v[130:131], v[148:149]
	s_wait_loadcnt 0x3
	v_fmac_f64_e32 v[158:159], v[132:133], v[150:151]
	s_wait_dscnt 0x0
	s_delay_alu instid0(VALU_DEP_1)
	v_fmac_f64_e32 v[158:159], v[134:135], v[152:153]
	ds_load_b128 v[128:131], v2 offset:944
	ds_load_b128 v[132:135], v2 offset:960
	s_wait_loadcnt 0x2
	v_fmac_f64_e32 v[158:159], v[136:137], v[154:155]
	s_wait_dscnt 0x1
	s_delay_alu instid0(VALU_DEP_1) | instskip(SKIP_4) | instid1(VALU_DEP_1)
	v_fmac_f64_e32 v[158:159], v[138:139], v[128:129]
	ds_load_b64 v[128:129], v2 offset:976
	s_wait_loadcnt 0x1
	v_fmac_f64_e32 v[158:159], v[140:141], v[130:131]
	s_wait_dscnt 0x1
	v_fmac_f64_e32 v[158:159], v[142:143], v[132:133]
	s_wait_loadcnt 0x0
	s_delay_alu instid0(VALU_DEP_1) | instskip(SKIP_1) | instid1(VALU_DEP_1)
	v_fmac_f64_e32 v[158:159], v[144:145], v[134:135]
	s_wait_dscnt 0x0
	v_fmac_f64_e32 v[158:159], v[146:147], v[128:129]
	s_delay_alu instid0(VALU_DEP_1)
	v_add_f64_e64 v[126:127], v[126:127], -v[158:159]
	scratch_store_b64 off, v[126:127], off offset:312
	s_wait_xcnt 0x0
	v_cmpx_lt_u32_e32 38, v0
	s_cbranch_execz .LBB60_299
; %bb.298:
	scratch_load_b64 v[126:127], off, off offset:304
	v_mov_b64_e32 v[128:129], 0
	scratch_store_b64 off, v[128:129], off offset:304
	s_wait_loadcnt 0x0
	ds_store_b64 v1, v[126:127]
.LBB60_299:
	s_wait_xcnt 0x0
	s_or_b32 exec_lo, exec_lo, s0
	s_wait_storecnt_dscnt 0x0
	s_barrier_signal -1
	s_barrier_wait -1
	s_clause 0x5
	scratch_load_b128 v[126:129], off, off offset:304
	scratch_load_b128 v[130:133], off, off offset:320
	;; [unrolled: 1-line block ×6, first 2 shown]
	ds_load_2addr_b64 v[150:153], v2 offset0:101 offset1:102
	ds_load_2addr_b64 v[154:157], v2 offset0:103 offset1:104
	scratch_load_b128 v[158:161], off, off offset:400
	s_mov_b32 s0, exec_lo
	s_wait_loadcnt_dscnt 0x601
	v_fma_f64 v[162:163], v[128:129], v[150:151], 0
	s_wait_loadcnt 0x5
	s_delay_alu instid0(VALU_DEP_1) | instskip(SKIP_4) | instid1(VALU_DEP_1)
	v_fmac_f64_e32 v[162:163], v[130:131], v[152:153]
	scratch_load_b128 v[128:131], off, off offset:416
	s_wait_dscnt 0x0
	v_fmac_f64_e32 v[162:163], v[132:133], v[154:155]
	s_wait_loadcnt 0x5
	v_fmac_f64_e32 v[162:163], v[134:135], v[156:157]
	ds_load_2addr_b64 v[132:135], v2 offset0:105 offset1:106
	ds_load_2addr_b64 v[150:153], v2 offset0:107 offset1:108
	s_wait_dscnt 0x1
	v_fmac_f64_e32 v[162:163], v[136:137], v[132:133]
	s_wait_loadcnt 0x4
	s_delay_alu instid0(VALU_DEP_1)
	v_fmac_f64_e32 v[162:163], v[138:139], v[134:135]
	s_clause 0x1
	scratch_load_b128 v[132:135], off, off offset:432
	scratch_load_b128 v[136:139], off, off offset:448
	s_wait_dscnt 0x0
	v_fmac_f64_e32 v[162:163], v[140:141], v[150:151]
	s_wait_loadcnt 0x5
	s_delay_alu instid0(VALU_DEP_1)
	v_fmac_f64_e32 v[162:163], v[142:143], v[152:153]
	ds_load_2addr_b64 v[140:143], v2 offset0:109 offset1:110
	ds_load_2addr_b64 v[150:153], v2 offset0:111 offset1:112
	s_wait_dscnt 0x1
	v_fmac_f64_e32 v[162:163], v[144:145], v[140:141]
	s_wait_loadcnt 0x4
	s_delay_alu instid0(VALU_DEP_1) | instskip(SKIP_4) | instid1(VALU_DEP_1)
	v_fmac_f64_e32 v[162:163], v[146:147], v[142:143]
	scratch_load_b128 v[140:143], off, off offset:464
	s_wait_dscnt 0x0
	v_fmac_f64_e32 v[162:163], v[148:149], v[150:151]
	s_wait_loadcnt 0x4
	v_fmac_f64_e32 v[162:163], v[158:159], v[152:153]
	scratch_load_b64 v[152:153], off, off offset:480
	ds_load_2addr_b64 v[144:147], v2 offset0:113 offset1:114
	ds_load_2addr_b64 v[148:151], v2 offset0:115 offset1:116
	s_wait_dscnt 0x1
	v_fmac_f64_e32 v[162:163], v[160:161], v[144:145]
	s_wait_loadcnt 0x4
	s_delay_alu instid0(VALU_DEP_1) | instskip(SKIP_1) | instid1(VALU_DEP_1)
	v_fmac_f64_e32 v[162:163], v[128:129], v[146:147]
	s_wait_dscnt 0x0
	v_fmac_f64_e32 v[162:163], v[130:131], v[148:149]
	ds_load_2addr_b64 v[128:131], v2 offset0:117 offset1:118
	ds_load_2addr_b64 v[144:147], v2 offset0:119 offset1:120
	s_wait_loadcnt 0x3
	v_fmac_f64_e32 v[162:163], v[132:133], v[150:151]
	s_wait_dscnt 0x1
	s_delay_alu instid0(VALU_DEP_1) | instskip(SKIP_1) | instid1(VALU_DEP_1)
	v_fmac_f64_e32 v[162:163], v[134:135], v[128:129]
	s_wait_loadcnt 0x2
	v_fmac_f64_e32 v[162:163], v[136:137], v[130:131]
	ds_load_2addr_b64 v[128:131], v2 offset0:121 offset1:122
	s_wait_dscnt 0x1
	v_fmac_f64_e32 v[162:163], v[138:139], v[144:145]
	s_wait_loadcnt 0x1
	s_delay_alu instid0(VALU_DEP_1) | instskip(SKIP_1) | instid1(VALU_DEP_1)
	v_fmac_f64_e32 v[162:163], v[140:141], v[146:147]
	s_wait_dscnt 0x0
	v_fmac_f64_e32 v[162:163], v[142:143], v[128:129]
	s_wait_loadcnt 0x0
	s_delay_alu instid0(VALU_DEP_1) | instskip(NEXT) | instid1(VALU_DEP_1)
	v_fmac_f64_e32 v[162:163], v[152:153], v[130:131]
	v_add_f64_e64 v[2:3], v[126:127], -v[162:163]
	scratch_store_b64 off, v[2:3], off offset:304
	s_wait_xcnt 0x0
	v_cmpx_lt_u32_e32 37, v0
	s_cbranch_execz .LBB60_301
; %bb.300:
	scratch_load_b64 v[2:3], off, off offset:296
	v_mov_b64_e32 v[126:127], 0
	scratch_store_b64 off, v[126:127], off offset:296
	s_wait_loadcnt 0x0
	ds_store_b64 v1, v[2:3]
.LBB60_301:
	s_wait_xcnt 0x0
	s_or_b32 exec_lo, exec_lo, s0
	s_wait_storecnt_dscnt 0x0
	s_barrier_signal -1
	s_barrier_wait -1
	s_clause 0x5
	scratch_load_b128 v[126:129], off, off offset:296
	scratch_load_b128 v[130:133], off, off offset:312
	;; [unrolled: 1-line block ×6, first 2 shown]
	v_mov_b32_e32 v2, 0
	ds_load_b128 v[150:153], v2 offset:800
	ds_load_b128 v[154:157], v2 offset:816
	scratch_load_b128 v[158:161], off, off offset:392
	s_mov_b32 s0, exec_lo
	s_wait_loadcnt_dscnt 0x601
	v_fma_f64 v[162:163], v[128:129], v[150:151], 0
	s_wait_loadcnt 0x5
	s_delay_alu instid0(VALU_DEP_1) | instskip(SKIP_4) | instid1(VALU_DEP_1)
	v_fmac_f64_e32 v[162:163], v[130:131], v[152:153]
	scratch_load_b128 v[128:131], off, off offset:408
	s_wait_dscnt 0x0
	v_fmac_f64_e32 v[162:163], v[132:133], v[154:155]
	s_wait_loadcnt 0x5
	v_fmac_f64_e32 v[162:163], v[134:135], v[156:157]
	ds_load_b128 v[132:135], v2 offset:832
	ds_load_b128 v[150:153], v2 offset:848
	s_wait_dscnt 0x1
	v_fmac_f64_e32 v[162:163], v[136:137], v[132:133]
	s_wait_loadcnt 0x4
	s_delay_alu instid0(VALU_DEP_1)
	v_fmac_f64_e32 v[162:163], v[138:139], v[134:135]
	s_clause 0x1
	scratch_load_b128 v[132:135], off, off offset:424
	scratch_load_b128 v[136:139], off, off offset:440
	s_wait_dscnt 0x0
	v_fmac_f64_e32 v[162:163], v[140:141], v[150:151]
	s_wait_loadcnt 0x5
	s_delay_alu instid0(VALU_DEP_1)
	v_fmac_f64_e32 v[162:163], v[142:143], v[152:153]
	ds_load_b128 v[140:143], v2 offset:864
	ds_load_b128 v[150:153], v2 offset:880
	s_wait_dscnt 0x1
	v_fmac_f64_e32 v[162:163], v[144:145], v[140:141]
	s_wait_loadcnt 0x4
	s_delay_alu instid0(VALU_DEP_1)
	v_fmac_f64_e32 v[162:163], v[146:147], v[142:143]
	s_clause 0x1
	scratch_load_b128 v[140:143], off, off offset:456
	scratch_load_b128 v[144:147], off, off offset:472
	s_wait_dscnt 0x0
	v_fmac_f64_e32 v[162:163], v[148:149], v[150:151]
	s_wait_loadcnt 0x5
	s_delay_alu instid0(VALU_DEP_1)
	v_fmac_f64_e32 v[162:163], v[158:159], v[152:153]
	ds_load_b128 v[148:151], v2 offset:896
	ds_load_b128 v[152:155], v2 offset:912
	s_wait_dscnt 0x1
	v_fmac_f64_e32 v[162:163], v[160:161], v[148:149]
	s_wait_loadcnt 0x4
	s_delay_alu instid0(VALU_DEP_1) | instskip(SKIP_1) | instid1(VALU_DEP_1)
	v_fmac_f64_e32 v[162:163], v[128:129], v[150:151]
	s_wait_dscnt 0x0
	v_fmac_f64_e32 v[162:163], v[130:131], v[152:153]
	ds_load_b128 v[128:131], v2 offset:928
	ds_load_b128 v[148:151], v2 offset:944
	s_wait_loadcnt 0x3
	v_fmac_f64_e32 v[162:163], v[132:133], v[154:155]
	s_wait_dscnt 0x1
	s_delay_alu instid0(VALU_DEP_1) | instskip(SKIP_1) | instid1(VALU_DEP_1)
	v_fmac_f64_e32 v[162:163], v[134:135], v[128:129]
	s_wait_loadcnt 0x2
	v_fmac_f64_e32 v[162:163], v[136:137], v[130:131]
	ds_load_b128 v[128:131], v2 offset:960
	ds_load_b64 v[132:133], v2 offset:976
	s_wait_dscnt 0x2
	v_fmac_f64_e32 v[162:163], v[138:139], v[148:149]
	s_wait_loadcnt 0x1
	s_delay_alu instid0(VALU_DEP_1) | instskip(SKIP_1) | instid1(VALU_DEP_1)
	v_fmac_f64_e32 v[162:163], v[140:141], v[150:151]
	s_wait_dscnt 0x1
	v_fmac_f64_e32 v[162:163], v[142:143], v[128:129]
	s_wait_loadcnt 0x0
	s_delay_alu instid0(VALU_DEP_1) | instskip(SKIP_1) | instid1(VALU_DEP_1)
	v_fmac_f64_e32 v[162:163], v[144:145], v[130:131]
	s_wait_dscnt 0x0
	v_fmac_f64_e32 v[162:163], v[146:147], v[132:133]
	s_delay_alu instid0(VALU_DEP_1)
	v_add_f64_e64 v[126:127], v[126:127], -v[162:163]
	scratch_store_b64 off, v[126:127], off offset:296
	s_wait_xcnt 0x0
	v_cmpx_lt_u32_e32 36, v0
	s_cbranch_execz .LBB60_303
; %bb.302:
	scratch_load_b64 v[126:127], off, off offset:288
	v_mov_b64_e32 v[128:129], 0
	scratch_store_b64 off, v[128:129], off offset:288
	s_wait_loadcnt 0x0
	ds_store_b64 v1, v[126:127]
.LBB60_303:
	s_wait_xcnt 0x0
	s_or_b32 exec_lo, exec_lo, s0
	s_wait_storecnt_dscnt 0x0
	s_barrier_signal -1
	s_barrier_wait -1
	s_clause 0x5
	scratch_load_b128 v[126:129], off, off offset:288
	scratch_load_b128 v[130:133], off, off offset:304
	;; [unrolled: 1-line block ×6, first 2 shown]
	ds_load_2addr_b64 v[150:153], v2 offset0:99 offset1:100
	ds_load_2addr_b64 v[154:157], v2 offset0:101 offset1:102
	scratch_load_b128 v[158:161], off, off offset:384
	s_mov_b32 s0, exec_lo
	s_wait_loadcnt_dscnt 0x601
	v_fma_f64 v[162:163], v[128:129], v[150:151], 0
	s_wait_loadcnt 0x5
	s_delay_alu instid0(VALU_DEP_1) | instskip(SKIP_4) | instid1(VALU_DEP_1)
	v_fmac_f64_e32 v[162:163], v[130:131], v[152:153]
	scratch_load_b128 v[128:131], off, off offset:400
	s_wait_dscnt 0x0
	v_fmac_f64_e32 v[162:163], v[132:133], v[154:155]
	s_wait_loadcnt 0x5
	v_fmac_f64_e32 v[162:163], v[134:135], v[156:157]
	ds_load_2addr_b64 v[132:135], v2 offset0:103 offset1:104
	ds_load_2addr_b64 v[150:153], v2 offset0:105 offset1:106
	s_wait_dscnt 0x1
	v_fmac_f64_e32 v[162:163], v[136:137], v[132:133]
	s_wait_loadcnt 0x4
	s_delay_alu instid0(VALU_DEP_1)
	v_fmac_f64_e32 v[162:163], v[138:139], v[134:135]
	s_clause 0x1
	scratch_load_b128 v[132:135], off, off offset:416
	scratch_load_b128 v[136:139], off, off offset:432
	s_wait_dscnt 0x0
	v_fmac_f64_e32 v[162:163], v[140:141], v[150:151]
	s_wait_loadcnt 0x5
	s_delay_alu instid0(VALU_DEP_1)
	v_fmac_f64_e32 v[162:163], v[142:143], v[152:153]
	ds_load_2addr_b64 v[140:143], v2 offset0:107 offset1:108
	ds_load_2addr_b64 v[150:153], v2 offset0:109 offset1:110
	s_wait_dscnt 0x1
	v_fmac_f64_e32 v[162:163], v[144:145], v[140:141]
	s_wait_loadcnt 0x4
	s_delay_alu instid0(VALU_DEP_1)
	v_fmac_f64_e32 v[162:163], v[146:147], v[142:143]
	s_clause 0x1
	scratch_load_b128 v[140:143], off, off offset:448
	scratch_load_b128 v[144:147], off, off offset:464
	s_wait_dscnt 0x0
	v_fmac_f64_e32 v[162:163], v[148:149], v[150:151]
	s_wait_loadcnt 0x5
	s_delay_alu instid0(VALU_DEP_1)
	v_fmac_f64_e32 v[162:163], v[158:159], v[152:153]
	ds_load_2addr_b64 v[148:151], v2 offset0:111 offset1:112
	ds_load_2addr_b64 v[152:155], v2 offset0:113 offset1:114
	scratch_load_b64 v[156:157], off, off offset:480
	s_wait_dscnt 0x1
	v_fmac_f64_e32 v[162:163], v[160:161], v[148:149]
	s_wait_loadcnt 0x5
	s_delay_alu instid0(VALU_DEP_1) | instskip(SKIP_1) | instid1(VALU_DEP_1)
	v_fmac_f64_e32 v[162:163], v[128:129], v[150:151]
	s_wait_dscnt 0x0
	v_fmac_f64_e32 v[162:163], v[130:131], v[152:153]
	ds_load_2addr_b64 v[128:131], v2 offset0:115 offset1:116
	ds_load_2addr_b64 v[148:151], v2 offset0:117 offset1:118
	s_wait_loadcnt 0x4
	v_fmac_f64_e32 v[162:163], v[132:133], v[154:155]
	s_wait_dscnt 0x1
	s_delay_alu instid0(VALU_DEP_1) | instskip(SKIP_1) | instid1(VALU_DEP_1)
	v_fmac_f64_e32 v[162:163], v[134:135], v[128:129]
	s_wait_loadcnt 0x3
	v_fmac_f64_e32 v[162:163], v[136:137], v[130:131]
	ds_load_2addr_b64 v[128:131], v2 offset0:119 offset1:120
	ds_load_2addr_b64 v[132:135], v2 offset0:121 offset1:122
	s_wait_dscnt 0x2
	v_fmac_f64_e32 v[162:163], v[138:139], v[148:149]
	s_wait_loadcnt 0x2
	s_delay_alu instid0(VALU_DEP_1) | instskip(SKIP_1) | instid1(VALU_DEP_1)
	v_fmac_f64_e32 v[162:163], v[140:141], v[150:151]
	s_wait_dscnt 0x1
	v_fmac_f64_e32 v[162:163], v[142:143], v[128:129]
	s_wait_loadcnt 0x1
	s_delay_alu instid0(VALU_DEP_1) | instskip(SKIP_1) | instid1(VALU_DEP_1)
	v_fmac_f64_e32 v[162:163], v[144:145], v[130:131]
	s_wait_dscnt 0x0
	v_fmac_f64_e32 v[162:163], v[146:147], v[132:133]
	s_wait_loadcnt 0x0
	s_delay_alu instid0(VALU_DEP_1) | instskip(NEXT) | instid1(VALU_DEP_1)
	v_fmac_f64_e32 v[162:163], v[156:157], v[134:135]
	v_add_f64_e64 v[2:3], v[126:127], -v[162:163]
	scratch_store_b64 off, v[2:3], off offset:288
	s_wait_xcnt 0x0
	v_cmpx_lt_u32_e32 35, v0
	s_cbranch_execz .LBB60_305
; %bb.304:
	scratch_load_b64 v[2:3], off, off offset:280
	v_mov_b64_e32 v[126:127], 0
	scratch_store_b64 off, v[126:127], off offset:280
	s_wait_loadcnt 0x0
	ds_store_b64 v1, v[2:3]
.LBB60_305:
	s_wait_xcnt 0x0
	s_or_b32 exec_lo, exec_lo, s0
	s_wait_storecnt_dscnt 0x0
	s_barrier_signal -1
	s_barrier_wait -1
	s_clause 0x5
	scratch_load_b128 v[126:129], off, off offset:280
	scratch_load_b128 v[130:133], off, off offset:296
	;; [unrolled: 1-line block ×6, first 2 shown]
	v_mov_b32_e32 v2, 0
	ds_load_b128 v[150:153], v2 offset:784
	ds_load_b128 v[154:157], v2 offset:800
	scratch_load_b128 v[158:161], off, off offset:376
	s_mov_b32 s0, exec_lo
	s_wait_loadcnt_dscnt 0x601
	v_fma_f64 v[162:163], v[128:129], v[150:151], 0
	s_wait_loadcnt 0x5
	s_delay_alu instid0(VALU_DEP_1) | instskip(SKIP_4) | instid1(VALU_DEP_1)
	v_fmac_f64_e32 v[162:163], v[130:131], v[152:153]
	scratch_load_b128 v[128:131], off, off offset:392
	s_wait_dscnt 0x0
	v_fmac_f64_e32 v[162:163], v[132:133], v[154:155]
	s_wait_loadcnt 0x5
	v_fmac_f64_e32 v[162:163], v[134:135], v[156:157]
	ds_load_b128 v[132:135], v2 offset:816
	ds_load_b128 v[150:153], v2 offset:832
	s_wait_dscnt 0x1
	v_fmac_f64_e32 v[162:163], v[136:137], v[132:133]
	s_wait_loadcnt 0x4
	s_delay_alu instid0(VALU_DEP_1)
	v_fmac_f64_e32 v[162:163], v[138:139], v[134:135]
	s_clause 0x1
	scratch_load_b128 v[132:135], off, off offset:408
	scratch_load_b128 v[136:139], off, off offset:424
	s_wait_dscnt 0x0
	v_fmac_f64_e32 v[162:163], v[140:141], v[150:151]
	s_wait_loadcnt 0x5
	s_delay_alu instid0(VALU_DEP_1)
	v_fmac_f64_e32 v[162:163], v[142:143], v[152:153]
	ds_load_b128 v[140:143], v2 offset:848
	ds_load_b128 v[150:153], v2 offset:864
	s_wait_dscnt 0x1
	v_fmac_f64_e32 v[162:163], v[144:145], v[140:141]
	s_wait_loadcnt 0x4
	s_delay_alu instid0(VALU_DEP_1)
	v_fmac_f64_e32 v[162:163], v[146:147], v[142:143]
	s_clause 0x1
	scratch_load_b128 v[140:143], off, off offset:440
	scratch_load_b128 v[144:147], off, off offset:456
	s_wait_dscnt 0x0
	v_fmac_f64_e32 v[162:163], v[148:149], v[150:151]
	s_wait_loadcnt 0x5
	s_delay_alu instid0(VALU_DEP_1)
	v_fmac_f64_e32 v[162:163], v[158:159], v[152:153]
	ds_load_b128 v[148:151], v2 offset:880
	ds_load_b128 v[152:155], v2 offset:896
	s_wait_dscnt 0x1
	v_fmac_f64_e32 v[162:163], v[160:161], v[148:149]
	s_wait_loadcnt 0x4
	s_delay_alu instid0(VALU_DEP_1) | instskip(SKIP_4) | instid1(VALU_DEP_1)
	v_fmac_f64_e32 v[162:163], v[128:129], v[150:151]
	scratch_load_b128 v[148:151], off, off offset:472
	s_wait_dscnt 0x0
	v_fmac_f64_e32 v[162:163], v[130:131], v[152:153]
	s_wait_loadcnt 0x4
	v_fmac_f64_e32 v[162:163], v[132:133], v[154:155]
	ds_load_b128 v[128:131], v2 offset:912
	ds_load_b128 v[152:155], v2 offset:928
	s_wait_dscnt 0x1
	v_fmac_f64_e32 v[162:163], v[134:135], v[128:129]
	s_wait_loadcnt 0x3
	s_delay_alu instid0(VALU_DEP_1)
	v_fmac_f64_e32 v[162:163], v[136:137], v[130:131]
	ds_load_b128 v[128:131], v2 offset:944
	ds_load_b128 v[132:135], v2 offset:960
	s_wait_dscnt 0x2
	v_fmac_f64_e32 v[162:163], v[138:139], v[152:153]
	s_wait_loadcnt 0x2
	s_delay_alu instid0(VALU_DEP_1) | instskip(SKIP_1) | instid1(VALU_DEP_1)
	v_fmac_f64_e32 v[162:163], v[140:141], v[154:155]
	s_wait_dscnt 0x1
	v_fmac_f64_e32 v[162:163], v[142:143], v[128:129]
	ds_load_b64 v[128:129], v2 offset:976
	s_wait_loadcnt 0x1
	v_fmac_f64_e32 v[162:163], v[144:145], v[130:131]
	s_wait_dscnt 0x1
	s_delay_alu instid0(VALU_DEP_1) | instskip(SKIP_1) | instid1(VALU_DEP_1)
	v_fmac_f64_e32 v[162:163], v[146:147], v[132:133]
	s_wait_loadcnt 0x0
	v_fmac_f64_e32 v[162:163], v[148:149], v[134:135]
	s_wait_dscnt 0x0
	s_delay_alu instid0(VALU_DEP_1) | instskip(NEXT) | instid1(VALU_DEP_1)
	v_fmac_f64_e32 v[162:163], v[150:151], v[128:129]
	v_add_f64_e64 v[126:127], v[126:127], -v[162:163]
	scratch_store_b64 off, v[126:127], off offset:280
	s_wait_xcnt 0x0
	v_cmpx_lt_u32_e32 34, v0
	s_cbranch_execz .LBB60_307
; %bb.306:
	scratch_load_b64 v[126:127], off, off offset:272
	v_mov_b64_e32 v[128:129], 0
	scratch_store_b64 off, v[128:129], off offset:272
	s_wait_loadcnt 0x0
	ds_store_b64 v1, v[126:127]
.LBB60_307:
	s_wait_xcnt 0x0
	s_or_b32 exec_lo, exec_lo, s0
	s_wait_storecnt_dscnt 0x0
	s_barrier_signal -1
	s_barrier_wait -1
	s_clause 0x5
	scratch_load_b128 v[126:129], off, off offset:272
	scratch_load_b128 v[130:133], off, off offset:288
	;; [unrolled: 1-line block ×6, first 2 shown]
	ds_load_2addr_b64 v[150:153], v2 offset0:97 offset1:98
	ds_load_2addr_b64 v[154:157], v2 offset0:99 offset1:100
	scratch_load_b128 v[158:161], off, off offset:368
	s_mov_b32 s0, exec_lo
	s_wait_loadcnt_dscnt 0x601
	v_fma_f64 v[162:163], v[128:129], v[150:151], 0
	s_wait_loadcnt 0x5
	s_delay_alu instid0(VALU_DEP_1) | instskip(SKIP_4) | instid1(VALU_DEP_1)
	v_fmac_f64_e32 v[162:163], v[130:131], v[152:153]
	scratch_load_b128 v[128:131], off, off offset:384
	s_wait_dscnt 0x0
	v_fmac_f64_e32 v[162:163], v[132:133], v[154:155]
	s_wait_loadcnt 0x5
	v_fmac_f64_e32 v[162:163], v[134:135], v[156:157]
	ds_load_2addr_b64 v[132:135], v2 offset0:101 offset1:102
	ds_load_2addr_b64 v[150:153], v2 offset0:103 offset1:104
	scratch_load_b128 v[154:157], off, off offset:400
	s_wait_dscnt 0x1
	v_fmac_f64_e32 v[162:163], v[136:137], v[132:133]
	s_wait_loadcnt 0x5
	s_delay_alu instid0(VALU_DEP_1) | instskip(SKIP_4) | instid1(VALU_DEP_1)
	v_fmac_f64_e32 v[162:163], v[138:139], v[134:135]
	scratch_load_b128 v[132:135], off, off offset:416
	s_wait_dscnt 0x0
	v_fmac_f64_e32 v[162:163], v[140:141], v[150:151]
	s_wait_loadcnt 0x5
	v_fmac_f64_e32 v[162:163], v[142:143], v[152:153]
	ds_load_2addr_b64 v[136:139], v2 offset0:105 offset1:106
	ds_load_2addr_b64 v[140:143], v2 offset0:107 offset1:108
	s_wait_dscnt 0x1
	v_fmac_f64_e32 v[162:163], v[144:145], v[136:137]
	s_wait_loadcnt 0x4
	s_delay_alu instid0(VALU_DEP_1) | instskip(SKIP_4) | instid1(VALU_DEP_1)
	v_fmac_f64_e32 v[162:163], v[146:147], v[138:139]
	scratch_load_b128 v[136:139], off, off offset:432
	s_wait_dscnt 0x0
	v_fmac_f64_e32 v[162:163], v[148:149], v[140:141]
	s_wait_loadcnt 0x4
	v_fmac_f64_e32 v[162:163], v[158:159], v[142:143]
	scratch_load_b128 v[140:143], off, off offset:448
	ds_load_2addr_b64 v[144:147], v2 offset0:109 offset1:110
	ds_load_2addr_b64 v[148:151], v2 offset0:111 offset1:112
	scratch_load_b64 v[152:153], off, off offset:480
	s_wait_dscnt 0x1
	v_fmac_f64_e32 v[162:163], v[160:161], v[144:145]
	s_wait_loadcnt 0x5
	s_delay_alu instid0(VALU_DEP_1) | instskip(SKIP_4) | instid1(VALU_DEP_1)
	v_fmac_f64_e32 v[162:163], v[128:129], v[146:147]
	scratch_load_b128 v[144:147], off, off offset:464
	s_wait_dscnt 0x0
	v_fmac_f64_e32 v[162:163], v[130:131], v[148:149]
	s_wait_loadcnt 0x5
	v_fmac_f64_e32 v[162:163], v[154:155], v[150:151]
	ds_load_2addr_b64 v[128:131], v2 offset0:113 offset1:114
	ds_load_2addr_b64 v[148:151], v2 offset0:115 offset1:116
	s_wait_dscnt 0x1
	v_fmac_f64_e32 v[162:163], v[156:157], v[128:129]
	s_wait_loadcnt 0x4
	s_delay_alu instid0(VALU_DEP_1) | instskip(SKIP_1) | instid1(VALU_DEP_1)
	v_fmac_f64_e32 v[162:163], v[132:133], v[130:131]
	s_wait_dscnt 0x0
	v_fmac_f64_e32 v[162:163], v[134:135], v[148:149]
	ds_load_2addr_b64 v[128:131], v2 offset0:117 offset1:118
	ds_load_2addr_b64 v[132:135], v2 offset0:119 offset1:120
	s_wait_loadcnt 0x3
	v_fmac_f64_e32 v[162:163], v[136:137], v[150:151]
	s_wait_dscnt 0x1
	s_delay_alu instid0(VALU_DEP_1) | instskip(SKIP_1) | instid1(VALU_DEP_1)
	v_fmac_f64_e32 v[162:163], v[138:139], v[128:129]
	s_wait_loadcnt 0x2
	v_fmac_f64_e32 v[162:163], v[140:141], v[130:131]
	ds_load_2addr_b64 v[128:131], v2 offset0:121 offset1:122
	s_wait_dscnt 0x1
	v_fmac_f64_e32 v[162:163], v[142:143], v[132:133]
	s_wait_loadcnt 0x0
	s_delay_alu instid0(VALU_DEP_1) | instskip(SKIP_1) | instid1(VALU_DEP_1)
	v_fmac_f64_e32 v[162:163], v[144:145], v[134:135]
	s_wait_dscnt 0x0
	v_fmac_f64_e32 v[162:163], v[146:147], v[128:129]
	s_delay_alu instid0(VALU_DEP_1) | instskip(NEXT) | instid1(VALU_DEP_1)
	v_fmac_f64_e32 v[162:163], v[152:153], v[130:131]
	v_add_f64_e64 v[2:3], v[126:127], -v[162:163]
	scratch_store_b64 off, v[2:3], off offset:272
	s_wait_xcnt 0x0
	v_cmpx_lt_u32_e32 33, v0
	s_cbranch_execz .LBB60_309
; %bb.308:
	scratch_load_b64 v[2:3], off, off offset:264
	v_mov_b64_e32 v[126:127], 0
	scratch_store_b64 off, v[126:127], off offset:264
	s_wait_loadcnt 0x0
	ds_store_b64 v1, v[2:3]
.LBB60_309:
	s_wait_xcnt 0x0
	s_or_b32 exec_lo, exec_lo, s0
	s_wait_storecnt_dscnt 0x0
	s_barrier_signal -1
	s_barrier_wait -1
	s_clause 0x5
	scratch_load_b128 v[126:129], off, off offset:264
	scratch_load_b128 v[130:133], off, off offset:280
	;; [unrolled: 1-line block ×6, first 2 shown]
	v_mov_b32_e32 v2, 0
	ds_load_b128 v[150:153], v2 offset:768
	ds_load_b128 v[154:157], v2 offset:784
	scratch_load_b128 v[158:161], off, off offset:360
	s_mov_b32 s0, exec_lo
	s_wait_loadcnt_dscnt 0x601
	v_fma_f64 v[162:163], v[128:129], v[150:151], 0
	s_wait_loadcnt 0x5
	s_delay_alu instid0(VALU_DEP_1) | instskip(SKIP_4) | instid1(VALU_DEP_1)
	v_fmac_f64_e32 v[162:163], v[130:131], v[152:153]
	scratch_load_b128 v[128:131], off, off offset:376
	s_wait_dscnt 0x0
	v_fmac_f64_e32 v[162:163], v[132:133], v[154:155]
	s_wait_loadcnt 0x5
	v_fmac_f64_e32 v[162:163], v[134:135], v[156:157]
	ds_load_b128 v[132:135], v2 offset:800
	ds_load_b128 v[150:153], v2 offset:816
	scratch_load_b128 v[154:157], off, off offset:392
	s_wait_dscnt 0x1
	v_fmac_f64_e32 v[162:163], v[136:137], v[132:133]
	s_wait_loadcnt 0x5
	s_delay_alu instid0(VALU_DEP_1) | instskip(SKIP_4) | instid1(VALU_DEP_1)
	v_fmac_f64_e32 v[162:163], v[138:139], v[134:135]
	scratch_load_b128 v[132:135], off, off offset:408
	s_wait_dscnt 0x0
	v_fmac_f64_e32 v[162:163], v[140:141], v[150:151]
	s_wait_loadcnt 0x5
	v_fmac_f64_e32 v[162:163], v[142:143], v[152:153]
	ds_load_b128 v[136:139], v2 offset:832
	ds_load_b128 v[140:143], v2 offset:848
	s_wait_dscnt 0x1
	v_fmac_f64_e32 v[162:163], v[144:145], v[136:137]
	s_wait_loadcnt 0x4
	s_delay_alu instid0(VALU_DEP_1) | instskip(SKIP_4) | instid1(VALU_DEP_1)
	v_fmac_f64_e32 v[162:163], v[146:147], v[138:139]
	scratch_load_b128 v[136:139], off, off offset:424
	s_wait_dscnt 0x0
	v_fmac_f64_e32 v[162:163], v[148:149], v[140:141]
	s_wait_loadcnt 0x4
	v_fmac_f64_e32 v[162:163], v[158:159], v[142:143]
	scratch_load_b128 v[140:143], off, off offset:440
	ds_load_b128 v[144:147], v2 offset:864
	ds_load_b128 v[148:151], v2 offset:880
	s_wait_dscnt 0x1
	v_fmac_f64_e32 v[162:163], v[160:161], v[144:145]
	s_wait_loadcnt 0x4
	s_delay_alu instid0(VALU_DEP_1)
	v_fmac_f64_e32 v[162:163], v[128:129], v[146:147]
	scratch_load_b128 v[144:147], off, off offset:456
	s_wait_dscnt 0x0
	v_fmac_f64_e32 v[162:163], v[130:131], v[148:149]
	scratch_load_b128 v[128:131], off, off offset:472
	s_wait_loadcnt 0x5
	v_fmac_f64_e32 v[162:163], v[154:155], v[150:151]
	ds_load_b128 v[148:151], v2 offset:896
	ds_load_b128 v[152:155], v2 offset:912
	s_wait_dscnt 0x1
	v_fmac_f64_e32 v[162:163], v[156:157], v[148:149]
	s_wait_loadcnt 0x4
	s_delay_alu instid0(VALU_DEP_1) | instskip(SKIP_1) | instid1(VALU_DEP_1)
	v_fmac_f64_e32 v[162:163], v[132:133], v[150:151]
	s_wait_dscnt 0x0
	v_fmac_f64_e32 v[162:163], v[134:135], v[152:153]
	ds_load_b128 v[132:135], v2 offset:928
	ds_load_b128 v[148:151], v2 offset:944
	s_wait_loadcnt 0x3
	v_fmac_f64_e32 v[162:163], v[136:137], v[154:155]
	s_wait_dscnt 0x1
	s_delay_alu instid0(VALU_DEP_1) | instskip(SKIP_1) | instid1(VALU_DEP_1)
	v_fmac_f64_e32 v[162:163], v[138:139], v[132:133]
	s_wait_loadcnt 0x2
	v_fmac_f64_e32 v[162:163], v[140:141], v[134:135]
	ds_load_b128 v[132:135], v2 offset:960
	ds_load_b64 v[136:137], v2 offset:976
	s_wait_dscnt 0x2
	v_fmac_f64_e32 v[162:163], v[142:143], v[148:149]
	s_wait_loadcnt 0x1
	s_delay_alu instid0(VALU_DEP_1) | instskip(SKIP_1) | instid1(VALU_DEP_1)
	v_fmac_f64_e32 v[162:163], v[144:145], v[150:151]
	s_wait_dscnt 0x1
	v_fmac_f64_e32 v[162:163], v[146:147], v[132:133]
	s_wait_loadcnt 0x0
	s_delay_alu instid0(VALU_DEP_1) | instskip(SKIP_1) | instid1(VALU_DEP_1)
	v_fmac_f64_e32 v[162:163], v[128:129], v[134:135]
	s_wait_dscnt 0x0
	v_fmac_f64_e32 v[162:163], v[130:131], v[136:137]
	s_delay_alu instid0(VALU_DEP_1)
	v_add_f64_e64 v[126:127], v[126:127], -v[162:163]
	scratch_store_b64 off, v[126:127], off offset:264
	s_wait_xcnt 0x0
	v_cmpx_lt_u32_e32 32, v0
	s_cbranch_execz .LBB60_311
; %bb.310:
	scratch_load_b64 v[126:127], off, off offset:256
	v_mov_b64_e32 v[128:129], 0
	scratch_store_b64 off, v[128:129], off offset:256
	s_wait_loadcnt 0x0
	ds_store_b64 v1, v[126:127]
.LBB60_311:
	s_wait_xcnt 0x0
	s_or_b32 exec_lo, exec_lo, s0
	s_wait_storecnt_dscnt 0x0
	s_barrier_signal -1
	s_barrier_wait -1
	s_clause 0x5
	scratch_load_b128 v[126:129], off, off offset:256
	scratch_load_b128 v[130:133], off, off offset:272
	;; [unrolled: 1-line block ×6, first 2 shown]
	ds_load_2addr_b64 v[150:153], v2 offset0:95 offset1:96
	ds_load_2addr_b64 v[154:157], v2 offset0:97 offset1:98
	scratch_load_b128 v[158:161], off, off offset:352
	s_mov_b32 s0, exec_lo
	s_wait_loadcnt_dscnt 0x601
	v_fma_f64 v[162:163], v[128:129], v[150:151], 0
	s_wait_loadcnt 0x5
	s_delay_alu instid0(VALU_DEP_1) | instskip(SKIP_4) | instid1(VALU_DEP_1)
	v_fmac_f64_e32 v[162:163], v[130:131], v[152:153]
	scratch_load_b128 v[128:131], off, off offset:368
	s_wait_dscnt 0x0
	v_fmac_f64_e32 v[162:163], v[132:133], v[154:155]
	s_wait_loadcnt 0x5
	v_fmac_f64_e32 v[162:163], v[134:135], v[156:157]
	ds_load_2addr_b64 v[132:135], v2 offset0:99 offset1:100
	ds_load_2addr_b64 v[150:153], v2 offset0:101 offset1:102
	scratch_load_b128 v[154:157], off, off offset:384
	s_wait_dscnt 0x1
	v_fmac_f64_e32 v[162:163], v[136:137], v[132:133]
	s_wait_loadcnt 0x5
	s_delay_alu instid0(VALU_DEP_1) | instskip(SKIP_4) | instid1(VALU_DEP_1)
	v_fmac_f64_e32 v[162:163], v[138:139], v[134:135]
	scratch_load_b128 v[132:135], off, off offset:400
	s_wait_dscnt 0x0
	v_fmac_f64_e32 v[162:163], v[140:141], v[150:151]
	s_wait_loadcnt 0x5
	v_fmac_f64_e32 v[162:163], v[142:143], v[152:153]
	ds_load_2addr_b64 v[136:139], v2 offset0:103 offset1:104
	ds_load_2addr_b64 v[140:143], v2 offset0:105 offset1:106
	s_wait_dscnt 0x1
	v_fmac_f64_e32 v[162:163], v[144:145], v[136:137]
	s_wait_loadcnt 0x4
	s_delay_alu instid0(VALU_DEP_1) | instskip(SKIP_4) | instid1(VALU_DEP_1)
	v_fmac_f64_e32 v[162:163], v[146:147], v[138:139]
	scratch_load_b128 v[136:139], off, off offset:416
	s_wait_dscnt 0x0
	v_fmac_f64_e32 v[162:163], v[148:149], v[140:141]
	s_wait_loadcnt 0x4
	v_fmac_f64_e32 v[162:163], v[158:159], v[142:143]
	scratch_load_b128 v[140:143], off, off offset:432
	ds_load_2addr_b64 v[144:147], v2 offset0:107 offset1:108
	ds_load_2addr_b64 v[148:151], v2 offset0:109 offset1:110
	s_wait_dscnt 0x1
	v_fmac_f64_e32 v[162:163], v[160:161], v[144:145]
	s_wait_loadcnt 0x4
	s_delay_alu instid0(VALU_DEP_1)
	v_fmac_f64_e32 v[162:163], v[128:129], v[146:147]
	scratch_load_b128 v[144:147], off, off offset:448
	s_wait_dscnt 0x0
	v_fmac_f64_e32 v[162:163], v[130:131], v[148:149]
	scratch_load_b128 v[128:131], off, off offset:464
	s_wait_loadcnt 0x5
	v_fmac_f64_e32 v[162:163], v[154:155], v[150:151]
	ds_load_2addr_b64 v[148:151], v2 offset0:111 offset1:112
	ds_load_2addr_b64 v[152:155], v2 offset0:113 offset1:114
	s_wait_dscnt 0x1
	v_fmac_f64_e32 v[162:163], v[156:157], v[148:149]
	scratch_load_b64 v[156:157], off, off offset:480
	s_wait_loadcnt 0x5
	v_fmac_f64_e32 v[162:163], v[132:133], v[150:151]
	s_wait_dscnt 0x0
	s_delay_alu instid0(VALU_DEP_1)
	v_fmac_f64_e32 v[162:163], v[134:135], v[152:153]
	ds_load_2addr_b64 v[132:135], v2 offset0:115 offset1:116
	ds_load_2addr_b64 v[148:151], v2 offset0:117 offset1:118
	s_wait_loadcnt 0x4
	v_fmac_f64_e32 v[162:163], v[136:137], v[154:155]
	s_wait_dscnt 0x1
	s_delay_alu instid0(VALU_DEP_1) | instskip(SKIP_1) | instid1(VALU_DEP_1)
	v_fmac_f64_e32 v[162:163], v[138:139], v[132:133]
	s_wait_loadcnt 0x3
	v_fmac_f64_e32 v[162:163], v[140:141], v[134:135]
	ds_load_2addr_b64 v[132:135], v2 offset0:119 offset1:120
	ds_load_2addr_b64 v[136:139], v2 offset0:121 offset1:122
	s_wait_dscnt 0x2
	v_fmac_f64_e32 v[162:163], v[142:143], v[148:149]
	s_wait_loadcnt 0x2
	s_delay_alu instid0(VALU_DEP_1) | instskip(SKIP_1) | instid1(VALU_DEP_1)
	v_fmac_f64_e32 v[162:163], v[144:145], v[150:151]
	s_wait_dscnt 0x1
	v_fmac_f64_e32 v[162:163], v[146:147], v[132:133]
	s_wait_loadcnt 0x1
	s_delay_alu instid0(VALU_DEP_1) | instskip(SKIP_1) | instid1(VALU_DEP_1)
	v_fmac_f64_e32 v[162:163], v[128:129], v[134:135]
	s_wait_dscnt 0x0
	v_fmac_f64_e32 v[162:163], v[130:131], v[136:137]
	s_wait_loadcnt 0x0
	s_delay_alu instid0(VALU_DEP_1) | instskip(NEXT) | instid1(VALU_DEP_1)
	v_fmac_f64_e32 v[162:163], v[156:157], v[138:139]
	v_add_f64_e64 v[2:3], v[126:127], -v[162:163]
	scratch_store_b64 off, v[2:3], off offset:256
	s_wait_xcnt 0x0
	v_cmpx_lt_u32_e32 31, v0
	s_cbranch_execz .LBB60_313
; %bb.312:
	scratch_load_b64 v[2:3], off, off offset:248
	v_mov_b64_e32 v[126:127], 0
	scratch_store_b64 off, v[126:127], off offset:248
	s_wait_loadcnt 0x0
	ds_store_b64 v1, v[2:3]
.LBB60_313:
	s_wait_xcnt 0x0
	s_or_b32 exec_lo, exec_lo, s0
	s_wait_storecnt_dscnt 0x0
	s_barrier_signal -1
	s_barrier_wait -1
	s_clause 0x5
	scratch_load_b128 v[126:129], off, off offset:248
	scratch_load_b128 v[130:133], off, off offset:264
	;; [unrolled: 1-line block ×6, first 2 shown]
	v_mov_b32_e32 v2, 0
	ds_load_b128 v[150:153], v2 offset:752
	ds_load_b128 v[154:157], v2 offset:768
	scratch_load_b128 v[158:161], off, off offset:344
	s_mov_b32 s0, exec_lo
	s_wait_loadcnt_dscnt 0x601
	v_fma_f64 v[162:163], v[128:129], v[150:151], 0
	s_wait_loadcnt 0x5
	s_delay_alu instid0(VALU_DEP_1) | instskip(SKIP_4) | instid1(VALU_DEP_1)
	v_fmac_f64_e32 v[162:163], v[130:131], v[152:153]
	scratch_load_b128 v[128:131], off, off offset:360
	s_wait_dscnt 0x0
	v_fmac_f64_e32 v[162:163], v[132:133], v[154:155]
	s_wait_loadcnt 0x5
	v_fmac_f64_e32 v[162:163], v[134:135], v[156:157]
	ds_load_b128 v[132:135], v2 offset:784
	ds_load_b128 v[150:153], v2 offset:800
	scratch_load_b128 v[154:157], off, off offset:376
	s_wait_dscnt 0x1
	v_fmac_f64_e32 v[162:163], v[136:137], v[132:133]
	s_wait_loadcnt 0x5
	s_delay_alu instid0(VALU_DEP_1) | instskip(SKIP_4) | instid1(VALU_DEP_1)
	v_fmac_f64_e32 v[162:163], v[138:139], v[134:135]
	scratch_load_b128 v[132:135], off, off offset:392
	s_wait_dscnt 0x0
	v_fmac_f64_e32 v[162:163], v[140:141], v[150:151]
	s_wait_loadcnt 0x5
	v_fmac_f64_e32 v[162:163], v[142:143], v[152:153]
	ds_load_b128 v[136:139], v2 offset:816
	ds_load_b128 v[140:143], v2 offset:832
	s_wait_dscnt 0x1
	v_fmac_f64_e32 v[162:163], v[144:145], v[136:137]
	s_wait_loadcnt 0x4
	s_delay_alu instid0(VALU_DEP_1) | instskip(SKIP_4) | instid1(VALU_DEP_1)
	v_fmac_f64_e32 v[162:163], v[146:147], v[138:139]
	scratch_load_b128 v[136:139], off, off offset:408
	s_wait_dscnt 0x0
	v_fmac_f64_e32 v[162:163], v[148:149], v[140:141]
	s_wait_loadcnt 0x4
	v_fmac_f64_e32 v[162:163], v[158:159], v[142:143]
	scratch_load_b128 v[140:143], off, off offset:424
	ds_load_b128 v[144:147], v2 offset:848
	ds_load_b128 v[148:151], v2 offset:864
	s_wait_dscnt 0x1
	v_fmac_f64_e32 v[162:163], v[160:161], v[144:145]
	s_wait_loadcnt 0x4
	s_delay_alu instid0(VALU_DEP_1)
	v_fmac_f64_e32 v[162:163], v[128:129], v[146:147]
	scratch_load_b128 v[144:147], off, off offset:440
	s_wait_dscnt 0x0
	v_fmac_f64_e32 v[162:163], v[130:131], v[148:149]
	scratch_load_b128 v[128:131], off, off offset:456
	s_wait_loadcnt 0x5
	v_fmac_f64_e32 v[162:163], v[154:155], v[150:151]
	ds_load_b128 v[148:151], v2 offset:880
	ds_load_b128 v[152:155], v2 offset:896
	s_wait_dscnt 0x1
	v_fmac_f64_e32 v[162:163], v[156:157], v[148:149]
	s_wait_loadcnt 0x4
	s_delay_alu instid0(VALU_DEP_1) | instskip(SKIP_4) | instid1(VALU_DEP_1)
	v_fmac_f64_e32 v[162:163], v[132:133], v[150:151]
	scratch_load_b128 v[148:151], off, off offset:472
	s_wait_dscnt 0x0
	v_fmac_f64_e32 v[162:163], v[134:135], v[152:153]
	s_wait_loadcnt 0x4
	v_fmac_f64_e32 v[162:163], v[136:137], v[154:155]
	ds_load_b128 v[132:135], v2 offset:912
	ds_load_b128 v[152:155], v2 offset:928
	s_wait_dscnt 0x1
	v_fmac_f64_e32 v[162:163], v[138:139], v[132:133]
	s_wait_loadcnt 0x3
	s_delay_alu instid0(VALU_DEP_1)
	v_fmac_f64_e32 v[162:163], v[140:141], v[134:135]
	ds_load_b128 v[132:135], v2 offset:944
	ds_load_b128 v[136:139], v2 offset:960
	s_wait_dscnt 0x2
	v_fmac_f64_e32 v[162:163], v[142:143], v[152:153]
	s_wait_loadcnt 0x2
	s_delay_alu instid0(VALU_DEP_1) | instskip(SKIP_1) | instid1(VALU_DEP_1)
	v_fmac_f64_e32 v[162:163], v[144:145], v[154:155]
	s_wait_dscnt 0x1
	v_fmac_f64_e32 v[162:163], v[146:147], v[132:133]
	s_wait_loadcnt 0x1
	s_delay_alu instid0(VALU_DEP_1) | instskip(SKIP_4) | instid1(VALU_DEP_1)
	v_fmac_f64_e32 v[162:163], v[128:129], v[134:135]
	ds_load_b64 v[128:129], v2 offset:976
	s_wait_dscnt 0x1
	v_fmac_f64_e32 v[162:163], v[130:131], v[136:137]
	s_wait_loadcnt 0x0
	v_fmac_f64_e32 v[162:163], v[148:149], v[138:139]
	s_wait_dscnt 0x0
	s_delay_alu instid0(VALU_DEP_1) | instskip(NEXT) | instid1(VALU_DEP_1)
	v_fmac_f64_e32 v[162:163], v[150:151], v[128:129]
	v_add_f64_e64 v[126:127], v[126:127], -v[162:163]
	scratch_store_b64 off, v[126:127], off offset:248
	s_wait_xcnt 0x0
	v_cmpx_lt_u32_e32 30, v0
	s_cbranch_execz .LBB60_315
; %bb.314:
	scratch_load_b64 v[126:127], off, off offset:240
	v_mov_b64_e32 v[128:129], 0
	scratch_store_b64 off, v[128:129], off offset:240
	s_wait_loadcnt 0x0
	ds_store_b64 v1, v[126:127]
.LBB60_315:
	s_wait_xcnt 0x0
	s_or_b32 exec_lo, exec_lo, s0
	s_wait_storecnt_dscnt 0x0
	s_barrier_signal -1
	s_barrier_wait -1
	s_clause 0x5
	scratch_load_b128 v[126:129], off, off offset:240
	scratch_load_b128 v[130:133], off, off offset:256
	;; [unrolled: 1-line block ×6, first 2 shown]
	ds_load_2addr_b64 v[150:153], v2 offset0:93 offset1:94
	ds_load_2addr_b64 v[154:157], v2 offset0:95 offset1:96
	scratch_load_b128 v[158:161], off, off offset:336
	s_mov_b32 s0, exec_lo
	s_wait_loadcnt_dscnt 0x601
	v_fma_f64 v[162:163], v[128:129], v[150:151], 0
	s_wait_loadcnt 0x5
	s_delay_alu instid0(VALU_DEP_1) | instskip(SKIP_4) | instid1(VALU_DEP_1)
	v_fmac_f64_e32 v[162:163], v[130:131], v[152:153]
	scratch_load_b128 v[128:131], off, off offset:352
	s_wait_dscnt 0x0
	v_fmac_f64_e32 v[162:163], v[132:133], v[154:155]
	s_wait_loadcnt 0x5
	v_fmac_f64_e32 v[162:163], v[134:135], v[156:157]
	ds_load_2addr_b64 v[132:135], v2 offset0:97 offset1:98
	ds_load_2addr_b64 v[150:153], v2 offset0:99 offset1:100
	scratch_load_b128 v[154:157], off, off offset:368
	s_wait_dscnt 0x1
	v_fmac_f64_e32 v[162:163], v[136:137], v[132:133]
	s_wait_loadcnt 0x5
	s_delay_alu instid0(VALU_DEP_1) | instskip(SKIP_4) | instid1(VALU_DEP_1)
	v_fmac_f64_e32 v[162:163], v[138:139], v[134:135]
	scratch_load_b128 v[132:135], off, off offset:384
	s_wait_dscnt 0x0
	v_fmac_f64_e32 v[162:163], v[140:141], v[150:151]
	s_wait_loadcnt 0x5
	v_fmac_f64_e32 v[162:163], v[142:143], v[152:153]
	ds_load_2addr_b64 v[136:139], v2 offset0:101 offset1:102
	ds_load_2addr_b64 v[140:143], v2 offset0:103 offset1:104
	scratch_load_b128 v[150:153], off, off offset:400
	s_wait_dscnt 0x1
	v_fmac_f64_e32 v[162:163], v[144:145], v[136:137]
	s_wait_loadcnt 0x5
	s_delay_alu instid0(VALU_DEP_1) | instskip(SKIP_4) | instid1(VALU_DEP_1)
	v_fmac_f64_e32 v[162:163], v[146:147], v[138:139]
	scratch_load_b128 v[136:139], off, off offset:416
	s_wait_dscnt 0x0
	v_fmac_f64_e32 v[162:163], v[148:149], v[140:141]
	s_wait_loadcnt 0x5
	v_fmac_f64_e32 v[162:163], v[158:159], v[142:143]
	ds_load_2addr_b64 v[140:143], v2 offset0:105 offset1:106
	ds_load_2addr_b64 v[144:147], v2 offset0:107 offset1:108
	s_wait_dscnt 0x1
	v_fmac_f64_e32 v[162:163], v[160:161], v[140:141]
	s_wait_loadcnt 0x4
	s_delay_alu instid0(VALU_DEP_1)
	v_fmac_f64_e32 v[162:163], v[128:129], v[142:143]
	scratch_load_b128 v[140:143], off, off offset:432
	s_wait_dscnt 0x0
	v_fmac_f64_e32 v[162:163], v[130:131], v[144:145]
	scratch_load_b128 v[128:131], off, off offset:448
	s_wait_loadcnt 0x5
	v_fmac_f64_e32 v[162:163], v[154:155], v[146:147]
	ds_load_2addr_b64 v[144:147], v2 offset0:109 offset1:110
	ds_load_2addr_b64 v[158:161], v2 offset0:111 offset1:112
	scratch_load_b64 v[154:155], off, off offset:480
	s_wait_dscnt 0x1
	v_fmac_f64_e32 v[162:163], v[156:157], v[144:145]
	s_wait_loadcnt 0x5
	s_delay_alu instid0(VALU_DEP_1) | instskip(SKIP_4) | instid1(VALU_DEP_1)
	v_fmac_f64_e32 v[162:163], v[132:133], v[146:147]
	scratch_load_b128 v[144:147], off, off offset:464
	s_wait_dscnt 0x0
	v_fmac_f64_e32 v[162:163], v[134:135], v[158:159]
	s_wait_loadcnt 0x5
	v_fmac_f64_e32 v[162:163], v[150:151], v[160:161]
	ds_load_2addr_b64 v[132:135], v2 offset0:113 offset1:114
	ds_load_2addr_b64 v[148:151], v2 offset0:115 offset1:116
	s_wait_dscnt 0x1
	v_fmac_f64_e32 v[162:163], v[152:153], v[132:133]
	s_wait_loadcnt 0x4
	s_delay_alu instid0(VALU_DEP_1) | instskip(SKIP_1) | instid1(VALU_DEP_1)
	v_fmac_f64_e32 v[162:163], v[136:137], v[134:135]
	s_wait_dscnt 0x0
	v_fmac_f64_e32 v[162:163], v[138:139], v[148:149]
	ds_load_2addr_b64 v[132:135], v2 offset0:117 offset1:118
	ds_load_2addr_b64 v[136:139], v2 offset0:119 offset1:120
	s_wait_loadcnt 0x3
	v_fmac_f64_e32 v[162:163], v[140:141], v[150:151]
	s_wait_dscnt 0x1
	s_delay_alu instid0(VALU_DEP_1) | instskip(SKIP_1) | instid1(VALU_DEP_1)
	v_fmac_f64_e32 v[162:163], v[142:143], v[132:133]
	s_wait_loadcnt 0x2
	v_fmac_f64_e32 v[162:163], v[128:129], v[134:135]
	s_wait_dscnt 0x0
	s_delay_alu instid0(VALU_DEP_1) | instskip(SKIP_4) | instid1(VALU_DEP_1)
	v_fmac_f64_e32 v[162:163], v[130:131], v[136:137]
	ds_load_2addr_b64 v[128:131], v2 offset0:121 offset1:122
	s_wait_loadcnt 0x0
	v_fmac_f64_e32 v[162:163], v[144:145], v[138:139]
	s_wait_dscnt 0x0
	v_fmac_f64_e32 v[162:163], v[146:147], v[128:129]
	s_delay_alu instid0(VALU_DEP_1) | instskip(NEXT) | instid1(VALU_DEP_1)
	v_fmac_f64_e32 v[162:163], v[154:155], v[130:131]
	v_add_f64_e64 v[2:3], v[126:127], -v[162:163]
	scratch_store_b64 off, v[2:3], off offset:240
	s_wait_xcnt 0x0
	v_cmpx_lt_u32_e32 29, v0
	s_cbranch_execz .LBB60_317
; %bb.316:
	scratch_load_b64 v[2:3], off, off offset:232
	v_mov_b64_e32 v[126:127], 0
	scratch_store_b64 off, v[126:127], off offset:232
	s_wait_loadcnt 0x0
	ds_store_b64 v1, v[2:3]
.LBB60_317:
	s_wait_xcnt 0x0
	s_or_b32 exec_lo, exec_lo, s0
	s_wait_storecnt_dscnt 0x0
	s_barrier_signal -1
	s_barrier_wait -1
	s_clause 0x5
	scratch_load_b128 v[126:129], off, off offset:232
	scratch_load_b128 v[130:133], off, off offset:248
	;; [unrolled: 1-line block ×6, first 2 shown]
	v_mov_b32_e32 v2, 0
	ds_load_b128 v[150:153], v2 offset:736
	ds_load_b128 v[154:157], v2 offset:752
	scratch_load_b128 v[158:161], off, off offset:328
	s_mov_b32 s0, exec_lo
	s_wait_loadcnt_dscnt 0x601
	v_fma_f64 v[162:163], v[128:129], v[150:151], 0
	s_wait_loadcnt 0x5
	s_delay_alu instid0(VALU_DEP_1) | instskip(SKIP_4) | instid1(VALU_DEP_1)
	v_fmac_f64_e32 v[162:163], v[130:131], v[152:153]
	scratch_load_b128 v[128:131], off, off offset:344
	s_wait_dscnt 0x0
	v_fmac_f64_e32 v[162:163], v[132:133], v[154:155]
	s_wait_loadcnt 0x5
	v_fmac_f64_e32 v[162:163], v[134:135], v[156:157]
	ds_load_b128 v[132:135], v2 offset:768
	ds_load_b128 v[150:153], v2 offset:784
	scratch_load_b128 v[154:157], off, off offset:360
	s_wait_dscnt 0x1
	v_fmac_f64_e32 v[162:163], v[136:137], v[132:133]
	s_wait_loadcnt 0x5
	s_delay_alu instid0(VALU_DEP_1) | instskip(SKIP_4) | instid1(VALU_DEP_1)
	v_fmac_f64_e32 v[162:163], v[138:139], v[134:135]
	scratch_load_b128 v[132:135], off, off offset:376
	s_wait_dscnt 0x0
	v_fmac_f64_e32 v[162:163], v[140:141], v[150:151]
	s_wait_loadcnt 0x5
	v_fmac_f64_e32 v[162:163], v[142:143], v[152:153]
	ds_load_b128 v[136:139], v2 offset:800
	ds_load_b128 v[140:143], v2 offset:816
	scratch_load_b128 v[150:153], off, off offset:392
	s_wait_dscnt 0x1
	v_fmac_f64_e32 v[162:163], v[144:145], v[136:137]
	s_wait_loadcnt 0x5
	s_delay_alu instid0(VALU_DEP_1) | instskip(SKIP_4) | instid1(VALU_DEP_1)
	v_fmac_f64_e32 v[162:163], v[146:147], v[138:139]
	scratch_load_b128 v[136:139], off, off offset:408
	s_wait_dscnt 0x0
	v_fmac_f64_e32 v[162:163], v[148:149], v[140:141]
	s_wait_loadcnt 0x5
	v_fmac_f64_e32 v[162:163], v[158:159], v[142:143]
	ds_load_b128 v[140:143], v2 offset:832
	ds_load_b128 v[144:147], v2 offset:848
	s_wait_dscnt 0x1
	v_fmac_f64_e32 v[162:163], v[160:161], v[140:141]
	s_wait_loadcnt 0x4
	s_delay_alu instid0(VALU_DEP_1)
	v_fmac_f64_e32 v[162:163], v[128:129], v[142:143]
	scratch_load_b128 v[140:143], off, off offset:424
	s_wait_dscnt 0x0
	v_fmac_f64_e32 v[162:163], v[130:131], v[144:145]
	scratch_load_b128 v[128:131], off, off offset:440
	s_wait_loadcnt 0x5
	v_fmac_f64_e32 v[162:163], v[154:155], v[146:147]
	ds_load_b128 v[144:147], v2 offset:864
	ds_load_b128 v[158:161], v2 offset:880
	s_wait_dscnt 0x1
	v_fmac_f64_e32 v[162:163], v[156:157], v[144:145]
	s_wait_loadcnt 0x4
	s_delay_alu instid0(VALU_DEP_1)
	v_fmac_f64_e32 v[162:163], v[132:133], v[146:147]
	scratch_load_b128 v[144:147], off, off offset:456
	s_wait_dscnt 0x0
	v_fmac_f64_e32 v[162:163], v[134:135], v[158:159]
	scratch_load_b128 v[132:135], off, off offset:472
	s_wait_loadcnt 0x5
	v_fmac_f64_e32 v[162:163], v[150:151], v[160:161]
	ds_load_b128 v[148:151], v2 offset:896
	ds_load_b128 v[154:157], v2 offset:912
	s_wait_dscnt 0x1
	v_fmac_f64_e32 v[162:163], v[152:153], v[148:149]
	s_wait_loadcnt 0x4
	s_delay_alu instid0(VALU_DEP_1) | instskip(SKIP_1) | instid1(VALU_DEP_1)
	v_fmac_f64_e32 v[162:163], v[136:137], v[150:151]
	s_wait_dscnt 0x0
	v_fmac_f64_e32 v[162:163], v[138:139], v[154:155]
	ds_load_b128 v[136:139], v2 offset:928
	ds_load_b128 v[148:151], v2 offset:944
	s_wait_loadcnt 0x3
	v_fmac_f64_e32 v[162:163], v[140:141], v[156:157]
	s_wait_dscnt 0x1
	s_delay_alu instid0(VALU_DEP_1) | instskip(SKIP_1) | instid1(VALU_DEP_1)
	v_fmac_f64_e32 v[162:163], v[142:143], v[136:137]
	s_wait_loadcnt 0x2
	v_fmac_f64_e32 v[162:163], v[128:129], v[138:139]
	s_wait_dscnt 0x0
	s_delay_alu instid0(VALU_DEP_1)
	v_fmac_f64_e32 v[162:163], v[130:131], v[148:149]
	ds_load_b128 v[128:131], v2 offset:960
	ds_load_b64 v[136:137], v2 offset:976
	s_wait_loadcnt 0x1
	v_fmac_f64_e32 v[162:163], v[144:145], v[150:151]
	s_wait_dscnt 0x1
	s_delay_alu instid0(VALU_DEP_1) | instskip(SKIP_1) | instid1(VALU_DEP_1)
	v_fmac_f64_e32 v[162:163], v[146:147], v[128:129]
	s_wait_loadcnt 0x0
	v_fmac_f64_e32 v[162:163], v[132:133], v[130:131]
	s_wait_dscnt 0x0
	s_delay_alu instid0(VALU_DEP_1) | instskip(NEXT) | instid1(VALU_DEP_1)
	v_fmac_f64_e32 v[162:163], v[134:135], v[136:137]
	v_add_f64_e64 v[126:127], v[126:127], -v[162:163]
	scratch_store_b64 off, v[126:127], off offset:232
	s_wait_xcnt 0x0
	v_cmpx_lt_u32_e32 28, v0
	s_cbranch_execz .LBB60_319
; %bb.318:
	scratch_load_b64 v[126:127], off, off offset:224
	v_mov_b64_e32 v[128:129], 0
	scratch_store_b64 off, v[128:129], off offset:224
	s_wait_loadcnt 0x0
	ds_store_b64 v1, v[126:127]
.LBB60_319:
	s_wait_xcnt 0x0
	s_or_b32 exec_lo, exec_lo, s0
	s_wait_storecnt_dscnt 0x0
	s_barrier_signal -1
	s_barrier_wait -1
	s_clause 0x5
	scratch_load_b128 v[126:129], off, off offset:224
	scratch_load_b128 v[130:133], off, off offset:240
	;; [unrolled: 1-line block ×6, first 2 shown]
	ds_load_2addr_b64 v[150:153], v2 offset0:91 offset1:92
	ds_load_2addr_b64 v[154:157], v2 offset0:93 offset1:94
	scratch_load_b128 v[158:161], off, off offset:320
	s_mov_b32 s0, exec_lo
	s_wait_loadcnt_dscnt 0x601
	v_fma_f64 v[162:163], v[128:129], v[150:151], 0
	s_wait_loadcnt 0x5
	s_delay_alu instid0(VALU_DEP_1) | instskip(SKIP_4) | instid1(VALU_DEP_1)
	v_fmac_f64_e32 v[162:163], v[130:131], v[152:153]
	scratch_load_b128 v[128:131], off, off offset:336
	s_wait_dscnt 0x0
	v_fmac_f64_e32 v[162:163], v[132:133], v[154:155]
	s_wait_loadcnt 0x5
	v_fmac_f64_e32 v[162:163], v[134:135], v[156:157]
	ds_load_2addr_b64 v[132:135], v2 offset0:95 offset1:96
	ds_load_2addr_b64 v[150:153], v2 offset0:97 offset1:98
	scratch_load_b128 v[154:157], off, off offset:352
	s_wait_dscnt 0x1
	v_fmac_f64_e32 v[162:163], v[136:137], v[132:133]
	s_wait_loadcnt 0x5
	s_delay_alu instid0(VALU_DEP_1) | instskip(SKIP_4) | instid1(VALU_DEP_1)
	v_fmac_f64_e32 v[162:163], v[138:139], v[134:135]
	scratch_load_b128 v[132:135], off, off offset:368
	s_wait_dscnt 0x0
	v_fmac_f64_e32 v[162:163], v[140:141], v[150:151]
	s_wait_loadcnt 0x5
	v_fmac_f64_e32 v[162:163], v[142:143], v[152:153]
	ds_load_2addr_b64 v[136:139], v2 offset0:99 offset1:100
	ds_load_2addr_b64 v[140:143], v2 offset0:101 offset1:102
	scratch_load_b128 v[150:153], off, off offset:384
	s_wait_dscnt 0x1
	v_fmac_f64_e32 v[162:163], v[144:145], v[136:137]
	s_wait_loadcnt 0x5
	s_delay_alu instid0(VALU_DEP_1) | instskip(SKIP_4) | instid1(VALU_DEP_1)
	v_fmac_f64_e32 v[162:163], v[146:147], v[138:139]
	scratch_load_b128 v[136:139], off, off offset:400
	s_wait_dscnt 0x0
	v_fmac_f64_e32 v[162:163], v[148:149], v[140:141]
	s_wait_loadcnt 0x5
	v_fmac_f64_e32 v[162:163], v[158:159], v[142:143]
	ds_load_2addr_b64 v[140:143], v2 offset0:103 offset1:104
	ds_load_2addr_b64 v[144:147], v2 offset0:105 offset1:106
	s_wait_dscnt 0x1
	v_fmac_f64_e32 v[162:163], v[160:161], v[140:141]
	s_wait_loadcnt 0x4
	s_delay_alu instid0(VALU_DEP_1)
	v_fmac_f64_e32 v[162:163], v[128:129], v[142:143]
	scratch_load_b128 v[140:143], off, off offset:416
	s_wait_dscnt 0x0
	v_fmac_f64_e32 v[162:163], v[130:131], v[144:145]
	scratch_load_b128 v[128:131], off, off offset:432
	s_wait_loadcnt 0x5
	v_fmac_f64_e32 v[162:163], v[154:155], v[146:147]
	ds_load_2addr_b64 v[144:147], v2 offset0:107 offset1:108
	ds_load_2addr_b64 v[158:161], v2 offset0:109 offset1:110
	s_wait_dscnt 0x1
	v_fmac_f64_e32 v[162:163], v[156:157], v[144:145]
	s_wait_loadcnt 0x4
	s_delay_alu instid0(VALU_DEP_1)
	v_fmac_f64_e32 v[162:163], v[132:133], v[146:147]
	scratch_load_b128 v[144:147], off, off offset:448
	s_wait_dscnt 0x0
	v_fmac_f64_e32 v[162:163], v[134:135], v[158:159]
	scratch_load_b128 v[132:135], off, off offset:464
	s_wait_loadcnt 0x5
	v_fmac_f64_e32 v[162:163], v[150:151], v[160:161]
	ds_load_2addr_b64 v[148:151], v2 offset0:111 offset1:112
	ds_load_2addr_b64 v[154:157], v2 offset0:113 offset1:114
	s_wait_dscnt 0x1
	v_fmac_f64_e32 v[162:163], v[152:153], v[148:149]
	scratch_load_b64 v[152:153], off, off offset:480
	s_wait_loadcnt 0x5
	v_fmac_f64_e32 v[162:163], v[136:137], v[150:151]
	s_wait_dscnt 0x0
	s_delay_alu instid0(VALU_DEP_1)
	v_fmac_f64_e32 v[162:163], v[138:139], v[154:155]
	ds_load_2addr_b64 v[136:139], v2 offset0:115 offset1:116
	ds_load_2addr_b64 v[148:151], v2 offset0:117 offset1:118
	s_wait_loadcnt 0x4
	v_fmac_f64_e32 v[162:163], v[140:141], v[156:157]
	s_wait_dscnt 0x1
	s_delay_alu instid0(VALU_DEP_1) | instskip(SKIP_1) | instid1(VALU_DEP_1)
	v_fmac_f64_e32 v[162:163], v[142:143], v[136:137]
	s_wait_loadcnt 0x3
	v_fmac_f64_e32 v[162:163], v[128:129], v[138:139]
	s_wait_dscnt 0x0
	s_delay_alu instid0(VALU_DEP_1)
	v_fmac_f64_e32 v[162:163], v[130:131], v[148:149]
	ds_load_2addr_b64 v[128:131], v2 offset0:119 offset1:120
	ds_load_2addr_b64 v[136:139], v2 offset0:121 offset1:122
	s_wait_loadcnt 0x2
	v_fmac_f64_e32 v[162:163], v[144:145], v[150:151]
	s_wait_dscnt 0x1
	s_delay_alu instid0(VALU_DEP_1) | instskip(SKIP_1) | instid1(VALU_DEP_1)
	v_fmac_f64_e32 v[162:163], v[146:147], v[128:129]
	s_wait_loadcnt 0x1
	v_fmac_f64_e32 v[162:163], v[132:133], v[130:131]
	s_wait_dscnt 0x0
	s_delay_alu instid0(VALU_DEP_1) | instskip(SKIP_1) | instid1(VALU_DEP_1)
	v_fmac_f64_e32 v[162:163], v[134:135], v[136:137]
	s_wait_loadcnt 0x0
	v_fmac_f64_e32 v[162:163], v[152:153], v[138:139]
	s_delay_alu instid0(VALU_DEP_1)
	v_add_f64_e64 v[2:3], v[126:127], -v[162:163]
	scratch_store_b64 off, v[2:3], off offset:224
	s_wait_xcnt 0x0
	v_cmpx_lt_u32_e32 27, v0
	s_cbranch_execz .LBB60_321
; %bb.320:
	scratch_load_b64 v[2:3], off, off offset:216
	v_mov_b64_e32 v[126:127], 0
	scratch_store_b64 off, v[126:127], off offset:216
	s_wait_loadcnt 0x0
	ds_store_b64 v1, v[2:3]
.LBB60_321:
	s_wait_xcnt 0x0
	s_or_b32 exec_lo, exec_lo, s0
	s_wait_storecnt_dscnt 0x0
	s_barrier_signal -1
	s_barrier_wait -1
	s_clause 0x5
	scratch_load_b128 v[126:129], off, off offset:216
	scratch_load_b128 v[130:133], off, off offset:232
	;; [unrolled: 1-line block ×6, first 2 shown]
	v_mov_b32_e32 v2, 0
	ds_load_b128 v[150:153], v2 offset:720
	ds_load_b128 v[154:157], v2 offset:736
	scratch_load_b128 v[158:161], off, off offset:312
	s_mov_b32 s0, exec_lo
	s_wait_loadcnt_dscnt 0x601
	v_fma_f64 v[162:163], v[128:129], v[150:151], 0
	s_wait_loadcnt 0x5
	s_delay_alu instid0(VALU_DEP_1) | instskip(SKIP_4) | instid1(VALU_DEP_1)
	v_fmac_f64_e32 v[162:163], v[130:131], v[152:153]
	scratch_load_b128 v[128:131], off, off offset:328
	s_wait_dscnt 0x0
	v_fmac_f64_e32 v[162:163], v[132:133], v[154:155]
	s_wait_loadcnt 0x5
	v_fmac_f64_e32 v[162:163], v[134:135], v[156:157]
	ds_load_b128 v[132:135], v2 offset:752
	ds_load_b128 v[150:153], v2 offset:768
	scratch_load_b128 v[154:157], off, off offset:344
	s_wait_dscnt 0x1
	v_fmac_f64_e32 v[162:163], v[136:137], v[132:133]
	s_wait_loadcnt 0x5
	s_delay_alu instid0(VALU_DEP_1) | instskip(SKIP_4) | instid1(VALU_DEP_1)
	v_fmac_f64_e32 v[162:163], v[138:139], v[134:135]
	scratch_load_b128 v[132:135], off, off offset:360
	s_wait_dscnt 0x0
	v_fmac_f64_e32 v[162:163], v[140:141], v[150:151]
	s_wait_loadcnt 0x5
	v_fmac_f64_e32 v[162:163], v[142:143], v[152:153]
	ds_load_b128 v[136:139], v2 offset:784
	ds_load_b128 v[140:143], v2 offset:800
	scratch_load_b128 v[150:153], off, off offset:376
	s_wait_dscnt 0x1
	v_fmac_f64_e32 v[162:163], v[144:145], v[136:137]
	s_wait_loadcnt 0x5
	s_delay_alu instid0(VALU_DEP_1) | instskip(SKIP_4) | instid1(VALU_DEP_1)
	v_fmac_f64_e32 v[162:163], v[146:147], v[138:139]
	scratch_load_b128 v[136:139], off, off offset:392
	s_wait_dscnt 0x0
	v_fmac_f64_e32 v[162:163], v[148:149], v[140:141]
	s_wait_loadcnt 0x5
	v_fmac_f64_e32 v[162:163], v[158:159], v[142:143]
	ds_load_b128 v[140:143], v2 offset:816
	ds_load_b128 v[144:147], v2 offset:832
	s_wait_dscnt 0x1
	v_fmac_f64_e32 v[162:163], v[160:161], v[140:141]
	s_wait_loadcnt 0x4
	s_delay_alu instid0(VALU_DEP_1)
	v_fmac_f64_e32 v[162:163], v[128:129], v[142:143]
	scratch_load_b128 v[140:143], off, off offset:408
	s_wait_dscnt 0x0
	v_fmac_f64_e32 v[162:163], v[130:131], v[144:145]
	scratch_load_b128 v[128:131], off, off offset:424
	s_wait_loadcnt 0x5
	v_fmac_f64_e32 v[162:163], v[154:155], v[146:147]
	ds_load_b128 v[144:147], v2 offset:848
	ds_load_b128 v[158:161], v2 offset:864
	s_wait_dscnt 0x1
	v_fmac_f64_e32 v[162:163], v[156:157], v[144:145]
	s_wait_loadcnt 0x4
	s_delay_alu instid0(VALU_DEP_1)
	v_fmac_f64_e32 v[162:163], v[132:133], v[146:147]
	scratch_load_b128 v[144:147], off, off offset:440
	s_wait_dscnt 0x0
	v_fmac_f64_e32 v[162:163], v[134:135], v[158:159]
	scratch_load_b128 v[132:135], off, off offset:456
	s_wait_loadcnt 0x5
	v_fmac_f64_e32 v[162:163], v[150:151], v[160:161]
	ds_load_b128 v[148:151], v2 offset:880
	ds_load_b128 v[154:157], v2 offset:896
	s_wait_dscnt 0x1
	v_fmac_f64_e32 v[162:163], v[152:153], v[148:149]
	s_wait_loadcnt 0x4
	s_delay_alu instid0(VALU_DEP_1)
	v_fmac_f64_e32 v[162:163], v[136:137], v[150:151]
	scratch_load_b128 v[148:151], off, off offset:472
	s_wait_dscnt 0x0
	v_fmac_f64_e32 v[162:163], v[138:139], v[154:155]
	ds_load_b128 v[136:139], v2 offset:912
	ds_load_b128 v[152:155], v2 offset:928
	s_wait_loadcnt 0x4
	v_fmac_f64_e32 v[162:163], v[140:141], v[156:157]
	s_wait_dscnt 0x1
	s_delay_alu instid0(VALU_DEP_1) | instskip(SKIP_1) | instid1(VALU_DEP_1)
	v_fmac_f64_e32 v[162:163], v[142:143], v[136:137]
	s_wait_loadcnt 0x3
	v_fmac_f64_e32 v[162:163], v[128:129], v[138:139]
	s_wait_dscnt 0x0
	s_delay_alu instid0(VALU_DEP_1)
	v_fmac_f64_e32 v[162:163], v[130:131], v[152:153]
	ds_load_b128 v[128:131], v2 offset:944
	ds_load_b128 v[136:139], v2 offset:960
	s_wait_loadcnt 0x2
	v_fmac_f64_e32 v[162:163], v[144:145], v[154:155]
	s_wait_dscnt 0x1
	s_delay_alu instid0(VALU_DEP_1) | instskip(SKIP_4) | instid1(VALU_DEP_1)
	v_fmac_f64_e32 v[162:163], v[146:147], v[128:129]
	ds_load_b64 v[128:129], v2 offset:976
	s_wait_loadcnt 0x1
	v_fmac_f64_e32 v[162:163], v[132:133], v[130:131]
	s_wait_dscnt 0x1
	v_fmac_f64_e32 v[162:163], v[134:135], v[136:137]
	s_wait_loadcnt 0x0
	s_delay_alu instid0(VALU_DEP_1) | instskip(SKIP_1) | instid1(VALU_DEP_1)
	v_fmac_f64_e32 v[162:163], v[148:149], v[138:139]
	s_wait_dscnt 0x0
	v_fmac_f64_e32 v[162:163], v[150:151], v[128:129]
	s_delay_alu instid0(VALU_DEP_1)
	v_add_f64_e64 v[126:127], v[126:127], -v[162:163]
	scratch_store_b64 off, v[126:127], off offset:216
	s_wait_xcnt 0x0
	v_cmpx_lt_u32_e32 26, v0
	s_cbranch_execz .LBB60_323
; %bb.322:
	scratch_load_b64 v[126:127], off, off offset:208
	v_mov_b64_e32 v[128:129], 0
	scratch_store_b64 off, v[128:129], off offset:208
	s_wait_loadcnt 0x0
	ds_store_b64 v1, v[126:127]
.LBB60_323:
	s_wait_xcnt 0x0
	s_or_b32 exec_lo, exec_lo, s0
	s_wait_storecnt_dscnt 0x0
	s_barrier_signal -1
	s_barrier_wait -1
	s_clause 0x5
	scratch_load_b128 v[126:129], off, off offset:208
	scratch_load_b128 v[130:133], off, off offset:224
	;; [unrolled: 1-line block ×6, first 2 shown]
	ds_load_2addr_b64 v[150:153], v2 offset0:89 offset1:90
	ds_load_2addr_b64 v[154:157], v2 offset0:91 offset1:92
	scratch_load_b128 v[158:161], off, off offset:304
	s_mov_b32 s0, exec_lo
	s_wait_loadcnt_dscnt 0x601
	v_fma_f64 v[162:163], v[128:129], v[150:151], 0
	s_wait_loadcnt 0x5
	s_delay_alu instid0(VALU_DEP_1) | instskip(SKIP_4) | instid1(VALU_DEP_1)
	v_fmac_f64_e32 v[162:163], v[130:131], v[152:153]
	scratch_load_b128 v[128:131], off, off offset:320
	s_wait_dscnt 0x0
	v_fmac_f64_e32 v[162:163], v[132:133], v[154:155]
	s_wait_loadcnt 0x5
	v_fmac_f64_e32 v[162:163], v[134:135], v[156:157]
	ds_load_2addr_b64 v[132:135], v2 offset0:93 offset1:94
	ds_load_2addr_b64 v[150:153], v2 offset0:95 offset1:96
	scratch_load_b128 v[154:157], off, off offset:336
	s_wait_dscnt 0x1
	v_fmac_f64_e32 v[162:163], v[136:137], v[132:133]
	s_wait_loadcnt 0x5
	s_delay_alu instid0(VALU_DEP_1) | instskip(SKIP_4) | instid1(VALU_DEP_1)
	v_fmac_f64_e32 v[162:163], v[138:139], v[134:135]
	scratch_load_b128 v[132:135], off, off offset:352
	s_wait_dscnt 0x0
	v_fmac_f64_e32 v[162:163], v[140:141], v[150:151]
	s_wait_loadcnt 0x5
	v_fmac_f64_e32 v[162:163], v[142:143], v[152:153]
	ds_load_2addr_b64 v[136:139], v2 offset0:97 offset1:98
	ds_load_2addr_b64 v[140:143], v2 offset0:99 offset1:100
	scratch_load_b128 v[150:153], off, off offset:368
	s_wait_dscnt 0x1
	v_fmac_f64_e32 v[162:163], v[144:145], v[136:137]
	s_wait_loadcnt 0x5
	s_delay_alu instid0(VALU_DEP_1) | instskip(SKIP_4) | instid1(VALU_DEP_1)
	v_fmac_f64_e32 v[162:163], v[146:147], v[138:139]
	scratch_load_b128 v[136:139], off, off offset:384
	s_wait_dscnt 0x0
	v_fmac_f64_e32 v[162:163], v[148:149], v[140:141]
	s_wait_loadcnt 0x5
	v_fmac_f64_e32 v[162:163], v[158:159], v[142:143]
	ds_load_2addr_b64 v[140:143], v2 offset0:101 offset1:102
	ds_load_2addr_b64 v[144:147], v2 offset0:103 offset1:104
	s_wait_dscnt 0x1
	v_fmac_f64_e32 v[162:163], v[160:161], v[140:141]
	scratch_load_b128 v[158:161], off, off offset:400
	s_wait_loadcnt 0x5
	v_fmac_f64_e32 v[162:163], v[128:129], v[142:143]
	s_wait_dscnt 0x0
	s_delay_alu instid0(VALU_DEP_1)
	v_fmac_f64_e32 v[162:163], v[130:131], v[144:145]
	scratch_load_b128 v[128:131], off, off offset:416
	s_wait_loadcnt 0x5
	v_fmac_f64_e32 v[162:163], v[154:155], v[146:147]
	ds_load_2addr_b64 v[140:143], v2 offset0:105 offset1:106
	ds_load_2addr_b64 v[144:147], v2 offset0:107 offset1:108
	s_wait_dscnt 0x1
	v_fmac_f64_e32 v[162:163], v[156:157], v[140:141]
	s_wait_loadcnt 0x4
	s_delay_alu instid0(VALU_DEP_1)
	v_fmac_f64_e32 v[162:163], v[132:133], v[142:143]
	scratch_load_b128 v[140:143], off, off offset:432
	s_wait_dscnt 0x0
	v_fmac_f64_e32 v[162:163], v[134:135], v[144:145]
	scratch_load_b128 v[132:135], off, off offset:448
	s_wait_loadcnt 0x5
	v_fmac_f64_e32 v[162:163], v[150:151], v[146:147]
	ds_load_2addr_b64 v[144:147], v2 offset0:109 offset1:110
	ds_load_2addr_b64 v[148:151], v2 offset0:111 offset1:112
	s_wait_dscnt 0x1
	v_fmac_f64_e32 v[162:163], v[152:153], v[144:145]
	scratch_load_b64 v[152:153], off, off offset:480
	s_wait_loadcnt 0x5
	v_fmac_f64_e32 v[162:163], v[136:137], v[146:147]
	scratch_load_b128 v[144:147], off, off offset:464
	s_wait_dscnt 0x0
	v_fmac_f64_e32 v[162:163], v[138:139], v[148:149]
	s_wait_loadcnt 0x5
	s_delay_alu instid0(VALU_DEP_1)
	v_fmac_f64_e32 v[162:163], v[158:159], v[150:151]
	ds_load_2addr_b64 v[136:139], v2 offset0:113 offset1:114
	ds_load_2addr_b64 v[148:151], v2 offset0:115 offset1:116
	s_wait_dscnt 0x1
	v_fmac_f64_e32 v[162:163], v[160:161], v[136:137]
	s_wait_loadcnt 0x4
	s_delay_alu instid0(VALU_DEP_1) | instskip(SKIP_1) | instid1(VALU_DEP_1)
	v_fmac_f64_e32 v[162:163], v[128:129], v[138:139]
	s_wait_dscnt 0x0
	v_fmac_f64_e32 v[162:163], v[130:131], v[148:149]
	ds_load_2addr_b64 v[128:131], v2 offset0:117 offset1:118
	ds_load_2addr_b64 v[136:139], v2 offset0:119 offset1:120
	s_wait_loadcnt 0x3
	v_fmac_f64_e32 v[162:163], v[140:141], v[150:151]
	s_wait_dscnt 0x1
	s_delay_alu instid0(VALU_DEP_1) | instskip(SKIP_1) | instid1(VALU_DEP_1)
	v_fmac_f64_e32 v[162:163], v[142:143], v[128:129]
	s_wait_loadcnt 0x2
	v_fmac_f64_e32 v[162:163], v[132:133], v[130:131]
	ds_load_2addr_b64 v[128:131], v2 offset0:121 offset1:122
	s_wait_dscnt 0x1
	v_fmac_f64_e32 v[162:163], v[134:135], v[136:137]
	s_wait_loadcnt 0x0
	s_delay_alu instid0(VALU_DEP_1) | instskip(SKIP_1) | instid1(VALU_DEP_1)
	v_fmac_f64_e32 v[162:163], v[144:145], v[138:139]
	s_wait_dscnt 0x0
	v_fmac_f64_e32 v[162:163], v[146:147], v[128:129]
	s_delay_alu instid0(VALU_DEP_1) | instskip(NEXT) | instid1(VALU_DEP_1)
	v_fmac_f64_e32 v[162:163], v[152:153], v[130:131]
	v_add_f64_e64 v[2:3], v[126:127], -v[162:163]
	scratch_store_b64 off, v[2:3], off offset:208
	s_wait_xcnt 0x0
	v_cmpx_lt_u32_e32 25, v0
	s_cbranch_execz .LBB60_325
; %bb.324:
	scratch_load_b64 v[2:3], off, off offset:200
	v_mov_b64_e32 v[126:127], 0
	scratch_store_b64 off, v[126:127], off offset:200
	s_wait_loadcnt 0x0
	ds_store_b64 v1, v[2:3]
.LBB60_325:
	s_wait_xcnt 0x0
	s_or_b32 exec_lo, exec_lo, s0
	s_wait_storecnt_dscnt 0x0
	s_barrier_signal -1
	s_barrier_wait -1
	s_clause 0x5
	scratch_load_b128 v[126:129], off, off offset:200
	scratch_load_b128 v[130:133], off, off offset:216
	;; [unrolled: 1-line block ×6, first 2 shown]
	v_mov_b32_e32 v2, 0
	ds_load_b128 v[150:153], v2 offset:704
	ds_load_b128 v[154:157], v2 offset:720
	scratch_load_b128 v[158:161], off, off offset:296
	s_mov_b32 s0, exec_lo
	s_wait_loadcnt_dscnt 0x601
	v_fma_f64 v[162:163], v[128:129], v[150:151], 0
	s_wait_loadcnt 0x5
	s_delay_alu instid0(VALU_DEP_1) | instskip(SKIP_4) | instid1(VALU_DEP_1)
	v_fmac_f64_e32 v[162:163], v[130:131], v[152:153]
	scratch_load_b128 v[128:131], off, off offset:312
	s_wait_dscnt 0x0
	v_fmac_f64_e32 v[162:163], v[132:133], v[154:155]
	s_wait_loadcnt 0x5
	v_fmac_f64_e32 v[162:163], v[134:135], v[156:157]
	ds_load_b128 v[132:135], v2 offset:736
	ds_load_b128 v[150:153], v2 offset:752
	scratch_load_b128 v[154:157], off, off offset:328
	s_wait_dscnt 0x1
	v_fmac_f64_e32 v[162:163], v[136:137], v[132:133]
	s_wait_loadcnt 0x5
	s_delay_alu instid0(VALU_DEP_1) | instskip(SKIP_4) | instid1(VALU_DEP_1)
	v_fmac_f64_e32 v[162:163], v[138:139], v[134:135]
	scratch_load_b128 v[132:135], off, off offset:344
	s_wait_dscnt 0x0
	v_fmac_f64_e32 v[162:163], v[140:141], v[150:151]
	s_wait_loadcnt 0x5
	v_fmac_f64_e32 v[162:163], v[142:143], v[152:153]
	ds_load_b128 v[136:139], v2 offset:768
	ds_load_b128 v[140:143], v2 offset:784
	scratch_load_b128 v[150:153], off, off offset:360
	s_wait_dscnt 0x1
	v_fmac_f64_e32 v[162:163], v[144:145], v[136:137]
	s_wait_loadcnt 0x5
	s_delay_alu instid0(VALU_DEP_1) | instskip(SKIP_4) | instid1(VALU_DEP_1)
	v_fmac_f64_e32 v[162:163], v[146:147], v[138:139]
	scratch_load_b128 v[136:139], off, off offset:376
	s_wait_dscnt 0x0
	v_fmac_f64_e32 v[162:163], v[148:149], v[140:141]
	s_wait_loadcnt 0x5
	v_fmac_f64_e32 v[162:163], v[158:159], v[142:143]
	ds_load_b128 v[140:143], v2 offset:800
	ds_load_b128 v[144:147], v2 offset:816
	s_wait_dscnt 0x1
	v_fmac_f64_e32 v[162:163], v[160:161], v[140:141]
	scratch_load_b128 v[158:161], off, off offset:392
	s_wait_loadcnt 0x5
	v_fmac_f64_e32 v[162:163], v[128:129], v[142:143]
	s_wait_dscnt 0x0
	s_delay_alu instid0(VALU_DEP_1)
	v_fmac_f64_e32 v[162:163], v[130:131], v[144:145]
	scratch_load_b128 v[128:131], off, off offset:408
	s_wait_loadcnt 0x5
	v_fmac_f64_e32 v[162:163], v[154:155], v[146:147]
	ds_load_b128 v[140:143], v2 offset:832
	ds_load_b128 v[144:147], v2 offset:848
	s_wait_dscnt 0x1
	v_fmac_f64_e32 v[162:163], v[156:157], v[140:141]
	s_wait_loadcnt 0x4
	s_delay_alu instid0(VALU_DEP_1)
	v_fmac_f64_e32 v[162:163], v[132:133], v[142:143]
	scratch_load_b128 v[140:143], off, off offset:424
	s_wait_dscnt 0x0
	v_fmac_f64_e32 v[162:163], v[134:135], v[144:145]
	scratch_load_b128 v[132:135], off, off offset:440
	s_wait_loadcnt 0x5
	v_fmac_f64_e32 v[162:163], v[150:151], v[146:147]
	ds_load_b128 v[144:147], v2 offset:864
	ds_load_b128 v[148:151], v2 offset:880
	s_wait_dscnt 0x1
	v_fmac_f64_e32 v[162:163], v[152:153], v[144:145]
	s_wait_loadcnt 0x4
	s_delay_alu instid0(VALU_DEP_1)
	v_fmac_f64_e32 v[162:163], v[136:137], v[146:147]
	scratch_load_b128 v[144:147], off, off offset:456
	s_wait_dscnt 0x0
	v_fmac_f64_e32 v[162:163], v[138:139], v[148:149]
	scratch_load_b128 v[136:139], off, off offset:472
	s_wait_loadcnt 0x5
	v_fmac_f64_e32 v[162:163], v[158:159], v[150:151]
	ds_load_b128 v[148:151], v2 offset:896
	ds_load_b128 v[152:155], v2 offset:912
	s_wait_dscnt 0x1
	v_fmac_f64_e32 v[162:163], v[160:161], v[148:149]
	s_wait_loadcnt 0x4
	s_delay_alu instid0(VALU_DEP_1) | instskip(SKIP_1) | instid1(VALU_DEP_1)
	v_fmac_f64_e32 v[162:163], v[128:129], v[150:151]
	s_wait_dscnt 0x0
	v_fmac_f64_e32 v[162:163], v[130:131], v[152:153]
	ds_load_b128 v[128:131], v2 offset:928
	ds_load_b128 v[148:151], v2 offset:944
	s_wait_loadcnt 0x3
	v_fmac_f64_e32 v[162:163], v[140:141], v[154:155]
	s_wait_dscnt 0x1
	s_delay_alu instid0(VALU_DEP_1) | instskip(SKIP_1) | instid1(VALU_DEP_1)
	v_fmac_f64_e32 v[162:163], v[142:143], v[128:129]
	s_wait_loadcnt 0x2
	v_fmac_f64_e32 v[162:163], v[132:133], v[130:131]
	ds_load_b128 v[128:131], v2 offset:960
	ds_load_b64 v[132:133], v2 offset:976
	s_wait_dscnt 0x2
	v_fmac_f64_e32 v[162:163], v[134:135], v[148:149]
	s_wait_loadcnt 0x1
	s_delay_alu instid0(VALU_DEP_1) | instskip(SKIP_1) | instid1(VALU_DEP_1)
	v_fmac_f64_e32 v[162:163], v[144:145], v[150:151]
	s_wait_dscnt 0x1
	v_fmac_f64_e32 v[162:163], v[146:147], v[128:129]
	s_wait_loadcnt 0x0
	s_delay_alu instid0(VALU_DEP_1) | instskip(SKIP_1) | instid1(VALU_DEP_1)
	v_fmac_f64_e32 v[162:163], v[136:137], v[130:131]
	s_wait_dscnt 0x0
	v_fmac_f64_e32 v[162:163], v[138:139], v[132:133]
	s_delay_alu instid0(VALU_DEP_1)
	v_add_f64_e64 v[126:127], v[126:127], -v[162:163]
	scratch_store_b64 off, v[126:127], off offset:200
	s_wait_xcnt 0x0
	v_cmpx_lt_u32_e32 24, v0
	s_cbranch_execz .LBB60_327
; %bb.326:
	scratch_load_b64 v[126:127], off, off offset:192
	v_mov_b64_e32 v[128:129], 0
	scratch_store_b64 off, v[128:129], off offset:192
	s_wait_loadcnt 0x0
	ds_store_b64 v1, v[126:127]
.LBB60_327:
	s_wait_xcnt 0x0
	s_or_b32 exec_lo, exec_lo, s0
	s_wait_storecnt_dscnt 0x0
	s_barrier_signal -1
	s_barrier_wait -1
	s_clause 0x5
	scratch_load_b128 v[126:129], off, off offset:192
	scratch_load_b128 v[130:133], off, off offset:208
	;; [unrolled: 1-line block ×6, first 2 shown]
	ds_load_2addr_b64 v[150:153], v2 offset0:87 offset1:88
	ds_load_2addr_b64 v[154:157], v2 offset0:89 offset1:90
	scratch_load_b128 v[158:161], off, off offset:288
	s_mov_b32 s0, exec_lo
	s_wait_loadcnt_dscnt 0x601
	v_fma_f64 v[162:163], v[128:129], v[150:151], 0
	s_wait_loadcnt 0x5
	s_delay_alu instid0(VALU_DEP_1) | instskip(SKIP_4) | instid1(VALU_DEP_1)
	v_fmac_f64_e32 v[162:163], v[130:131], v[152:153]
	scratch_load_b128 v[128:131], off, off offset:304
	s_wait_dscnt 0x0
	v_fmac_f64_e32 v[162:163], v[132:133], v[154:155]
	s_wait_loadcnt 0x5
	v_fmac_f64_e32 v[162:163], v[134:135], v[156:157]
	ds_load_2addr_b64 v[132:135], v2 offset0:91 offset1:92
	ds_load_2addr_b64 v[150:153], v2 offset0:93 offset1:94
	scratch_load_b128 v[154:157], off, off offset:320
	s_wait_dscnt 0x1
	v_fmac_f64_e32 v[162:163], v[136:137], v[132:133]
	s_wait_loadcnt 0x5
	s_delay_alu instid0(VALU_DEP_1) | instskip(SKIP_4) | instid1(VALU_DEP_1)
	v_fmac_f64_e32 v[162:163], v[138:139], v[134:135]
	scratch_load_b128 v[132:135], off, off offset:336
	s_wait_dscnt 0x0
	v_fmac_f64_e32 v[162:163], v[140:141], v[150:151]
	s_wait_loadcnt 0x5
	v_fmac_f64_e32 v[162:163], v[142:143], v[152:153]
	ds_load_2addr_b64 v[136:139], v2 offset0:95 offset1:96
	ds_load_2addr_b64 v[140:143], v2 offset0:97 offset1:98
	scratch_load_b128 v[150:153], off, off offset:352
	s_wait_dscnt 0x1
	v_fmac_f64_e32 v[162:163], v[144:145], v[136:137]
	s_wait_loadcnt 0x5
	s_delay_alu instid0(VALU_DEP_1) | instskip(SKIP_4) | instid1(VALU_DEP_1)
	v_fmac_f64_e32 v[162:163], v[146:147], v[138:139]
	scratch_load_b128 v[136:139], off, off offset:368
	s_wait_dscnt 0x0
	v_fmac_f64_e32 v[162:163], v[148:149], v[140:141]
	s_wait_loadcnt 0x5
	v_fmac_f64_e32 v[162:163], v[158:159], v[142:143]
	ds_load_2addr_b64 v[140:143], v2 offset0:99 offset1:100
	ds_load_2addr_b64 v[144:147], v2 offset0:101 offset1:102
	s_wait_dscnt 0x1
	v_fmac_f64_e32 v[162:163], v[160:161], v[140:141]
	scratch_load_b128 v[158:161], off, off offset:384
	s_wait_loadcnt 0x5
	v_fmac_f64_e32 v[162:163], v[128:129], v[142:143]
	s_wait_dscnt 0x0
	s_delay_alu instid0(VALU_DEP_1)
	v_fmac_f64_e32 v[162:163], v[130:131], v[144:145]
	scratch_load_b128 v[128:131], off, off offset:400
	s_wait_loadcnt 0x5
	v_fmac_f64_e32 v[162:163], v[154:155], v[146:147]
	ds_load_2addr_b64 v[140:143], v2 offset0:103 offset1:104
	ds_load_2addr_b64 v[144:147], v2 offset0:105 offset1:106
	s_wait_dscnt 0x1
	v_fmac_f64_e32 v[162:163], v[156:157], v[140:141]
	s_wait_loadcnt 0x4
	s_delay_alu instid0(VALU_DEP_1)
	v_fmac_f64_e32 v[162:163], v[132:133], v[142:143]
	scratch_load_b128 v[140:143], off, off offset:416
	s_wait_dscnt 0x0
	v_fmac_f64_e32 v[162:163], v[134:135], v[144:145]
	scratch_load_b128 v[132:135], off, off offset:432
	s_wait_loadcnt 0x5
	v_fmac_f64_e32 v[162:163], v[150:151], v[146:147]
	ds_load_2addr_b64 v[144:147], v2 offset0:107 offset1:108
	ds_load_2addr_b64 v[148:151], v2 offset0:109 offset1:110
	s_wait_dscnt 0x1
	v_fmac_f64_e32 v[162:163], v[152:153], v[144:145]
	s_wait_loadcnt 0x4
	s_delay_alu instid0(VALU_DEP_1)
	v_fmac_f64_e32 v[162:163], v[136:137], v[146:147]
	scratch_load_b128 v[144:147], off, off offset:448
	s_wait_dscnt 0x0
	v_fmac_f64_e32 v[162:163], v[138:139], v[148:149]
	scratch_load_b128 v[136:139], off, off offset:464
	s_wait_loadcnt 0x5
	v_fmac_f64_e32 v[162:163], v[158:159], v[150:151]
	ds_load_2addr_b64 v[148:151], v2 offset0:111 offset1:112
	ds_load_2addr_b64 v[152:155], v2 offset0:113 offset1:114
	scratch_load_b64 v[156:157], off, off offset:480
	s_wait_dscnt 0x1
	v_fmac_f64_e32 v[162:163], v[160:161], v[148:149]
	s_wait_loadcnt 0x5
	s_delay_alu instid0(VALU_DEP_1) | instskip(SKIP_1) | instid1(VALU_DEP_1)
	v_fmac_f64_e32 v[162:163], v[128:129], v[150:151]
	s_wait_dscnt 0x0
	v_fmac_f64_e32 v[162:163], v[130:131], v[152:153]
	ds_load_2addr_b64 v[128:131], v2 offset0:115 offset1:116
	ds_load_2addr_b64 v[148:151], v2 offset0:117 offset1:118
	s_wait_loadcnt 0x4
	v_fmac_f64_e32 v[162:163], v[140:141], v[154:155]
	s_wait_dscnt 0x1
	s_delay_alu instid0(VALU_DEP_1) | instskip(SKIP_1) | instid1(VALU_DEP_1)
	v_fmac_f64_e32 v[162:163], v[142:143], v[128:129]
	s_wait_loadcnt 0x3
	v_fmac_f64_e32 v[162:163], v[132:133], v[130:131]
	s_wait_dscnt 0x0
	s_delay_alu instid0(VALU_DEP_1)
	v_fmac_f64_e32 v[162:163], v[134:135], v[148:149]
	ds_load_2addr_b64 v[128:131], v2 offset0:119 offset1:120
	ds_load_2addr_b64 v[132:135], v2 offset0:121 offset1:122
	s_wait_loadcnt 0x2
	v_fmac_f64_e32 v[162:163], v[144:145], v[150:151]
	s_wait_dscnt 0x1
	s_delay_alu instid0(VALU_DEP_1) | instskip(SKIP_1) | instid1(VALU_DEP_1)
	v_fmac_f64_e32 v[162:163], v[146:147], v[128:129]
	s_wait_loadcnt 0x1
	v_fmac_f64_e32 v[162:163], v[136:137], v[130:131]
	s_wait_dscnt 0x0
	s_delay_alu instid0(VALU_DEP_1) | instskip(SKIP_1) | instid1(VALU_DEP_1)
	v_fmac_f64_e32 v[162:163], v[138:139], v[132:133]
	s_wait_loadcnt 0x0
	v_fmac_f64_e32 v[162:163], v[156:157], v[134:135]
	s_delay_alu instid0(VALU_DEP_1)
	v_add_f64_e64 v[2:3], v[126:127], -v[162:163]
	scratch_store_b64 off, v[2:3], off offset:192
	s_wait_xcnt 0x0
	v_cmpx_lt_u32_e32 23, v0
	s_cbranch_execz .LBB60_329
; %bb.328:
	scratch_load_b64 v[2:3], off, off offset:184
	v_mov_b64_e32 v[126:127], 0
	scratch_store_b64 off, v[126:127], off offset:184
	s_wait_loadcnt 0x0
	ds_store_b64 v1, v[2:3]
.LBB60_329:
	s_wait_xcnt 0x0
	s_or_b32 exec_lo, exec_lo, s0
	s_wait_storecnt_dscnt 0x0
	s_barrier_signal -1
	s_barrier_wait -1
	s_clause 0x5
	scratch_load_b128 v[126:129], off, off offset:184
	scratch_load_b128 v[130:133], off, off offset:200
	;; [unrolled: 1-line block ×6, first 2 shown]
	v_mov_b32_e32 v2, 0
	ds_load_b128 v[150:153], v2 offset:688
	ds_load_b128 v[154:157], v2 offset:704
	scratch_load_b128 v[158:161], off, off offset:280
	s_mov_b32 s0, exec_lo
	s_wait_loadcnt_dscnt 0x601
	v_fma_f64 v[162:163], v[128:129], v[150:151], 0
	s_wait_loadcnt 0x5
	s_delay_alu instid0(VALU_DEP_1) | instskip(SKIP_4) | instid1(VALU_DEP_1)
	v_fmac_f64_e32 v[162:163], v[130:131], v[152:153]
	scratch_load_b128 v[128:131], off, off offset:296
	s_wait_dscnt 0x0
	v_fmac_f64_e32 v[162:163], v[132:133], v[154:155]
	s_wait_loadcnt 0x5
	v_fmac_f64_e32 v[162:163], v[134:135], v[156:157]
	ds_load_b128 v[132:135], v2 offset:720
	ds_load_b128 v[150:153], v2 offset:736
	scratch_load_b128 v[154:157], off, off offset:312
	s_wait_dscnt 0x1
	v_fmac_f64_e32 v[162:163], v[136:137], v[132:133]
	s_wait_loadcnt 0x5
	s_delay_alu instid0(VALU_DEP_1) | instskip(SKIP_4) | instid1(VALU_DEP_1)
	v_fmac_f64_e32 v[162:163], v[138:139], v[134:135]
	scratch_load_b128 v[132:135], off, off offset:328
	s_wait_dscnt 0x0
	v_fmac_f64_e32 v[162:163], v[140:141], v[150:151]
	s_wait_loadcnt 0x5
	v_fmac_f64_e32 v[162:163], v[142:143], v[152:153]
	ds_load_b128 v[136:139], v2 offset:752
	ds_load_b128 v[140:143], v2 offset:768
	scratch_load_b128 v[150:153], off, off offset:344
	s_wait_dscnt 0x1
	v_fmac_f64_e32 v[162:163], v[144:145], v[136:137]
	s_wait_loadcnt 0x5
	s_delay_alu instid0(VALU_DEP_1) | instskip(SKIP_4) | instid1(VALU_DEP_1)
	v_fmac_f64_e32 v[162:163], v[146:147], v[138:139]
	scratch_load_b128 v[136:139], off, off offset:360
	s_wait_dscnt 0x0
	v_fmac_f64_e32 v[162:163], v[148:149], v[140:141]
	s_wait_loadcnt 0x5
	v_fmac_f64_e32 v[162:163], v[158:159], v[142:143]
	ds_load_b128 v[140:143], v2 offset:784
	ds_load_b128 v[144:147], v2 offset:800
	s_wait_dscnt 0x1
	v_fmac_f64_e32 v[162:163], v[160:161], v[140:141]
	scratch_load_b128 v[158:161], off, off offset:376
	s_wait_loadcnt 0x5
	v_fmac_f64_e32 v[162:163], v[128:129], v[142:143]
	s_wait_dscnt 0x0
	s_delay_alu instid0(VALU_DEP_1)
	v_fmac_f64_e32 v[162:163], v[130:131], v[144:145]
	scratch_load_b128 v[128:131], off, off offset:392
	s_wait_loadcnt 0x5
	v_fmac_f64_e32 v[162:163], v[154:155], v[146:147]
	ds_load_b128 v[140:143], v2 offset:816
	ds_load_b128 v[144:147], v2 offset:832
	s_wait_dscnt 0x1
	v_fmac_f64_e32 v[162:163], v[156:157], v[140:141]
	s_wait_loadcnt 0x4
	s_delay_alu instid0(VALU_DEP_1)
	v_fmac_f64_e32 v[162:163], v[132:133], v[142:143]
	scratch_load_b128 v[140:143], off, off offset:408
	s_wait_dscnt 0x0
	v_fmac_f64_e32 v[162:163], v[134:135], v[144:145]
	scratch_load_b128 v[132:135], off, off offset:424
	s_wait_loadcnt 0x5
	v_fmac_f64_e32 v[162:163], v[150:151], v[146:147]
	ds_load_b128 v[144:147], v2 offset:848
	ds_load_b128 v[148:151], v2 offset:864
	s_wait_dscnt 0x1
	v_fmac_f64_e32 v[162:163], v[152:153], v[144:145]
	s_wait_loadcnt 0x4
	s_delay_alu instid0(VALU_DEP_1)
	v_fmac_f64_e32 v[162:163], v[136:137], v[146:147]
	scratch_load_b128 v[144:147], off, off offset:440
	s_wait_dscnt 0x0
	v_fmac_f64_e32 v[162:163], v[138:139], v[148:149]
	scratch_load_b128 v[136:139], off, off offset:456
	s_wait_loadcnt 0x5
	v_fmac_f64_e32 v[162:163], v[158:159], v[150:151]
	ds_load_b128 v[148:151], v2 offset:880
	ds_load_b128 v[152:155], v2 offset:896
	s_wait_dscnt 0x1
	v_fmac_f64_e32 v[162:163], v[160:161], v[148:149]
	s_wait_loadcnt 0x4
	s_delay_alu instid0(VALU_DEP_1) | instskip(SKIP_4) | instid1(VALU_DEP_1)
	v_fmac_f64_e32 v[162:163], v[128:129], v[150:151]
	scratch_load_b128 v[148:151], off, off offset:472
	s_wait_dscnt 0x0
	v_fmac_f64_e32 v[162:163], v[130:131], v[152:153]
	s_wait_loadcnt 0x4
	v_fmac_f64_e32 v[162:163], v[140:141], v[154:155]
	ds_load_b128 v[128:131], v2 offset:912
	ds_load_b128 v[152:155], v2 offset:928
	s_wait_dscnt 0x1
	v_fmac_f64_e32 v[162:163], v[142:143], v[128:129]
	s_wait_loadcnt 0x3
	s_delay_alu instid0(VALU_DEP_1) | instskip(SKIP_1) | instid1(VALU_DEP_1)
	v_fmac_f64_e32 v[162:163], v[132:133], v[130:131]
	s_wait_dscnt 0x0
	v_fmac_f64_e32 v[162:163], v[134:135], v[152:153]
	ds_load_b128 v[128:131], v2 offset:944
	ds_load_b128 v[132:135], v2 offset:960
	s_wait_loadcnt 0x2
	v_fmac_f64_e32 v[162:163], v[144:145], v[154:155]
	s_wait_dscnt 0x1
	s_delay_alu instid0(VALU_DEP_1) | instskip(SKIP_4) | instid1(VALU_DEP_1)
	v_fmac_f64_e32 v[162:163], v[146:147], v[128:129]
	ds_load_b64 v[128:129], v2 offset:976
	s_wait_loadcnt 0x1
	v_fmac_f64_e32 v[162:163], v[136:137], v[130:131]
	s_wait_dscnt 0x1
	v_fmac_f64_e32 v[162:163], v[138:139], v[132:133]
	s_wait_loadcnt 0x0
	s_delay_alu instid0(VALU_DEP_1) | instskip(SKIP_1) | instid1(VALU_DEP_1)
	v_fmac_f64_e32 v[162:163], v[148:149], v[134:135]
	s_wait_dscnt 0x0
	v_fmac_f64_e32 v[162:163], v[150:151], v[128:129]
	s_delay_alu instid0(VALU_DEP_1)
	v_add_f64_e64 v[126:127], v[126:127], -v[162:163]
	scratch_store_b64 off, v[126:127], off offset:184
	s_wait_xcnt 0x0
	v_cmpx_lt_u32_e32 22, v0
	s_cbranch_execz .LBB60_331
; %bb.330:
	scratch_load_b64 v[126:127], off, off offset:176
	v_mov_b64_e32 v[128:129], 0
	scratch_store_b64 off, v[128:129], off offset:176
	s_wait_loadcnt 0x0
	ds_store_b64 v1, v[126:127]
.LBB60_331:
	s_wait_xcnt 0x0
	s_or_b32 exec_lo, exec_lo, s0
	s_wait_storecnt_dscnt 0x0
	s_barrier_signal -1
	s_barrier_wait -1
	s_clause 0x5
	scratch_load_b128 v[126:129], off, off offset:176
	scratch_load_b128 v[130:133], off, off offset:192
	;; [unrolled: 1-line block ×6, first 2 shown]
	ds_load_2addr_b64 v[150:153], v2 offset0:85 offset1:86
	ds_load_2addr_b64 v[154:157], v2 offset0:87 offset1:88
	scratch_load_b128 v[158:161], off, off offset:272
	s_mov_b32 s0, exec_lo
	s_wait_loadcnt_dscnt 0x601
	v_fma_f64 v[162:163], v[128:129], v[150:151], 0
	s_wait_loadcnt 0x5
	s_delay_alu instid0(VALU_DEP_1) | instskip(SKIP_4) | instid1(VALU_DEP_1)
	v_fmac_f64_e32 v[162:163], v[130:131], v[152:153]
	scratch_load_b128 v[128:131], off, off offset:288
	s_wait_dscnt 0x0
	v_fmac_f64_e32 v[162:163], v[132:133], v[154:155]
	s_wait_loadcnt 0x5
	v_fmac_f64_e32 v[162:163], v[134:135], v[156:157]
	ds_load_2addr_b64 v[132:135], v2 offset0:89 offset1:90
	ds_load_2addr_b64 v[150:153], v2 offset0:91 offset1:92
	scratch_load_b128 v[154:157], off, off offset:304
	s_wait_dscnt 0x1
	v_fmac_f64_e32 v[162:163], v[136:137], v[132:133]
	s_wait_loadcnt 0x5
	s_delay_alu instid0(VALU_DEP_1) | instskip(SKIP_4) | instid1(VALU_DEP_1)
	v_fmac_f64_e32 v[162:163], v[138:139], v[134:135]
	scratch_load_b128 v[132:135], off, off offset:320
	s_wait_dscnt 0x0
	v_fmac_f64_e32 v[162:163], v[140:141], v[150:151]
	s_wait_loadcnt 0x5
	v_fmac_f64_e32 v[162:163], v[142:143], v[152:153]
	ds_load_2addr_b64 v[136:139], v2 offset0:93 offset1:94
	ds_load_2addr_b64 v[140:143], v2 offset0:95 offset1:96
	scratch_load_b128 v[150:153], off, off offset:336
	s_wait_dscnt 0x1
	v_fmac_f64_e32 v[162:163], v[144:145], v[136:137]
	s_wait_loadcnt 0x5
	s_delay_alu instid0(VALU_DEP_1) | instskip(SKIP_4) | instid1(VALU_DEP_1)
	v_fmac_f64_e32 v[162:163], v[146:147], v[138:139]
	scratch_load_b128 v[136:139], off, off offset:352
	s_wait_dscnt 0x0
	v_fmac_f64_e32 v[162:163], v[148:149], v[140:141]
	s_wait_loadcnt 0x5
	v_fmac_f64_e32 v[162:163], v[158:159], v[142:143]
	ds_load_2addr_b64 v[140:143], v2 offset0:97 offset1:98
	ds_load_2addr_b64 v[144:147], v2 offset0:99 offset1:100
	s_wait_dscnt 0x1
	v_fmac_f64_e32 v[162:163], v[160:161], v[140:141]
	scratch_load_b128 v[158:161], off, off offset:368
	s_wait_loadcnt 0x5
	v_fmac_f64_e32 v[162:163], v[128:129], v[142:143]
	s_wait_dscnt 0x0
	s_delay_alu instid0(VALU_DEP_1)
	v_fmac_f64_e32 v[162:163], v[130:131], v[144:145]
	scratch_load_b128 v[128:131], off, off offset:384
	s_wait_loadcnt 0x5
	v_fmac_f64_e32 v[162:163], v[154:155], v[146:147]
	ds_load_2addr_b64 v[140:143], v2 offset0:101 offset1:102
	ds_load_2addr_b64 v[144:147], v2 offset0:103 offset1:104
	s_wait_dscnt 0x1
	v_fmac_f64_e32 v[162:163], v[156:157], v[140:141]
	scratch_load_b128 v[154:157], off, off offset:400
	s_wait_loadcnt 0x5
	v_fmac_f64_e32 v[162:163], v[132:133], v[142:143]
	s_wait_dscnt 0x0
	s_delay_alu instid0(VALU_DEP_1)
	v_fmac_f64_e32 v[162:163], v[134:135], v[144:145]
	scratch_load_b128 v[132:135], off, off offset:416
	s_wait_loadcnt 0x5
	v_fmac_f64_e32 v[162:163], v[150:151], v[146:147]
	ds_load_2addr_b64 v[140:143], v2 offset0:105 offset1:106
	ds_load_2addr_b64 v[144:147], v2 offset0:107 offset1:108
	s_wait_dscnt 0x1
	v_fmac_f64_e32 v[162:163], v[152:153], v[140:141]
	s_wait_loadcnt 0x4
	s_delay_alu instid0(VALU_DEP_1)
	v_fmac_f64_e32 v[162:163], v[136:137], v[142:143]
	scratch_load_b128 v[140:143], off, off offset:432
	s_wait_dscnt 0x0
	v_fmac_f64_e32 v[162:163], v[138:139], v[144:145]
	scratch_load_b128 v[136:139], off, off offset:448
	s_wait_loadcnt 0x5
	v_fmac_f64_e32 v[162:163], v[158:159], v[146:147]
	ds_load_2addr_b64 v[144:147], v2 offset0:109 offset1:110
	ds_load_2addr_b64 v[148:151], v2 offset0:111 offset1:112
	scratch_load_b64 v[152:153], off, off offset:480
	s_wait_dscnt 0x1
	v_fmac_f64_e32 v[162:163], v[160:161], v[144:145]
	s_wait_loadcnt 0x5
	s_delay_alu instid0(VALU_DEP_1) | instskip(SKIP_4) | instid1(VALU_DEP_1)
	v_fmac_f64_e32 v[162:163], v[128:129], v[146:147]
	scratch_load_b128 v[144:147], off, off offset:464
	s_wait_dscnt 0x0
	v_fmac_f64_e32 v[162:163], v[130:131], v[148:149]
	s_wait_loadcnt 0x5
	v_fmac_f64_e32 v[162:163], v[154:155], v[150:151]
	ds_load_2addr_b64 v[128:131], v2 offset0:113 offset1:114
	ds_load_2addr_b64 v[148:151], v2 offset0:115 offset1:116
	s_wait_dscnt 0x1
	v_fmac_f64_e32 v[162:163], v[156:157], v[128:129]
	s_wait_loadcnt 0x4
	s_delay_alu instid0(VALU_DEP_1) | instskip(SKIP_1) | instid1(VALU_DEP_1)
	v_fmac_f64_e32 v[162:163], v[132:133], v[130:131]
	s_wait_dscnt 0x0
	v_fmac_f64_e32 v[162:163], v[134:135], v[148:149]
	ds_load_2addr_b64 v[128:131], v2 offset0:117 offset1:118
	ds_load_2addr_b64 v[132:135], v2 offset0:119 offset1:120
	s_wait_loadcnt 0x3
	v_fmac_f64_e32 v[162:163], v[140:141], v[150:151]
	s_wait_dscnt 0x1
	s_delay_alu instid0(VALU_DEP_1) | instskip(SKIP_1) | instid1(VALU_DEP_1)
	v_fmac_f64_e32 v[162:163], v[142:143], v[128:129]
	s_wait_loadcnt 0x2
	v_fmac_f64_e32 v[162:163], v[136:137], v[130:131]
	ds_load_2addr_b64 v[128:131], v2 offset0:121 offset1:122
	s_wait_dscnt 0x1
	v_fmac_f64_e32 v[162:163], v[138:139], v[132:133]
	s_wait_loadcnt 0x0
	s_delay_alu instid0(VALU_DEP_1) | instskip(SKIP_1) | instid1(VALU_DEP_1)
	v_fmac_f64_e32 v[162:163], v[144:145], v[134:135]
	s_wait_dscnt 0x0
	v_fmac_f64_e32 v[162:163], v[146:147], v[128:129]
	s_delay_alu instid0(VALU_DEP_1) | instskip(NEXT) | instid1(VALU_DEP_1)
	v_fmac_f64_e32 v[162:163], v[152:153], v[130:131]
	v_add_f64_e64 v[2:3], v[126:127], -v[162:163]
	scratch_store_b64 off, v[2:3], off offset:176
	s_wait_xcnt 0x0
	v_cmpx_lt_u32_e32 21, v0
	s_cbranch_execz .LBB60_333
; %bb.332:
	scratch_load_b64 v[2:3], off, off offset:168
	v_mov_b64_e32 v[126:127], 0
	scratch_store_b64 off, v[126:127], off offset:168
	s_wait_loadcnt 0x0
	ds_store_b64 v1, v[2:3]
.LBB60_333:
	s_wait_xcnt 0x0
	s_or_b32 exec_lo, exec_lo, s0
	s_wait_storecnt_dscnt 0x0
	s_barrier_signal -1
	s_barrier_wait -1
	s_clause 0x5
	scratch_load_b128 v[126:129], off, off offset:168
	scratch_load_b128 v[130:133], off, off offset:184
	;; [unrolled: 1-line block ×6, first 2 shown]
	v_mov_b32_e32 v2, 0
	ds_load_b128 v[150:153], v2 offset:672
	ds_load_b128 v[154:157], v2 offset:688
	scratch_load_b128 v[158:161], off, off offset:264
	s_mov_b32 s0, exec_lo
	s_wait_loadcnt_dscnt 0x601
	v_fma_f64 v[162:163], v[128:129], v[150:151], 0
	s_wait_loadcnt 0x5
	s_delay_alu instid0(VALU_DEP_1) | instskip(SKIP_4) | instid1(VALU_DEP_1)
	v_fmac_f64_e32 v[162:163], v[130:131], v[152:153]
	scratch_load_b128 v[128:131], off, off offset:280
	s_wait_dscnt 0x0
	v_fmac_f64_e32 v[162:163], v[132:133], v[154:155]
	s_wait_loadcnt 0x5
	v_fmac_f64_e32 v[162:163], v[134:135], v[156:157]
	ds_load_b128 v[132:135], v2 offset:704
	ds_load_b128 v[150:153], v2 offset:720
	scratch_load_b128 v[154:157], off, off offset:296
	s_wait_dscnt 0x1
	v_fmac_f64_e32 v[162:163], v[136:137], v[132:133]
	s_wait_loadcnt 0x5
	s_delay_alu instid0(VALU_DEP_1) | instskip(SKIP_4) | instid1(VALU_DEP_1)
	v_fmac_f64_e32 v[162:163], v[138:139], v[134:135]
	scratch_load_b128 v[132:135], off, off offset:312
	s_wait_dscnt 0x0
	v_fmac_f64_e32 v[162:163], v[140:141], v[150:151]
	s_wait_loadcnt 0x5
	v_fmac_f64_e32 v[162:163], v[142:143], v[152:153]
	ds_load_b128 v[136:139], v2 offset:736
	ds_load_b128 v[140:143], v2 offset:752
	scratch_load_b128 v[150:153], off, off offset:328
	s_wait_dscnt 0x1
	v_fmac_f64_e32 v[162:163], v[144:145], v[136:137]
	s_wait_loadcnt 0x5
	s_delay_alu instid0(VALU_DEP_1) | instskip(SKIP_4) | instid1(VALU_DEP_1)
	v_fmac_f64_e32 v[162:163], v[146:147], v[138:139]
	scratch_load_b128 v[136:139], off, off offset:344
	s_wait_dscnt 0x0
	v_fmac_f64_e32 v[162:163], v[148:149], v[140:141]
	s_wait_loadcnt 0x5
	v_fmac_f64_e32 v[162:163], v[158:159], v[142:143]
	ds_load_b128 v[140:143], v2 offset:768
	ds_load_b128 v[144:147], v2 offset:784
	s_wait_dscnt 0x1
	v_fmac_f64_e32 v[162:163], v[160:161], v[140:141]
	scratch_load_b128 v[158:161], off, off offset:360
	s_wait_loadcnt 0x5
	v_fmac_f64_e32 v[162:163], v[128:129], v[142:143]
	s_wait_dscnt 0x0
	s_delay_alu instid0(VALU_DEP_1)
	v_fmac_f64_e32 v[162:163], v[130:131], v[144:145]
	scratch_load_b128 v[128:131], off, off offset:376
	s_wait_loadcnt 0x5
	v_fmac_f64_e32 v[162:163], v[154:155], v[146:147]
	ds_load_b128 v[140:143], v2 offset:800
	ds_load_b128 v[144:147], v2 offset:816
	s_wait_dscnt 0x1
	v_fmac_f64_e32 v[162:163], v[156:157], v[140:141]
	scratch_load_b128 v[154:157], off, off offset:392
	s_wait_loadcnt 0x5
	v_fmac_f64_e32 v[162:163], v[132:133], v[142:143]
	s_wait_dscnt 0x0
	s_delay_alu instid0(VALU_DEP_1)
	v_fmac_f64_e32 v[162:163], v[134:135], v[144:145]
	scratch_load_b128 v[132:135], off, off offset:408
	s_wait_loadcnt 0x5
	v_fmac_f64_e32 v[162:163], v[150:151], v[146:147]
	ds_load_b128 v[140:143], v2 offset:832
	ds_load_b128 v[144:147], v2 offset:848
	s_wait_dscnt 0x1
	v_fmac_f64_e32 v[162:163], v[152:153], v[140:141]
	s_wait_loadcnt 0x4
	s_delay_alu instid0(VALU_DEP_1)
	v_fmac_f64_e32 v[162:163], v[136:137], v[142:143]
	scratch_load_b128 v[140:143], off, off offset:424
	s_wait_dscnt 0x0
	v_fmac_f64_e32 v[162:163], v[138:139], v[144:145]
	scratch_load_b128 v[136:139], off, off offset:440
	s_wait_loadcnt 0x5
	v_fmac_f64_e32 v[162:163], v[158:159], v[146:147]
	ds_load_b128 v[144:147], v2 offset:864
	ds_load_b128 v[148:151], v2 offset:880
	s_wait_dscnt 0x1
	v_fmac_f64_e32 v[162:163], v[160:161], v[144:145]
	s_wait_loadcnt 0x4
	s_delay_alu instid0(VALU_DEP_1)
	v_fmac_f64_e32 v[162:163], v[128:129], v[146:147]
	scratch_load_b128 v[144:147], off, off offset:456
	s_wait_dscnt 0x0
	v_fmac_f64_e32 v[162:163], v[130:131], v[148:149]
	scratch_load_b128 v[128:131], off, off offset:472
	s_wait_loadcnt 0x5
	v_fmac_f64_e32 v[162:163], v[154:155], v[150:151]
	ds_load_b128 v[148:151], v2 offset:896
	ds_load_b128 v[152:155], v2 offset:912
	s_wait_dscnt 0x1
	v_fmac_f64_e32 v[162:163], v[156:157], v[148:149]
	s_wait_loadcnt 0x4
	s_delay_alu instid0(VALU_DEP_1) | instskip(SKIP_1) | instid1(VALU_DEP_1)
	v_fmac_f64_e32 v[162:163], v[132:133], v[150:151]
	s_wait_dscnt 0x0
	v_fmac_f64_e32 v[162:163], v[134:135], v[152:153]
	ds_load_b128 v[132:135], v2 offset:928
	ds_load_b128 v[148:151], v2 offset:944
	s_wait_loadcnt 0x3
	v_fmac_f64_e32 v[162:163], v[140:141], v[154:155]
	s_wait_dscnt 0x1
	s_delay_alu instid0(VALU_DEP_1) | instskip(SKIP_1) | instid1(VALU_DEP_1)
	v_fmac_f64_e32 v[162:163], v[142:143], v[132:133]
	s_wait_loadcnt 0x2
	v_fmac_f64_e32 v[162:163], v[136:137], v[134:135]
	ds_load_b128 v[132:135], v2 offset:960
	ds_load_b64 v[136:137], v2 offset:976
	s_wait_dscnt 0x2
	v_fmac_f64_e32 v[162:163], v[138:139], v[148:149]
	s_wait_loadcnt 0x1
	s_delay_alu instid0(VALU_DEP_1) | instskip(SKIP_1) | instid1(VALU_DEP_1)
	v_fmac_f64_e32 v[162:163], v[144:145], v[150:151]
	s_wait_dscnt 0x1
	v_fmac_f64_e32 v[162:163], v[146:147], v[132:133]
	s_wait_loadcnt 0x0
	s_delay_alu instid0(VALU_DEP_1) | instskip(SKIP_1) | instid1(VALU_DEP_1)
	v_fmac_f64_e32 v[162:163], v[128:129], v[134:135]
	s_wait_dscnt 0x0
	v_fmac_f64_e32 v[162:163], v[130:131], v[136:137]
	s_delay_alu instid0(VALU_DEP_1)
	v_add_f64_e64 v[126:127], v[126:127], -v[162:163]
	scratch_store_b64 off, v[126:127], off offset:168
	s_wait_xcnt 0x0
	v_cmpx_lt_u32_e32 20, v0
	s_cbranch_execz .LBB60_335
; %bb.334:
	scratch_load_b64 v[126:127], off, off offset:160
	v_mov_b64_e32 v[128:129], 0
	scratch_store_b64 off, v[128:129], off offset:160
	s_wait_loadcnt 0x0
	ds_store_b64 v1, v[126:127]
.LBB60_335:
	s_wait_xcnt 0x0
	s_or_b32 exec_lo, exec_lo, s0
	s_wait_storecnt_dscnt 0x0
	s_barrier_signal -1
	s_barrier_wait -1
	s_clause 0x5
	scratch_load_b128 v[126:129], off, off offset:160
	scratch_load_b128 v[130:133], off, off offset:176
	;; [unrolled: 1-line block ×6, first 2 shown]
	ds_load_2addr_b64 v[150:153], v2 offset0:83 offset1:84
	ds_load_2addr_b64 v[154:157], v2 offset0:85 offset1:86
	scratch_load_b128 v[158:161], off, off offset:256
	s_mov_b32 s0, exec_lo
	s_wait_loadcnt_dscnt 0x601
	v_fma_f64 v[162:163], v[128:129], v[150:151], 0
	s_wait_loadcnt 0x5
	s_delay_alu instid0(VALU_DEP_1) | instskip(SKIP_4) | instid1(VALU_DEP_1)
	v_fmac_f64_e32 v[162:163], v[130:131], v[152:153]
	scratch_load_b128 v[128:131], off, off offset:272
	s_wait_dscnt 0x0
	v_fmac_f64_e32 v[162:163], v[132:133], v[154:155]
	s_wait_loadcnt 0x5
	v_fmac_f64_e32 v[162:163], v[134:135], v[156:157]
	ds_load_2addr_b64 v[132:135], v2 offset0:87 offset1:88
	ds_load_2addr_b64 v[150:153], v2 offset0:89 offset1:90
	scratch_load_b128 v[154:157], off, off offset:288
	s_wait_dscnt 0x1
	v_fmac_f64_e32 v[162:163], v[136:137], v[132:133]
	s_wait_loadcnt 0x5
	s_delay_alu instid0(VALU_DEP_1) | instskip(SKIP_4) | instid1(VALU_DEP_1)
	v_fmac_f64_e32 v[162:163], v[138:139], v[134:135]
	scratch_load_b128 v[132:135], off, off offset:304
	s_wait_dscnt 0x0
	v_fmac_f64_e32 v[162:163], v[140:141], v[150:151]
	s_wait_loadcnt 0x5
	v_fmac_f64_e32 v[162:163], v[142:143], v[152:153]
	ds_load_2addr_b64 v[136:139], v2 offset0:91 offset1:92
	ds_load_2addr_b64 v[140:143], v2 offset0:93 offset1:94
	scratch_load_b128 v[150:153], off, off offset:320
	s_wait_dscnt 0x1
	v_fmac_f64_e32 v[162:163], v[144:145], v[136:137]
	s_wait_loadcnt 0x5
	s_delay_alu instid0(VALU_DEP_1) | instskip(SKIP_4) | instid1(VALU_DEP_1)
	v_fmac_f64_e32 v[162:163], v[146:147], v[138:139]
	scratch_load_b128 v[136:139], off, off offset:336
	s_wait_dscnt 0x0
	v_fmac_f64_e32 v[162:163], v[148:149], v[140:141]
	s_wait_loadcnt 0x5
	v_fmac_f64_e32 v[162:163], v[158:159], v[142:143]
	ds_load_2addr_b64 v[140:143], v2 offset0:95 offset1:96
	ds_load_2addr_b64 v[144:147], v2 offset0:97 offset1:98
	s_wait_dscnt 0x1
	v_fmac_f64_e32 v[162:163], v[160:161], v[140:141]
	scratch_load_b128 v[158:161], off, off offset:352
	s_wait_loadcnt 0x5
	v_fmac_f64_e32 v[162:163], v[128:129], v[142:143]
	s_wait_dscnt 0x0
	s_delay_alu instid0(VALU_DEP_1)
	v_fmac_f64_e32 v[162:163], v[130:131], v[144:145]
	scratch_load_b128 v[128:131], off, off offset:368
	s_wait_loadcnt 0x5
	v_fmac_f64_e32 v[162:163], v[154:155], v[146:147]
	ds_load_2addr_b64 v[140:143], v2 offset0:99 offset1:100
	ds_load_2addr_b64 v[144:147], v2 offset0:101 offset1:102
	s_wait_dscnt 0x1
	v_fmac_f64_e32 v[162:163], v[156:157], v[140:141]
	scratch_load_b128 v[154:157], off, off offset:384
	s_wait_loadcnt 0x5
	v_fmac_f64_e32 v[162:163], v[132:133], v[142:143]
	s_wait_dscnt 0x0
	s_delay_alu instid0(VALU_DEP_1)
	v_fmac_f64_e32 v[162:163], v[134:135], v[144:145]
	scratch_load_b128 v[132:135], off, off offset:400
	s_wait_loadcnt 0x5
	v_fmac_f64_e32 v[162:163], v[150:151], v[146:147]
	ds_load_2addr_b64 v[140:143], v2 offset0:103 offset1:104
	ds_load_2addr_b64 v[144:147], v2 offset0:105 offset1:106
	s_wait_dscnt 0x1
	v_fmac_f64_e32 v[162:163], v[152:153], v[140:141]
	s_wait_loadcnt 0x4
	s_delay_alu instid0(VALU_DEP_1)
	v_fmac_f64_e32 v[162:163], v[136:137], v[142:143]
	scratch_load_b128 v[140:143], off, off offset:416
	s_wait_dscnt 0x0
	v_fmac_f64_e32 v[162:163], v[138:139], v[144:145]
	scratch_load_b128 v[136:139], off, off offset:432
	s_wait_loadcnt 0x5
	v_fmac_f64_e32 v[162:163], v[158:159], v[146:147]
	ds_load_2addr_b64 v[144:147], v2 offset0:107 offset1:108
	ds_load_2addr_b64 v[148:151], v2 offset0:109 offset1:110
	s_wait_dscnt 0x1
	v_fmac_f64_e32 v[162:163], v[160:161], v[144:145]
	s_wait_loadcnt 0x4
	s_delay_alu instid0(VALU_DEP_1)
	v_fmac_f64_e32 v[162:163], v[128:129], v[146:147]
	scratch_load_b128 v[144:147], off, off offset:448
	s_wait_dscnt 0x0
	v_fmac_f64_e32 v[162:163], v[130:131], v[148:149]
	scratch_load_b128 v[128:131], off, off offset:464
	s_wait_loadcnt 0x5
	v_fmac_f64_e32 v[162:163], v[154:155], v[150:151]
	ds_load_2addr_b64 v[148:151], v2 offset0:111 offset1:112
	ds_load_2addr_b64 v[152:155], v2 offset0:113 offset1:114
	s_wait_dscnt 0x1
	v_fmac_f64_e32 v[162:163], v[156:157], v[148:149]
	scratch_load_b64 v[156:157], off, off offset:480
	s_wait_loadcnt 0x5
	v_fmac_f64_e32 v[162:163], v[132:133], v[150:151]
	s_wait_dscnt 0x0
	s_delay_alu instid0(VALU_DEP_1)
	v_fmac_f64_e32 v[162:163], v[134:135], v[152:153]
	ds_load_2addr_b64 v[132:135], v2 offset0:115 offset1:116
	ds_load_2addr_b64 v[148:151], v2 offset0:117 offset1:118
	s_wait_loadcnt 0x4
	v_fmac_f64_e32 v[162:163], v[140:141], v[154:155]
	s_wait_dscnt 0x1
	s_delay_alu instid0(VALU_DEP_1) | instskip(SKIP_1) | instid1(VALU_DEP_1)
	v_fmac_f64_e32 v[162:163], v[142:143], v[132:133]
	s_wait_loadcnt 0x3
	v_fmac_f64_e32 v[162:163], v[136:137], v[134:135]
	s_wait_dscnt 0x0
	s_delay_alu instid0(VALU_DEP_1)
	v_fmac_f64_e32 v[162:163], v[138:139], v[148:149]
	ds_load_2addr_b64 v[132:135], v2 offset0:119 offset1:120
	ds_load_2addr_b64 v[136:139], v2 offset0:121 offset1:122
	s_wait_loadcnt 0x2
	v_fmac_f64_e32 v[162:163], v[144:145], v[150:151]
	s_wait_dscnt 0x1
	s_delay_alu instid0(VALU_DEP_1) | instskip(SKIP_1) | instid1(VALU_DEP_1)
	v_fmac_f64_e32 v[162:163], v[146:147], v[132:133]
	s_wait_loadcnt 0x1
	v_fmac_f64_e32 v[162:163], v[128:129], v[134:135]
	s_wait_dscnt 0x0
	s_delay_alu instid0(VALU_DEP_1) | instskip(SKIP_1) | instid1(VALU_DEP_1)
	v_fmac_f64_e32 v[162:163], v[130:131], v[136:137]
	s_wait_loadcnt 0x0
	v_fmac_f64_e32 v[162:163], v[156:157], v[138:139]
	s_delay_alu instid0(VALU_DEP_1)
	v_add_f64_e64 v[2:3], v[126:127], -v[162:163]
	scratch_store_b64 off, v[2:3], off offset:160
	s_wait_xcnt 0x0
	v_cmpx_lt_u32_e32 19, v0
	s_cbranch_execz .LBB60_337
; %bb.336:
	scratch_load_b64 v[2:3], off, off offset:152
	v_mov_b64_e32 v[126:127], 0
	scratch_store_b64 off, v[126:127], off offset:152
	s_wait_loadcnt 0x0
	ds_store_b64 v1, v[2:3]
.LBB60_337:
	s_wait_xcnt 0x0
	s_or_b32 exec_lo, exec_lo, s0
	s_wait_storecnt_dscnt 0x0
	s_barrier_signal -1
	s_barrier_wait -1
	s_clause 0x5
	scratch_load_b128 v[126:129], off, off offset:152
	scratch_load_b128 v[130:133], off, off offset:168
	;; [unrolled: 1-line block ×6, first 2 shown]
	v_mov_b32_e32 v2, 0
	ds_load_b128 v[150:153], v2 offset:656
	ds_load_b128 v[154:157], v2 offset:672
	scratch_load_b128 v[158:161], off, off offset:248
	s_mov_b32 s0, exec_lo
	s_wait_loadcnt_dscnt 0x601
	v_fma_f64 v[162:163], v[128:129], v[150:151], 0
	s_wait_loadcnt 0x5
	s_delay_alu instid0(VALU_DEP_1) | instskip(SKIP_4) | instid1(VALU_DEP_1)
	v_fmac_f64_e32 v[162:163], v[130:131], v[152:153]
	scratch_load_b128 v[128:131], off, off offset:264
	s_wait_dscnt 0x0
	v_fmac_f64_e32 v[162:163], v[132:133], v[154:155]
	s_wait_loadcnt 0x5
	v_fmac_f64_e32 v[162:163], v[134:135], v[156:157]
	ds_load_b128 v[132:135], v2 offset:688
	ds_load_b128 v[150:153], v2 offset:704
	scratch_load_b128 v[154:157], off, off offset:280
	s_wait_dscnt 0x1
	v_fmac_f64_e32 v[162:163], v[136:137], v[132:133]
	s_wait_loadcnt 0x5
	s_delay_alu instid0(VALU_DEP_1) | instskip(SKIP_4) | instid1(VALU_DEP_1)
	v_fmac_f64_e32 v[162:163], v[138:139], v[134:135]
	scratch_load_b128 v[132:135], off, off offset:296
	s_wait_dscnt 0x0
	v_fmac_f64_e32 v[162:163], v[140:141], v[150:151]
	s_wait_loadcnt 0x5
	v_fmac_f64_e32 v[162:163], v[142:143], v[152:153]
	ds_load_b128 v[136:139], v2 offset:720
	ds_load_b128 v[140:143], v2 offset:736
	scratch_load_b128 v[150:153], off, off offset:312
	s_wait_dscnt 0x1
	v_fmac_f64_e32 v[162:163], v[144:145], v[136:137]
	s_wait_loadcnt 0x5
	s_delay_alu instid0(VALU_DEP_1) | instskip(SKIP_4) | instid1(VALU_DEP_1)
	v_fmac_f64_e32 v[162:163], v[146:147], v[138:139]
	scratch_load_b128 v[136:139], off, off offset:328
	s_wait_dscnt 0x0
	v_fmac_f64_e32 v[162:163], v[148:149], v[140:141]
	s_wait_loadcnt 0x5
	v_fmac_f64_e32 v[162:163], v[158:159], v[142:143]
	ds_load_b128 v[140:143], v2 offset:752
	ds_load_b128 v[144:147], v2 offset:768
	s_wait_dscnt 0x1
	v_fmac_f64_e32 v[162:163], v[160:161], v[140:141]
	scratch_load_b128 v[158:161], off, off offset:344
	s_wait_loadcnt 0x5
	v_fmac_f64_e32 v[162:163], v[128:129], v[142:143]
	s_wait_dscnt 0x0
	s_delay_alu instid0(VALU_DEP_1)
	v_fmac_f64_e32 v[162:163], v[130:131], v[144:145]
	scratch_load_b128 v[128:131], off, off offset:360
	s_wait_loadcnt 0x5
	v_fmac_f64_e32 v[162:163], v[154:155], v[146:147]
	ds_load_b128 v[140:143], v2 offset:784
	ds_load_b128 v[144:147], v2 offset:800
	s_wait_dscnt 0x1
	v_fmac_f64_e32 v[162:163], v[156:157], v[140:141]
	scratch_load_b128 v[154:157], off, off offset:376
	s_wait_loadcnt 0x5
	v_fmac_f64_e32 v[162:163], v[132:133], v[142:143]
	s_wait_dscnt 0x0
	s_delay_alu instid0(VALU_DEP_1)
	v_fmac_f64_e32 v[162:163], v[134:135], v[144:145]
	scratch_load_b128 v[132:135], off, off offset:392
	s_wait_loadcnt 0x5
	v_fmac_f64_e32 v[162:163], v[150:151], v[146:147]
	ds_load_b128 v[140:143], v2 offset:816
	ds_load_b128 v[144:147], v2 offset:832
	s_wait_dscnt 0x1
	v_fmac_f64_e32 v[162:163], v[152:153], v[140:141]
	s_wait_loadcnt 0x4
	s_delay_alu instid0(VALU_DEP_1)
	v_fmac_f64_e32 v[162:163], v[136:137], v[142:143]
	scratch_load_b128 v[140:143], off, off offset:408
	s_wait_dscnt 0x0
	v_fmac_f64_e32 v[162:163], v[138:139], v[144:145]
	scratch_load_b128 v[136:139], off, off offset:424
	s_wait_loadcnt 0x5
	v_fmac_f64_e32 v[162:163], v[158:159], v[146:147]
	ds_load_b128 v[144:147], v2 offset:848
	ds_load_b128 v[148:151], v2 offset:864
	s_wait_dscnt 0x1
	v_fmac_f64_e32 v[162:163], v[160:161], v[144:145]
	s_wait_loadcnt 0x4
	s_delay_alu instid0(VALU_DEP_1)
	v_fmac_f64_e32 v[162:163], v[128:129], v[146:147]
	scratch_load_b128 v[144:147], off, off offset:440
	s_wait_dscnt 0x0
	v_fmac_f64_e32 v[162:163], v[130:131], v[148:149]
	scratch_load_b128 v[128:131], off, off offset:456
	s_wait_loadcnt 0x5
	v_fmac_f64_e32 v[162:163], v[154:155], v[150:151]
	ds_load_b128 v[148:151], v2 offset:880
	ds_load_b128 v[152:155], v2 offset:896
	s_wait_dscnt 0x1
	v_fmac_f64_e32 v[162:163], v[156:157], v[148:149]
	s_wait_loadcnt 0x4
	s_delay_alu instid0(VALU_DEP_1) | instskip(SKIP_4) | instid1(VALU_DEP_1)
	v_fmac_f64_e32 v[162:163], v[132:133], v[150:151]
	scratch_load_b128 v[148:151], off, off offset:472
	s_wait_dscnt 0x0
	v_fmac_f64_e32 v[162:163], v[134:135], v[152:153]
	s_wait_loadcnt 0x4
	v_fmac_f64_e32 v[162:163], v[140:141], v[154:155]
	ds_load_b128 v[132:135], v2 offset:912
	ds_load_b128 v[152:155], v2 offset:928
	s_wait_dscnt 0x1
	v_fmac_f64_e32 v[162:163], v[142:143], v[132:133]
	s_wait_loadcnt 0x3
	s_delay_alu instid0(VALU_DEP_1) | instskip(SKIP_1) | instid1(VALU_DEP_1)
	v_fmac_f64_e32 v[162:163], v[136:137], v[134:135]
	s_wait_dscnt 0x0
	v_fmac_f64_e32 v[162:163], v[138:139], v[152:153]
	ds_load_b128 v[132:135], v2 offset:944
	ds_load_b128 v[136:139], v2 offset:960
	s_wait_loadcnt 0x2
	v_fmac_f64_e32 v[162:163], v[144:145], v[154:155]
	s_wait_dscnt 0x1
	s_delay_alu instid0(VALU_DEP_1) | instskip(SKIP_1) | instid1(VALU_DEP_1)
	v_fmac_f64_e32 v[162:163], v[146:147], v[132:133]
	s_wait_loadcnt 0x1
	v_fmac_f64_e32 v[162:163], v[128:129], v[134:135]
	ds_load_b64 v[128:129], v2 offset:976
	s_wait_dscnt 0x1
	v_fmac_f64_e32 v[162:163], v[130:131], v[136:137]
	s_wait_loadcnt 0x0
	s_delay_alu instid0(VALU_DEP_1) | instskip(SKIP_1) | instid1(VALU_DEP_1)
	v_fmac_f64_e32 v[162:163], v[148:149], v[138:139]
	s_wait_dscnt 0x0
	v_fmac_f64_e32 v[162:163], v[150:151], v[128:129]
	s_delay_alu instid0(VALU_DEP_1)
	v_add_f64_e64 v[126:127], v[126:127], -v[162:163]
	scratch_store_b64 off, v[126:127], off offset:152
	s_wait_xcnt 0x0
	v_cmpx_lt_u32_e32 18, v0
	s_cbranch_execz .LBB60_339
; %bb.338:
	scratch_load_b64 v[126:127], off, off offset:144
	v_mov_b64_e32 v[128:129], 0
	scratch_store_b64 off, v[128:129], off offset:144
	s_wait_loadcnt 0x0
	ds_store_b64 v1, v[126:127]
.LBB60_339:
	s_wait_xcnt 0x0
	s_or_b32 exec_lo, exec_lo, s0
	s_wait_storecnt_dscnt 0x0
	s_barrier_signal -1
	s_barrier_wait -1
	s_clause 0x5
	scratch_load_b128 v[126:129], off, off offset:144
	scratch_load_b128 v[130:133], off, off offset:160
	;; [unrolled: 1-line block ×6, first 2 shown]
	ds_load_2addr_b64 v[150:153], v2 offset0:81 offset1:82
	ds_load_2addr_b64 v[154:157], v2 offset0:83 offset1:84
	scratch_load_b128 v[158:161], off, off offset:240
	s_mov_b32 s0, exec_lo
	s_wait_loadcnt_dscnt 0x601
	v_fma_f64 v[162:163], v[128:129], v[150:151], 0
	s_wait_loadcnt 0x5
	s_delay_alu instid0(VALU_DEP_1) | instskip(SKIP_4) | instid1(VALU_DEP_1)
	v_fmac_f64_e32 v[162:163], v[130:131], v[152:153]
	scratch_load_b128 v[128:131], off, off offset:256
	s_wait_dscnt 0x0
	v_fmac_f64_e32 v[162:163], v[132:133], v[154:155]
	s_wait_loadcnt 0x5
	v_fmac_f64_e32 v[162:163], v[134:135], v[156:157]
	ds_load_2addr_b64 v[132:135], v2 offset0:85 offset1:86
	ds_load_2addr_b64 v[150:153], v2 offset0:87 offset1:88
	scratch_load_b128 v[154:157], off, off offset:272
	s_wait_dscnt 0x1
	v_fmac_f64_e32 v[162:163], v[136:137], v[132:133]
	s_wait_loadcnt 0x5
	s_delay_alu instid0(VALU_DEP_1) | instskip(SKIP_4) | instid1(VALU_DEP_1)
	v_fmac_f64_e32 v[162:163], v[138:139], v[134:135]
	scratch_load_b128 v[132:135], off, off offset:288
	s_wait_dscnt 0x0
	v_fmac_f64_e32 v[162:163], v[140:141], v[150:151]
	s_wait_loadcnt 0x5
	v_fmac_f64_e32 v[162:163], v[142:143], v[152:153]
	ds_load_2addr_b64 v[136:139], v2 offset0:89 offset1:90
	ds_load_2addr_b64 v[140:143], v2 offset0:91 offset1:92
	scratch_load_b128 v[150:153], off, off offset:304
	s_wait_dscnt 0x1
	v_fmac_f64_e32 v[162:163], v[144:145], v[136:137]
	s_wait_loadcnt 0x5
	s_delay_alu instid0(VALU_DEP_1) | instskip(SKIP_4) | instid1(VALU_DEP_1)
	v_fmac_f64_e32 v[162:163], v[146:147], v[138:139]
	scratch_load_b128 v[136:139], off, off offset:320
	s_wait_dscnt 0x0
	v_fmac_f64_e32 v[162:163], v[148:149], v[140:141]
	s_wait_loadcnt 0x5
	v_fmac_f64_e32 v[162:163], v[158:159], v[142:143]
	ds_load_2addr_b64 v[140:143], v2 offset0:93 offset1:94
	ds_load_2addr_b64 v[144:147], v2 offset0:95 offset1:96
	s_wait_dscnt 0x1
	v_fmac_f64_e32 v[162:163], v[160:161], v[140:141]
	scratch_load_b128 v[158:161], off, off offset:336
	s_wait_loadcnt 0x5
	v_fmac_f64_e32 v[162:163], v[128:129], v[142:143]
	s_wait_dscnt 0x0
	s_delay_alu instid0(VALU_DEP_1)
	v_fmac_f64_e32 v[162:163], v[130:131], v[144:145]
	scratch_load_b128 v[128:131], off, off offset:352
	s_wait_loadcnt 0x5
	v_fmac_f64_e32 v[162:163], v[154:155], v[146:147]
	ds_load_2addr_b64 v[140:143], v2 offset0:97 offset1:98
	ds_load_2addr_b64 v[144:147], v2 offset0:99 offset1:100
	s_wait_dscnt 0x1
	v_fmac_f64_e32 v[162:163], v[156:157], v[140:141]
	scratch_load_b128 v[154:157], off, off offset:368
	s_wait_loadcnt 0x5
	v_fmac_f64_e32 v[162:163], v[132:133], v[142:143]
	s_wait_dscnt 0x0
	s_delay_alu instid0(VALU_DEP_1)
	v_fmac_f64_e32 v[162:163], v[134:135], v[144:145]
	scratch_load_b128 v[132:135], off, off offset:384
	s_wait_loadcnt 0x5
	v_fmac_f64_e32 v[162:163], v[150:151], v[146:147]
	ds_load_2addr_b64 v[140:143], v2 offset0:101 offset1:102
	ds_load_2addr_b64 v[144:147], v2 offset0:103 offset1:104
	scratch_load_b128 v[148:151], off, off offset:400
	s_wait_dscnt 0x1
	v_fmac_f64_e32 v[162:163], v[152:153], v[140:141]
	s_wait_loadcnt 0x5
	s_delay_alu instid0(VALU_DEP_1) | instskip(SKIP_1) | instid1(VALU_DEP_1)
	v_fmac_f64_e32 v[162:163], v[136:137], v[142:143]
	s_wait_dscnt 0x0
	v_fmac_f64_e32 v[162:163], v[138:139], v[144:145]
	scratch_load_b128 v[136:139], off, off offset:416
	s_wait_loadcnt 0x5
	v_fmac_f64_e32 v[162:163], v[158:159], v[146:147]
	ds_load_2addr_b64 v[140:143], v2 offset0:105 offset1:106
	ds_load_2addr_b64 v[144:147], v2 offset0:107 offset1:108
	s_wait_dscnt 0x1
	v_fmac_f64_e32 v[162:163], v[160:161], v[140:141]
	s_wait_loadcnt 0x4
	s_delay_alu instid0(VALU_DEP_1)
	v_fmac_f64_e32 v[162:163], v[128:129], v[142:143]
	scratch_load_b128 v[140:143], off, off offset:432
	s_wait_dscnt 0x0
	v_fmac_f64_e32 v[162:163], v[130:131], v[144:145]
	scratch_load_b128 v[128:131], off, off offset:448
	s_wait_loadcnt 0x5
	v_fmac_f64_e32 v[162:163], v[154:155], v[146:147]
	ds_load_2addr_b64 v[144:147], v2 offset0:109 offset1:110
	ds_load_2addr_b64 v[152:155], v2 offset0:111 offset1:112
	s_wait_dscnt 0x1
	v_fmac_f64_e32 v[162:163], v[156:157], v[144:145]
	s_wait_loadcnt 0x4
	s_delay_alu instid0(VALU_DEP_1) | instskip(SKIP_4) | instid1(VALU_DEP_1)
	v_fmac_f64_e32 v[162:163], v[132:133], v[146:147]
	scratch_load_b128 v[144:147], off, off offset:464
	s_wait_dscnt 0x0
	v_fmac_f64_e32 v[162:163], v[134:135], v[152:153]
	s_wait_loadcnt 0x4
	v_fmac_f64_e32 v[162:163], v[148:149], v[154:155]
	scratch_load_b64 v[148:149], off, off offset:480
	ds_load_2addr_b64 v[132:135], v2 offset0:113 offset1:114
	ds_load_2addr_b64 v[152:155], v2 offset0:115 offset1:116
	s_wait_dscnt 0x1
	v_fmac_f64_e32 v[162:163], v[150:151], v[132:133]
	s_wait_loadcnt 0x4
	s_delay_alu instid0(VALU_DEP_1) | instskip(SKIP_1) | instid1(VALU_DEP_1)
	v_fmac_f64_e32 v[162:163], v[136:137], v[134:135]
	s_wait_dscnt 0x0
	v_fmac_f64_e32 v[162:163], v[138:139], v[152:153]
	ds_load_2addr_b64 v[132:135], v2 offset0:117 offset1:118
	ds_load_2addr_b64 v[136:139], v2 offset0:119 offset1:120
	s_wait_loadcnt 0x3
	v_fmac_f64_e32 v[162:163], v[140:141], v[154:155]
	s_wait_dscnt 0x1
	s_delay_alu instid0(VALU_DEP_1) | instskip(SKIP_1) | instid1(VALU_DEP_1)
	v_fmac_f64_e32 v[162:163], v[142:143], v[132:133]
	s_wait_loadcnt 0x2
	v_fmac_f64_e32 v[162:163], v[128:129], v[134:135]
	s_wait_dscnt 0x0
	s_delay_alu instid0(VALU_DEP_1) | instskip(SKIP_4) | instid1(VALU_DEP_1)
	v_fmac_f64_e32 v[162:163], v[130:131], v[136:137]
	ds_load_2addr_b64 v[128:131], v2 offset0:121 offset1:122
	s_wait_loadcnt 0x1
	v_fmac_f64_e32 v[162:163], v[144:145], v[138:139]
	s_wait_dscnt 0x0
	v_fmac_f64_e32 v[162:163], v[146:147], v[128:129]
	s_wait_loadcnt 0x0
	s_delay_alu instid0(VALU_DEP_1) | instskip(NEXT) | instid1(VALU_DEP_1)
	v_fmac_f64_e32 v[162:163], v[148:149], v[130:131]
	v_add_f64_e64 v[2:3], v[126:127], -v[162:163]
	scratch_store_b64 off, v[2:3], off offset:144
	s_wait_xcnt 0x0
	v_cmpx_lt_u32_e32 17, v0
	s_cbranch_execz .LBB60_341
; %bb.340:
	scratch_load_b64 v[2:3], off, off offset:136
	v_mov_b64_e32 v[126:127], 0
	scratch_store_b64 off, v[126:127], off offset:136
	s_wait_loadcnt 0x0
	ds_store_b64 v1, v[2:3]
.LBB60_341:
	s_wait_xcnt 0x0
	s_or_b32 exec_lo, exec_lo, s0
	s_wait_storecnt_dscnt 0x0
	s_barrier_signal -1
	s_barrier_wait -1
	s_clause 0x5
	scratch_load_b128 v[126:129], off, off offset:136
	scratch_load_b128 v[130:133], off, off offset:152
	;; [unrolled: 1-line block ×6, first 2 shown]
	v_mov_b32_e32 v2, 0
	ds_load_b128 v[150:153], v2 offset:640
	ds_load_b128 v[154:157], v2 offset:656
	scratch_load_b128 v[158:161], off, off offset:232
	s_mov_b32 s0, exec_lo
	s_wait_loadcnt_dscnt 0x601
	v_fma_f64 v[162:163], v[128:129], v[150:151], 0
	s_wait_loadcnt 0x5
	s_delay_alu instid0(VALU_DEP_1) | instskip(SKIP_4) | instid1(VALU_DEP_1)
	v_fmac_f64_e32 v[162:163], v[130:131], v[152:153]
	scratch_load_b128 v[128:131], off, off offset:248
	s_wait_dscnt 0x0
	v_fmac_f64_e32 v[162:163], v[132:133], v[154:155]
	s_wait_loadcnt 0x5
	v_fmac_f64_e32 v[162:163], v[134:135], v[156:157]
	ds_load_b128 v[132:135], v2 offset:672
	ds_load_b128 v[150:153], v2 offset:688
	scratch_load_b128 v[154:157], off, off offset:264
	s_wait_dscnt 0x1
	v_fmac_f64_e32 v[162:163], v[136:137], v[132:133]
	s_wait_loadcnt 0x5
	s_delay_alu instid0(VALU_DEP_1) | instskip(SKIP_4) | instid1(VALU_DEP_1)
	v_fmac_f64_e32 v[162:163], v[138:139], v[134:135]
	scratch_load_b128 v[132:135], off, off offset:280
	s_wait_dscnt 0x0
	v_fmac_f64_e32 v[162:163], v[140:141], v[150:151]
	s_wait_loadcnt 0x5
	v_fmac_f64_e32 v[162:163], v[142:143], v[152:153]
	ds_load_b128 v[136:139], v2 offset:704
	ds_load_b128 v[140:143], v2 offset:720
	scratch_load_b128 v[150:153], off, off offset:296
	s_wait_dscnt 0x1
	v_fmac_f64_e32 v[162:163], v[144:145], v[136:137]
	s_wait_loadcnt 0x5
	s_delay_alu instid0(VALU_DEP_1) | instskip(SKIP_4) | instid1(VALU_DEP_1)
	v_fmac_f64_e32 v[162:163], v[146:147], v[138:139]
	scratch_load_b128 v[136:139], off, off offset:312
	s_wait_dscnt 0x0
	v_fmac_f64_e32 v[162:163], v[148:149], v[140:141]
	s_wait_loadcnt 0x5
	v_fmac_f64_e32 v[162:163], v[158:159], v[142:143]
	ds_load_b128 v[140:143], v2 offset:736
	ds_load_b128 v[144:147], v2 offset:752
	s_wait_dscnt 0x1
	v_fmac_f64_e32 v[162:163], v[160:161], v[140:141]
	scratch_load_b128 v[158:161], off, off offset:328
	s_wait_loadcnt 0x5
	v_fmac_f64_e32 v[162:163], v[128:129], v[142:143]
	s_wait_dscnt 0x0
	s_delay_alu instid0(VALU_DEP_1)
	v_fmac_f64_e32 v[162:163], v[130:131], v[144:145]
	scratch_load_b128 v[128:131], off, off offset:344
	s_wait_loadcnt 0x5
	v_fmac_f64_e32 v[162:163], v[154:155], v[146:147]
	ds_load_b128 v[140:143], v2 offset:768
	ds_load_b128 v[144:147], v2 offset:784
	s_wait_dscnt 0x1
	v_fmac_f64_e32 v[162:163], v[156:157], v[140:141]
	scratch_load_b128 v[154:157], off, off offset:360
	s_wait_loadcnt 0x5
	v_fmac_f64_e32 v[162:163], v[132:133], v[142:143]
	s_wait_dscnt 0x0
	s_delay_alu instid0(VALU_DEP_1)
	v_fmac_f64_e32 v[162:163], v[134:135], v[144:145]
	scratch_load_b128 v[132:135], off, off offset:376
	s_wait_loadcnt 0x5
	v_fmac_f64_e32 v[162:163], v[150:151], v[146:147]
	ds_load_b128 v[140:143], v2 offset:800
	ds_load_b128 v[144:147], v2 offset:816
	scratch_load_b128 v[148:151], off, off offset:392
	s_wait_dscnt 0x1
	v_fmac_f64_e32 v[162:163], v[152:153], v[140:141]
	s_wait_loadcnt 0x5
	s_delay_alu instid0(VALU_DEP_1) | instskip(SKIP_1) | instid1(VALU_DEP_1)
	v_fmac_f64_e32 v[162:163], v[136:137], v[142:143]
	s_wait_dscnt 0x0
	v_fmac_f64_e32 v[162:163], v[138:139], v[144:145]
	scratch_load_b128 v[136:139], off, off offset:408
	s_wait_loadcnt 0x5
	v_fmac_f64_e32 v[162:163], v[158:159], v[146:147]
	ds_load_b128 v[140:143], v2 offset:832
	ds_load_b128 v[144:147], v2 offset:848
	s_wait_dscnt 0x1
	v_fmac_f64_e32 v[162:163], v[160:161], v[140:141]
	s_wait_loadcnt 0x4
	s_delay_alu instid0(VALU_DEP_1)
	v_fmac_f64_e32 v[162:163], v[128:129], v[142:143]
	scratch_load_b128 v[140:143], off, off offset:424
	s_wait_dscnt 0x0
	v_fmac_f64_e32 v[162:163], v[130:131], v[144:145]
	scratch_load_b128 v[128:131], off, off offset:440
	s_wait_loadcnt 0x5
	v_fmac_f64_e32 v[162:163], v[154:155], v[146:147]
	ds_load_b128 v[144:147], v2 offset:864
	ds_load_b128 v[152:155], v2 offset:880
	s_wait_dscnt 0x1
	v_fmac_f64_e32 v[162:163], v[156:157], v[144:145]
	s_wait_loadcnt 0x4
	s_delay_alu instid0(VALU_DEP_1)
	v_fmac_f64_e32 v[162:163], v[132:133], v[146:147]
	scratch_load_b128 v[144:147], off, off offset:456
	s_wait_dscnt 0x0
	v_fmac_f64_e32 v[162:163], v[134:135], v[152:153]
	scratch_load_b128 v[132:135], off, off offset:472
	s_wait_loadcnt 0x5
	v_fmac_f64_e32 v[162:163], v[148:149], v[154:155]
	ds_load_b128 v[152:155], v2 offset:896
	ds_load_b128 v[156:159], v2 offset:912
	s_wait_dscnt 0x1
	v_fmac_f64_e32 v[162:163], v[150:151], v[152:153]
	s_wait_loadcnt 0x4
	s_delay_alu instid0(VALU_DEP_1) | instskip(SKIP_1) | instid1(VALU_DEP_1)
	v_fmac_f64_e32 v[162:163], v[136:137], v[154:155]
	s_wait_dscnt 0x0
	v_fmac_f64_e32 v[162:163], v[138:139], v[156:157]
	ds_load_b128 v[136:139], v2 offset:928
	ds_load_b128 v[148:151], v2 offset:944
	s_wait_loadcnt 0x3
	v_fmac_f64_e32 v[162:163], v[140:141], v[158:159]
	s_wait_dscnt 0x1
	s_delay_alu instid0(VALU_DEP_1) | instskip(SKIP_1) | instid1(VALU_DEP_1)
	v_fmac_f64_e32 v[162:163], v[142:143], v[136:137]
	s_wait_loadcnt 0x2
	v_fmac_f64_e32 v[162:163], v[128:129], v[138:139]
	s_wait_dscnt 0x0
	s_delay_alu instid0(VALU_DEP_1)
	v_fmac_f64_e32 v[162:163], v[130:131], v[148:149]
	ds_load_b128 v[128:131], v2 offset:960
	ds_load_b64 v[136:137], v2 offset:976
	s_wait_loadcnt 0x1
	v_fmac_f64_e32 v[162:163], v[144:145], v[150:151]
	s_wait_dscnt 0x1
	s_delay_alu instid0(VALU_DEP_1) | instskip(SKIP_1) | instid1(VALU_DEP_1)
	v_fmac_f64_e32 v[162:163], v[146:147], v[128:129]
	s_wait_loadcnt 0x0
	v_fmac_f64_e32 v[162:163], v[132:133], v[130:131]
	s_wait_dscnt 0x0
	s_delay_alu instid0(VALU_DEP_1) | instskip(NEXT) | instid1(VALU_DEP_1)
	v_fmac_f64_e32 v[162:163], v[134:135], v[136:137]
	v_add_f64_e64 v[126:127], v[126:127], -v[162:163]
	scratch_store_b64 off, v[126:127], off offset:136
	s_wait_xcnt 0x0
	v_cmpx_lt_u32_e32 16, v0
	s_cbranch_execz .LBB60_343
; %bb.342:
	scratch_load_b64 v[126:127], off, off offset:128
	v_mov_b64_e32 v[128:129], 0
	scratch_store_b64 off, v[128:129], off offset:128
	s_wait_loadcnt 0x0
	ds_store_b64 v1, v[126:127]
.LBB60_343:
	s_wait_xcnt 0x0
	s_or_b32 exec_lo, exec_lo, s0
	s_wait_storecnt_dscnt 0x0
	s_barrier_signal -1
	s_barrier_wait -1
	s_clause 0x5
	scratch_load_b128 v[126:129], off, off offset:128
	scratch_load_b128 v[130:133], off, off offset:144
	;; [unrolled: 1-line block ×6, first 2 shown]
	ds_load_2addr_b64 v[150:153], v2 offset0:79 offset1:80
	ds_load_2addr_b64 v[154:157], v2 offset0:81 offset1:82
	scratch_load_b128 v[158:161], off, off offset:224
	s_mov_b32 s0, exec_lo
	s_wait_loadcnt_dscnt 0x601
	v_fma_f64 v[162:163], v[128:129], v[150:151], 0
	s_wait_loadcnt 0x5
	s_delay_alu instid0(VALU_DEP_1) | instskip(SKIP_4) | instid1(VALU_DEP_1)
	v_fmac_f64_e32 v[162:163], v[130:131], v[152:153]
	scratch_load_b128 v[128:131], off, off offset:240
	s_wait_dscnt 0x0
	v_fmac_f64_e32 v[162:163], v[132:133], v[154:155]
	s_wait_loadcnt 0x5
	v_fmac_f64_e32 v[162:163], v[134:135], v[156:157]
	ds_load_2addr_b64 v[132:135], v2 offset0:83 offset1:84
	ds_load_2addr_b64 v[150:153], v2 offset0:85 offset1:86
	scratch_load_b128 v[154:157], off, off offset:256
	s_wait_dscnt 0x1
	v_fmac_f64_e32 v[162:163], v[136:137], v[132:133]
	s_wait_loadcnt 0x5
	s_delay_alu instid0(VALU_DEP_1) | instskip(SKIP_4) | instid1(VALU_DEP_1)
	v_fmac_f64_e32 v[162:163], v[138:139], v[134:135]
	scratch_load_b128 v[132:135], off, off offset:272
	s_wait_dscnt 0x0
	v_fmac_f64_e32 v[162:163], v[140:141], v[150:151]
	s_wait_loadcnt 0x5
	v_fmac_f64_e32 v[162:163], v[142:143], v[152:153]
	ds_load_2addr_b64 v[136:139], v2 offset0:87 offset1:88
	ds_load_2addr_b64 v[140:143], v2 offset0:89 offset1:90
	scratch_load_b128 v[150:153], off, off offset:288
	s_wait_dscnt 0x1
	v_fmac_f64_e32 v[162:163], v[144:145], v[136:137]
	s_wait_loadcnt 0x5
	s_delay_alu instid0(VALU_DEP_1) | instskip(SKIP_4) | instid1(VALU_DEP_1)
	v_fmac_f64_e32 v[162:163], v[146:147], v[138:139]
	scratch_load_b128 v[136:139], off, off offset:304
	s_wait_dscnt 0x0
	v_fmac_f64_e32 v[162:163], v[148:149], v[140:141]
	s_wait_loadcnt 0x5
	v_fmac_f64_e32 v[162:163], v[158:159], v[142:143]
	ds_load_2addr_b64 v[140:143], v2 offset0:91 offset1:92
	ds_load_2addr_b64 v[144:147], v2 offset0:93 offset1:94
	s_wait_dscnt 0x1
	v_fmac_f64_e32 v[162:163], v[160:161], v[140:141]
	scratch_load_b128 v[158:161], off, off offset:320
	s_wait_loadcnt 0x5
	v_fmac_f64_e32 v[162:163], v[128:129], v[142:143]
	s_wait_dscnt 0x0
	s_delay_alu instid0(VALU_DEP_1)
	v_fmac_f64_e32 v[162:163], v[130:131], v[144:145]
	scratch_load_b128 v[128:131], off, off offset:336
	s_wait_loadcnt 0x5
	v_fmac_f64_e32 v[162:163], v[154:155], v[146:147]
	ds_load_2addr_b64 v[140:143], v2 offset0:95 offset1:96
	ds_load_2addr_b64 v[144:147], v2 offset0:97 offset1:98
	s_wait_dscnt 0x1
	v_fmac_f64_e32 v[162:163], v[156:157], v[140:141]
	scratch_load_b128 v[154:157], off, off offset:352
	s_wait_loadcnt 0x5
	v_fmac_f64_e32 v[162:163], v[132:133], v[142:143]
	s_wait_dscnt 0x0
	s_delay_alu instid0(VALU_DEP_1)
	v_fmac_f64_e32 v[162:163], v[134:135], v[144:145]
	scratch_load_b128 v[132:135], off, off offset:368
	s_wait_loadcnt 0x5
	v_fmac_f64_e32 v[162:163], v[150:151], v[146:147]
	ds_load_2addr_b64 v[140:143], v2 offset0:99 offset1:100
	ds_load_2addr_b64 v[144:147], v2 offset0:101 offset1:102
	scratch_load_b128 v[148:151], off, off offset:384
	s_wait_dscnt 0x1
	v_fmac_f64_e32 v[162:163], v[152:153], v[140:141]
	s_wait_loadcnt 0x5
	s_delay_alu instid0(VALU_DEP_1) | instskip(SKIP_1) | instid1(VALU_DEP_1)
	v_fmac_f64_e32 v[162:163], v[136:137], v[142:143]
	s_wait_dscnt 0x0
	v_fmac_f64_e32 v[162:163], v[138:139], v[144:145]
	scratch_load_b128 v[136:139], off, off offset:400
	s_wait_loadcnt 0x5
	v_fmac_f64_e32 v[162:163], v[158:159], v[146:147]
	ds_load_2addr_b64 v[140:143], v2 offset0:103 offset1:104
	ds_load_2addr_b64 v[144:147], v2 offset0:105 offset1:106
	s_wait_dscnt 0x1
	v_fmac_f64_e32 v[162:163], v[160:161], v[140:141]
	s_wait_loadcnt 0x4
	s_delay_alu instid0(VALU_DEP_1)
	v_fmac_f64_e32 v[162:163], v[128:129], v[142:143]
	scratch_load_b128 v[140:143], off, off offset:416
	s_wait_dscnt 0x0
	v_fmac_f64_e32 v[162:163], v[130:131], v[144:145]
	scratch_load_b128 v[128:131], off, off offset:432
	s_wait_loadcnt 0x5
	v_fmac_f64_e32 v[162:163], v[154:155], v[146:147]
	ds_load_2addr_b64 v[144:147], v2 offset0:107 offset1:108
	ds_load_2addr_b64 v[152:155], v2 offset0:109 offset1:110
	s_wait_dscnt 0x1
	v_fmac_f64_e32 v[162:163], v[156:157], v[144:145]
	s_wait_loadcnt 0x4
	s_delay_alu instid0(VALU_DEP_1)
	v_fmac_f64_e32 v[162:163], v[132:133], v[146:147]
	scratch_load_b128 v[144:147], off, off offset:448
	s_wait_dscnt 0x0
	v_fmac_f64_e32 v[162:163], v[134:135], v[152:153]
	scratch_load_b128 v[132:135], off, off offset:464
	s_wait_loadcnt 0x5
	v_fmac_f64_e32 v[162:163], v[148:149], v[154:155]
	ds_load_2addr_b64 v[152:155], v2 offset0:111 offset1:112
	ds_load_2addr_b64 v[156:159], v2 offset0:113 offset1:114
	s_wait_dscnt 0x1
	v_fmac_f64_e32 v[162:163], v[150:151], v[152:153]
	scratch_load_b64 v[152:153], off, off offset:480
	s_wait_loadcnt 0x5
	v_fmac_f64_e32 v[162:163], v[136:137], v[154:155]
	s_wait_dscnt 0x0
	s_delay_alu instid0(VALU_DEP_1)
	v_fmac_f64_e32 v[162:163], v[138:139], v[156:157]
	ds_load_2addr_b64 v[136:139], v2 offset0:115 offset1:116
	ds_load_2addr_b64 v[148:151], v2 offset0:117 offset1:118
	s_wait_loadcnt 0x4
	v_fmac_f64_e32 v[162:163], v[140:141], v[158:159]
	s_wait_dscnt 0x1
	s_delay_alu instid0(VALU_DEP_1) | instskip(SKIP_1) | instid1(VALU_DEP_1)
	v_fmac_f64_e32 v[162:163], v[142:143], v[136:137]
	s_wait_loadcnt 0x3
	v_fmac_f64_e32 v[162:163], v[128:129], v[138:139]
	s_wait_dscnt 0x0
	s_delay_alu instid0(VALU_DEP_1)
	v_fmac_f64_e32 v[162:163], v[130:131], v[148:149]
	ds_load_2addr_b64 v[128:131], v2 offset0:119 offset1:120
	ds_load_2addr_b64 v[136:139], v2 offset0:121 offset1:122
	s_wait_loadcnt 0x2
	v_fmac_f64_e32 v[162:163], v[144:145], v[150:151]
	s_wait_dscnt 0x1
	s_delay_alu instid0(VALU_DEP_1) | instskip(SKIP_1) | instid1(VALU_DEP_1)
	v_fmac_f64_e32 v[162:163], v[146:147], v[128:129]
	s_wait_loadcnt 0x1
	v_fmac_f64_e32 v[162:163], v[132:133], v[130:131]
	s_wait_dscnt 0x0
	s_delay_alu instid0(VALU_DEP_1) | instskip(SKIP_1) | instid1(VALU_DEP_1)
	v_fmac_f64_e32 v[162:163], v[134:135], v[136:137]
	s_wait_loadcnt 0x0
	v_fmac_f64_e32 v[162:163], v[152:153], v[138:139]
	s_delay_alu instid0(VALU_DEP_1)
	v_add_f64_e64 v[2:3], v[126:127], -v[162:163]
	scratch_store_b64 off, v[2:3], off offset:128
	s_wait_xcnt 0x0
	v_cmpx_lt_u32_e32 15, v0
	s_cbranch_execz .LBB60_345
; %bb.344:
	scratch_load_b64 v[2:3], off, off offset:120
	v_mov_b64_e32 v[126:127], 0
	scratch_store_b64 off, v[126:127], off offset:120
	s_wait_loadcnt 0x0
	ds_store_b64 v1, v[2:3]
.LBB60_345:
	s_wait_xcnt 0x0
	s_or_b32 exec_lo, exec_lo, s0
	s_wait_storecnt_dscnt 0x0
	s_barrier_signal -1
	s_barrier_wait -1
	s_clause 0x5
	scratch_load_b128 v[126:129], off, off offset:120
	scratch_load_b128 v[130:133], off, off offset:136
	scratch_load_b128 v[134:137], off, off offset:152
	scratch_load_b128 v[138:141], off, off offset:168
	scratch_load_b128 v[142:145], off, off offset:184
	scratch_load_b128 v[146:149], off, off offset:200
	v_mov_b32_e32 v2, 0
	ds_load_b128 v[150:153], v2 offset:624
	ds_load_b128 v[154:157], v2 offset:640
	scratch_load_b128 v[158:161], off, off offset:216
	s_mov_b32 s0, exec_lo
	s_wait_loadcnt_dscnt 0x601
	v_fma_f64 v[162:163], v[128:129], v[150:151], 0
	s_wait_loadcnt 0x5
	s_delay_alu instid0(VALU_DEP_1) | instskip(SKIP_4) | instid1(VALU_DEP_1)
	v_fmac_f64_e32 v[162:163], v[130:131], v[152:153]
	scratch_load_b128 v[128:131], off, off offset:232
	s_wait_dscnt 0x0
	v_fmac_f64_e32 v[162:163], v[132:133], v[154:155]
	s_wait_loadcnt 0x5
	v_fmac_f64_e32 v[162:163], v[134:135], v[156:157]
	ds_load_b128 v[132:135], v2 offset:656
	ds_load_b128 v[150:153], v2 offset:672
	scratch_load_b128 v[154:157], off, off offset:248
	s_wait_dscnt 0x1
	v_fmac_f64_e32 v[162:163], v[136:137], v[132:133]
	s_wait_loadcnt 0x5
	s_delay_alu instid0(VALU_DEP_1) | instskip(SKIP_4) | instid1(VALU_DEP_1)
	v_fmac_f64_e32 v[162:163], v[138:139], v[134:135]
	scratch_load_b128 v[132:135], off, off offset:264
	s_wait_dscnt 0x0
	v_fmac_f64_e32 v[162:163], v[140:141], v[150:151]
	s_wait_loadcnt 0x5
	v_fmac_f64_e32 v[162:163], v[142:143], v[152:153]
	ds_load_b128 v[136:139], v2 offset:688
	ds_load_b128 v[140:143], v2 offset:704
	scratch_load_b128 v[150:153], off, off offset:280
	s_wait_dscnt 0x1
	v_fmac_f64_e32 v[162:163], v[144:145], v[136:137]
	s_wait_loadcnt 0x5
	s_delay_alu instid0(VALU_DEP_1) | instskip(SKIP_4) | instid1(VALU_DEP_1)
	v_fmac_f64_e32 v[162:163], v[146:147], v[138:139]
	scratch_load_b128 v[136:139], off, off offset:296
	s_wait_dscnt 0x0
	v_fmac_f64_e32 v[162:163], v[148:149], v[140:141]
	s_wait_loadcnt 0x5
	v_fmac_f64_e32 v[162:163], v[158:159], v[142:143]
	ds_load_b128 v[140:143], v2 offset:720
	ds_load_b128 v[144:147], v2 offset:736
	s_wait_dscnt 0x1
	v_fmac_f64_e32 v[162:163], v[160:161], v[140:141]
	scratch_load_b128 v[158:161], off, off offset:312
	s_wait_loadcnt 0x5
	v_fmac_f64_e32 v[162:163], v[128:129], v[142:143]
	s_wait_dscnt 0x0
	s_delay_alu instid0(VALU_DEP_1)
	v_fmac_f64_e32 v[162:163], v[130:131], v[144:145]
	scratch_load_b128 v[128:131], off, off offset:328
	s_wait_loadcnt 0x5
	v_fmac_f64_e32 v[162:163], v[154:155], v[146:147]
	ds_load_b128 v[140:143], v2 offset:752
	ds_load_b128 v[144:147], v2 offset:768
	s_wait_dscnt 0x1
	v_fmac_f64_e32 v[162:163], v[156:157], v[140:141]
	scratch_load_b128 v[154:157], off, off offset:344
	s_wait_loadcnt 0x5
	v_fmac_f64_e32 v[162:163], v[132:133], v[142:143]
	s_wait_dscnt 0x0
	s_delay_alu instid0(VALU_DEP_1)
	v_fmac_f64_e32 v[162:163], v[134:135], v[144:145]
	scratch_load_b128 v[132:135], off, off offset:360
	s_wait_loadcnt 0x5
	v_fmac_f64_e32 v[162:163], v[150:151], v[146:147]
	ds_load_b128 v[140:143], v2 offset:784
	ds_load_b128 v[144:147], v2 offset:800
	scratch_load_b128 v[148:151], off, off offset:376
	s_wait_dscnt 0x1
	v_fmac_f64_e32 v[162:163], v[152:153], v[140:141]
	s_wait_loadcnt 0x5
	s_delay_alu instid0(VALU_DEP_1) | instskip(SKIP_1) | instid1(VALU_DEP_1)
	v_fmac_f64_e32 v[162:163], v[136:137], v[142:143]
	s_wait_dscnt 0x0
	v_fmac_f64_e32 v[162:163], v[138:139], v[144:145]
	scratch_load_b128 v[136:139], off, off offset:392
	s_wait_loadcnt 0x5
	v_fmac_f64_e32 v[162:163], v[158:159], v[146:147]
	ds_load_b128 v[140:143], v2 offset:816
	ds_load_b128 v[144:147], v2 offset:832
	s_wait_dscnt 0x1
	v_fmac_f64_e32 v[162:163], v[160:161], v[140:141]
	s_wait_loadcnt 0x4
	s_delay_alu instid0(VALU_DEP_1)
	v_fmac_f64_e32 v[162:163], v[128:129], v[142:143]
	scratch_load_b128 v[140:143], off, off offset:408
	s_wait_dscnt 0x0
	v_fmac_f64_e32 v[162:163], v[130:131], v[144:145]
	scratch_load_b128 v[128:131], off, off offset:424
	s_wait_loadcnt 0x5
	v_fmac_f64_e32 v[162:163], v[154:155], v[146:147]
	ds_load_b128 v[144:147], v2 offset:848
	ds_load_b128 v[152:155], v2 offset:864
	s_wait_dscnt 0x1
	v_fmac_f64_e32 v[162:163], v[156:157], v[144:145]
	s_wait_loadcnt 0x4
	s_delay_alu instid0(VALU_DEP_1)
	v_fmac_f64_e32 v[162:163], v[132:133], v[146:147]
	scratch_load_b128 v[144:147], off, off offset:440
	s_wait_dscnt 0x0
	v_fmac_f64_e32 v[162:163], v[134:135], v[152:153]
	scratch_load_b128 v[132:135], off, off offset:456
	s_wait_loadcnt 0x5
	v_fmac_f64_e32 v[162:163], v[148:149], v[154:155]
	ds_load_b128 v[152:155], v2 offset:880
	ds_load_b128 v[156:159], v2 offset:896
	s_wait_dscnt 0x1
	v_fmac_f64_e32 v[162:163], v[150:151], v[152:153]
	scratch_load_b128 v[148:151], off, off offset:472
	s_wait_loadcnt 0x5
	v_fmac_f64_e32 v[162:163], v[136:137], v[154:155]
	s_wait_dscnt 0x0
	s_delay_alu instid0(VALU_DEP_1)
	v_fmac_f64_e32 v[162:163], v[138:139], v[156:157]
	ds_load_b128 v[136:139], v2 offset:912
	ds_load_b128 v[152:155], v2 offset:928
	s_wait_loadcnt 0x4
	v_fmac_f64_e32 v[162:163], v[140:141], v[158:159]
	s_wait_dscnt 0x1
	s_delay_alu instid0(VALU_DEP_1) | instskip(SKIP_1) | instid1(VALU_DEP_1)
	v_fmac_f64_e32 v[162:163], v[142:143], v[136:137]
	s_wait_loadcnt 0x3
	v_fmac_f64_e32 v[162:163], v[128:129], v[138:139]
	s_wait_dscnt 0x0
	s_delay_alu instid0(VALU_DEP_1)
	v_fmac_f64_e32 v[162:163], v[130:131], v[152:153]
	ds_load_b128 v[128:131], v2 offset:944
	ds_load_b128 v[136:139], v2 offset:960
	s_wait_loadcnt 0x2
	v_fmac_f64_e32 v[162:163], v[144:145], v[154:155]
	s_wait_dscnt 0x1
	s_delay_alu instid0(VALU_DEP_1) | instskip(SKIP_4) | instid1(VALU_DEP_1)
	v_fmac_f64_e32 v[162:163], v[146:147], v[128:129]
	ds_load_b64 v[128:129], v2 offset:976
	s_wait_loadcnt 0x1
	v_fmac_f64_e32 v[162:163], v[132:133], v[130:131]
	s_wait_dscnt 0x1
	v_fmac_f64_e32 v[162:163], v[134:135], v[136:137]
	s_wait_loadcnt 0x0
	s_delay_alu instid0(VALU_DEP_1) | instskip(SKIP_1) | instid1(VALU_DEP_1)
	v_fmac_f64_e32 v[162:163], v[148:149], v[138:139]
	s_wait_dscnt 0x0
	v_fmac_f64_e32 v[162:163], v[150:151], v[128:129]
	s_delay_alu instid0(VALU_DEP_1)
	v_add_f64_e64 v[126:127], v[126:127], -v[162:163]
	scratch_store_b64 off, v[126:127], off offset:120
	s_wait_xcnt 0x0
	v_cmpx_lt_u32_e32 14, v0
	s_cbranch_execz .LBB60_347
; %bb.346:
	scratch_load_b64 v[126:127], off, off offset:112
	v_mov_b64_e32 v[128:129], 0
	scratch_store_b64 off, v[128:129], off offset:112
	s_wait_loadcnt 0x0
	ds_store_b64 v1, v[126:127]
.LBB60_347:
	s_wait_xcnt 0x0
	s_or_b32 exec_lo, exec_lo, s0
	s_wait_storecnt_dscnt 0x0
	s_barrier_signal -1
	s_barrier_wait -1
	s_clause 0x5
	scratch_load_b128 v[126:129], off, off offset:112
	scratch_load_b128 v[130:133], off, off offset:128
	scratch_load_b128 v[134:137], off, off offset:144
	scratch_load_b128 v[138:141], off, off offset:160
	scratch_load_b128 v[142:145], off, off offset:176
	scratch_load_b128 v[146:149], off, off offset:192
	ds_load_2addr_b64 v[150:153], v2 offset0:77 offset1:78
	ds_load_2addr_b64 v[154:157], v2 offset0:79 offset1:80
	scratch_load_b128 v[158:161], off, off offset:208
	s_mov_b32 s0, exec_lo
	s_wait_loadcnt_dscnt 0x601
	v_fma_f64 v[162:163], v[128:129], v[150:151], 0
	s_wait_loadcnt 0x5
	s_delay_alu instid0(VALU_DEP_1) | instskip(SKIP_4) | instid1(VALU_DEP_1)
	v_fmac_f64_e32 v[162:163], v[130:131], v[152:153]
	scratch_load_b128 v[128:131], off, off offset:224
	s_wait_dscnt 0x0
	v_fmac_f64_e32 v[162:163], v[132:133], v[154:155]
	s_wait_loadcnt 0x5
	v_fmac_f64_e32 v[162:163], v[134:135], v[156:157]
	ds_load_2addr_b64 v[132:135], v2 offset0:81 offset1:82
	ds_load_2addr_b64 v[150:153], v2 offset0:83 offset1:84
	scratch_load_b128 v[154:157], off, off offset:240
	s_wait_dscnt 0x1
	v_fmac_f64_e32 v[162:163], v[136:137], v[132:133]
	s_wait_loadcnt 0x5
	s_delay_alu instid0(VALU_DEP_1) | instskip(SKIP_4) | instid1(VALU_DEP_1)
	v_fmac_f64_e32 v[162:163], v[138:139], v[134:135]
	scratch_load_b128 v[132:135], off, off offset:256
	s_wait_dscnt 0x0
	v_fmac_f64_e32 v[162:163], v[140:141], v[150:151]
	s_wait_loadcnt 0x5
	v_fmac_f64_e32 v[162:163], v[142:143], v[152:153]
	ds_load_2addr_b64 v[136:139], v2 offset0:85 offset1:86
	ds_load_2addr_b64 v[140:143], v2 offset0:87 offset1:88
	scratch_load_b128 v[150:153], off, off offset:272
	s_wait_dscnt 0x1
	v_fmac_f64_e32 v[162:163], v[144:145], v[136:137]
	s_wait_loadcnt 0x5
	s_delay_alu instid0(VALU_DEP_1) | instskip(SKIP_4) | instid1(VALU_DEP_1)
	v_fmac_f64_e32 v[162:163], v[146:147], v[138:139]
	scratch_load_b128 v[136:139], off, off offset:288
	s_wait_dscnt 0x0
	v_fmac_f64_e32 v[162:163], v[148:149], v[140:141]
	s_wait_loadcnt 0x5
	v_fmac_f64_e32 v[162:163], v[158:159], v[142:143]
	ds_load_2addr_b64 v[140:143], v2 offset0:89 offset1:90
	ds_load_2addr_b64 v[144:147], v2 offset0:91 offset1:92
	s_wait_dscnt 0x1
	v_fmac_f64_e32 v[162:163], v[160:161], v[140:141]
	scratch_load_b128 v[158:161], off, off offset:304
	s_wait_loadcnt 0x5
	v_fmac_f64_e32 v[162:163], v[128:129], v[142:143]
	s_wait_dscnt 0x0
	s_delay_alu instid0(VALU_DEP_1)
	v_fmac_f64_e32 v[162:163], v[130:131], v[144:145]
	scratch_load_b128 v[128:131], off, off offset:320
	s_wait_loadcnt 0x5
	v_fmac_f64_e32 v[162:163], v[154:155], v[146:147]
	ds_load_2addr_b64 v[140:143], v2 offset0:93 offset1:94
	ds_load_2addr_b64 v[144:147], v2 offset0:95 offset1:96
	s_wait_dscnt 0x1
	v_fmac_f64_e32 v[162:163], v[156:157], v[140:141]
	scratch_load_b128 v[154:157], off, off offset:336
	s_wait_loadcnt 0x5
	v_fmac_f64_e32 v[162:163], v[132:133], v[142:143]
	s_wait_dscnt 0x0
	s_delay_alu instid0(VALU_DEP_1)
	v_fmac_f64_e32 v[162:163], v[134:135], v[144:145]
	scratch_load_b128 v[132:135], off, off offset:352
	s_wait_loadcnt 0x5
	v_fmac_f64_e32 v[162:163], v[150:151], v[146:147]
	ds_load_2addr_b64 v[140:143], v2 offset0:97 offset1:98
	ds_load_2addr_b64 v[144:147], v2 offset0:99 offset1:100
	scratch_load_b128 v[148:151], off, off offset:368
	s_wait_dscnt 0x1
	v_fmac_f64_e32 v[162:163], v[152:153], v[140:141]
	s_wait_loadcnt 0x5
	s_delay_alu instid0(VALU_DEP_1) | instskip(SKIP_1) | instid1(VALU_DEP_1)
	v_fmac_f64_e32 v[162:163], v[136:137], v[142:143]
	s_wait_dscnt 0x0
	v_fmac_f64_e32 v[162:163], v[138:139], v[144:145]
	scratch_load_b128 v[136:139], off, off offset:384
	s_wait_loadcnt 0x5
	v_fmac_f64_e32 v[162:163], v[158:159], v[146:147]
	ds_load_2addr_b64 v[140:143], v2 offset0:101 offset1:102
	ds_load_2addr_b64 v[144:147], v2 offset0:103 offset1:104
	s_wait_dscnt 0x1
	v_fmac_f64_e32 v[162:163], v[160:161], v[140:141]
	scratch_load_b128 v[158:161], off, off offset:400
	s_wait_loadcnt 0x5
	v_fmac_f64_e32 v[162:163], v[128:129], v[142:143]
	s_wait_dscnt 0x0
	s_delay_alu instid0(VALU_DEP_1)
	v_fmac_f64_e32 v[162:163], v[130:131], v[144:145]
	scratch_load_b128 v[128:131], off, off offset:416
	s_wait_loadcnt 0x5
	v_fmac_f64_e32 v[162:163], v[154:155], v[146:147]
	ds_load_2addr_b64 v[140:143], v2 offset0:105 offset1:106
	ds_load_2addr_b64 v[144:147], v2 offset0:107 offset1:108
	s_wait_dscnt 0x1
	v_fmac_f64_e32 v[162:163], v[156:157], v[140:141]
	s_wait_loadcnt 0x4
	s_delay_alu instid0(VALU_DEP_1)
	v_fmac_f64_e32 v[162:163], v[132:133], v[142:143]
	scratch_load_b128 v[140:143], off, off offset:432
	s_wait_dscnt 0x0
	v_fmac_f64_e32 v[162:163], v[134:135], v[144:145]
	scratch_load_b128 v[132:135], off, off offset:448
	s_wait_loadcnt 0x5
	v_fmac_f64_e32 v[162:163], v[148:149], v[146:147]
	ds_load_2addr_b64 v[144:147], v2 offset0:109 offset1:110
	ds_load_2addr_b64 v[152:155], v2 offset0:111 offset1:112
	s_wait_dscnt 0x1
	v_fmac_f64_e32 v[162:163], v[150:151], v[144:145]
	s_wait_loadcnt 0x4
	s_delay_alu instid0(VALU_DEP_1)
	v_fmac_f64_e32 v[162:163], v[136:137], v[146:147]
	scratch_load_b128 v[144:147], off, off offset:464
	s_wait_dscnt 0x0
	v_fmac_f64_e32 v[162:163], v[138:139], v[152:153]
	scratch_load_b64 v[152:153], off, off offset:480
	ds_load_2addr_b64 v[136:139], v2 offset0:113 offset1:114
	ds_load_2addr_b64 v[148:151], v2 offset0:115 offset1:116
	s_wait_loadcnt 0x5
	v_fmac_f64_e32 v[162:163], v[158:159], v[154:155]
	s_wait_dscnt 0x1
	s_delay_alu instid0(VALU_DEP_1) | instskip(SKIP_1) | instid1(VALU_DEP_1)
	v_fmac_f64_e32 v[162:163], v[160:161], v[136:137]
	s_wait_loadcnt 0x4
	v_fmac_f64_e32 v[162:163], v[128:129], v[138:139]
	s_wait_dscnt 0x0
	s_delay_alu instid0(VALU_DEP_1)
	v_fmac_f64_e32 v[162:163], v[130:131], v[148:149]
	ds_load_2addr_b64 v[128:131], v2 offset0:117 offset1:118
	ds_load_2addr_b64 v[136:139], v2 offset0:119 offset1:120
	s_wait_loadcnt 0x3
	v_fmac_f64_e32 v[162:163], v[140:141], v[150:151]
	s_wait_dscnt 0x1
	s_delay_alu instid0(VALU_DEP_1) | instskip(SKIP_1) | instid1(VALU_DEP_1)
	v_fmac_f64_e32 v[162:163], v[142:143], v[128:129]
	s_wait_loadcnt 0x2
	v_fmac_f64_e32 v[162:163], v[132:133], v[130:131]
	ds_load_2addr_b64 v[128:131], v2 offset0:121 offset1:122
	s_wait_dscnt 0x1
	v_fmac_f64_e32 v[162:163], v[134:135], v[136:137]
	s_wait_loadcnt 0x1
	s_delay_alu instid0(VALU_DEP_1) | instskip(SKIP_1) | instid1(VALU_DEP_1)
	v_fmac_f64_e32 v[162:163], v[144:145], v[138:139]
	s_wait_dscnt 0x0
	v_fmac_f64_e32 v[162:163], v[146:147], v[128:129]
	s_wait_loadcnt 0x0
	s_delay_alu instid0(VALU_DEP_1) | instskip(NEXT) | instid1(VALU_DEP_1)
	v_fmac_f64_e32 v[162:163], v[152:153], v[130:131]
	v_add_f64_e64 v[2:3], v[126:127], -v[162:163]
	scratch_store_b64 off, v[2:3], off offset:112
	s_wait_xcnt 0x0
	v_cmpx_lt_u32_e32 13, v0
	s_cbranch_execz .LBB60_349
; %bb.348:
	scratch_load_b64 v[2:3], off, off offset:104
	v_mov_b64_e32 v[126:127], 0
	scratch_store_b64 off, v[126:127], off offset:104
	s_wait_loadcnt 0x0
	ds_store_b64 v1, v[2:3]
.LBB60_349:
	s_wait_xcnt 0x0
	s_or_b32 exec_lo, exec_lo, s0
	s_wait_storecnt_dscnt 0x0
	s_barrier_signal -1
	s_barrier_wait -1
	s_clause 0x5
	scratch_load_b128 v[126:129], off, off offset:104
	scratch_load_b128 v[130:133], off, off offset:120
	scratch_load_b128 v[134:137], off, off offset:136
	scratch_load_b128 v[138:141], off, off offset:152
	scratch_load_b128 v[142:145], off, off offset:168
	scratch_load_b128 v[146:149], off, off offset:184
	v_mov_b32_e32 v2, 0
	ds_load_b128 v[150:153], v2 offset:608
	ds_load_b128 v[154:157], v2 offset:624
	scratch_load_b128 v[158:161], off, off offset:200
	s_mov_b32 s0, exec_lo
	s_wait_loadcnt_dscnt 0x601
	v_fma_f64 v[162:163], v[128:129], v[150:151], 0
	s_wait_loadcnt 0x5
	s_delay_alu instid0(VALU_DEP_1) | instskip(SKIP_4) | instid1(VALU_DEP_1)
	v_fmac_f64_e32 v[162:163], v[130:131], v[152:153]
	scratch_load_b128 v[128:131], off, off offset:216
	s_wait_dscnt 0x0
	v_fmac_f64_e32 v[162:163], v[132:133], v[154:155]
	s_wait_loadcnt 0x5
	v_fmac_f64_e32 v[162:163], v[134:135], v[156:157]
	ds_load_b128 v[132:135], v2 offset:640
	ds_load_b128 v[150:153], v2 offset:656
	scratch_load_b128 v[154:157], off, off offset:232
	s_wait_dscnt 0x1
	v_fmac_f64_e32 v[162:163], v[136:137], v[132:133]
	s_wait_loadcnt 0x5
	s_delay_alu instid0(VALU_DEP_1) | instskip(SKIP_4) | instid1(VALU_DEP_1)
	v_fmac_f64_e32 v[162:163], v[138:139], v[134:135]
	scratch_load_b128 v[132:135], off, off offset:248
	s_wait_dscnt 0x0
	v_fmac_f64_e32 v[162:163], v[140:141], v[150:151]
	s_wait_loadcnt 0x5
	v_fmac_f64_e32 v[162:163], v[142:143], v[152:153]
	ds_load_b128 v[136:139], v2 offset:672
	ds_load_b128 v[140:143], v2 offset:688
	scratch_load_b128 v[150:153], off, off offset:264
	s_wait_dscnt 0x1
	v_fmac_f64_e32 v[162:163], v[144:145], v[136:137]
	s_wait_loadcnt 0x5
	s_delay_alu instid0(VALU_DEP_1) | instskip(SKIP_4) | instid1(VALU_DEP_1)
	v_fmac_f64_e32 v[162:163], v[146:147], v[138:139]
	scratch_load_b128 v[136:139], off, off offset:280
	s_wait_dscnt 0x0
	v_fmac_f64_e32 v[162:163], v[148:149], v[140:141]
	s_wait_loadcnt 0x5
	v_fmac_f64_e32 v[162:163], v[158:159], v[142:143]
	ds_load_b128 v[140:143], v2 offset:704
	ds_load_b128 v[144:147], v2 offset:720
	s_wait_dscnt 0x1
	v_fmac_f64_e32 v[162:163], v[160:161], v[140:141]
	scratch_load_b128 v[158:161], off, off offset:296
	s_wait_loadcnt 0x5
	v_fmac_f64_e32 v[162:163], v[128:129], v[142:143]
	s_wait_dscnt 0x0
	s_delay_alu instid0(VALU_DEP_1)
	v_fmac_f64_e32 v[162:163], v[130:131], v[144:145]
	scratch_load_b128 v[128:131], off, off offset:312
	s_wait_loadcnt 0x5
	v_fmac_f64_e32 v[162:163], v[154:155], v[146:147]
	ds_load_b128 v[140:143], v2 offset:736
	ds_load_b128 v[144:147], v2 offset:752
	s_wait_dscnt 0x1
	v_fmac_f64_e32 v[162:163], v[156:157], v[140:141]
	scratch_load_b128 v[154:157], off, off offset:328
	s_wait_loadcnt 0x5
	v_fmac_f64_e32 v[162:163], v[132:133], v[142:143]
	s_wait_dscnt 0x0
	s_delay_alu instid0(VALU_DEP_1)
	v_fmac_f64_e32 v[162:163], v[134:135], v[144:145]
	scratch_load_b128 v[132:135], off, off offset:344
	s_wait_loadcnt 0x5
	v_fmac_f64_e32 v[162:163], v[150:151], v[146:147]
	ds_load_b128 v[140:143], v2 offset:768
	ds_load_b128 v[144:147], v2 offset:784
	scratch_load_b128 v[148:151], off, off offset:360
	s_wait_dscnt 0x1
	v_fmac_f64_e32 v[162:163], v[152:153], v[140:141]
	s_wait_loadcnt 0x5
	s_delay_alu instid0(VALU_DEP_1) | instskip(SKIP_1) | instid1(VALU_DEP_1)
	v_fmac_f64_e32 v[162:163], v[136:137], v[142:143]
	s_wait_dscnt 0x0
	v_fmac_f64_e32 v[162:163], v[138:139], v[144:145]
	scratch_load_b128 v[136:139], off, off offset:376
	s_wait_loadcnt 0x5
	v_fmac_f64_e32 v[162:163], v[158:159], v[146:147]
	ds_load_b128 v[140:143], v2 offset:800
	ds_load_b128 v[144:147], v2 offset:816
	s_wait_dscnt 0x1
	v_fmac_f64_e32 v[162:163], v[160:161], v[140:141]
	scratch_load_b128 v[158:161], off, off offset:392
	s_wait_loadcnt 0x5
	v_fmac_f64_e32 v[162:163], v[128:129], v[142:143]
	s_wait_dscnt 0x0
	s_delay_alu instid0(VALU_DEP_1)
	v_fmac_f64_e32 v[162:163], v[130:131], v[144:145]
	scratch_load_b128 v[128:131], off, off offset:408
	s_wait_loadcnt 0x5
	v_fmac_f64_e32 v[162:163], v[154:155], v[146:147]
	ds_load_b128 v[140:143], v2 offset:832
	ds_load_b128 v[144:147], v2 offset:848
	s_wait_dscnt 0x1
	v_fmac_f64_e32 v[162:163], v[156:157], v[140:141]
	s_wait_loadcnt 0x4
	s_delay_alu instid0(VALU_DEP_1)
	v_fmac_f64_e32 v[162:163], v[132:133], v[142:143]
	scratch_load_b128 v[140:143], off, off offset:424
	s_wait_dscnt 0x0
	v_fmac_f64_e32 v[162:163], v[134:135], v[144:145]
	scratch_load_b128 v[132:135], off, off offset:440
	s_wait_loadcnt 0x5
	v_fmac_f64_e32 v[162:163], v[148:149], v[146:147]
	ds_load_b128 v[144:147], v2 offset:864
	ds_load_b128 v[152:155], v2 offset:880
	s_wait_dscnt 0x1
	v_fmac_f64_e32 v[162:163], v[150:151], v[144:145]
	s_wait_loadcnt 0x4
	s_delay_alu instid0(VALU_DEP_1)
	v_fmac_f64_e32 v[162:163], v[136:137], v[146:147]
	scratch_load_b128 v[144:147], off, off offset:456
	s_wait_dscnt 0x0
	v_fmac_f64_e32 v[162:163], v[138:139], v[152:153]
	scratch_load_b128 v[136:139], off, off offset:472
	s_wait_loadcnt 0x5
	v_fmac_f64_e32 v[162:163], v[158:159], v[154:155]
	ds_load_b128 v[148:151], v2 offset:896
	ds_load_b128 v[152:155], v2 offset:912
	s_wait_dscnt 0x1
	v_fmac_f64_e32 v[162:163], v[160:161], v[148:149]
	s_wait_loadcnt 0x4
	s_delay_alu instid0(VALU_DEP_1) | instskip(SKIP_1) | instid1(VALU_DEP_1)
	v_fmac_f64_e32 v[162:163], v[128:129], v[150:151]
	s_wait_dscnt 0x0
	v_fmac_f64_e32 v[162:163], v[130:131], v[152:153]
	ds_load_b128 v[128:131], v2 offset:928
	ds_load_b128 v[148:151], v2 offset:944
	s_wait_loadcnt 0x3
	v_fmac_f64_e32 v[162:163], v[140:141], v[154:155]
	s_wait_dscnt 0x1
	s_delay_alu instid0(VALU_DEP_1) | instskip(SKIP_1) | instid1(VALU_DEP_1)
	v_fmac_f64_e32 v[162:163], v[142:143], v[128:129]
	s_wait_loadcnt 0x2
	v_fmac_f64_e32 v[162:163], v[132:133], v[130:131]
	ds_load_b128 v[128:131], v2 offset:960
	ds_load_b64 v[132:133], v2 offset:976
	s_wait_dscnt 0x2
	v_fmac_f64_e32 v[162:163], v[134:135], v[148:149]
	s_wait_loadcnt 0x1
	s_delay_alu instid0(VALU_DEP_1) | instskip(SKIP_1) | instid1(VALU_DEP_1)
	v_fmac_f64_e32 v[162:163], v[144:145], v[150:151]
	s_wait_dscnt 0x1
	v_fmac_f64_e32 v[162:163], v[146:147], v[128:129]
	s_wait_loadcnt 0x0
	s_delay_alu instid0(VALU_DEP_1) | instskip(SKIP_1) | instid1(VALU_DEP_1)
	v_fmac_f64_e32 v[162:163], v[136:137], v[130:131]
	s_wait_dscnt 0x0
	v_fmac_f64_e32 v[162:163], v[138:139], v[132:133]
	s_delay_alu instid0(VALU_DEP_1)
	v_add_f64_e64 v[126:127], v[126:127], -v[162:163]
	scratch_store_b64 off, v[126:127], off offset:104
	s_wait_xcnt 0x0
	v_cmpx_lt_u32_e32 12, v0
	s_cbranch_execz .LBB60_351
; %bb.350:
	scratch_load_b64 v[126:127], off, off offset:96
	v_mov_b64_e32 v[128:129], 0
	scratch_store_b64 off, v[128:129], off offset:96
	s_wait_loadcnt 0x0
	ds_store_b64 v1, v[126:127]
.LBB60_351:
	s_wait_xcnt 0x0
	s_or_b32 exec_lo, exec_lo, s0
	s_wait_storecnt_dscnt 0x0
	s_barrier_signal -1
	s_barrier_wait -1
	s_clause 0x5
	scratch_load_b128 v[126:129], off, off offset:96
	scratch_load_b128 v[130:133], off, off offset:112
	;; [unrolled: 1-line block ×6, first 2 shown]
	ds_load_2addr_b64 v[150:153], v2 offset0:75 offset1:76
	ds_load_2addr_b64 v[154:157], v2 offset0:77 offset1:78
	scratch_load_b128 v[158:161], off, off offset:192
	s_mov_b32 s0, exec_lo
	s_wait_loadcnt_dscnt 0x601
	v_fma_f64 v[162:163], v[128:129], v[150:151], 0
	s_wait_loadcnt 0x5
	s_delay_alu instid0(VALU_DEP_1) | instskip(SKIP_4) | instid1(VALU_DEP_1)
	v_fmac_f64_e32 v[162:163], v[130:131], v[152:153]
	scratch_load_b128 v[128:131], off, off offset:208
	s_wait_dscnt 0x0
	v_fmac_f64_e32 v[162:163], v[132:133], v[154:155]
	s_wait_loadcnt 0x5
	v_fmac_f64_e32 v[162:163], v[134:135], v[156:157]
	ds_load_2addr_b64 v[132:135], v2 offset0:79 offset1:80
	ds_load_2addr_b64 v[150:153], v2 offset0:81 offset1:82
	scratch_load_b128 v[154:157], off, off offset:224
	s_wait_dscnt 0x1
	v_fmac_f64_e32 v[162:163], v[136:137], v[132:133]
	s_wait_loadcnt 0x5
	s_delay_alu instid0(VALU_DEP_1) | instskip(SKIP_4) | instid1(VALU_DEP_1)
	v_fmac_f64_e32 v[162:163], v[138:139], v[134:135]
	scratch_load_b128 v[132:135], off, off offset:240
	s_wait_dscnt 0x0
	v_fmac_f64_e32 v[162:163], v[140:141], v[150:151]
	s_wait_loadcnt 0x5
	v_fmac_f64_e32 v[162:163], v[142:143], v[152:153]
	ds_load_2addr_b64 v[136:139], v2 offset0:83 offset1:84
	ds_load_2addr_b64 v[140:143], v2 offset0:85 offset1:86
	scratch_load_b128 v[150:153], off, off offset:256
	s_wait_dscnt 0x1
	v_fmac_f64_e32 v[162:163], v[144:145], v[136:137]
	s_wait_loadcnt 0x5
	s_delay_alu instid0(VALU_DEP_1) | instskip(SKIP_4) | instid1(VALU_DEP_1)
	v_fmac_f64_e32 v[162:163], v[146:147], v[138:139]
	scratch_load_b128 v[136:139], off, off offset:272
	s_wait_dscnt 0x0
	v_fmac_f64_e32 v[162:163], v[148:149], v[140:141]
	s_wait_loadcnt 0x5
	v_fmac_f64_e32 v[162:163], v[158:159], v[142:143]
	ds_load_2addr_b64 v[140:143], v2 offset0:87 offset1:88
	ds_load_2addr_b64 v[144:147], v2 offset0:89 offset1:90
	s_wait_dscnt 0x1
	v_fmac_f64_e32 v[162:163], v[160:161], v[140:141]
	scratch_load_b128 v[158:161], off, off offset:288
	s_wait_loadcnt 0x5
	v_fmac_f64_e32 v[162:163], v[128:129], v[142:143]
	s_wait_dscnt 0x0
	s_delay_alu instid0(VALU_DEP_1)
	v_fmac_f64_e32 v[162:163], v[130:131], v[144:145]
	scratch_load_b128 v[128:131], off, off offset:304
	s_wait_loadcnt 0x5
	v_fmac_f64_e32 v[162:163], v[154:155], v[146:147]
	ds_load_2addr_b64 v[140:143], v2 offset0:91 offset1:92
	ds_load_2addr_b64 v[144:147], v2 offset0:93 offset1:94
	s_wait_dscnt 0x1
	v_fmac_f64_e32 v[162:163], v[156:157], v[140:141]
	scratch_load_b128 v[154:157], off, off offset:320
	s_wait_loadcnt 0x5
	v_fmac_f64_e32 v[162:163], v[132:133], v[142:143]
	s_wait_dscnt 0x0
	s_delay_alu instid0(VALU_DEP_1)
	v_fmac_f64_e32 v[162:163], v[134:135], v[144:145]
	scratch_load_b128 v[132:135], off, off offset:336
	s_wait_loadcnt 0x5
	v_fmac_f64_e32 v[162:163], v[150:151], v[146:147]
	ds_load_2addr_b64 v[140:143], v2 offset0:95 offset1:96
	ds_load_2addr_b64 v[144:147], v2 offset0:97 offset1:98
	scratch_load_b128 v[148:151], off, off offset:352
	s_wait_dscnt 0x1
	v_fmac_f64_e32 v[162:163], v[152:153], v[140:141]
	s_wait_loadcnt 0x5
	s_delay_alu instid0(VALU_DEP_1) | instskip(SKIP_1) | instid1(VALU_DEP_1)
	v_fmac_f64_e32 v[162:163], v[136:137], v[142:143]
	s_wait_dscnt 0x0
	v_fmac_f64_e32 v[162:163], v[138:139], v[144:145]
	scratch_load_b128 v[136:139], off, off offset:368
	s_wait_loadcnt 0x5
	v_fmac_f64_e32 v[162:163], v[158:159], v[146:147]
	ds_load_2addr_b64 v[140:143], v2 offset0:99 offset1:100
	ds_load_2addr_b64 v[144:147], v2 offset0:101 offset1:102
	s_wait_dscnt 0x1
	v_fmac_f64_e32 v[162:163], v[160:161], v[140:141]
	scratch_load_b128 v[158:161], off, off offset:384
	s_wait_loadcnt 0x5
	v_fmac_f64_e32 v[162:163], v[128:129], v[142:143]
	s_wait_dscnt 0x0
	s_delay_alu instid0(VALU_DEP_1)
	v_fmac_f64_e32 v[162:163], v[130:131], v[144:145]
	scratch_load_b128 v[128:131], off, off offset:400
	s_wait_loadcnt 0x5
	v_fmac_f64_e32 v[162:163], v[154:155], v[146:147]
	ds_load_2addr_b64 v[140:143], v2 offset0:103 offset1:104
	ds_load_2addr_b64 v[144:147], v2 offset0:105 offset1:106
	s_wait_dscnt 0x1
	v_fmac_f64_e32 v[162:163], v[156:157], v[140:141]
	s_wait_loadcnt 0x4
	s_delay_alu instid0(VALU_DEP_1)
	v_fmac_f64_e32 v[162:163], v[132:133], v[142:143]
	scratch_load_b128 v[140:143], off, off offset:416
	s_wait_dscnt 0x0
	v_fmac_f64_e32 v[162:163], v[134:135], v[144:145]
	scratch_load_b128 v[132:135], off, off offset:432
	s_wait_loadcnt 0x5
	v_fmac_f64_e32 v[162:163], v[148:149], v[146:147]
	ds_load_2addr_b64 v[144:147], v2 offset0:107 offset1:108
	ds_load_2addr_b64 v[152:155], v2 offset0:109 offset1:110
	s_wait_dscnt 0x1
	v_fmac_f64_e32 v[162:163], v[150:151], v[144:145]
	s_wait_loadcnt 0x4
	s_delay_alu instid0(VALU_DEP_1)
	v_fmac_f64_e32 v[162:163], v[136:137], v[146:147]
	scratch_load_b128 v[144:147], off, off offset:448
	s_wait_dscnt 0x0
	v_fmac_f64_e32 v[162:163], v[138:139], v[152:153]
	scratch_load_b128 v[136:139], off, off offset:464
	s_wait_loadcnt 0x5
	v_fmac_f64_e32 v[162:163], v[158:159], v[154:155]
	ds_load_2addr_b64 v[148:151], v2 offset0:111 offset1:112
	ds_load_2addr_b64 v[152:155], v2 offset0:113 offset1:114
	scratch_load_b64 v[156:157], off, off offset:480
	s_wait_dscnt 0x1
	v_fmac_f64_e32 v[162:163], v[160:161], v[148:149]
	s_wait_loadcnt 0x5
	s_delay_alu instid0(VALU_DEP_1) | instskip(SKIP_1) | instid1(VALU_DEP_1)
	v_fmac_f64_e32 v[162:163], v[128:129], v[150:151]
	s_wait_dscnt 0x0
	v_fmac_f64_e32 v[162:163], v[130:131], v[152:153]
	ds_load_2addr_b64 v[128:131], v2 offset0:115 offset1:116
	ds_load_2addr_b64 v[148:151], v2 offset0:117 offset1:118
	s_wait_loadcnt 0x4
	v_fmac_f64_e32 v[162:163], v[140:141], v[154:155]
	s_wait_dscnt 0x1
	s_delay_alu instid0(VALU_DEP_1) | instskip(SKIP_1) | instid1(VALU_DEP_1)
	v_fmac_f64_e32 v[162:163], v[142:143], v[128:129]
	s_wait_loadcnt 0x3
	v_fmac_f64_e32 v[162:163], v[132:133], v[130:131]
	s_wait_dscnt 0x0
	s_delay_alu instid0(VALU_DEP_1)
	v_fmac_f64_e32 v[162:163], v[134:135], v[148:149]
	ds_load_2addr_b64 v[128:131], v2 offset0:119 offset1:120
	ds_load_2addr_b64 v[132:135], v2 offset0:121 offset1:122
	s_wait_loadcnt 0x2
	v_fmac_f64_e32 v[162:163], v[144:145], v[150:151]
	s_wait_dscnt 0x1
	s_delay_alu instid0(VALU_DEP_1) | instskip(SKIP_1) | instid1(VALU_DEP_1)
	v_fmac_f64_e32 v[162:163], v[146:147], v[128:129]
	s_wait_loadcnt 0x1
	v_fmac_f64_e32 v[162:163], v[136:137], v[130:131]
	s_wait_dscnt 0x0
	s_delay_alu instid0(VALU_DEP_1) | instskip(SKIP_1) | instid1(VALU_DEP_1)
	v_fmac_f64_e32 v[162:163], v[138:139], v[132:133]
	s_wait_loadcnt 0x0
	v_fmac_f64_e32 v[162:163], v[156:157], v[134:135]
	s_delay_alu instid0(VALU_DEP_1)
	v_add_f64_e64 v[2:3], v[126:127], -v[162:163]
	scratch_store_b64 off, v[2:3], off offset:96
	s_wait_xcnt 0x0
	v_cmpx_lt_u32_e32 11, v0
	s_cbranch_execz .LBB60_353
; %bb.352:
	scratch_load_b64 v[2:3], off, off offset:88
	v_mov_b64_e32 v[126:127], 0
	scratch_store_b64 off, v[126:127], off offset:88
	s_wait_loadcnt 0x0
	ds_store_b64 v1, v[2:3]
.LBB60_353:
	s_wait_xcnt 0x0
	s_or_b32 exec_lo, exec_lo, s0
	s_wait_storecnt_dscnt 0x0
	s_barrier_signal -1
	s_barrier_wait -1
	s_clause 0x5
	scratch_load_b128 v[126:129], off, off offset:88
	scratch_load_b128 v[130:133], off, off offset:104
	;; [unrolled: 1-line block ×6, first 2 shown]
	v_mov_b32_e32 v2, 0
	ds_load_b128 v[150:153], v2 offset:592
	ds_load_b128 v[154:157], v2 offset:608
	scratch_load_b128 v[158:161], off, off offset:184
	s_mov_b32 s0, exec_lo
	s_wait_loadcnt_dscnt 0x601
	v_fma_f64 v[162:163], v[128:129], v[150:151], 0
	s_wait_loadcnt 0x5
	s_delay_alu instid0(VALU_DEP_1) | instskip(SKIP_4) | instid1(VALU_DEP_1)
	v_fmac_f64_e32 v[162:163], v[130:131], v[152:153]
	scratch_load_b128 v[128:131], off, off offset:200
	s_wait_dscnt 0x0
	v_fmac_f64_e32 v[162:163], v[132:133], v[154:155]
	s_wait_loadcnt 0x5
	v_fmac_f64_e32 v[162:163], v[134:135], v[156:157]
	ds_load_b128 v[132:135], v2 offset:624
	ds_load_b128 v[150:153], v2 offset:640
	scratch_load_b128 v[154:157], off, off offset:216
	s_wait_dscnt 0x1
	v_fmac_f64_e32 v[162:163], v[136:137], v[132:133]
	s_wait_loadcnt 0x5
	s_delay_alu instid0(VALU_DEP_1) | instskip(SKIP_4) | instid1(VALU_DEP_1)
	v_fmac_f64_e32 v[162:163], v[138:139], v[134:135]
	scratch_load_b128 v[132:135], off, off offset:232
	s_wait_dscnt 0x0
	v_fmac_f64_e32 v[162:163], v[140:141], v[150:151]
	s_wait_loadcnt 0x5
	v_fmac_f64_e32 v[162:163], v[142:143], v[152:153]
	ds_load_b128 v[136:139], v2 offset:656
	ds_load_b128 v[140:143], v2 offset:672
	scratch_load_b128 v[150:153], off, off offset:248
	s_wait_dscnt 0x1
	v_fmac_f64_e32 v[162:163], v[144:145], v[136:137]
	s_wait_loadcnt 0x5
	s_delay_alu instid0(VALU_DEP_1) | instskip(SKIP_4) | instid1(VALU_DEP_1)
	v_fmac_f64_e32 v[162:163], v[146:147], v[138:139]
	scratch_load_b128 v[136:139], off, off offset:264
	s_wait_dscnt 0x0
	v_fmac_f64_e32 v[162:163], v[148:149], v[140:141]
	s_wait_loadcnt 0x5
	v_fmac_f64_e32 v[162:163], v[158:159], v[142:143]
	ds_load_b128 v[140:143], v2 offset:688
	ds_load_b128 v[144:147], v2 offset:704
	s_wait_dscnt 0x1
	v_fmac_f64_e32 v[162:163], v[160:161], v[140:141]
	scratch_load_b128 v[158:161], off, off offset:280
	s_wait_loadcnt 0x5
	v_fmac_f64_e32 v[162:163], v[128:129], v[142:143]
	s_wait_dscnt 0x0
	s_delay_alu instid0(VALU_DEP_1)
	v_fmac_f64_e32 v[162:163], v[130:131], v[144:145]
	scratch_load_b128 v[128:131], off, off offset:296
	s_wait_loadcnt 0x5
	v_fmac_f64_e32 v[162:163], v[154:155], v[146:147]
	ds_load_b128 v[140:143], v2 offset:720
	ds_load_b128 v[144:147], v2 offset:736
	s_wait_dscnt 0x1
	v_fmac_f64_e32 v[162:163], v[156:157], v[140:141]
	scratch_load_b128 v[154:157], off, off offset:312
	s_wait_loadcnt 0x5
	v_fmac_f64_e32 v[162:163], v[132:133], v[142:143]
	s_wait_dscnt 0x0
	s_delay_alu instid0(VALU_DEP_1)
	v_fmac_f64_e32 v[162:163], v[134:135], v[144:145]
	scratch_load_b128 v[132:135], off, off offset:328
	s_wait_loadcnt 0x5
	v_fmac_f64_e32 v[162:163], v[150:151], v[146:147]
	ds_load_b128 v[140:143], v2 offset:752
	ds_load_b128 v[144:147], v2 offset:768
	scratch_load_b128 v[148:151], off, off offset:344
	s_wait_dscnt 0x1
	v_fmac_f64_e32 v[162:163], v[152:153], v[140:141]
	s_wait_loadcnt 0x5
	s_delay_alu instid0(VALU_DEP_1) | instskip(SKIP_1) | instid1(VALU_DEP_1)
	v_fmac_f64_e32 v[162:163], v[136:137], v[142:143]
	s_wait_dscnt 0x0
	v_fmac_f64_e32 v[162:163], v[138:139], v[144:145]
	scratch_load_b128 v[136:139], off, off offset:360
	s_wait_loadcnt 0x5
	v_fmac_f64_e32 v[162:163], v[158:159], v[146:147]
	ds_load_b128 v[140:143], v2 offset:784
	ds_load_b128 v[144:147], v2 offset:800
	s_wait_dscnt 0x1
	v_fmac_f64_e32 v[162:163], v[160:161], v[140:141]
	scratch_load_b128 v[158:161], off, off offset:376
	s_wait_loadcnt 0x5
	v_fmac_f64_e32 v[162:163], v[128:129], v[142:143]
	s_wait_dscnt 0x0
	s_delay_alu instid0(VALU_DEP_1)
	v_fmac_f64_e32 v[162:163], v[130:131], v[144:145]
	scratch_load_b128 v[128:131], off, off offset:392
	s_wait_loadcnt 0x5
	v_fmac_f64_e32 v[162:163], v[154:155], v[146:147]
	ds_load_b128 v[140:143], v2 offset:816
	ds_load_b128 v[144:147], v2 offset:832
	s_wait_dscnt 0x1
	v_fmac_f64_e32 v[162:163], v[156:157], v[140:141]
	s_wait_loadcnt 0x4
	s_delay_alu instid0(VALU_DEP_1)
	v_fmac_f64_e32 v[162:163], v[132:133], v[142:143]
	scratch_load_b128 v[140:143], off, off offset:408
	s_wait_dscnt 0x0
	v_fmac_f64_e32 v[162:163], v[134:135], v[144:145]
	scratch_load_b128 v[132:135], off, off offset:424
	s_wait_loadcnt 0x5
	v_fmac_f64_e32 v[162:163], v[148:149], v[146:147]
	ds_load_b128 v[144:147], v2 offset:848
	ds_load_b128 v[152:155], v2 offset:864
	s_wait_dscnt 0x1
	v_fmac_f64_e32 v[162:163], v[150:151], v[144:145]
	s_wait_loadcnt 0x4
	s_delay_alu instid0(VALU_DEP_1)
	v_fmac_f64_e32 v[162:163], v[136:137], v[146:147]
	scratch_load_b128 v[144:147], off, off offset:440
	s_wait_dscnt 0x0
	v_fmac_f64_e32 v[162:163], v[138:139], v[152:153]
	scratch_load_b128 v[136:139], off, off offset:456
	s_wait_loadcnt 0x5
	v_fmac_f64_e32 v[162:163], v[158:159], v[154:155]
	ds_load_b128 v[148:151], v2 offset:880
	ds_load_b128 v[152:155], v2 offset:896
	s_wait_dscnt 0x1
	v_fmac_f64_e32 v[162:163], v[160:161], v[148:149]
	s_wait_loadcnt 0x4
	s_delay_alu instid0(VALU_DEP_1) | instskip(SKIP_4) | instid1(VALU_DEP_1)
	v_fmac_f64_e32 v[162:163], v[128:129], v[150:151]
	scratch_load_b128 v[148:151], off, off offset:472
	s_wait_dscnt 0x0
	v_fmac_f64_e32 v[162:163], v[130:131], v[152:153]
	s_wait_loadcnt 0x4
	v_fmac_f64_e32 v[162:163], v[140:141], v[154:155]
	ds_load_b128 v[128:131], v2 offset:912
	ds_load_b128 v[152:155], v2 offset:928
	s_wait_dscnt 0x1
	v_fmac_f64_e32 v[162:163], v[142:143], v[128:129]
	s_wait_loadcnt 0x3
	s_delay_alu instid0(VALU_DEP_1) | instskip(SKIP_1) | instid1(VALU_DEP_1)
	v_fmac_f64_e32 v[162:163], v[132:133], v[130:131]
	s_wait_dscnt 0x0
	v_fmac_f64_e32 v[162:163], v[134:135], v[152:153]
	ds_load_b128 v[128:131], v2 offset:944
	ds_load_b128 v[132:135], v2 offset:960
	s_wait_loadcnt 0x2
	v_fmac_f64_e32 v[162:163], v[144:145], v[154:155]
	s_wait_dscnt 0x1
	s_delay_alu instid0(VALU_DEP_1) | instskip(SKIP_4) | instid1(VALU_DEP_1)
	v_fmac_f64_e32 v[162:163], v[146:147], v[128:129]
	ds_load_b64 v[128:129], v2 offset:976
	s_wait_loadcnt 0x1
	v_fmac_f64_e32 v[162:163], v[136:137], v[130:131]
	s_wait_dscnt 0x1
	v_fmac_f64_e32 v[162:163], v[138:139], v[132:133]
	s_wait_loadcnt 0x0
	s_delay_alu instid0(VALU_DEP_1) | instskip(SKIP_1) | instid1(VALU_DEP_1)
	v_fmac_f64_e32 v[162:163], v[148:149], v[134:135]
	s_wait_dscnt 0x0
	v_fmac_f64_e32 v[162:163], v[150:151], v[128:129]
	s_delay_alu instid0(VALU_DEP_1)
	v_add_f64_e64 v[126:127], v[126:127], -v[162:163]
	scratch_store_b64 off, v[126:127], off offset:88
	s_wait_xcnt 0x0
	v_cmpx_lt_u32_e32 10, v0
	s_cbranch_execz .LBB60_355
; %bb.354:
	scratch_load_b64 v[126:127], off, off offset:80
	v_mov_b64_e32 v[128:129], 0
	scratch_store_b64 off, v[128:129], off offset:80
	s_wait_loadcnt 0x0
	ds_store_b64 v1, v[126:127]
.LBB60_355:
	s_wait_xcnt 0x0
	s_or_b32 exec_lo, exec_lo, s0
	s_wait_storecnt_dscnt 0x0
	s_barrier_signal -1
	s_barrier_wait -1
	s_clause 0x5
	scratch_load_b128 v[126:129], off, off offset:80
	scratch_load_b128 v[130:133], off, off offset:96
	;; [unrolled: 1-line block ×6, first 2 shown]
	ds_load_2addr_b64 v[150:153], v2 offset0:73 offset1:74
	ds_load_2addr_b64 v[154:157], v2 offset0:75 offset1:76
	scratch_load_b128 v[158:161], off, off offset:176
	s_mov_b32 s0, exec_lo
	s_wait_loadcnt_dscnt 0x601
	v_fma_f64 v[162:163], v[128:129], v[150:151], 0
	s_wait_loadcnt 0x5
	s_delay_alu instid0(VALU_DEP_1) | instskip(SKIP_4) | instid1(VALU_DEP_1)
	v_fmac_f64_e32 v[162:163], v[130:131], v[152:153]
	scratch_load_b128 v[128:131], off, off offset:192
	s_wait_dscnt 0x0
	v_fmac_f64_e32 v[162:163], v[132:133], v[154:155]
	s_wait_loadcnt 0x5
	v_fmac_f64_e32 v[162:163], v[134:135], v[156:157]
	ds_load_2addr_b64 v[132:135], v2 offset0:77 offset1:78
	ds_load_2addr_b64 v[150:153], v2 offset0:79 offset1:80
	scratch_load_b128 v[154:157], off, off offset:208
	s_wait_dscnt 0x1
	v_fmac_f64_e32 v[162:163], v[136:137], v[132:133]
	s_wait_loadcnt 0x5
	s_delay_alu instid0(VALU_DEP_1) | instskip(SKIP_4) | instid1(VALU_DEP_1)
	v_fmac_f64_e32 v[162:163], v[138:139], v[134:135]
	scratch_load_b128 v[132:135], off, off offset:224
	s_wait_dscnt 0x0
	v_fmac_f64_e32 v[162:163], v[140:141], v[150:151]
	s_wait_loadcnt 0x5
	v_fmac_f64_e32 v[162:163], v[142:143], v[152:153]
	ds_load_2addr_b64 v[136:139], v2 offset0:81 offset1:82
	ds_load_2addr_b64 v[140:143], v2 offset0:83 offset1:84
	scratch_load_b128 v[150:153], off, off offset:240
	s_wait_dscnt 0x1
	v_fmac_f64_e32 v[162:163], v[144:145], v[136:137]
	s_wait_loadcnt 0x5
	s_delay_alu instid0(VALU_DEP_1) | instskip(SKIP_4) | instid1(VALU_DEP_1)
	v_fmac_f64_e32 v[162:163], v[146:147], v[138:139]
	scratch_load_b128 v[136:139], off, off offset:256
	s_wait_dscnt 0x0
	v_fmac_f64_e32 v[162:163], v[148:149], v[140:141]
	s_wait_loadcnt 0x5
	v_fmac_f64_e32 v[162:163], v[158:159], v[142:143]
	ds_load_2addr_b64 v[140:143], v2 offset0:85 offset1:86
	ds_load_2addr_b64 v[144:147], v2 offset0:87 offset1:88
	s_wait_dscnt 0x1
	v_fmac_f64_e32 v[162:163], v[160:161], v[140:141]
	scratch_load_b128 v[158:161], off, off offset:272
	s_wait_loadcnt 0x5
	v_fmac_f64_e32 v[162:163], v[128:129], v[142:143]
	s_wait_dscnt 0x0
	s_delay_alu instid0(VALU_DEP_1)
	v_fmac_f64_e32 v[162:163], v[130:131], v[144:145]
	scratch_load_b128 v[128:131], off, off offset:288
	s_wait_loadcnt 0x5
	v_fmac_f64_e32 v[162:163], v[154:155], v[146:147]
	ds_load_2addr_b64 v[140:143], v2 offset0:89 offset1:90
	ds_load_2addr_b64 v[144:147], v2 offset0:91 offset1:92
	s_wait_dscnt 0x1
	v_fmac_f64_e32 v[162:163], v[156:157], v[140:141]
	scratch_load_b128 v[154:157], off, off offset:304
	s_wait_loadcnt 0x5
	v_fmac_f64_e32 v[162:163], v[132:133], v[142:143]
	s_wait_dscnt 0x0
	s_delay_alu instid0(VALU_DEP_1)
	v_fmac_f64_e32 v[162:163], v[134:135], v[144:145]
	scratch_load_b128 v[132:135], off, off offset:320
	s_wait_loadcnt 0x5
	v_fmac_f64_e32 v[162:163], v[150:151], v[146:147]
	ds_load_2addr_b64 v[140:143], v2 offset0:93 offset1:94
	ds_load_2addr_b64 v[144:147], v2 offset0:95 offset1:96
	scratch_load_b128 v[148:151], off, off offset:336
	s_wait_dscnt 0x1
	v_fmac_f64_e32 v[162:163], v[152:153], v[140:141]
	s_wait_loadcnt 0x5
	s_delay_alu instid0(VALU_DEP_1) | instskip(SKIP_1) | instid1(VALU_DEP_1)
	v_fmac_f64_e32 v[162:163], v[136:137], v[142:143]
	s_wait_dscnt 0x0
	v_fmac_f64_e32 v[162:163], v[138:139], v[144:145]
	scratch_load_b128 v[136:139], off, off offset:352
	s_wait_loadcnt 0x5
	v_fmac_f64_e32 v[162:163], v[158:159], v[146:147]
	ds_load_2addr_b64 v[140:143], v2 offset0:97 offset1:98
	ds_load_2addr_b64 v[144:147], v2 offset0:99 offset1:100
	s_wait_dscnt 0x1
	v_fmac_f64_e32 v[162:163], v[160:161], v[140:141]
	scratch_load_b128 v[158:161], off, off offset:368
	s_wait_loadcnt 0x5
	v_fmac_f64_e32 v[162:163], v[128:129], v[142:143]
	s_wait_dscnt 0x0
	s_delay_alu instid0(VALU_DEP_1)
	v_fmac_f64_e32 v[162:163], v[130:131], v[144:145]
	scratch_load_b128 v[128:131], off, off offset:384
	s_wait_loadcnt 0x5
	v_fmac_f64_e32 v[162:163], v[154:155], v[146:147]
	ds_load_2addr_b64 v[140:143], v2 offset0:101 offset1:102
	ds_load_2addr_b64 v[144:147], v2 offset0:103 offset1:104
	scratch_load_b128 v[152:155], off, off offset:400
	s_wait_dscnt 0x1
	v_fmac_f64_e32 v[162:163], v[156:157], v[140:141]
	s_wait_loadcnt 0x5
	s_delay_alu instid0(VALU_DEP_1) | instskip(SKIP_1) | instid1(VALU_DEP_1)
	v_fmac_f64_e32 v[162:163], v[132:133], v[142:143]
	s_wait_dscnt 0x0
	v_fmac_f64_e32 v[162:163], v[134:135], v[144:145]
	scratch_load_b128 v[132:135], off, off offset:416
	s_wait_loadcnt 0x5
	v_fmac_f64_e32 v[162:163], v[148:149], v[146:147]
	ds_load_2addr_b64 v[140:143], v2 offset0:105 offset1:106
	ds_load_2addr_b64 v[144:147], v2 offset0:107 offset1:108
	s_wait_dscnt 0x1
	v_fmac_f64_e32 v[162:163], v[150:151], v[140:141]
	s_wait_loadcnt 0x4
	s_delay_alu instid0(VALU_DEP_1)
	v_fmac_f64_e32 v[162:163], v[136:137], v[142:143]
	scratch_load_b128 v[140:143], off, off offset:432
	s_wait_dscnt 0x0
	v_fmac_f64_e32 v[162:163], v[138:139], v[144:145]
	scratch_load_b128 v[136:139], off, off offset:448
	s_wait_loadcnt 0x5
	v_fmac_f64_e32 v[162:163], v[158:159], v[146:147]
	ds_load_2addr_b64 v[144:147], v2 offset0:109 offset1:110
	ds_load_2addr_b64 v[148:151], v2 offset0:111 offset1:112
	s_wait_dscnt 0x1
	v_fmac_f64_e32 v[162:163], v[160:161], v[144:145]
	s_wait_loadcnt 0x4
	s_delay_alu instid0(VALU_DEP_1) | instskip(SKIP_4) | instid1(VALU_DEP_1)
	v_fmac_f64_e32 v[162:163], v[128:129], v[146:147]
	scratch_load_b128 v[144:147], off, off offset:464
	s_wait_dscnt 0x0
	v_fmac_f64_e32 v[162:163], v[130:131], v[148:149]
	s_wait_loadcnt 0x4
	v_fmac_f64_e32 v[162:163], v[152:153], v[150:151]
	scratch_load_b64 v[152:153], off, off offset:480
	ds_load_2addr_b64 v[128:131], v2 offset0:113 offset1:114
	ds_load_2addr_b64 v[148:151], v2 offset0:115 offset1:116
	s_wait_dscnt 0x1
	v_fmac_f64_e32 v[162:163], v[154:155], v[128:129]
	s_wait_loadcnt 0x4
	s_delay_alu instid0(VALU_DEP_1) | instskip(SKIP_1) | instid1(VALU_DEP_1)
	v_fmac_f64_e32 v[162:163], v[132:133], v[130:131]
	s_wait_dscnt 0x0
	v_fmac_f64_e32 v[162:163], v[134:135], v[148:149]
	ds_load_2addr_b64 v[128:131], v2 offset0:117 offset1:118
	ds_load_2addr_b64 v[132:135], v2 offset0:119 offset1:120
	s_wait_loadcnt 0x3
	v_fmac_f64_e32 v[162:163], v[140:141], v[150:151]
	s_wait_dscnt 0x1
	s_delay_alu instid0(VALU_DEP_1) | instskip(SKIP_1) | instid1(VALU_DEP_1)
	v_fmac_f64_e32 v[162:163], v[142:143], v[128:129]
	s_wait_loadcnt 0x2
	v_fmac_f64_e32 v[162:163], v[136:137], v[130:131]
	ds_load_2addr_b64 v[128:131], v2 offset0:121 offset1:122
	s_wait_dscnt 0x1
	v_fmac_f64_e32 v[162:163], v[138:139], v[132:133]
	s_wait_loadcnt 0x1
	s_delay_alu instid0(VALU_DEP_1) | instskip(SKIP_1) | instid1(VALU_DEP_1)
	v_fmac_f64_e32 v[162:163], v[144:145], v[134:135]
	s_wait_dscnt 0x0
	v_fmac_f64_e32 v[162:163], v[146:147], v[128:129]
	s_wait_loadcnt 0x0
	s_delay_alu instid0(VALU_DEP_1) | instskip(NEXT) | instid1(VALU_DEP_1)
	v_fmac_f64_e32 v[162:163], v[152:153], v[130:131]
	v_add_f64_e64 v[2:3], v[126:127], -v[162:163]
	scratch_store_b64 off, v[2:3], off offset:80
	s_wait_xcnt 0x0
	v_cmpx_lt_u32_e32 9, v0
	s_cbranch_execz .LBB60_357
; %bb.356:
	scratch_load_b64 v[2:3], off, off offset:72
	v_mov_b64_e32 v[126:127], 0
	scratch_store_b64 off, v[126:127], off offset:72
	s_wait_loadcnt 0x0
	ds_store_b64 v1, v[2:3]
.LBB60_357:
	s_wait_xcnt 0x0
	s_or_b32 exec_lo, exec_lo, s0
	s_wait_storecnt_dscnt 0x0
	s_barrier_signal -1
	s_barrier_wait -1
	s_clause 0x5
	scratch_load_b128 v[126:129], off, off offset:72
	scratch_load_b128 v[130:133], off, off offset:88
	;; [unrolled: 1-line block ×6, first 2 shown]
	v_mov_b32_e32 v2, 0
	ds_load_b128 v[150:153], v2 offset:576
	ds_load_b128 v[154:157], v2 offset:592
	scratch_load_b128 v[158:161], off, off offset:168
	s_mov_b32 s0, exec_lo
	s_wait_loadcnt_dscnt 0x601
	v_fma_f64 v[162:163], v[128:129], v[150:151], 0
	s_wait_loadcnt 0x5
	s_delay_alu instid0(VALU_DEP_1) | instskip(SKIP_4) | instid1(VALU_DEP_1)
	v_fmac_f64_e32 v[162:163], v[130:131], v[152:153]
	scratch_load_b128 v[128:131], off, off offset:184
	s_wait_dscnt 0x0
	v_fmac_f64_e32 v[162:163], v[132:133], v[154:155]
	s_wait_loadcnt 0x5
	v_fmac_f64_e32 v[162:163], v[134:135], v[156:157]
	ds_load_b128 v[132:135], v2 offset:608
	ds_load_b128 v[150:153], v2 offset:624
	scratch_load_b128 v[154:157], off, off offset:200
	s_wait_dscnt 0x1
	v_fmac_f64_e32 v[162:163], v[136:137], v[132:133]
	s_wait_loadcnt 0x5
	s_delay_alu instid0(VALU_DEP_1) | instskip(SKIP_4) | instid1(VALU_DEP_1)
	v_fmac_f64_e32 v[162:163], v[138:139], v[134:135]
	scratch_load_b128 v[132:135], off, off offset:216
	s_wait_dscnt 0x0
	v_fmac_f64_e32 v[162:163], v[140:141], v[150:151]
	s_wait_loadcnt 0x5
	v_fmac_f64_e32 v[162:163], v[142:143], v[152:153]
	ds_load_b128 v[136:139], v2 offset:640
	ds_load_b128 v[140:143], v2 offset:656
	scratch_load_b128 v[150:153], off, off offset:232
	s_wait_dscnt 0x1
	v_fmac_f64_e32 v[162:163], v[144:145], v[136:137]
	s_wait_loadcnt 0x5
	s_delay_alu instid0(VALU_DEP_1) | instskip(SKIP_4) | instid1(VALU_DEP_1)
	v_fmac_f64_e32 v[162:163], v[146:147], v[138:139]
	scratch_load_b128 v[136:139], off, off offset:248
	s_wait_dscnt 0x0
	v_fmac_f64_e32 v[162:163], v[148:149], v[140:141]
	s_wait_loadcnt 0x5
	v_fmac_f64_e32 v[162:163], v[158:159], v[142:143]
	ds_load_b128 v[140:143], v2 offset:672
	ds_load_b128 v[144:147], v2 offset:688
	s_wait_dscnt 0x1
	v_fmac_f64_e32 v[162:163], v[160:161], v[140:141]
	scratch_load_b128 v[158:161], off, off offset:264
	s_wait_loadcnt 0x5
	v_fmac_f64_e32 v[162:163], v[128:129], v[142:143]
	s_wait_dscnt 0x0
	s_delay_alu instid0(VALU_DEP_1)
	v_fmac_f64_e32 v[162:163], v[130:131], v[144:145]
	scratch_load_b128 v[128:131], off, off offset:280
	s_wait_loadcnt 0x5
	v_fmac_f64_e32 v[162:163], v[154:155], v[146:147]
	ds_load_b128 v[140:143], v2 offset:704
	ds_load_b128 v[144:147], v2 offset:720
	s_wait_dscnt 0x1
	v_fmac_f64_e32 v[162:163], v[156:157], v[140:141]
	scratch_load_b128 v[154:157], off, off offset:296
	s_wait_loadcnt 0x5
	v_fmac_f64_e32 v[162:163], v[132:133], v[142:143]
	s_wait_dscnt 0x0
	s_delay_alu instid0(VALU_DEP_1)
	v_fmac_f64_e32 v[162:163], v[134:135], v[144:145]
	scratch_load_b128 v[132:135], off, off offset:312
	s_wait_loadcnt 0x5
	v_fmac_f64_e32 v[162:163], v[150:151], v[146:147]
	ds_load_b128 v[140:143], v2 offset:736
	ds_load_b128 v[144:147], v2 offset:752
	scratch_load_b128 v[148:151], off, off offset:328
	s_wait_dscnt 0x1
	v_fmac_f64_e32 v[162:163], v[152:153], v[140:141]
	s_wait_loadcnt 0x5
	s_delay_alu instid0(VALU_DEP_1) | instskip(SKIP_1) | instid1(VALU_DEP_1)
	v_fmac_f64_e32 v[162:163], v[136:137], v[142:143]
	s_wait_dscnt 0x0
	v_fmac_f64_e32 v[162:163], v[138:139], v[144:145]
	scratch_load_b128 v[136:139], off, off offset:344
	s_wait_loadcnt 0x5
	v_fmac_f64_e32 v[162:163], v[158:159], v[146:147]
	ds_load_b128 v[140:143], v2 offset:768
	ds_load_b128 v[144:147], v2 offset:784
	s_wait_dscnt 0x1
	v_fmac_f64_e32 v[162:163], v[160:161], v[140:141]
	scratch_load_b128 v[158:161], off, off offset:360
	s_wait_loadcnt 0x5
	v_fmac_f64_e32 v[162:163], v[128:129], v[142:143]
	s_wait_dscnt 0x0
	s_delay_alu instid0(VALU_DEP_1)
	v_fmac_f64_e32 v[162:163], v[130:131], v[144:145]
	scratch_load_b128 v[128:131], off, off offset:376
	s_wait_loadcnt 0x5
	v_fmac_f64_e32 v[162:163], v[154:155], v[146:147]
	ds_load_b128 v[140:143], v2 offset:800
	ds_load_b128 v[144:147], v2 offset:816
	scratch_load_b128 v[152:155], off, off offset:392
	s_wait_dscnt 0x1
	v_fmac_f64_e32 v[162:163], v[156:157], v[140:141]
	s_wait_loadcnt 0x5
	s_delay_alu instid0(VALU_DEP_1) | instskip(SKIP_1) | instid1(VALU_DEP_1)
	v_fmac_f64_e32 v[162:163], v[132:133], v[142:143]
	s_wait_dscnt 0x0
	v_fmac_f64_e32 v[162:163], v[134:135], v[144:145]
	scratch_load_b128 v[132:135], off, off offset:408
	s_wait_loadcnt 0x5
	v_fmac_f64_e32 v[162:163], v[148:149], v[146:147]
	ds_load_b128 v[140:143], v2 offset:832
	ds_load_b128 v[144:147], v2 offset:848
	s_wait_dscnt 0x1
	v_fmac_f64_e32 v[162:163], v[150:151], v[140:141]
	s_wait_loadcnt 0x4
	s_delay_alu instid0(VALU_DEP_1)
	v_fmac_f64_e32 v[162:163], v[136:137], v[142:143]
	scratch_load_b128 v[140:143], off, off offset:424
	s_wait_dscnt 0x0
	v_fmac_f64_e32 v[162:163], v[138:139], v[144:145]
	scratch_load_b128 v[136:139], off, off offset:440
	s_wait_loadcnt 0x5
	v_fmac_f64_e32 v[162:163], v[158:159], v[146:147]
	ds_load_b128 v[144:147], v2 offset:864
	ds_load_b128 v[148:151], v2 offset:880
	s_wait_dscnt 0x1
	v_fmac_f64_e32 v[162:163], v[160:161], v[144:145]
	s_wait_loadcnt 0x4
	s_delay_alu instid0(VALU_DEP_1)
	v_fmac_f64_e32 v[162:163], v[128:129], v[146:147]
	scratch_load_b128 v[144:147], off, off offset:456
	s_wait_dscnt 0x0
	v_fmac_f64_e32 v[162:163], v[130:131], v[148:149]
	scratch_load_b128 v[128:131], off, off offset:472
	s_wait_loadcnt 0x5
	v_fmac_f64_e32 v[162:163], v[152:153], v[150:151]
	ds_load_b128 v[148:151], v2 offset:896
	ds_load_b128 v[156:159], v2 offset:912
	s_wait_dscnt 0x1
	v_fmac_f64_e32 v[162:163], v[154:155], v[148:149]
	s_wait_loadcnt 0x4
	s_delay_alu instid0(VALU_DEP_1) | instskip(SKIP_1) | instid1(VALU_DEP_1)
	v_fmac_f64_e32 v[162:163], v[132:133], v[150:151]
	s_wait_dscnt 0x0
	v_fmac_f64_e32 v[162:163], v[134:135], v[156:157]
	ds_load_b128 v[132:135], v2 offset:928
	ds_load_b128 v[148:151], v2 offset:944
	s_wait_loadcnt 0x3
	v_fmac_f64_e32 v[162:163], v[140:141], v[158:159]
	s_wait_dscnt 0x1
	s_delay_alu instid0(VALU_DEP_1) | instskip(SKIP_1) | instid1(VALU_DEP_1)
	v_fmac_f64_e32 v[162:163], v[142:143], v[132:133]
	s_wait_loadcnt 0x2
	v_fmac_f64_e32 v[162:163], v[136:137], v[134:135]
	ds_load_b128 v[132:135], v2 offset:960
	ds_load_b64 v[136:137], v2 offset:976
	s_wait_dscnt 0x2
	v_fmac_f64_e32 v[162:163], v[138:139], v[148:149]
	s_wait_loadcnt 0x1
	s_delay_alu instid0(VALU_DEP_1) | instskip(SKIP_1) | instid1(VALU_DEP_1)
	v_fmac_f64_e32 v[162:163], v[144:145], v[150:151]
	s_wait_dscnt 0x1
	v_fmac_f64_e32 v[162:163], v[146:147], v[132:133]
	s_wait_loadcnt 0x0
	s_delay_alu instid0(VALU_DEP_1) | instskip(SKIP_1) | instid1(VALU_DEP_1)
	v_fmac_f64_e32 v[162:163], v[128:129], v[134:135]
	s_wait_dscnt 0x0
	v_fmac_f64_e32 v[162:163], v[130:131], v[136:137]
	s_delay_alu instid0(VALU_DEP_1)
	v_add_f64_e64 v[126:127], v[126:127], -v[162:163]
	scratch_store_b64 off, v[126:127], off offset:72
	s_wait_xcnt 0x0
	v_cmpx_lt_u32_e32 8, v0
	s_cbranch_execz .LBB60_359
; %bb.358:
	scratch_load_b64 v[126:127], off, off offset:64
	v_mov_b64_e32 v[128:129], 0
	scratch_store_b64 off, v[128:129], off offset:64
	s_wait_loadcnt 0x0
	ds_store_b64 v1, v[126:127]
.LBB60_359:
	s_wait_xcnt 0x0
	s_or_b32 exec_lo, exec_lo, s0
	s_wait_storecnt_dscnt 0x0
	s_barrier_signal -1
	s_barrier_wait -1
	s_clause 0x5
	scratch_load_b128 v[126:129], off, off offset:64
	scratch_load_b128 v[130:133], off, off offset:80
	;; [unrolled: 1-line block ×6, first 2 shown]
	ds_load_2addr_b64 v[150:153], v2 offset0:71 offset1:72
	ds_load_2addr_b64 v[154:157], v2 offset0:73 offset1:74
	scratch_load_b128 v[158:161], off, off offset:160
	s_mov_b32 s0, exec_lo
	s_wait_loadcnt_dscnt 0x601
	v_fma_f64 v[162:163], v[128:129], v[150:151], 0
	s_wait_loadcnt 0x5
	s_delay_alu instid0(VALU_DEP_1) | instskip(SKIP_4) | instid1(VALU_DEP_1)
	v_fmac_f64_e32 v[162:163], v[130:131], v[152:153]
	scratch_load_b128 v[128:131], off, off offset:176
	s_wait_dscnt 0x0
	v_fmac_f64_e32 v[162:163], v[132:133], v[154:155]
	s_wait_loadcnt 0x5
	v_fmac_f64_e32 v[162:163], v[134:135], v[156:157]
	ds_load_2addr_b64 v[132:135], v2 offset0:75 offset1:76
	ds_load_2addr_b64 v[150:153], v2 offset0:77 offset1:78
	scratch_load_b128 v[154:157], off, off offset:192
	s_wait_dscnt 0x1
	v_fmac_f64_e32 v[162:163], v[136:137], v[132:133]
	s_wait_loadcnt 0x5
	s_delay_alu instid0(VALU_DEP_1) | instskip(SKIP_4) | instid1(VALU_DEP_1)
	v_fmac_f64_e32 v[162:163], v[138:139], v[134:135]
	scratch_load_b128 v[132:135], off, off offset:208
	s_wait_dscnt 0x0
	v_fmac_f64_e32 v[162:163], v[140:141], v[150:151]
	s_wait_loadcnt 0x5
	v_fmac_f64_e32 v[162:163], v[142:143], v[152:153]
	ds_load_2addr_b64 v[136:139], v2 offset0:79 offset1:80
	ds_load_2addr_b64 v[140:143], v2 offset0:81 offset1:82
	scratch_load_b128 v[150:153], off, off offset:224
	s_wait_dscnt 0x1
	v_fmac_f64_e32 v[162:163], v[144:145], v[136:137]
	s_wait_loadcnt 0x5
	s_delay_alu instid0(VALU_DEP_1) | instskip(SKIP_4) | instid1(VALU_DEP_1)
	v_fmac_f64_e32 v[162:163], v[146:147], v[138:139]
	scratch_load_b128 v[136:139], off, off offset:240
	s_wait_dscnt 0x0
	v_fmac_f64_e32 v[162:163], v[148:149], v[140:141]
	s_wait_loadcnt 0x5
	v_fmac_f64_e32 v[162:163], v[158:159], v[142:143]
	ds_load_2addr_b64 v[140:143], v2 offset0:83 offset1:84
	ds_load_2addr_b64 v[144:147], v2 offset0:85 offset1:86
	s_wait_dscnt 0x1
	v_fmac_f64_e32 v[162:163], v[160:161], v[140:141]
	scratch_load_b128 v[158:161], off, off offset:256
	s_wait_loadcnt 0x5
	v_fmac_f64_e32 v[162:163], v[128:129], v[142:143]
	s_wait_dscnt 0x0
	s_delay_alu instid0(VALU_DEP_1)
	v_fmac_f64_e32 v[162:163], v[130:131], v[144:145]
	scratch_load_b128 v[128:131], off, off offset:272
	s_wait_loadcnt 0x5
	v_fmac_f64_e32 v[162:163], v[154:155], v[146:147]
	ds_load_2addr_b64 v[140:143], v2 offset0:87 offset1:88
	ds_load_2addr_b64 v[144:147], v2 offset0:89 offset1:90
	s_wait_dscnt 0x1
	v_fmac_f64_e32 v[162:163], v[156:157], v[140:141]
	scratch_load_b128 v[154:157], off, off offset:288
	s_wait_loadcnt 0x5
	v_fmac_f64_e32 v[162:163], v[132:133], v[142:143]
	s_wait_dscnt 0x0
	s_delay_alu instid0(VALU_DEP_1)
	v_fmac_f64_e32 v[162:163], v[134:135], v[144:145]
	scratch_load_b128 v[132:135], off, off offset:304
	s_wait_loadcnt 0x5
	v_fmac_f64_e32 v[162:163], v[150:151], v[146:147]
	ds_load_2addr_b64 v[140:143], v2 offset0:91 offset1:92
	ds_load_2addr_b64 v[144:147], v2 offset0:93 offset1:94
	scratch_load_b128 v[148:151], off, off offset:320
	s_wait_dscnt 0x1
	v_fmac_f64_e32 v[162:163], v[152:153], v[140:141]
	s_wait_loadcnt 0x5
	s_delay_alu instid0(VALU_DEP_1) | instskip(SKIP_1) | instid1(VALU_DEP_1)
	v_fmac_f64_e32 v[162:163], v[136:137], v[142:143]
	s_wait_dscnt 0x0
	v_fmac_f64_e32 v[162:163], v[138:139], v[144:145]
	scratch_load_b128 v[136:139], off, off offset:336
	s_wait_loadcnt 0x5
	v_fmac_f64_e32 v[162:163], v[158:159], v[146:147]
	ds_load_2addr_b64 v[140:143], v2 offset0:95 offset1:96
	ds_load_2addr_b64 v[144:147], v2 offset0:97 offset1:98
	s_wait_dscnt 0x1
	v_fmac_f64_e32 v[162:163], v[160:161], v[140:141]
	scratch_load_b128 v[158:161], off, off offset:352
	s_wait_loadcnt 0x5
	v_fmac_f64_e32 v[162:163], v[128:129], v[142:143]
	s_wait_dscnt 0x0
	s_delay_alu instid0(VALU_DEP_1)
	v_fmac_f64_e32 v[162:163], v[130:131], v[144:145]
	scratch_load_b128 v[128:131], off, off offset:368
	s_wait_loadcnt 0x5
	v_fmac_f64_e32 v[162:163], v[154:155], v[146:147]
	ds_load_2addr_b64 v[140:143], v2 offset0:99 offset1:100
	ds_load_2addr_b64 v[144:147], v2 offset0:101 offset1:102
	scratch_load_b128 v[152:155], off, off offset:384
	s_wait_dscnt 0x1
	v_fmac_f64_e32 v[162:163], v[156:157], v[140:141]
	s_wait_loadcnt 0x5
	s_delay_alu instid0(VALU_DEP_1) | instskip(SKIP_1) | instid1(VALU_DEP_1)
	v_fmac_f64_e32 v[162:163], v[132:133], v[142:143]
	s_wait_dscnt 0x0
	v_fmac_f64_e32 v[162:163], v[134:135], v[144:145]
	scratch_load_b128 v[132:135], off, off offset:400
	s_wait_loadcnt 0x5
	v_fmac_f64_e32 v[162:163], v[148:149], v[146:147]
	ds_load_2addr_b64 v[140:143], v2 offset0:103 offset1:104
	ds_load_2addr_b64 v[144:147], v2 offset0:105 offset1:106
	s_wait_dscnt 0x1
	v_fmac_f64_e32 v[162:163], v[150:151], v[140:141]
	s_wait_loadcnt 0x4
	s_delay_alu instid0(VALU_DEP_1)
	v_fmac_f64_e32 v[162:163], v[136:137], v[142:143]
	scratch_load_b128 v[140:143], off, off offset:416
	s_wait_dscnt 0x0
	v_fmac_f64_e32 v[162:163], v[138:139], v[144:145]
	scratch_load_b128 v[136:139], off, off offset:432
	s_wait_loadcnt 0x5
	v_fmac_f64_e32 v[162:163], v[158:159], v[146:147]
	ds_load_2addr_b64 v[144:147], v2 offset0:107 offset1:108
	ds_load_2addr_b64 v[148:151], v2 offset0:109 offset1:110
	s_wait_dscnt 0x1
	v_fmac_f64_e32 v[162:163], v[160:161], v[144:145]
	s_wait_loadcnt 0x4
	s_delay_alu instid0(VALU_DEP_1)
	v_fmac_f64_e32 v[162:163], v[128:129], v[146:147]
	scratch_load_b128 v[144:147], off, off offset:448
	s_wait_dscnt 0x0
	v_fmac_f64_e32 v[162:163], v[130:131], v[148:149]
	scratch_load_b128 v[128:131], off, off offset:464
	s_wait_loadcnt 0x5
	v_fmac_f64_e32 v[162:163], v[152:153], v[150:151]
	ds_load_2addr_b64 v[148:151], v2 offset0:111 offset1:112
	ds_load_2addr_b64 v[156:159], v2 offset0:113 offset1:114
	scratch_load_b64 v[152:153], off, off offset:480
	s_wait_dscnt 0x1
	v_fmac_f64_e32 v[162:163], v[154:155], v[148:149]
	s_wait_loadcnt 0x5
	s_delay_alu instid0(VALU_DEP_1) | instskip(SKIP_1) | instid1(VALU_DEP_1)
	v_fmac_f64_e32 v[162:163], v[132:133], v[150:151]
	s_wait_dscnt 0x0
	v_fmac_f64_e32 v[162:163], v[134:135], v[156:157]
	ds_load_2addr_b64 v[132:135], v2 offset0:115 offset1:116
	ds_load_2addr_b64 v[148:151], v2 offset0:117 offset1:118
	s_wait_loadcnt 0x4
	v_fmac_f64_e32 v[162:163], v[140:141], v[158:159]
	s_wait_dscnt 0x1
	s_delay_alu instid0(VALU_DEP_1) | instskip(SKIP_1) | instid1(VALU_DEP_1)
	v_fmac_f64_e32 v[162:163], v[142:143], v[132:133]
	s_wait_loadcnt 0x3
	v_fmac_f64_e32 v[162:163], v[136:137], v[134:135]
	s_wait_dscnt 0x0
	s_delay_alu instid0(VALU_DEP_1)
	v_fmac_f64_e32 v[162:163], v[138:139], v[148:149]
	ds_load_2addr_b64 v[132:135], v2 offset0:119 offset1:120
	ds_load_2addr_b64 v[136:139], v2 offset0:121 offset1:122
	s_wait_loadcnt 0x2
	v_fmac_f64_e32 v[162:163], v[144:145], v[150:151]
	s_wait_dscnt 0x1
	s_delay_alu instid0(VALU_DEP_1) | instskip(SKIP_1) | instid1(VALU_DEP_1)
	v_fmac_f64_e32 v[162:163], v[146:147], v[132:133]
	s_wait_loadcnt 0x1
	v_fmac_f64_e32 v[162:163], v[128:129], v[134:135]
	s_wait_dscnt 0x0
	s_delay_alu instid0(VALU_DEP_1) | instskip(SKIP_1) | instid1(VALU_DEP_1)
	v_fmac_f64_e32 v[162:163], v[130:131], v[136:137]
	s_wait_loadcnt 0x0
	v_fmac_f64_e32 v[162:163], v[152:153], v[138:139]
	s_delay_alu instid0(VALU_DEP_1)
	v_add_f64_e64 v[2:3], v[126:127], -v[162:163]
	scratch_store_b64 off, v[2:3], off offset:64
	s_wait_xcnt 0x0
	v_cmpx_lt_u32_e32 7, v0
	s_cbranch_execz .LBB60_361
; %bb.360:
	scratch_load_b64 v[2:3], off, off offset:56
	v_mov_b64_e32 v[126:127], 0
	scratch_store_b64 off, v[126:127], off offset:56
	s_wait_loadcnt 0x0
	ds_store_b64 v1, v[2:3]
.LBB60_361:
	s_wait_xcnt 0x0
	s_or_b32 exec_lo, exec_lo, s0
	s_wait_storecnt_dscnt 0x0
	s_barrier_signal -1
	s_barrier_wait -1
	s_clause 0x5
	scratch_load_b128 v[126:129], off, off offset:56
	scratch_load_b128 v[130:133], off, off offset:72
	;; [unrolled: 1-line block ×6, first 2 shown]
	v_mov_b32_e32 v2, 0
	ds_load_b128 v[150:153], v2 offset:560
	ds_load_b128 v[154:157], v2 offset:576
	scratch_load_b128 v[158:161], off, off offset:152
	s_mov_b32 s0, exec_lo
	s_wait_loadcnt_dscnt 0x601
	v_fma_f64 v[162:163], v[128:129], v[150:151], 0
	s_wait_loadcnt 0x5
	s_delay_alu instid0(VALU_DEP_1) | instskip(SKIP_4) | instid1(VALU_DEP_1)
	v_fmac_f64_e32 v[162:163], v[130:131], v[152:153]
	scratch_load_b128 v[128:131], off, off offset:168
	s_wait_dscnt 0x0
	v_fmac_f64_e32 v[162:163], v[132:133], v[154:155]
	s_wait_loadcnt 0x5
	v_fmac_f64_e32 v[162:163], v[134:135], v[156:157]
	ds_load_b128 v[132:135], v2 offset:592
	ds_load_b128 v[150:153], v2 offset:608
	scratch_load_b128 v[154:157], off, off offset:184
	s_wait_dscnt 0x1
	v_fmac_f64_e32 v[162:163], v[136:137], v[132:133]
	s_wait_loadcnt 0x5
	s_delay_alu instid0(VALU_DEP_1) | instskip(SKIP_4) | instid1(VALU_DEP_1)
	v_fmac_f64_e32 v[162:163], v[138:139], v[134:135]
	scratch_load_b128 v[132:135], off, off offset:200
	s_wait_dscnt 0x0
	v_fmac_f64_e32 v[162:163], v[140:141], v[150:151]
	s_wait_loadcnt 0x5
	v_fmac_f64_e32 v[162:163], v[142:143], v[152:153]
	ds_load_b128 v[136:139], v2 offset:624
	ds_load_b128 v[140:143], v2 offset:640
	scratch_load_b128 v[150:153], off, off offset:216
	s_wait_dscnt 0x1
	v_fmac_f64_e32 v[162:163], v[144:145], v[136:137]
	s_wait_loadcnt 0x5
	s_delay_alu instid0(VALU_DEP_1) | instskip(SKIP_4) | instid1(VALU_DEP_1)
	v_fmac_f64_e32 v[162:163], v[146:147], v[138:139]
	scratch_load_b128 v[136:139], off, off offset:232
	s_wait_dscnt 0x0
	v_fmac_f64_e32 v[162:163], v[148:149], v[140:141]
	s_wait_loadcnt 0x5
	v_fmac_f64_e32 v[162:163], v[158:159], v[142:143]
	ds_load_b128 v[140:143], v2 offset:656
	ds_load_b128 v[144:147], v2 offset:672
	s_wait_dscnt 0x1
	v_fmac_f64_e32 v[162:163], v[160:161], v[140:141]
	scratch_load_b128 v[158:161], off, off offset:248
	s_wait_loadcnt 0x5
	v_fmac_f64_e32 v[162:163], v[128:129], v[142:143]
	s_wait_dscnt 0x0
	s_delay_alu instid0(VALU_DEP_1)
	v_fmac_f64_e32 v[162:163], v[130:131], v[144:145]
	scratch_load_b128 v[128:131], off, off offset:264
	s_wait_loadcnt 0x5
	v_fmac_f64_e32 v[162:163], v[154:155], v[146:147]
	ds_load_b128 v[140:143], v2 offset:688
	ds_load_b128 v[144:147], v2 offset:704
	s_wait_dscnt 0x1
	v_fmac_f64_e32 v[162:163], v[156:157], v[140:141]
	scratch_load_b128 v[154:157], off, off offset:280
	s_wait_loadcnt 0x5
	v_fmac_f64_e32 v[162:163], v[132:133], v[142:143]
	s_wait_dscnt 0x0
	s_delay_alu instid0(VALU_DEP_1)
	v_fmac_f64_e32 v[162:163], v[134:135], v[144:145]
	scratch_load_b128 v[132:135], off, off offset:296
	s_wait_loadcnt 0x5
	v_fmac_f64_e32 v[162:163], v[150:151], v[146:147]
	ds_load_b128 v[140:143], v2 offset:720
	ds_load_b128 v[144:147], v2 offset:736
	scratch_load_b128 v[148:151], off, off offset:312
	s_wait_dscnt 0x1
	v_fmac_f64_e32 v[162:163], v[152:153], v[140:141]
	s_wait_loadcnt 0x5
	s_delay_alu instid0(VALU_DEP_1) | instskip(SKIP_1) | instid1(VALU_DEP_1)
	v_fmac_f64_e32 v[162:163], v[136:137], v[142:143]
	s_wait_dscnt 0x0
	v_fmac_f64_e32 v[162:163], v[138:139], v[144:145]
	scratch_load_b128 v[136:139], off, off offset:328
	s_wait_loadcnt 0x5
	v_fmac_f64_e32 v[162:163], v[158:159], v[146:147]
	ds_load_b128 v[140:143], v2 offset:752
	ds_load_b128 v[144:147], v2 offset:768
	s_wait_dscnt 0x1
	v_fmac_f64_e32 v[162:163], v[160:161], v[140:141]
	scratch_load_b128 v[158:161], off, off offset:344
	s_wait_loadcnt 0x5
	v_fmac_f64_e32 v[162:163], v[128:129], v[142:143]
	s_wait_dscnt 0x0
	s_delay_alu instid0(VALU_DEP_1)
	v_fmac_f64_e32 v[162:163], v[130:131], v[144:145]
	scratch_load_b128 v[128:131], off, off offset:360
	s_wait_loadcnt 0x5
	v_fmac_f64_e32 v[162:163], v[154:155], v[146:147]
	ds_load_b128 v[140:143], v2 offset:784
	ds_load_b128 v[144:147], v2 offset:800
	scratch_load_b128 v[152:155], off, off offset:376
	s_wait_dscnt 0x1
	v_fmac_f64_e32 v[162:163], v[156:157], v[140:141]
	s_wait_loadcnt 0x5
	s_delay_alu instid0(VALU_DEP_1) | instskip(SKIP_1) | instid1(VALU_DEP_1)
	v_fmac_f64_e32 v[162:163], v[132:133], v[142:143]
	s_wait_dscnt 0x0
	v_fmac_f64_e32 v[162:163], v[134:135], v[144:145]
	scratch_load_b128 v[132:135], off, off offset:392
	s_wait_loadcnt 0x5
	v_fmac_f64_e32 v[162:163], v[148:149], v[146:147]
	ds_load_b128 v[140:143], v2 offset:816
	ds_load_b128 v[144:147], v2 offset:832
	s_wait_dscnt 0x1
	v_fmac_f64_e32 v[162:163], v[150:151], v[140:141]
	s_wait_loadcnt 0x4
	s_delay_alu instid0(VALU_DEP_1)
	v_fmac_f64_e32 v[162:163], v[136:137], v[142:143]
	scratch_load_b128 v[140:143], off, off offset:408
	s_wait_dscnt 0x0
	v_fmac_f64_e32 v[162:163], v[138:139], v[144:145]
	scratch_load_b128 v[136:139], off, off offset:424
	s_wait_loadcnt 0x5
	v_fmac_f64_e32 v[162:163], v[158:159], v[146:147]
	ds_load_b128 v[144:147], v2 offset:848
	ds_load_b128 v[148:151], v2 offset:864
	s_wait_dscnt 0x1
	v_fmac_f64_e32 v[162:163], v[160:161], v[144:145]
	s_wait_loadcnt 0x4
	s_delay_alu instid0(VALU_DEP_1)
	v_fmac_f64_e32 v[162:163], v[128:129], v[146:147]
	scratch_load_b128 v[144:147], off, off offset:440
	;; [unrolled: 13-line block ×3, first 2 shown]
	s_wait_dscnt 0x0
	v_fmac_f64_e32 v[162:163], v[134:135], v[156:157]
	ds_load_b128 v[132:135], v2 offset:912
	ds_load_b128 v[152:155], v2 offset:928
	s_wait_loadcnt 0x4
	v_fmac_f64_e32 v[162:163], v[140:141], v[158:159]
	s_wait_dscnt 0x1
	s_delay_alu instid0(VALU_DEP_1) | instskip(SKIP_1) | instid1(VALU_DEP_1)
	v_fmac_f64_e32 v[162:163], v[142:143], v[132:133]
	s_wait_loadcnt 0x3
	v_fmac_f64_e32 v[162:163], v[136:137], v[134:135]
	s_wait_dscnt 0x0
	s_delay_alu instid0(VALU_DEP_1)
	v_fmac_f64_e32 v[162:163], v[138:139], v[152:153]
	ds_load_b128 v[132:135], v2 offset:944
	ds_load_b128 v[136:139], v2 offset:960
	s_wait_loadcnt 0x2
	v_fmac_f64_e32 v[162:163], v[144:145], v[154:155]
	s_wait_dscnt 0x1
	s_delay_alu instid0(VALU_DEP_1) | instskip(SKIP_1) | instid1(VALU_DEP_1)
	v_fmac_f64_e32 v[162:163], v[146:147], v[132:133]
	s_wait_loadcnt 0x1
	v_fmac_f64_e32 v[162:163], v[128:129], v[134:135]
	ds_load_b64 v[128:129], v2 offset:976
	s_wait_dscnt 0x1
	v_fmac_f64_e32 v[162:163], v[130:131], v[136:137]
	s_wait_loadcnt 0x0
	s_delay_alu instid0(VALU_DEP_1) | instskip(SKIP_1) | instid1(VALU_DEP_1)
	v_fmac_f64_e32 v[162:163], v[148:149], v[138:139]
	s_wait_dscnt 0x0
	v_fmac_f64_e32 v[162:163], v[150:151], v[128:129]
	s_delay_alu instid0(VALU_DEP_1)
	v_add_f64_e64 v[126:127], v[126:127], -v[162:163]
	scratch_store_b64 off, v[126:127], off offset:56
	s_wait_xcnt 0x0
	v_cmpx_lt_u32_e32 6, v0
	s_cbranch_execz .LBB60_363
; %bb.362:
	scratch_load_b64 v[126:127], off, off offset:48
	v_mov_b64_e32 v[128:129], 0
	scratch_store_b64 off, v[128:129], off offset:48
	s_wait_loadcnt 0x0
	ds_store_b64 v1, v[126:127]
.LBB60_363:
	s_wait_xcnt 0x0
	s_or_b32 exec_lo, exec_lo, s0
	s_wait_storecnt_dscnt 0x0
	s_barrier_signal -1
	s_barrier_wait -1
	s_clause 0x5
	scratch_load_b128 v[126:129], off, off offset:48
	scratch_load_b128 v[130:133], off, off offset:64
	scratch_load_b128 v[134:137], off, off offset:80
	scratch_load_b128 v[138:141], off, off offset:96
	scratch_load_b128 v[142:145], off, off offset:112
	scratch_load_b128 v[146:149], off, off offset:128
	ds_load_2addr_b64 v[150:153], v2 offset0:69 offset1:70
	ds_load_2addr_b64 v[154:157], v2 offset0:71 offset1:72
	scratch_load_b128 v[158:161], off, off offset:144
	s_mov_b32 s0, exec_lo
	s_wait_loadcnt_dscnt 0x601
	v_fma_f64 v[162:163], v[128:129], v[150:151], 0
	s_wait_loadcnt 0x5
	s_delay_alu instid0(VALU_DEP_1) | instskip(SKIP_4) | instid1(VALU_DEP_1)
	v_fmac_f64_e32 v[162:163], v[130:131], v[152:153]
	scratch_load_b128 v[128:131], off, off offset:160
	s_wait_dscnt 0x0
	v_fmac_f64_e32 v[162:163], v[132:133], v[154:155]
	s_wait_loadcnt 0x5
	v_fmac_f64_e32 v[162:163], v[134:135], v[156:157]
	ds_load_2addr_b64 v[132:135], v2 offset0:73 offset1:74
	ds_load_2addr_b64 v[150:153], v2 offset0:75 offset1:76
	scratch_load_b128 v[154:157], off, off offset:176
	s_wait_dscnt 0x1
	v_fmac_f64_e32 v[162:163], v[136:137], v[132:133]
	s_wait_loadcnt 0x5
	s_delay_alu instid0(VALU_DEP_1) | instskip(SKIP_4) | instid1(VALU_DEP_1)
	v_fmac_f64_e32 v[162:163], v[138:139], v[134:135]
	scratch_load_b128 v[132:135], off, off offset:192
	s_wait_dscnt 0x0
	v_fmac_f64_e32 v[162:163], v[140:141], v[150:151]
	s_wait_loadcnt 0x5
	v_fmac_f64_e32 v[162:163], v[142:143], v[152:153]
	ds_load_2addr_b64 v[136:139], v2 offset0:77 offset1:78
	ds_load_2addr_b64 v[140:143], v2 offset0:79 offset1:80
	scratch_load_b128 v[150:153], off, off offset:208
	s_wait_dscnt 0x1
	v_fmac_f64_e32 v[162:163], v[144:145], v[136:137]
	s_wait_loadcnt 0x5
	s_delay_alu instid0(VALU_DEP_1) | instskip(SKIP_4) | instid1(VALU_DEP_1)
	v_fmac_f64_e32 v[162:163], v[146:147], v[138:139]
	scratch_load_b128 v[136:139], off, off offset:224
	s_wait_dscnt 0x0
	v_fmac_f64_e32 v[162:163], v[148:149], v[140:141]
	s_wait_loadcnt 0x5
	v_fmac_f64_e32 v[162:163], v[158:159], v[142:143]
	ds_load_2addr_b64 v[140:143], v2 offset0:81 offset1:82
	ds_load_2addr_b64 v[144:147], v2 offset0:83 offset1:84
	s_wait_dscnt 0x1
	v_fmac_f64_e32 v[162:163], v[160:161], v[140:141]
	scratch_load_b128 v[158:161], off, off offset:240
	s_wait_loadcnt 0x5
	v_fmac_f64_e32 v[162:163], v[128:129], v[142:143]
	s_wait_dscnt 0x0
	s_delay_alu instid0(VALU_DEP_1)
	v_fmac_f64_e32 v[162:163], v[130:131], v[144:145]
	scratch_load_b128 v[128:131], off, off offset:256
	s_wait_loadcnt 0x5
	v_fmac_f64_e32 v[162:163], v[154:155], v[146:147]
	ds_load_2addr_b64 v[140:143], v2 offset0:85 offset1:86
	ds_load_2addr_b64 v[144:147], v2 offset0:87 offset1:88
	s_wait_dscnt 0x1
	v_fmac_f64_e32 v[162:163], v[156:157], v[140:141]
	scratch_load_b128 v[154:157], off, off offset:272
	s_wait_loadcnt 0x5
	v_fmac_f64_e32 v[162:163], v[132:133], v[142:143]
	s_wait_dscnt 0x0
	s_delay_alu instid0(VALU_DEP_1)
	v_fmac_f64_e32 v[162:163], v[134:135], v[144:145]
	scratch_load_b128 v[132:135], off, off offset:288
	s_wait_loadcnt 0x5
	v_fmac_f64_e32 v[162:163], v[150:151], v[146:147]
	ds_load_2addr_b64 v[140:143], v2 offset0:89 offset1:90
	ds_load_2addr_b64 v[144:147], v2 offset0:91 offset1:92
	scratch_load_b128 v[148:151], off, off offset:304
	s_wait_dscnt 0x1
	v_fmac_f64_e32 v[162:163], v[152:153], v[140:141]
	s_wait_loadcnt 0x5
	s_delay_alu instid0(VALU_DEP_1) | instskip(SKIP_1) | instid1(VALU_DEP_1)
	v_fmac_f64_e32 v[162:163], v[136:137], v[142:143]
	s_wait_dscnt 0x0
	v_fmac_f64_e32 v[162:163], v[138:139], v[144:145]
	scratch_load_b128 v[136:139], off, off offset:320
	s_wait_loadcnt 0x5
	v_fmac_f64_e32 v[162:163], v[158:159], v[146:147]
	ds_load_2addr_b64 v[140:143], v2 offset0:93 offset1:94
	ds_load_2addr_b64 v[144:147], v2 offset0:95 offset1:96
	s_wait_dscnt 0x1
	v_fmac_f64_e32 v[162:163], v[160:161], v[140:141]
	scratch_load_b128 v[158:161], off, off offset:336
	s_wait_loadcnt 0x5
	v_fmac_f64_e32 v[162:163], v[128:129], v[142:143]
	s_wait_dscnt 0x0
	s_delay_alu instid0(VALU_DEP_1)
	v_fmac_f64_e32 v[162:163], v[130:131], v[144:145]
	scratch_load_b128 v[128:131], off, off offset:352
	s_wait_loadcnt 0x5
	v_fmac_f64_e32 v[162:163], v[154:155], v[146:147]
	ds_load_2addr_b64 v[140:143], v2 offset0:97 offset1:98
	ds_load_2addr_b64 v[144:147], v2 offset0:99 offset1:100
	scratch_load_b128 v[152:155], off, off offset:368
	s_wait_dscnt 0x1
	v_fmac_f64_e32 v[162:163], v[156:157], v[140:141]
	s_wait_loadcnt 0x5
	s_delay_alu instid0(VALU_DEP_1) | instskip(SKIP_1) | instid1(VALU_DEP_1)
	v_fmac_f64_e32 v[162:163], v[132:133], v[142:143]
	s_wait_dscnt 0x0
	v_fmac_f64_e32 v[162:163], v[134:135], v[144:145]
	scratch_load_b128 v[132:135], off, off offset:384
	s_wait_loadcnt 0x5
	v_fmac_f64_e32 v[162:163], v[148:149], v[146:147]
	ds_load_2addr_b64 v[140:143], v2 offset0:101 offset1:102
	ds_load_2addr_b64 v[144:147], v2 offset0:103 offset1:104
	s_wait_dscnt 0x1
	v_fmac_f64_e32 v[162:163], v[150:151], v[140:141]
	scratch_load_b128 v[148:151], off, off offset:400
	s_wait_loadcnt 0x5
	v_fmac_f64_e32 v[162:163], v[136:137], v[142:143]
	s_wait_dscnt 0x0
	s_delay_alu instid0(VALU_DEP_1)
	v_fmac_f64_e32 v[162:163], v[138:139], v[144:145]
	scratch_load_b128 v[136:139], off, off offset:416
	s_wait_loadcnt 0x5
	v_fmac_f64_e32 v[162:163], v[158:159], v[146:147]
	ds_load_2addr_b64 v[140:143], v2 offset0:105 offset1:106
	ds_load_2addr_b64 v[144:147], v2 offset0:107 offset1:108
	s_wait_dscnt 0x1
	v_fmac_f64_e32 v[162:163], v[160:161], v[140:141]
	s_wait_loadcnt 0x4
	s_delay_alu instid0(VALU_DEP_1)
	v_fmac_f64_e32 v[162:163], v[128:129], v[142:143]
	scratch_load_b128 v[140:143], off, off offset:432
	s_wait_dscnt 0x0
	v_fmac_f64_e32 v[162:163], v[130:131], v[144:145]
	scratch_load_b128 v[128:131], off, off offset:448
	s_wait_loadcnt 0x5
	v_fmac_f64_e32 v[162:163], v[152:153], v[146:147]
	ds_load_2addr_b64 v[144:147], v2 offset0:109 offset1:110
	ds_load_2addr_b64 v[156:159], v2 offset0:111 offset1:112
	s_wait_dscnt 0x1
	v_fmac_f64_e32 v[162:163], v[154:155], v[144:145]
	s_wait_loadcnt 0x4
	s_delay_alu instid0(VALU_DEP_1) | instskip(SKIP_4) | instid1(VALU_DEP_1)
	v_fmac_f64_e32 v[162:163], v[132:133], v[146:147]
	scratch_load_b128 v[144:147], off, off offset:464
	s_wait_dscnt 0x0
	v_fmac_f64_e32 v[162:163], v[134:135], v[156:157]
	s_wait_loadcnt 0x4
	v_fmac_f64_e32 v[162:163], v[148:149], v[158:159]
	scratch_load_b64 v[148:149], off, off offset:480
	ds_load_2addr_b64 v[132:135], v2 offset0:113 offset1:114
	ds_load_2addr_b64 v[152:155], v2 offset0:115 offset1:116
	s_wait_dscnt 0x1
	v_fmac_f64_e32 v[162:163], v[150:151], v[132:133]
	s_wait_loadcnt 0x4
	s_delay_alu instid0(VALU_DEP_1) | instskip(SKIP_1) | instid1(VALU_DEP_1)
	v_fmac_f64_e32 v[162:163], v[136:137], v[134:135]
	s_wait_dscnt 0x0
	v_fmac_f64_e32 v[162:163], v[138:139], v[152:153]
	ds_load_2addr_b64 v[132:135], v2 offset0:117 offset1:118
	ds_load_2addr_b64 v[136:139], v2 offset0:119 offset1:120
	s_wait_loadcnt 0x3
	v_fmac_f64_e32 v[162:163], v[140:141], v[154:155]
	s_wait_dscnt 0x1
	s_delay_alu instid0(VALU_DEP_1) | instskip(SKIP_1) | instid1(VALU_DEP_1)
	v_fmac_f64_e32 v[162:163], v[142:143], v[132:133]
	s_wait_loadcnt 0x2
	v_fmac_f64_e32 v[162:163], v[128:129], v[134:135]
	s_wait_dscnt 0x0
	s_delay_alu instid0(VALU_DEP_1) | instskip(SKIP_4) | instid1(VALU_DEP_1)
	v_fmac_f64_e32 v[162:163], v[130:131], v[136:137]
	ds_load_2addr_b64 v[128:131], v2 offset0:121 offset1:122
	s_wait_loadcnt 0x1
	v_fmac_f64_e32 v[162:163], v[144:145], v[138:139]
	s_wait_dscnt 0x0
	v_fmac_f64_e32 v[162:163], v[146:147], v[128:129]
	s_wait_loadcnt 0x0
	s_delay_alu instid0(VALU_DEP_1) | instskip(NEXT) | instid1(VALU_DEP_1)
	v_fmac_f64_e32 v[162:163], v[148:149], v[130:131]
	v_add_f64_e64 v[2:3], v[126:127], -v[162:163]
	scratch_store_b64 off, v[2:3], off offset:48
	s_wait_xcnt 0x0
	v_cmpx_lt_u32_e32 5, v0
	s_cbranch_execz .LBB60_365
; %bb.364:
	scratch_load_b64 v[2:3], off, off offset:40
	v_mov_b64_e32 v[126:127], 0
	scratch_store_b64 off, v[126:127], off offset:40
	s_wait_loadcnt 0x0
	ds_store_b64 v1, v[2:3]
.LBB60_365:
	s_wait_xcnt 0x0
	s_or_b32 exec_lo, exec_lo, s0
	s_wait_storecnt_dscnt 0x0
	s_barrier_signal -1
	s_barrier_wait -1
	s_clause 0x5
	scratch_load_b128 v[126:129], off, off offset:40
	scratch_load_b128 v[130:133], off, off offset:56
	;; [unrolled: 1-line block ×6, first 2 shown]
	v_mov_b32_e32 v2, 0
	ds_load_b128 v[150:153], v2 offset:544
	ds_load_b128 v[154:157], v2 offset:560
	scratch_load_b128 v[158:161], off, off offset:136
	s_mov_b32 s0, exec_lo
	s_wait_loadcnt_dscnt 0x601
	v_fma_f64 v[162:163], v[128:129], v[150:151], 0
	s_wait_loadcnt 0x5
	s_delay_alu instid0(VALU_DEP_1) | instskip(SKIP_4) | instid1(VALU_DEP_1)
	v_fmac_f64_e32 v[162:163], v[130:131], v[152:153]
	scratch_load_b128 v[128:131], off, off offset:152
	s_wait_dscnt 0x0
	v_fmac_f64_e32 v[162:163], v[132:133], v[154:155]
	s_wait_loadcnt 0x5
	v_fmac_f64_e32 v[162:163], v[134:135], v[156:157]
	ds_load_b128 v[132:135], v2 offset:576
	ds_load_b128 v[150:153], v2 offset:592
	scratch_load_b128 v[154:157], off, off offset:168
	s_wait_dscnt 0x1
	v_fmac_f64_e32 v[162:163], v[136:137], v[132:133]
	s_wait_loadcnt 0x5
	s_delay_alu instid0(VALU_DEP_1) | instskip(SKIP_4) | instid1(VALU_DEP_1)
	v_fmac_f64_e32 v[162:163], v[138:139], v[134:135]
	scratch_load_b128 v[132:135], off, off offset:184
	s_wait_dscnt 0x0
	v_fmac_f64_e32 v[162:163], v[140:141], v[150:151]
	s_wait_loadcnt 0x5
	v_fmac_f64_e32 v[162:163], v[142:143], v[152:153]
	ds_load_b128 v[136:139], v2 offset:608
	ds_load_b128 v[140:143], v2 offset:624
	scratch_load_b128 v[150:153], off, off offset:200
	s_wait_dscnt 0x1
	v_fmac_f64_e32 v[162:163], v[144:145], v[136:137]
	s_wait_loadcnt 0x5
	s_delay_alu instid0(VALU_DEP_1) | instskip(SKIP_4) | instid1(VALU_DEP_1)
	v_fmac_f64_e32 v[162:163], v[146:147], v[138:139]
	scratch_load_b128 v[136:139], off, off offset:216
	s_wait_dscnt 0x0
	v_fmac_f64_e32 v[162:163], v[148:149], v[140:141]
	s_wait_loadcnt 0x5
	v_fmac_f64_e32 v[162:163], v[158:159], v[142:143]
	ds_load_b128 v[140:143], v2 offset:640
	ds_load_b128 v[144:147], v2 offset:656
	s_wait_dscnt 0x1
	v_fmac_f64_e32 v[162:163], v[160:161], v[140:141]
	scratch_load_b128 v[158:161], off, off offset:232
	s_wait_loadcnt 0x5
	v_fmac_f64_e32 v[162:163], v[128:129], v[142:143]
	s_wait_dscnt 0x0
	s_delay_alu instid0(VALU_DEP_1)
	v_fmac_f64_e32 v[162:163], v[130:131], v[144:145]
	scratch_load_b128 v[128:131], off, off offset:248
	s_wait_loadcnt 0x5
	v_fmac_f64_e32 v[162:163], v[154:155], v[146:147]
	ds_load_b128 v[140:143], v2 offset:672
	ds_load_b128 v[144:147], v2 offset:688
	s_wait_dscnt 0x1
	v_fmac_f64_e32 v[162:163], v[156:157], v[140:141]
	scratch_load_b128 v[154:157], off, off offset:264
	s_wait_loadcnt 0x5
	v_fmac_f64_e32 v[162:163], v[132:133], v[142:143]
	s_wait_dscnt 0x0
	s_delay_alu instid0(VALU_DEP_1)
	v_fmac_f64_e32 v[162:163], v[134:135], v[144:145]
	scratch_load_b128 v[132:135], off, off offset:280
	s_wait_loadcnt 0x5
	v_fmac_f64_e32 v[162:163], v[150:151], v[146:147]
	ds_load_b128 v[140:143], v2 offset:704
	ds_load_b128 v[144:147], v2 offset:720
	scratch_load_b128 v[148:151], off, off offset:296
	s_wait_dscnt 0x1
	v_fmac_f64_e32 v[162:163], v[152:153], v[140:141]
	s_wait_loadcnt 0x5
	s_delay_alu instid0(VALU_DEP_1) | instskip(SKIP_1) | instid1(VALU_DEP_1)
	v_fmac_f64_e32 v[162:163], v[136:137], v[142:143]
	s_wait_dscnt 0x0
	v_fmac_f64_e32 v[162:163], v[138:139], v[144:145]
	scratch_load_b128 v[136:139], off, off offset:312
	s_wait_loadcnt 0x5
	v_fmac_f64_e32 v[162:163], v[158:159], v[146:147]
	ds_load_b128 v[140:143], v2 offset:736
	ds_load_b128 v[144:147], v2 offset:752
	s_wait_dscnt 0x1
	v_fmac_f64_e32 v[162:163], v[160:161], v[140:141]
	scratch_load_b128 v[158:161], off, off offset:328
	s_wait_loadcnt 0x5
	v_fmac_f64_e32 v[162:163], v[128:129], v[142:143]
	s_wait_dscnt 0x0
	s_delay_alu instid0(VALU_DEP_1)
	v_fmac_f64_e32 v[162:163], v[130:131], v[144:145]
	scratch_load_b128 v[128:131], off, off offset:344
	s_wait_loadcnt 0x5
	v_fmac_f64_e32 v[162:163], v[154:155], v[146:147]
	ds_load_b128 v[140:143], v2 offset:768
	ds_load_b128 v[144:147], v2 offset:784
	scratch_load_b128 v[152:155], off, off offset:360
	s_wait_dscnt 0x1
	v_fmac_f64_e32 v[162:163], v[156:157], v[140:141]
	s_wait_loadcnt 0x5
	s_delay_alu instid0(VALU_DEP_1) | instskip(SKIP_1) | instid1(VALU_DEP_1)
	v_fmac_f64_e32 v[162:163], v[132:133], v[142:143]
	s_wait_dscnt 0x0
	v_fmac_f64_e32 v[162:163], v[134:135], v[144:145]
	scratch_load_b128 v[132:135], off, off offset:376
	s_wait_loadcnt 0x5
	v_fmac_f64_e32 v[162:163], v[148:149], v[146:147]
	ds_load_b128 v[140:143], v2 offset:800
	ds_load_b128 v[144:147], v2 offset:816
	s_wait_dscnt 0x1
	v_fmac_f64_e32 v[162:163], v[150:151], v[140:141]
	scratch_load_b128 v[148:151], off, off offset:392
	s_wait_loadcnt 0x5
	v_fmac_f64_e32 v[162:163], v[136:137], v[142:143]
	s_wait_dscnt 0x0
	s_delay_alu instid0(VALU_DEP_1)
	v_fmac_f64_e32 v[162:163], v[138:139], v[144:145]
	scratch_load_b128 v[136:139], off, off offset:408
	s_wait_loadcnt 0x5
	v_fmac_f64_e32 v[162:163], v[158:159], v[146:147]
	ds_load_b128 v[140:143], v2 offset:832
	ds_load_b128 v[144:147], v2 offset:848
	s_wait_dscnt 0x1
	v_fmac_f64_e32 v[162:163], v[160:161], v[140:141]
	s_wait_loadcnt 0x4
	s_delay_alu instid0(VALU_DEP_1)
	v_fmac_f64_e32 v[162:163], v[128:129], v[142:143]
	scratch_load_b128 v[140:143], off, off offset:424
	s_wait_dscnt 0x0
	v_fmac_f64_e32 v[162:163], v[130:131], v[144:145]
	scratch_load_b128 v[128:131], off, off offset:440
	s_wait_loadcnt 0x5
	v_fmac_f64_e32 v[162:163], v[152:153], v[146:147]
	ds_load_b128 v[144:147], v2 offset:864
	ds_load_b128 v[156:159], v2 offset:880
	s_wait_dscnt 0x1
	v_fmac_f64_e32 v[162:163], v[154:155], v[144:145]
	s_wait_loadcnt 0x4
	s_delay_alu instid0(VALU_DEP_1)
	v_fmac_f64_e32 v[162:163], v[132:133], v[146:147]
	scratch_load_b128 v[144:147], off, off offset:456
	s_wait_dscnt 0x0
	v_fmac_f64_e32 v[162:163], v[134:135], v[156:157]
	scratch_load_b128 v[132:135], off, off offset:472
	s_wait_loadcnt 0x5
	v_fmac_f64_e32 v[162:163], v[148:149], v[158:159]
	ds_load_b128 v[152:155], v2 offset:896
	ds_load_b128 v[156:159], v2 offset:912
	s_wait_dscnt 0x1
	v_fmac_f64_e32 v[162:163], v[150:151], v[152:153]
	s_wait_loadcnt 0x4
	s_delay_alu instid0(VALU_DEP_1) | instskip(SKIP_1) | instid1(VALU_DEP_1)
	v_fmac_f64_e32 v[162:163], v[136:137], v[154:155]
	s_wait_dscnt 0x0
	v_fmac_f64_e32 v[162:163], v[138:139], v[156:157]
	ds_load_b128 v[136:139], v2 offset:928
	ds_load_b128 v[148:151], v2 offset:944
	s_wait_loadcnt 0x3
	v_fmac_f64_e32 v[162:163], v[140:141], v[158:159]
	s_wait_dscnt 0x1
	s_delay_alu instid0(VALU_DEP_1) | instskip(SKIP_1) | instid1(VALU_DEP_1)
	v_fmac_f64_e32 v[162:163], v[142:143], v[136:137]
	s_wait_loadcnt 0x2
	v_fmac_f64_e32 v[162:163], v[128:129], v[138:139]
	s_wait_dscnt 0x0
	s_delay_alu instid0(VALU_DEP_1)
	v_fmac_f64_e32 v[162:163], v[130:131], v[148:149]
	ds_load_b128 v[128:131], v2 offset:960
	ds_load_b64 v[136:137], v2 offset:976
	s_wait_loadcnt 0x1
	v_fmac_f64_e32 v[162:163], v[144:145], v[150:151]
	s_wait_dscnt 0x1
	s_delay_alu instid0(VALU_DEP_1) | instskip(SKIP_1) | instid1(VALU_DEP_1)
	v_fmac_f64_e32 v[162:163], v[146:147], v[128:129]
	s_wait_loadcnt 0x0
	v_fmac_f64_e32 v[162:163], v[132:133], v[130:131]
	s_wait_dscnt 0x0
	s_delay_alu instid0(VALU_DEP_1) | instskip(NEXT) | instid1(VALU_DEP_1)
	v_fmac_f64_e32 v[162:163], v[134:135], v[136:137]
	v_add_f64_e64 v[126:127], v[126:127], -v[162:163]
	scratch_store_b64 off, v[126:127], off offset:40
	s_wait_xcnt 0x0
	v_cmpx_lt_u32_e32 4, v0
	s_cbranch_execz .LBB60_367
; %bb.366:
	scratch_load_b64 v[126:127], off, off offset:32
	v_mov_b64_e32 v[128:129], 0
	scratch_store_b64 off, v[128:129], off offset:32
	s_wait_loadcnt 0x0
	ds_store_b64 v1, v[126:127]
.LBB60_367:
	s_wait_xcnt 0x0
	s_or_b32 exec_lo, exec_lo, s0
	s_wait_storecnt_dscnt 0x0
	s_barrier_signal -1
	s_barrier_wait -1
	s_clause 0x5
	scratch_load_b128 v[126:129], off, off offset:32
	scratch_load_b128 v[130:133], off, off offset:48
	;; [unrolled: 1-line block ×6, first 2 shown]
	ds_load_2addr_b64 v[150:153], v2 offset0:67 offset1:68
	ds_load_2addr_b64 v[154:157], v2 offset0:69 offset1:70
	scratch_load_b128 v[158:161], off, off offset:128
	s_mov_b32 s0, exec_lo
	s_wait_loadcnt_dscnt 0x601
	v_fma_f64 v[162:163], v[128:129], v[150:151], 0
	s_wait_loadcnt 0x5
	s_delay_alu instid0(VALU_DEP_1) | instskip(SKIP_4) | instid1(VALU_DEP_1)
	v_fmac_f64_e32 v[162:163], v[130:131], v[152:153]
	scratch_load_b128 v[128:131], off, off offset:144
	s_wait_dscnt 0x0
	v_fmac_f64_e32 v[162:163], v[132:133], v[154:155]
	s_wait_loadcnt 0x5
	v_fmac_f64_e32 v[162:163], v[134:135], v[156:157]
	ds_load_2addr_b64 v[132:135], v2 offset0:71 offset1:72
	ds_load_2addr_b64 v[150:153], v2 offset0:73 offset1:74
	scratch_load_b128 v[154:157], off, off offset:160
	s_wait_dscnt 0x1
	v_fmac_f64_e32 v[162:163], v[136:137], v[132:133]
	s_wait_loadcnt 0x5
	s_delay_alu instid0(VALU_DEP_1) | instskip(SKIP_4) | instid1(VALU_DEP_1)
	v_fmac_f64_e32 v[162:163], v[138:139], v[134:135]
	scratch_load_b128 v[132:135], off, off offset:176
	s_wait_dscnt 0x0
	v_fmac_f64_e32 v[162:163], v[140:141], v[150:151]
	s_wait_loadcnt 0x5
	v_fmac_f64_e32 v[162:163], v[142:143], v[152:153]
	ds_load_2addr_b64 v[136:139], v2 offset0:75 offset1:76
	ds_load_2addr_b64 v[140:143], v2 offset0:77 offset1:78
	scratch_load_b128 v[150:153], off, off offset:192
	s_wait_dscnt 0x1
	v_fmac_f64_e32 v[162:163], v[144:145], v[136:137]
	s_wait_loadcnt 0x5
	s_delay_alu instid0(VALU_DEP_1) | instskip(SKIP_4) | instid1(VALU_DEP_1)
	v_fmac_f64_e32 v[162:163], v[146:147], v[138:139]
	scratch_load_b128 v[136:139], off, off offset:208
	s_wait_dscnt 0x0
	v_fmac_f64_e32 v[162:163], v[148:149], v[140:141]
	s_wait_loadcnt 0x5
	v_fmac_f64_e32 v[162:163], v[158:159], v[142:143]
	ds_load_2addr_b64 v[140:143], v2 offset0:79 offset1:80
	ds_load_2addr_b64 v[144:147], v2 offset0:81 offset1:82
	s_wait_dscnt 0x1
	v_fmac_f64_e32 v[162:163], v[160:161], v[140:141]
	scratch_load_b128 v[158:161], off, off offset:224
	s_wait_loadcnt 0x5
	v_fmac_f64_e32 v[162:163], v[128:129], v[142:143]
	s_wait_dscnt 0x0
	s_delay_alu instid0(VALU_DEP_1)
	v_fmac_f64_e32 v[162:163], v[130:131], v[144:145]
	scratch_load_b128 v[128:131], off, off offset:240
	s_wait_loadcnt 0x5
	v_fmac_f64_e32 v[162:163], v[154:155], v[146:147]
	ds_load_2addr_b64 v[140:143], v2 offset0:83 offset1:84
	ds_load_2addr_b64 v[144:147], v2 offset0:85 offset1:86
	s_wait_dscnt 0x1
	v_fmac_f64_e32 v[162:163], v[156:157], v[140:141]
	scratch_load_b128 v[154:157], off, off offset:256
	s_wait_loadcnt 0x5
	v_fmac_f64_e32 v[162:163], v[132:133], v[142:143]
	s_wait_dscnt 0x0
	s_delay_alu instid0(VALU_DEP_1)
	v_fmac_f64_e32 v[162:163], v[134:135], v[144:145]
	scratch_load_b128 v[132:135], off, off offset:272
	s_wait_loadcnt 0x5
	v_fmac_f64_e32 v[162:163], v[150:151], v[146:147]
	ds_load_2addr_b64 v[140:143], v2 offset0:87 offset1:88
	ds_load_2addr_b64 v[144:147], v2 offset0:89 offset1:90
	scratch_load_b128 v[148:151], off, off offset:288
	s_wait_dscnt 0x1
	v_fmac_f64_e32 v[162:163], v[152:153], v[140:141]
	s_wait_loadcnt 0x5
	s_delay_alu instid0(VALU_DEP_1) | instskip(SKIP_1) | instid1(VALU_DEP_1)
	v_fmac_f64_e32 v[162:163], v[136:137], v[142:143]
	s_wait_dscnt 0x0
	v_fmac_f64_e32 v[162:163], v[138:139], v[144:145]
	scratch_load_b128 v[136:139], off, off offset:304
	s_wait_loadcnt 0x5
	v_fmac_f64_e32 v[162:163], v[158:159], v[146:147]
	ds_load_2addr_b64 v[140:143], v2 offset0:91 offset1:92
	ds_load_2addr_b64 v[144:147], v2 offset0:93 offset1:94
	s_wait_dscnt 0x1
	v_fmac_f64_e32 v[162:163], v[160:161], v[140:141]
	scratch_load_b128 v[158:161], off, off offset:320
	s_wait_loadcnt 0x5
	v_fmac_f64_e32 v[162:163], v[128:129], v[142:143]
	s_wait_dscnt 0x0
	s_delay_alu instid0(VALU_DEP_1)
	v_fmac_f64_e32 v[162:163], v[130:131], v[144:145]
	scratch_load_b128 v[128:131], off, off offset:336
	s_wait_loadcnt 0x5
	v_fmac_f64_e32 v[162:163], v[154:155], v[146:147]
	ds_load_2addr_b64 v[140:143], v2 offset0:95 offset1:96
	ds_load_2addr_b64 v[144:147], v2 offset0:97 offset1:98
	scratch_load_b128 v[152:155], off, off offset:352
	s_wait_dscnt 0x1
	v_fmac_f64_e32 v[162:163], v[156:157], v[140:141]
	s_wait_loadcnt 0x5
	s_delay_alu instid0(VALU_DEP_1) | instskip(SKIP_1) | instid1(VALU_DEP_1)
	v_fmac_f64_e32 v[162:163], v[132:133], v[142:143]
	s_wait_dscnt 0x0
	v_fmac_f64_e32 v[162:163], v[134:135], v[144:145]
	scratch_load_b128 v[132:135], off, off offset:368
	s_wait_loadcnt 0x5
	v_fmac_f64_e32 v[162:163], v[148:149], v[146:147]
	ds_load_2addr_b64 v[140:143], v2 offset0:99 offset1:100
	ds_load_2addr_b64 v[144:147], v2 offset0:101 offset1:102
	s_wait_dscnt 0x1
	v_fmac_f64_e32 v[162:163], v[150:151], v[140:141]
	scratch_load_b128 v[148:151], off, off offset:384
	s_wait_loadcnt 0x5
	v_fmac_f64_e32 v[162:163], v[136:137], v[142:143]
	s_wait_dscnt 0x0
	s_delay_alu instid0(VALU_DEP_1)
	v_fmac_f64_e32 v[162:163], v[138:139], v[144:145]
	scratch_load_b128 v[136:139], off, off offset:400
	s_wait_loadcnt 0x5
	v_fmac_f64_e32 v[162:163], v[158:159], v[146:147]
	ds_load_2addr_b64 v[140:143], v2 offset0:103 offset1:104
	ds_load_2addr_b64 v[144:147], v2 offset0:105 offset1:106
	s_wait_dscnt 0x1
	v_fmac_f64_e32 v[162:163], v[160:161], v[140:141]
	s_wait_loadcnt 0x4
	s_delay_alu instid0(VALU_DEP_1)
	v_fmac_f64_e32 v[162:163], v[128:129], v[142:143]
	scratch_load_b128 v[140:143], off, off offset:416
	s_wait_dscnt 0x0
	v_fmac_f64_e32 v[162:163], v[130:131], v[144:145]
	scratch_load_b128 v[128:131], off, off offset:432
	s_wait_loadcnt 0x5
	v_fmac_f64_e32 v[162:163], v[152:153], v[146:147]
	ds_load_2addr_b64 v[144:147], v2 offset0:107 offset1:108
	ds_load_2addr_b64 v[156:159], v2 offset0:109 offset1:110
	s_wait_dscnt 0x1
	v_fmac_f64_e32 v[162:163], v[154:155], v[144:145]
	s_wait_loadcnt 0x4
	s_delay_alu instid0(VALU_DEP_1)
	v_fmac_f64_e32 v[162:163], v[132:133], v[146:147]
	scratch_load_b128 v[144:147], off, off offset:448
	s_wait_dscnt 0x0
	v_fmac_f64_e32 v[162:163], v[134:135], v[156:157]
	scratch_load_b128 v[132:135], off, off offset:464
	s_wait_loadcnt 0x5
	v_fmac_f64_e32 v[162:163], v[148:149], v[158:159]
	ds_load_2addr_b64 v[152:155], v2 offset0:111 offset1:112
	ds_load_2addr_b64 v[156:159], v2 offset0:113 offset1:114
	s_wait_dscnt 0x1
	v_fmac_f64_e32 v[162:163], v[150:151], v[152:153]
	scratch_load_b64 v[152:153], off, off offset:480
	s_wait_loadcnt 0x5
	v_fmac_f64_e32 v[162:163], v[136:137], v[154:155]
	s_wait_dscnt 0x0
	s_delay_alu instid0(VALU_DEP_1)
	v_fmac_f64_e32 v[162:163], v[138:139], v[156:157]
	ds_load_2addr_b64 v[136:139], v2 offset0:115 offset1:116
	ds_load_2addr_b64 v[148:151], v2 offset0:117 offset1:118
	s_wait_loadcnt 0x4
	v_fmac_f64_e32 v[162:163], v[140:141], v[158:159]
	s_wait_dscnt 0x1
	s_delay_alu instid0(VALU_DEP_1) | instskip(SKIP_1) | instid1(VALU_DEP_1)
	v_fmac_f64_e32 v[162:163], v[142:143], v[136:137]
	s_wait_loadcnt 0x3
	v_fmac_f64_e32 v[162:163], v[128:129], v[138:139]
	s_wait_dscnt 0x0
	s_delay_alu instid0(VALU_DEP_1)
	v_fmac_f64_e32 v[162:163], v[130:131], v[148:149]
	ds_load_2addr_b64 v[128:131], v2 offset0:119 offset1:120
	ds_load_2addr_b64 v[136:139], v2 offset0:121 offset1:122
	s_wait_loadcnt 0x2
	v_fmac_f64_e32 v[162:163], v[144:145], v[150:151]
	s_wait_dscnt 0x1
	s_delay_alu instid0(VALU_DEP_1) | instskip(SKIP_1) | instid1(VALU_DEP_1)
	v_fmac_f64_e32 v[162:163], v[146:147], v[128:129]
	s_wait_loadcnt 0x1
	v_fmac_f64_e32 v[162:163], v[132:133], v[130:131]
	s_wait_dscnt 0x0
	s_delay_alu instid0(VALU_DEP_1) | instskip(SKIP_1) | instid1(VALU_DEP_1)
	v_fmac_f64_e32 v[162:163], v[134:135], v[136:137]
	s_wait_loadcnt 0x0
	v_fmac_f64_e32 v[162:163], v[152:153], v[138:139]
	s_delay_alu instid0(VALU_DEP_1)
	v_add_f64_e64 v[2:3], v[126:127], -v[162:163]
	scratch_store_b64 off, v[2:3], off offset:32
	s_wait_xcnt 0x0
	v_cmpx_lt_u32_e32 3, v0
	s_cbranch_execz .LBB60_369
; %bb.368:
	scratch_load_b64 v[2:3], off, off offset:24
	v_mov_b64_e32 v[126:127], 0
	scratch_store_b64 off, v[126:127], off offset:24
	s_wait_loadcnt 0x0
	ds_store_b64 v1, v[2:3]
.LBB60_369:
	s_wait_xcnt 0x0
	s_or_b32 exec_lo, exec_lo, s0
	s_wait_storecnt_dscnt 0x0
	s_barrier_signal -1
	s_barrier_wait -1
	s_clause 0x5
	scratch_load_b128 v[126:129], off, off offset:24
	scratch_load_b128 v[130:133], off, off offset:40
	;; [unrolled: 1-line block ×6, first 2 shown]
	v_mov_b32_e32 v2, 0
	ds_load_b128 v[150:153], v2 offset:528
	ds_load_b128 v[154:157], v2 offset:544
	scratch_load_b128 v[158:161], off, off offset:120
	s_mov_b32 s0, exec_lo
	s_wait_loadcnt_dscnt 0x601
	v_fma_f64 v[162:163], v[128:129], v[150:151], 0
	s_wait_loadcnt 0x5
	s_delay_alu instid0(VALU_DEP_1) | instskip(SKIP_4) | instid1(VALU_DEP_1)
	v_fmac_f64_e32 v[162:163], v[130:131], v[152:153]
	scratch_load_b128 v[128:131], off, off offset:136
	s_wait_dscnt 0x0
	v_fmac_f64_e32 v[162:163], v[132:133], v[154:155]
	s_wait_loadcnt 0x5
	v_fmac_f64_e32 v[162:163], v[134:135], v[156:157]
	ds_load_b128 v[132:135], v2 offset:560
	ds_load_b128 v[150:153], v2 offset:576
	scratch_load_b128 v[154:157], off, off offset:152
	s_wait_dscnt 0x1
	v_fmac_f64_e32 v[162:163], v[136:137], v[132:133]
	s_wait_loadcnt 0x5
	s_delay_alu instid0(VALU_DEP_1) | instskip(SKIP_4) | instid1(VALU_DEP_1)
	v_fmac_f64_e32 v[162:163], v[138:139], v[134:135]
	scratch_load_b128 v[132:135], off, off offset:168
	s_wait_dscnt 0x0
	v_fmac_f64_e32 v[162:163], v[140:141], v[150:151]
	s_wait_loadcnt 0x5
	v_fmac_f64_e32 v[162:163], v[142:143], v[152:153]
	ds_load_b128 v[136:139], v2 offset:592
	ds_load_b128 v[140:143], v2 offset:608
	scratch_load_b128 v[150:153], off, off offset:184
	s_wait_dscnt 0x1
	v_fmac_f64_e32 v[162:163], v[144:145], v[136:137]
	s_wait_loadcnt 0x5
	s_delay_alu instid0(VALU_DEP_1) | instskip(SKIP_4) | instid1(VALU_DEP_1)
	v_fmac_f64_e32 v[162:163], v[146:147], v[138:139]
	scratch_load_b128 v[136:139], off, off offset:200
	s_wait_dscnt 0x0
	v_fmac_f64_e32 v[162:163], v[148:149], v[140:141]
	s_wait_loadcnt 0x5
	v_fmac_f64_e32 v[162:163], v[158:159], v[142:143]
	ds_load_b128 v[140:143], v2 offset:624
	ds_load_b128 v[144:147], v2 offset:640
	s_wait_dscnt 0x1
	v_fmac_f64_e32 v[162:163], v[160:161], v[140:141]
	scratch_load_b128 v[158:161], off, off offset:216
	s_wait_loadcnt 0x5
	v_fmac_f64_e32 v[162:163], v[128:129], v[142:143]
	s_wait_dscnt 0x0
	s_delay_alu instid0(VALU_DEP_1)
	v_fmac_f64_e32 v[162:163], v[130:131], v[144:145]
	scratch_load_b128 v[128:131], off, off offset:232
	s_wait_loadcnt 0x5
	v_fmac_f64_e32 v[162:163], v[154:155], v[146:147]
	ds_load_b128 v[140:143], v2 offset:656
	ds_load_b128 v[144:147], v2 offset:672
	s_wait_dscnt 0x1
	v_fmac_f64_e32 v[162:163], v[156:157], v[140:141]
	scratch_load_b128 v[154:157], off, off offset:248
	s_wait_loadcnt 0x5
	v_fmac_f64_e32 v[162:163], v[132:133], v[142:143]
	s_wait_dscnt 0x0
	s_delay_alu instid0(VALU_DEP_1)
	v_fmac_f64_e32 v[162:163], v[134:135], v[144:145]
	scratch_load_b128 v[132:135], off, off offset:264
	s_wait_loadcnt 0x5
	v_fmac_f64_e32 v[162:163], v[150:151], v[146:147]
	ds_load_b128 v[140:143], v2 offset:688
	ds_load_b128 v[144:147], v2 offset:704
	scratch_load_b128 v[148:151], off, off offset:280
	s_wait_dscnt 0x1
	v_fmac_f64_e32 v[162:163], v[152:153], v[140:141]
	s_wait_loadcnt 0x5
	s_delay_alu instid0(VALU_DEP_1) | instskip(SKIP_1) | instid1(VALU_DEP_1)
	v_fmac_f64_e32 v[162:163], v[136:137], v[142:143]
	s_wait_dscnt 0x0
	v_fmac_f64_e32 v[162:163], v[138:139], v[144:145]
	scratch_load_b128 v[136:139], off, off offset:296
	s_wait_loadcnt 0x5
	v_fmac_f64_e32 v[162:163], v[158:159], v[146:147]
	ds_load_b128 v[140:143], v2 offset:720
	ds_load_b128 v[144:147], v2 offset:736
	s_wait_dscnt 0x1
	v_fmac_f64_e32 v[162:163], v[160:161], v[140:141]
	scratch_load_b128 v[158:161], off, off offset:312
	s_wait_loadcnt 0x5
	v_fmac_f64_e32 v[162:163], v[128:129], v[142:143]
	s_wait_dscnt 0x0
	s_delay_alu instid0(VALU_DEP_1)
	v_fmac_f64_e32 v[162:163], v[130:131], v[144:145]
	scratch_load_b128 v[128:131], off, off offset:328
	s_wait_loadcnt 0x5
	v_fmac_f64_e32 v[162:163], v[154:155], v[146:147]
	ds_load_b128 v[140:143], v2 offset:752
	ds_load_b128 v[144:147], v2 offset:768
	scratch_load_b128 v[152:155], off, off offset:344
	s_wait_dscnt 0x1
	v_fmac_f64_e32 v[162:163], v[156:157], v[140:141]
	s_wait_loadcnt 0x5
	s_delay_alu instid0(VALU_DEP_1) | instskip(SKIP_1) | instid1(VALU_DEP_1)
	v_fmac_f64_e32 v[162:163], v[132:133], v[142:143]
	s_wait_dscnt 0x0
	v_fmac_f64_e32 v[162:163], v[134:135], v[144:145]
	scratch_load_b128 v[132:135], off, off offset:360
	s_wait_loadcnt 0x5
	v_fmac_f64_e32 v[162:163], v[148:149], v[146:147]
	ds_load_b128 v[140:143], v2 offset:784
	ds_load_b128 v[144:147], v2 offset:800
	s_wait_dscnt 0x1
	v_fmac_f64_e32 v[162:163], v[150:151], v[140:141]
	scratch_load_b128 v[148:151], off, off offset:376
	s_wait_loadcnt 0x5
	v_fmac_f64_e32 v[162:163], v[136:137], v[142:143]
	s_wait_dscnt 0x0
	s_delay_alu instid0(VALU_DEP_1)
	v_fmac_f64_e32 v[162:163], v[138:139], v[144:145]
	scratch_load_b128 v[136:139], off, off offset:392
	s_wait_loadcnt 0x5
	v_fmac_f64_e32 v[162:163], v[158:159], v[146:147]
	ds_load_b128 v[140:143], v2 offset:816
	ds_load_b128 v[144:147], v2 offset:832
	s_wait_dscnt 0x1
	v_fmac_f64_e32 v[162:163], v[160:161], v[140:141]
	s_wait_loadcnt 0x4
	s_delay_alu instid0(VALU_DEP_1)
	v_fmac_f64_e32 v[162:163], v[128:129], v[142:143]
	scratch_load_b128 v[140:143], off, off offset:408
	s_wait_dscnt 0x0
	v_fmac_f64_e32 v[162:163], v[130:131], v[144:145]
	scratch_load_b128 v[128:131], off, off offset:424
	s_wait_loadcnt 0x5
	v_fmac_f64_e32 v[162:163], v[152:153], v[146:147]
	ds_load_b128 v[144:147], v2 offset:848
	ds_load_b128 v[156:159], v2 offset:864
	s_wait_dscnt 0x1
	v_fmac_f64_e32 v[162:163], v[154:155], v[144:145]
	s_wait_loadcnt 0x4
	s_delay_alu instid0(VALU_DEP_1)
	v_fmac_f64_e32 v[162:163], v[132:133], v[146:147]
	scratch_load_b128 v[144:147], off, off offset:440
	s_wait_dscnt 0x0
	v_fmac_f64_e32 v[162:163], v[134:135], v[156:157]
	scratch_load_b128 v[132:135], off, off offset:456
	s_wait_loadcnt 0x5
	v_fmac_f64_e32 v[162:163], v[148:149], v[158:159]
	ds_load_b128 v[152:155], v2 offset:880
	ds_load_b128 v[156:159], v2 offset:896
	s_wait_dscnt 0x1
	v_fmac_f64_e32 v[162:163], v[150:151], v[152:153]
	scratch_load_b128 v[148:151], off, off offset:472
	s_wait_loadcnt 0x5
	v_fmac_f64_e32 v[162:163], v[136:137], v[154:155]
	s_wait_dscnt 0x0
	s_delay_alu instid0(VALU_DEP_1)
	v_fmac_f64_e32 v[162:163], v[138:139], v[156:157]
	ds_load_b128 v[136:139], v2 offset:912
	ds_load_b128 v[152:155], v2 offset:928
	s_wait_loadcnt 0x4
	v_fmac_f64_e32 v[162:163], v[140:141], v[158:159]
	s_wait_dscnt 0x1
	s_delay_alu instid0(VALU_DEP_1) | instskip(SKIP_1) | instid1(VALU_DEP_1)
	v_fmac_f64_e32 v[162:163], v[142:143], v[136:137]
	s_wait_loadcnt 0x3
	v_fmac_f64_e32 v[162:163], v[128:129], v[138:139]
	s_wait_dscnt 0x0
	s_delay_alu instid0(VALU_DEP_1)
	v_fmac_f64_e32 v[162:163], v[130:131], v[152:153]
	ds_load_b128 v[128:131], v2 offset:944
	ds_load_b128 v[136:139], v2 offset:960
	s_wait_loadcnt 0x2
	v_fmac_f64_e32 v[162:163], v[144:145], v[154:155]
	s_wait_dscnt 0x1
	s_delay_alu instid0(VALU_DEP_1) | instskip(SKIP_4) | instid1(VALU_DEP_1)
	v_fmac_f64_e32 v[162:163], v[146:147], v[128:129]
	ds_load_b64 v[128:129], v2 offset:976
	s_wait_loadcnt 0x1
	v_fmac_f64_e32 v[162:163], v[132:133], v[130:131]
	s_wait_dscnt 0x1
	v_fmac_f64_e32 v[162:163], v[134:135], v[136:137]
	s_wait_loadcnt 0x0
	s_delay_alu instid0(VALU_DEP_1) | instskip(SKIP_1) | instid1(VALU_DEP_1)
	v_fmac_f64_e32 v[162:163], v[148:149], v[138:139]
	s_wait_dscnt 0x0
	v_fmac_f64_e32 v[162:163], v[150:151], v[128:129]
	s_delay_alu instid0(VALU_DEP_1)
	v_add_f64_e64 v[126:127], v[126:127], -v[162:163]
	scratch_store_b64 off, v[126:127], off offset:24
	s_wait_xcnt 0x0
	v_cmpx_lt_u32_e32 2, v0
	s_cbranch_execz .LBB60_371
; %bb.370:
	scratch_load_b64 v[126:127], off, off offset:16
	v_mov_b64_e32 v[128:129], 0
	scratch_store_b64 off, v[128:129], off offset:16
	s_wait_loadcnt 0x0
	ds_store_b64 v1, v[126:127]
.LBB60_371:
	s_wait_xcnt 0x0
	s_or_b32 exec_lo, exec_lo, s0
	s_wait_storecnt_dscnt 0x0
	s_barrier_signal -1
	s_barrier_wait -1
	s_clause 0x5
	scratch_load_b128 v[126:129], off, off offset:16
	scratch_load_b128 v[130:133], off, off offset:32
	;; [unrolled: 1-line block ×6, first 2 shown]
	ds_load_2addr_b64 v[150:153], v2 offset0:65 offset1:66
	ds_load_2addr_b64 v[154:157], v2 offset0:67 offset1:68
	scratch_load_b128 v[158:161], off, off offset:112
	s_mov_b32 s0, exec_lo
	s_wait_loadcnt_dscnt 0x601
	v_fma_f64 v[162:163], v[128:129], v[150:151], 0
	s_wait_loadcnt 0x5
	s_delay_alu instid0(VALU_DEP_1) | instskip(SKIP_4) | instid1(VALU_DEP_1)
	v_fmac_f64_e32 v[162:163], v[130:131], v[152:153]
	scratch_load_b128 v[128:131], off, off offset:128
	s_wait_dscnt 0x0
	v_fmac_f64_e32 v[162:163], v[132:133], v[154:155]
	s_wait_loadcnt 0x5
	v_fmac_f64_e32 v[162:163], v[134:135], v[156:157]
	ds_load_2addr_b64 v[132:135], v2 offset0:69 offset1:70
	ds_load_2addr_b64 v[150:153], v2 offset0:71 offset1:72
	scratch_load_b128 v[154:157], off, off offset:144
	s_wait_dscnt 0x1
	v_fmac_f64_e32 v[162:163], v[136:137], v[132:133]
	s_wait_loadcnt 0x5
	s_delay_alu instid0(VALU_DEP_1) | instskip(SKIP_4) | instid1(VALU_DEP_1)
	v_fmac_f64_e32 v[162:163], v[138:139], v[134:135]
	scratch_load_b128 v[132:135], off, off offset:160
	s_wait_dscnt 0x0
	v_fmac_f64_e32 v[162:163], v[140:141], v[150:151]
	s_wait_loadcnt 0x5
	v_fmac_f64_e32 v[162:163], v[142:143], v[152:153]
	ds_load_2addr_b64 v[136:139], v2 offset0:73 offset1:74
	ds_load_2addr_b64 v[140:143], v2 offset0:75 offset1:76
	scratch_load_b128 v[150:153], off, off offset:176
	s_wait_dscnt 0x1
	v_fmac_f64_e32 v[162:163], v[144:145], v[136:137]
	s_wait_loadcnt 0x5
	s_delay_alu instid0(VALU_DEP_1) | instskip(SKIP_4) | instid1(VALU_DEP_1)
	v_fmac_f64_e32 v[162:163], v[146:147], v[138:139]
	scratch_load_b128 v[136:139], off, off offset:192
	s_wait_dscnt 0x0
	v_fmac_f64_e32 v[162:163], v[148:149], v[140:141]
	s_wait_loadcnt 0x5
	v_fmac_f64_e32 v[162:163], v[158:159], v[142:143]
	ds_load_2addr_b64 v[140:143], v2 offset0:77 offset1:78
	ds_load_2addr_b64 v[144:147], v2 offset0:79 offset1:80
	s_wait_dscnt 0x1
	v_fmac_f64_e32 v[162:163], v[160:161], v[140:141]
	scratch_load_b128 v[158:161], off, off offset:208
	s_wait_loadcnt 0x5
	v_fmac_f64_e32 v[162:163], v[128:129], v[142:143]
	s_wait_dscnt 0x0
	s_delay_alu instid0(VALU_DEP_1)
	v_fmac_f64_e32 v[162:163], v[130:131], v[144:145]
	scratch_load_b128 v[128:131], off, off offset:224
	s_wait_loadcnt 0x5
	v_fmac_f64_e32 v[162:163], v[154:155], v[146:147]
	ds_load_2addr_b64 v[140:143], v2 offset0:81 offset1:82
	ds_load_2addr_b64 v[144:147], v2 offset0:83 offset1:84
	s_wait_dscnt 0x1
	v_fmac_f64_e32 v[162:163], v[156:157], v[140:141]
	scratch_load_b128 v[154:157], off, off offset:240
	s_wait_loadcnt 0x5
	v_fmac_f64_e32 v[162:163], v[132:133], v[142:143]
	s_wait_dscnt 0x0
	s_delay_alu instid0(VALU_DEP_1)
	v_fmac_f64_e32 v[162:163], v[134:135], v[144:145]
	scratch_load_b128 v[132:135], off, off offset:256
	s_wait_loadcnt 0x5
	v_fmac_f64_e32 v[162:163], v[150:151], v[146:147]
	ds_load_2addr_b64 v[140:143], v2 offset0:85 offset1:86
	ds_load_2addr_b64 v[144:147], v2 offset0:87 offset1:88
	scratch_load_b128 v[148:151], off, off offset:272
	s_wait_dscnt 0x1
	v_fmac_f64_e32 v[162:163], v[152:153], v[140:141]
	s_wait_loadcnt 0x5
	s_delay_alu instid0(VALU_DEP_1) | instskip(SKIP_1) | instid1(VALU_DEP_1)
	v_fmac_f64_e32 v[162:163], v[136:137], v[142:143]
	s_wait_dscnt 0x0
	v_fmac_f64_e32 v[162:163], v[138:139], v[144:145]
	scratch_load_b128 v[136:139], off, off offset:288
	s_wait_loadcnt 0x5
	v_fmac_f64_e32 v[162:163], v[158:159], v[146:147]
	ds_load_2addr_b64 v[140:143], v2 offset0:89 offset1:90
	ds_load_2addr_b64 v[144:147], v2 offset0:91 offset1:92
	s_wait_dscnt 0x1
	v_fmac_f64_e32 v[162:163], v[160:161], v[140:141]
	scratch_load_b128 v[158:161], off, off offset:304
	s_wait_loadcnt 0x5
	v_fmac_f64_e32 v[162:163], v[128:129], v[142:143]
	s_wait_dscnt 0x0
	s_delay_alu instid0(VALU_DEP_1)
	v_fmac_f64_e32 v[162:163], v[130:131], v[144:145]
	scratch_load_b128 v[128:131], off, off offset:320
	s_wait_loadcnt 0x5
	v_fmac_f64_e32 v[162:163], v[154:155], v[146:147]
	ds_load_2addr_b64 v[140:143], v2 offset0:93 offset1:94
	ds_load_2addr_b64 v[144:147], v2 offset0:95 offset1:96
	scratch_load_b128 v[152:155], off, off offset:336
	s_wait_dscnt 0x1
	v_fmac_f64_e32 v[162:163], v[156:157], v[140:141]
	s_wait_loadcnt 0x5
	s_delay_alu instid0(VALU_DEP_1) | instskip(SKIP_1) | instid1(VALU_DEP_1)
	v_fmac_f64_e32 v[162:163], v[132:133], v[142:143]
	s_wait_dscnt 0x0
	;; [unrolled: 26-line block ×3, first 2 shown]
	v_fmac_f64_e32 v[162:163], v[130:131], v[144:145]
	scratch_load_b128 v[128:131], off, off offset:416
	s_wait_loadcnt 0x5
	v_fmac_f64_e32 v[162:163], v[152:153], v[146:147]
	ds_load_2addr_b64 v[140:143], v2 offset0:105 offset1:106
	ds_load_2addr_b64 v[144:147], v2 offset0:107 offset1:108
	s_wait_dscnt 0x1
	v_fmac_f64_e32 v[162:163], v[154:155], v[140:141]
	s_wait_loadcnt 0x4
	s_delay_alu instid0(VALU_DEP_1)
	v_fmac_f64_e32 v[162:163], v[132:133], v[142:143]
	scratch_load_b128 v[140:143], off, off offset:432
	s_wait_dscnt 0x0
	v_fmac_f64_e32 v[162:163], v[134:135], v[144:145]
	scratch_load_b128 v[132:135], off, off offset:448
	s_wait_loadcnt 0x5
	v_fmac_f64_e32 v[162:163], v[148:149], v[146:147]
	ds_load_2addr_b64 v[144:147], v2 offset0:109 offset1:110
	ds_load_2addr_b64 v[152:155], v2 offset0:111 offset1:112
	s_wait_dscnt 0x1
	v_fmac_f64_e32 v[162:163], v[150:151], v[144:145]
	s_wait_loadcnt 0x4
	s_delay_alu instid0(VALU_DEP_1)
	v_fmac_f64_e32 v[162:163], v[136:137], v[146:147]
	scratch_load_b128 v[144:147], off, off offset:464
	s_wait_dscnt 0x0
	v_fmac_f64_e32 v[162:163], v[138:139], v[152:153]
	scratch_load_b64 v[152:153], off, off offset:480
	ds_load_2addr_b64 v[136:139], v2 offset0:113 offset1:114
	ds_load_2addr_b64 v[148:151], v2 offset0:115 offset1:116
	s_wait_loadcnt 0x5
	v_fmac_f64_e32 v[162:163], v[156:157], v[154:155]
	s_wait_dscnt 0x1
	s_delay_alu instid0(VALU_DEP_1) | instskip(SKIP_1) | instid1(VALU_DEP_1)
	v_fmac_f64_e32 v[162:163], v[158:159], v[136:137]
	s_wait_loadcnt 0x4
	v_fmac_f64_e32 v[162:163], v[128:129], v[138:139]
	s_wait_dscnt 0x0
	s_delay_alu instid0(VALU_DEP_1)
	v_fmac_f64_e32 v[162:163], v[130:131], v[148:149]
	ds_load_2addr_b64 v[128:131], v2 offset0:117 offset1:118
	ds_load_2addr_b64 v[136:139], v2 offset0:119 offset1:120
	s_wait_loadcnt 0x3
	v_fmac_f64_e32 v[162:163], v[140:141], v[150:151]
	s_wait_dscnt 0x1
	s_delay_alu instid0(VALU_DEP_1) | instskip(SKIP_1) | instid1(VALU_DEP_1)
	v_fmac_f64_e32 v[162:163], v[142:143], v[128:129]
	s_wait_loadcnt 0x2
	v_fmac_f64_e32 v[162:163], v[132:133], v[130:131]
	ds_load_2addr_b64 v[128:131], v2 offset0:121 offset1:122
	s_wait_dscnt 0x1
	v_fmac_f64_e32 v[162:163], v[134:135], v[136:137]
	s_wait_loadcnt 0x1
	s_delay_alu instid0(VALU_DEP_1) | instskip(SKIP_1) | instid1(VALU_DEP_1)
	v_fmac_f64_e32 v[162:163], v[144:145], v[138:139]
	s_wait_dscnt 0x0
	v_fmac_f64_e32 v[162:163], v[146:147], v[128:129]
	s_wait_loadcnt 0x0
	s_delay_alu instid0(VALU_DEP_1) | instskip(NEXT) | instid1(VALU_DEP_1)
	v_fmac_f64_e32 v[162:163], v[152:153], v[130:131]
	v_add_f64_e64 v[2:3], v[126:127], -v[162:163]
	scratch_store_b64 off, v[2:3], off offset:16
	s_wait_xcnt 0x0
	v_cmpx_lt_u32_e32 1, v0
	s_cbranch_execz .LBB60_373
; %bb.372:
	scratch_load_b64 v[2:3], off, off offset:8
	v_mov_b64_e32 v[126:127], 0
	scratch_store_b64 off, v[126:127], off offset:8
	s_wait_loadcnt 0x0
	ds_store_b64 v1, v[2:3]
.LBB60_373:
	s_wait_xcnt 0x0
	s_or_b32 exec_lo, exec_lo, s0
	s_wait_storecnt_dscnt 0x0
	s_barrier_signal -1
	s_barrier_wait -1
	s_clause 0x5
	scratch_load_b128 v[128:131], off, off offset:8
	scratch_load_b128 v[132:135], off, off offset:24
	;; [unrolled: 1-line block ×6, first 2 shown]
	v_dual_mov_b32 v126, 0 :: v_dual_ashrrev_i32 v9, 31, v8
	ds_load_b128 v[152:155], v126 offset:512
	ds_load_b128 v[156:159], v126 offset:528
	v_dual_ashrrev_i32 v11, 31, v10 :: v_dual_ashrrev_i32 v13, 31, v12
	v_dual_ashrrev_i32 v15, 31, v14 :: v_dual_ashrrev_i32 v17, 31, v16
	;; [unrolled: 1-line block ×28, first 2 shown]
	v_ashrrev_i32_e32 v123, 31, v122
	s_mov_b32 s0, exec_lo
	v_ashrrev_i32_e32 v73, 31, v72
	s_wait_loadcnt_dscnt 0x501
	v_fma_f64 v[2:3], v[130:131], v[152:153], 0
	s_wait_loadcnt 0x4
	s_delay_alu instid0(VALU_DEP_1) | instskip(SKIP_4) | instid1(VALU_DEP_1)
	v_fmac_f64_e32 v[2:3], v[132:133], v[154:155]
	scratch_load_b128 v[130:133], off, off offset:104
	s_wait_dscnt 0x0
	v_fmac_f64_e32 v[2:3], v[134:135], v[156:157]
	s_wait_loadcnt 0x4
	v_fmac_f64_e32 v[2:3], v[136:137], v[158:159]
	ds_load_b128 v[134:137], v126 offset:544
	ds_load_b128 v[152:155], v126 offset:560
	scratch_load_b128 v[156:159], off, off offset:120
	s_wait_dscnt 0x1
	v_fmac_f64_e32 v[2:3], v[138:139], v[134:135]
	s_wait_loadcnt 0x4
	s_delay_alu instid0(VALU_DEP_1) | instskip(SKIP_4) | instid1(VALU_DEP_1)
	v_fmac_f64_e32 v[2:3], v[140:141], v[136:137]
	scratch_load_b128 v[134:137], off, off offset:136
	s_wait_dscnt 0x0
	v_fmac_f64_e32 v[2:3], v[142:143], v[152:153]
	s_wait_loadcnt 0x4
	v_fmac_f64_e32 v[2:3], v[144:145], v[154:155]
	ds_load_b128 v[138:141], v126 offset:576
	ds_load_b128 v[142:145], v126 offset:592
	scratch_load_b128 v[152:155], off, off offset:152
	s_wait_dscnt 0x1
	v_fmac_f64_e32 v[2:3], v[146:147], v[138:139]
	s_wait_loadcnt 0x4
	s_delay_alu instid0(VALU_DEP_1) | instskip(SKIP_4) | instid1(VALU_DEP_1)
	v_fmac_f64_e32 v[2:3], v[148:149], v[140:141]
	scratch_load_b128 v[138:141], off, off offset:168
	s_wait_dscnt 0x0
	v_fmac_f64_e32 v[2:3], v[150:151], v[142:143]
	s_wait_loadcnt 0x4
	v_fmac_f64_e32 v[2:3], v[130:131], v[144:145]
	ds_load_b128 v[142:145], v126 offset:608
	ds_load_b128 v[146:149], v126 offset:624
	s_wait_dscnt 0x1
	v_fmac_f64_e32 v[2:3], v[132:133], v[142:143]
	scratch_load_b128 v[130:133], off, off offset:184
	s_wait_loadcnt 0x4
	v_fmac_f64_e32 v[2:3], v[156:157], v[144:145]
	scratch_load_b128 v[142:145], off, off offset:200
	s_wait_dscnt 0x0
	v_fmac_f64_e32 v[2:3], v[158:159], v[146:147]
	s_wait_loadcnt 0x4
	s_delay_alu instid0(VALU_DEP_1)
	v_fmac_f64_e32 v[2:3], v[134:135], v[148:149]
	ds_load_b128 v[146:149], v126 offset:640
	ds_load_b128 v[156:159], v126 offset:656
	s_wait_dscnt 0x1
	v_fmac_f64_e32 v[2:3], v[136:137], v[146:147]
	scratch_load_b128 v[134:137], off, off offset:216
	s_wait_loadcnt 0x4
	v_fmac_f64_e32 v[2:3], v[152:153], v[148:149]
	scratch_load_b128 v[146:149], off, off offset:232
	s_wait_dscnt 0x0
	v_fmac_f64_e32 v[2:3], v[154:155], v[156:157]
	ds_load_b128 v[150:153], v126 offset:672
	ds_load_b128 v[154:157], v126 offset:688
	s_wait_loadcnt 0x4
	v_fmac_f64_e32 v[2:3], v[138:139], v[158:159]
	s_wait_dscnt 0x1
	s_delay_alu instid0(VALU_DEP_1) | instskip(SKIP_4) | instid1(VALU_DEP_1)
	v_fmac_f64_e32 v[2:3], v[140:141], v[150:151]
	scratch_load_b128 v[138:141], off, off offset:248
	s_wait_loadcnt 0x4
	v_fmac_f64_e32 v[2:3], v[130:131], v[152:153]
	s_wait_dscnt 0x0
	v_fmac_f64_e32 v[2:3], v[132:133], v[154:155]
	scratch_load_b128 v[130:133], off, off offset:264
	s_wait_loadcnt 0x4
	v_fmac_f64_e32 v[2:3], v[142:143], v[156:157]
	ds_load_b128 v[150:153], v126 offset:704
	ds_load_b128 v[154:157], v126 offset:720
	s_wait_dscnt 0x1
	v_fmac_f64_e32 v[2:3], v[144:145], v[150:151]
	scratch_load_b128 v[142:145], off, off offset:280
	s_wait_loadcnt 0x4
	v_fmac_f64_e32 v[2:3], v[134:135], v[152:153]
	scratch_load_b128 v[150:153], off, off offset:296
	s_wait_dscnt 0x0
	v_fmac_f64_e32 v[2:3], v[136:137], v[154:155]
	s_wait_loadcnt 0x4
	s_delay_alu instid0(VALU_DEP_1)
	v_fmac_f64_e32 v[2:3], v[146:147], v[156:157]
	ds_load_b128 v[134:137], v126 offset:736
	ds_load_b128 v[154:157], v126 offset:752
	s_wait_dscnt 0x1
	v_fmac_f64_e32 v[2:3], v[148:149], v[134:135]
	scratch_load_b128 v[146:149], off, off offset:312
	s_wait_loadcnt 0x4
	v_fmac_f64_e32 v[2:3], v[138:139], v[136:137]
	scratch_load_b128 v[134:137], off, off offset:328
	s_wait_dscnt 0x0
	v_fmac_f64_e32 v[2:3], v[140:141], v[154:155]
	s_wait_loadcnt 0x4
	s_delay_alu instid0(VALU_DEP_1)
	;; [unrolled: 13-line block ×4, first 2 shown]
	v_fmac_f64_e32 v[2:3], v[134:135], v[156:157]
	ds_load_b128 v[146:149], v126 offset:832
	ds_load_b128 v[154:157], v126 offset:848
	s_wait_dscnt 0x1
	v_fmac_f64_e32 v[2:3], v[136:137], v[146:147]
	scratch_load_b128 v[134:137], off, off offset:408
	s_wait_loadcnt 0x4
	v_fmac_f64_e32 v[2:3], v[130:131], v[148:149]
	s_wait_dscnt 0x0
	s_delay_alu instid0(VALU_DEP_1)
	v_fmac_f64_e32 v[2:3], v[132:133], v[154:155]
	scratch_load_b128 v[130:133], off, off offset:424
	s_wait_loadcnt 0x4
	v_fmac_f64_e32 v[2:3], v[138:139], v[156:157]
	ds_load_b128 v[146:149], v126 offset:864
	ds_load_b128 v[154:157], v126 offset:880
	s_wait_dscnt 0x1
	v_fmac_f64_e32 v[2:3], v[140:141], v[146:147]
	scratch_load_b128 v[138:141], off, off offset:440
	s_wait_loadcnt 0x4
	v_fmac_f64_e32 v[2:3], v[150:151], v[148:149]
	scratch_load_b128 v[146:149], off, off offset:456
	s_wait_dscnt 0x0
	v_fmac_f64_e32 v[2:3], v[152:153], v[154:155]
	s_wait_loadcnt 0x4
	s_delay_alu instid0(VALU_DEP_1)
	v_fmac_f64_e32 v[2:3], v[142:143], v[156:157]
	ds_load_b128 v[150:153], v126 offset:896
	ds_load_b128 v[154:157], v126 offset:912
	s_wait_dscnt 0x1
	v_fmac_f64_e32 v[2:3], v[144:145], v[150:151]
	scratch_load_b128 v[142:145], off, off offset:472
	s_wait_loadcnt 0x4
	v_fmac_f64_e32 v[2:3], v[134:135], v[152:153]
	s_wait_dscnt 0x0
	s_delay_alu instid0(VALU_DEP_1)
	v_fmac_f64_e32 v[2:3], v[136:137], v[154:155]
	ds_load_b128 v[134:137], v126 offset:928
	ds_load_b128 v[150:153], v126 offset:944
	s_wait_loadcnt 0x3
	v_fmac_f64_e32 v[2:3], v[130:131], v[156:157]
	s_wait_dscnt 0x1
	s_delay_alu instid0(VALU_DEP_1) | instskip(SKIP_4) | instid1(VALU_DEP_1)
	v_fmac_f64_e32 v[2:3], v[132:133], v[134:135]
	ds_load_b128 v[130:133], v126 offset:960
	s_wait_loadcnt 0x2
	v_fmac_f64_e32 v[2:3], v[138:139], v[136:137]
	s_wait_dscnt 0x1
	v_fmac_f64_e32 v[2:3], v[140:141], v[150:151]
	s_wait_loadcnt 0x1
	s_delay_alu instid0(VALU_DEP_1) | instskip(SKIP_1) | instid1(VALU_DEP_1)
	v_fmac_f64_e32 v[2:3], v[146:147], v[152:153]
	s_wait_dscnt 0x0
	v_fmac_f64_e32 v[2:3], v[148:149], v[130:131]
	ds_load_b64 v[130:131], v126 offset:976
	s_wait_loadcnt 0x0
	v_fmac_f64_e32 v[2:3], v[142:143], v[132:133]
	s_wait_dscnt 0x0
	s_delay_alu instid0(VALU_DEP_1) | instskip(NEXT) | instid1(VALU_DEP_1)
	v_fmac_f64_e32 v[2:3], v[144:145], v[130:131]
	v_add_f64_e64 v[2:3], v[128:129], -v[2:3]
	scratch_store_b64 off, v[2:3], off offset:8
	s_wait_xcnt 0x0
	v_cmpx_ne_u32_e32 0, v0
	s_cbranch_execz .LBB60_375
; %bb.374:
	scratch_load_b64 v[2:3], off, off
	v_mov_b64_e32 v[128:129], 0
	scratch_store_b64 off, v[128:129], off
	s_wait_loadcnt 0x0
	ds_store_b64 v1, v[2:3]
.LBB60_375:
	s_wait_xcnt 0x0
	s_or_b32 exec_lo, exec_lo, s0
	s_wait_storecnt_dscnt 0x0
	s_barrier_signal -1
	s_barrier_wait -1
	s_clause 0x5
	scratch_load_b128 v[128:131], off, off
	scratch_load_b128 v[0:3], off, off offset:16
	scratch_load_b128 v[132:135], off, off offset:32
	;; [unrolled: 1-line block ×5, first 2 shown]
	ds_load_2addr_b64 v[148:151], v126 offset0:63 offset1:64
	scratch_load_b128 v[152:155], off, off offset:96
	s_and_b32 vcc_lo, exec_lo, s18
	s_wait_loadcnt_dscnt 0x600
	v_fma_f64 v[158:159], v[130:131], v[148:149], 0
	s_wait_loadcnt 0x5
	s_delay_alu instid0(VALU_DEP_1)
	v_fmac_f64_e32 v[158:159], v[0:1], v[150:151]
	ds_load_2addr_b64 v[148:151], v126 offset0:65 offset1:66
	s_wait_dscnt 0x0
	v_fmac_f64_e32 v[158:159], v[2:3], v[148:149]
	scratch_load_b128 v[0:3], off, off offset:112
	s_wait_loadcnt 0x5
	v_fmac_f64_e32 v[158:159], v[132:133], v[150:151]
	ds_load_2addr_b64 v[130:133], v126 offset0:67 offset1:68
	scratch_load_b128 v[148:151], off, off offset:128
	s_wait_dscnt 0x0
	v_fmac_f64_e32 v[158:159], v[134:135], v[130:131]
	s_wait_loadcnt 0x5
	s_delay_alu instid0(VALU_DEP_1)
	v_fmac_f64_e32 v[158:159], v[136:137], v[132:133]
	ds_load_2addr_b64 v[130:133], v126 offset0:69 offset1:70
	scratch_load_b128 v[134:137], off, off offset:144
	s_wait_dscnt 0x0
	v_fmac_f64_e32 v[158:159], v[138:139], v[130:131]
	s_wait_loadcnt 0x5
	s_delay_alu instid0(VALU_DEP_1)
	;; [unrolled: 7-line block ×4, first 2 shown]
	v_fmac_f64_e32 v[158:159], v[152:153], v[132:133]
	ds_load_2addr_b64 v[130:133], v126 offset0:75 offset1:76
	s_wait_dscnt 0x0
	v_fmac_f64_e32 v[158:159], v[154:155], v[130:131]
	scratch_load_b128 v[152:155], off, off offset:192
	s_wait_loadcnt 0x5
	v_fmac_f64_e32 v[158:159], v[0:1], v[132:133]
	ds_load_2addr_b64 v[130:133], v126 offset0:77 offset1:78
	s_wait_dscnt 0x0
	v_fmac_f64_e32 v[158:159], v[2:3], v[130:131]
	scratch_load_b128 v[0:3], off, off offset:208
	s_wait_loadcnt 0x5
	v_fmac_f64_e32 v[158:159], v[148:149], v[132:133]
	ds_load_2addr_b64 v[130:133], v126 offset0:79 offset1:80
	scratch_load_b128 v[146:149], off, off offset:224
	s_wait_dscnt 0x0
	v_fmac_f64_e32 v[158:159], v[150:151], v[130:131]
	s_wait_loadcnt 0x5
	s_delay_alu instid0(VALU_DEP_1)
	v_fmac_f64_e32 v[158:159], v[134:135], v[132:133]
	ds_load_2addr_b64 v[130:133], v126 offset0:81 offset1:82
	s_wait_dscnt 0x0
	v_fmac_f64_e32 v[158:159], v[136:137], v[130:131]
	scratch_load_b128 v[134:137], off, off offset:240
	s_wait_loadcnt 0x5
	v_fmac_f64_e32 v[158:159], v[138:139], v[132:133]
	ds_load_2addr_b64 v[130:133], v126 offset0:83 offset1:84
	s_wait_dscnt 0x0
	v_fmac_f64_e32 v[158:159], v[140:141], v[130:131]
	scratch_load_b128 v[138:141], off, off offset:256
	s_wait_loadcnt 0x5
	;; [unrolled: 6-line block ×3, first 2 shown]
	v_fmac_f64_e32 v[158:159], v[152:153], v[132:133]
	ds_load_2addr_b64 v[130:133], v126 offset0:87 offset1:88
	scratch_load_b128 v[150:153], off, off offset:288
	s_wait_dscnt 0x0
	v_fmac_f64_e32 v[158:159], v[154:155], v[130:131]
	scratch_load_b128 v[154:157], off, off offset:400
	s_wait_loadcnt 0x6
	v_fmac_f64_e32 v[158:159], v[0:1], v[132:133]
	ds_load_2addr_b64 v[130:133], v126 offset0:89 offset1:90
	s_wait_dscnt 0x0
	v_fmac_f64_e32 v[158:159], v[2:3], v[130:131]
	scratch_load_b128 v[0:3], off, off offset:304
	s_wait_loadcnt 0x6
	v_fmac_f64_e32 v[158:159], v[146:147], v[132:133]
	ds_load_2addr_b64 v[130:133], v126 offset0:91 offset1:92
	;; [unrolled: 6-line block ×7, first 2 shown]
	s_wait_dscnt 0x0
	v_fmac_f64_e32 v[158:159], v[2:3], v[130:131]
	ds_load_2addr_b64 v[0:3], v126 offset0:103 offset1:104
	s_wait_loadcnt 0x4
	v_fmac_f64_e32 v[158:159], v[146:147], v[132:133]
	scratch_load_b128 v[130:133], off, off offset:416
	s_wait_dscnt 0x0
	v_fmac_f64_e32 v[158:159], v[148:149], v[0:1]
	ds_load_2addr_b64 v[146:149], v126 offset0:109 offset1:110
	s_wait_loadcnt 0x4
	v_fmac_f64_e32 v[158:159], v[134:135], v[2:3]
	ds_load_2addr_b64 v[0:3], v126 offset0:105 offset1:106
	s_wait_dscnt 0x0
	v_fmac_f64_e32 v[158:159], v[136:137], v[0:1]
	scratch_load_b128 v[134:137], off, off offset:432
	s_wait_loadcnt 0x4
	v_fmac_f64_e32 v[158:159], v[138:139], v[2:3]
	ds_load_2addr_b64 v[0:3], v126 offset0:107 offset1:108
	s_wait_dscnt 0x0
	v_fmac_f64_e32 v[158:159], v[140:141], v[0:1]
	scratch_load_b128 v[138:141], off, off offset:448
	s_wait_loadcnt 0x4
	v_fmac_f64_e32 v[158:159], v[142:143], v[2:3]
	scratch_load_b128 v[0:3], off, off offset:464
	v_fmac_f64_e32 v[158:159], v[144:145], v[146:147]
	ds_load_2addr_b64 v[142:145], v126 offset0:111 offset1:112
	scratch_load_b64 v[146:147], off, off offset:480
	s_wait_loadcnt 0x5
	v_fmac_f64_e32 v[158:159], v[150:151], v[148:149]
	s_wait_dscnt 0x0
	s_delay_alu instid0(VALU_DEP_1) | instskip(NEXT) | instid1(VALU_DEP_1)
	v_fmac_f64_e32 v[158:159], v[152:153], v[142:143]
	v_fmac_f64_e32 v[158:159], v[154:155], v[144:145]
	ds_load_2addr_b64 v[142:145], v126 offset0:113 offset1:114
	s_wait_dscnt 0x0
	v_fmac_f64_e32 v[158:159], v[156:157], v[142:143]
	s_wait_loadcnt 0x4
	s_delay_alu instid0(VALU_DEP_1)
	v_fmac_f64_e32 v[158:159], v[130:131], v[144:145]
	ds_load_2addr_b64 v[142:145], v126 offset0:115 offset1:116
	s_wait_dscnt 0x0
	v_fmac_f64_e32 v[158:159], v[132:133], v[142:143]
	ds_load_2addr_b64 v[130:133], v126 offset0:117 offset1:118
	s_wait_loadcnt 0x3
	v_fmac_f64_e32 v[158:159], v[134:135], v[144:145]
	s_wait_dscnt 0x0
	s_delay_alu instid0(VALU_DEP_1) | instskip(SKIP_1) | instid1(VALU_DEP_1)
	v_fmac_f64_e32 v[158:159], v[136:137], v[130:131]
	s_wait_loadcnt 0x2
	v_fmac_f64_e32 v[158:159], v[138:139], v[132:133]
	ds_load_2addr_b64 v[130:133], v126 offset0:119 offset1:120
	s_wait_dscnt 0x0
	v_fmac_f64_e32 v[158:159], v[140:141], v[130:131]
	s_wait_loadcnt 0x1
	s_delay_alu instid0(VALU_DEP_1) | instskip(SKIP_4) | instid1(VALU_DEP_1)
	v_fmac_f64_e32 v[158:159], v[0:1], v[132:133]
	ds_load_2addr_b64 v[130:133], v126 offset0:121 offset1:122
	s_wait_dscnt 0x0
	v_fmac_f64_e32 v[158:159], v[2:3], v[130:131]
	s_wait_loadcnt 0x0
	v_fmac_f64_e32 v[158:159], v[146:147], v[132:133]
	s_delay_alu instid0(VALU_DEP_1)
	v_add_f64_e64 v[162:163], v[128:129], -v[158:159]
	scratch_store_b64 off, v[162:163], off
	s_cbranch_vccz .LBB60_496
; %bb.376:
	v_mov_b32_e32 v0, 0
	global_load_b32 v1, v0, s[2:3] offset:236
	s_wait_loadcnt 0x0
	v_cmp_ne_u32_e32 vcc_lo, 60, v1
	s_cbranch_vccz .LBB60_378
; %bb.377:
	v_lshlrev_b32_e32 v1, 3, v1
	scratch_load_b64 v[126:127], v1, off offset:-8
	s_wait_loadcnt 0x0
	scratch_store_b64 off, v[126:127], off offset:472
	scratch_store_b64 v1, v[2:3], off offset:-8
.LBB60_378:
	global_load_b32 v0, v0, s[2:3] offset:232
	s_wait_loadcnt 0x0
	v_cmp_eq_u32_e32 vcc_lo, 59, v0
	s_cbranch_vccnz .LBB60_380
; %bb.379:
	s_wait_xcnt 0x0
	v_lshlrev_b32_e32 v0, 3, v0
	s_delay_alu instid0(VALU_DEP_1)
	v_mov_b32_e32 v126, v0
	scratch_load_b64 v[0:1], v126, off offset:-8
	scratch_load_b64 v[2:3], off, off offset:464
	s_wait_loadcnt 0x1
	scratch_store_b64 off, v[0:1], off offset:464
	s_wait_loadcnt 0x0
	scratch_store_b64 v126, v[2:3], off offset:-8
.LBB60_380:
	s_wait_xcnt 0x0
	v_mov_b32_e32 v0, 0
	global_load_b32 v1, v0, s[2:3] offset:228
	s_wait_loadcnt 0x0
	v_cmp_eq_u32_e32 vcc_lo, 58, v1
	s_cbranch_vccnz .LBB60_382
; %bb.381:
	v_lshlrev_b32_e32 v1, 3, v1
	scratch_load_b64 v[2:3], v1, off offset:-8
	scratch_load_b64 v[126:127], off, off offset:456
	s_wait_loadcnt 0x1
	scratch_store_b64 off, v[2:3], off offset:456
	s_wait_loadcnt 0x0
	scratch_store_b64 v1, v[126:127], off offset:-8
.LBB60_382:
	global_load_b32 v0, v0, s[2:3] offset:224
	s_wait_loadcnt 0x0
	v_cmp_eq_u32_e32 vcc_lo, 57, v0
	s_cbranch_vccnz .LBB60_384
; %bb.383:
	s_wait_xcnt 0x0
	v_lshlrev_b32_e32 v0, 3, v0
	s_delay_alu instid0(VALU_DEP_1)
	v_mov_b32_e32 v126, v0
	scratch_load_b64 v[0:1], v126, off offset:-8
	scratch_load_b64 v[2:3], off, off offset:448
	s_wait_loadcnt 0x1
	scratch_store_b64 off, v[0:1], off offset:448
	s_wait_loadcnt 0x0
	scratch_store_b64 v126, v[2:3], off offset:-8
.LBB60_384:
	s_wait_xcnt 0x0
	v_mov_b32_e32 v0, 0
	global_load_b32 v1, v0, s[2:3] offset:220
	s_wait_loadcnt 0x0
	v_cmp_eq_u32_e32 vcc_lo, 56, v1
	s_cbranch_vccnz .LBB60_386
; %bb.385:
	v_lshlrev_b32_e32 v1, 3, v1
	scratch_load_b64 v[2:3], v1, off offset:-8
	scratch_load_b64 v[126:127], off, off offset:440
	s_wait_loadcnt 0x1
	scratch_store_b64 off, v[2:3], off offset:440
	s_wait_loadcnt 0x0
	scratch_store_b64 v1, v[126:127], off offset:-8
.LBB60_386:
	;; [unrolled: 31-line block ×29, first 2 shown]
	global_load_b32 v0, v0, s[2:3]
	scratch_load_b64 v[162:163], off, off
	s_wait_loadcnt 0x1
	v_cmp_eq_u32_e32 vcc_lo, 1, v0
	s_cbranch_vccnz .LBB60_496
; %bb.495:
	s_wait_xcnt 0x1
	v_lshlrev_b32_e32 v0, 3, v0
	s_delay_alu instid0(VALU_DEP_1)
	v_mov_b32_e32 v2, v0
	scratch_load_b64 v[0:1], v2, off offset:-8
	s_wait_loadcnt 0x0
	scratch_store_b64 off, v[0:1], off
	scratch_store_b64 v2, v[162:163], off offset:-8
	scratch_load_b64 v[162:163], off, off
.LBB60_496:
	v_lshl_add_u64 v[168:169], v[8:9], 3, s[4:5]
	v_lshl_add_u64 v[164:165], v[10:11], 3, s[4:5]
	;; [unrolled: 1-line block ×42, first 2 shown]
	s_clause 0x7
	scratch_load_b128 v[80:83], off, off offset:8
	scratch_load_b128 v[84:87], off, off offset:24
	;; [unrolled: 1-line block ×8, first 2 shown]
	v_lshl_add_u64 v[148:149], v[28:29], 3, s[4:5]
	v_lshl_add_u64 v[142:143], v[30:31], 3, s[4:5]
	;; [unrolled: 1-line block ×6, first 2 shown]
	scratch_load_b128 v[112:115], off, off offset:136
	s_wait_loadcnt 0x9
	global_store_b64 v[4:5], v[162:163], off
	v_lshl_add_u64 v[144:145], v[32:33], 3, s[4:5]
	v_lshl_add_u64 v[138:139], v[34:35], 3, s[4:5]
	;; [unrolled: 1-line block ×9, first 2 shown]
	s_wait_xcnt 0xb
	v_lshl_add_u64 v[0:1], v[122:123], 3, s[4:5]
	v_lshl_add_u64 v[2:3], v[124:125], 3, s[4:5]
	s_wait_loadcnt 0x8
	s_clause 0x1
	global_store_b64 v[6:7], v[80:81], off
	global_store_b64 v[168:169], v[82:83], off
	s_clause 0x1
	scratch_load_b128 v[4:7], off, off offset:152
	scratch_load_b128 v[80:83], off, off offset:168
	s_wait_loadcnt 0x9
	s_clause 0x1
	global_store_b64 v[164:165], v[84:85], off
	global_store_b64 v[166:167], v[86:87], off
	s_clause 0x1
	scratch_load_b128 v[84:87], off, off offset:184
	scratch_load_b128 v[116:119], off, off offset:200
	;; [unrolled: 7-line block ×10, first 2 shown]
	s_wait_loadcnt 0x12
	s_clause 0x1
	global_store_b64 v[126:127], v[80:81], off
	global_store_b64 v[128:129], v[82:83], off
	scratch_load_b128 v[80:83], off, off offset:472
	s_wait_loadcnt 0x12
	s_clause 0x1
	global_store_b64 v[8:9], v[84:85], off
	global_store_b64 v[10:11], v[86:87], off
	s_wait_loadcnt 0x11
	s_clause 0x1
	global_store_b64 v[12:13], v[116:117], off
	global_store_b64 v[14:15], v[118:119], off
	s_wait_loadcnt 0x10
	s_clause 0x1
	global_store_b64 v[16:17], v[88:89], off
	global_store_b64 v[18:19], v[90:91], off
	s_wait_loadcnt 0xf
	s_clause 0x1
	global_store_b64 v[20:21], v[120:121], off
	global_store_b64 v[22:23], v[122:123], off
	s_wait_loadcnt 0xe
	s_clause 0x1
	global_store_b64 v[24:25], v[92:93], off
	global_store_b64 v[26:27], v[94:95], off
	s_wait_loadcnt 0xd
	s_clause 0x1
	global_store_b64 v[28:29], v[154:155], off
	global_store_b64 v[30:31], v[156:157], off
	s_wait_loadcnt 0xc
	s_clause 0x1
	global_store_b64 v[32:33], v[96:97], off
	global_store_b64 v[34:35], v[98:99], off
	s_wait_loadcnt 0xb
	s_clause 0x1
	global_store_b64 v[36:37], v[150:151], off
	global_store_b64 v[38:39], v[152:153], off
	s_wait_loadcnt 0xa
	s_clause 0x1
	global_store_b64 v[40:41], v[100:101], off
	global_store_b64 v[42:43], v[102:103], off
	s_wait_loadcnt 0x9
	s_clause 0x1
	global_store_b64 v[44:45], v[146:147], off
	global_store_b64 v[46:47], v[148:149], off
	s_wait_loadcnt 0x8
	s_clause 0x1
	global_store_b64 v[48:49], v[104:105], off
	global_store_b64 v[50:51], v[106:107], off
	s_wait_loadcnt 0x7
	s_clause 0x1
	global_store_b64 v[52:53], v[142:143], off
	global_store_b64 v[54:55], v[144:145], off
	s_wait_loadcnt 0x6
	s_clause 0x1
	global_store_b64 v[56:57], v[108:109], off
	global_store_b64 v[58:59], v[110:111], off
	s_wait_loadcnt 0x5
	s_clause 0x1
	global_store_b64 v[60:61], v[138:139], off
	global_store_b64 v[62:63], v[140:141], off
	s_wait_loadcnt 0x4
	s_clause 0x1
	global_store_b64 v[64:65], v[112:113], off
	global_store_b64 v[66:67], v[114:115], off
	s_wait_loadcnt 0x3
	s_clause 0x1
	global_store_b64 v[68:69], v[134:135], off
	global_store_b64 v[70:71], v[136:137], off
	s_wait_loadcnt 0x2
	s_clause 0x1
	global_store_b64 v[72:73], v[4:5], off
	global_store_b64 v[74:75], v[6:7], off
	s_wait_loadcnt 0x1
	s_clause 0x1
	global_store_b64 v[76:77], v[130:131], off
	global_store_b64 v[78:79], v[132:133], off
	s_wait_loadcnt 0x0
	s_clause 0x1
	global_store_b64 v[0:1], v[80:81], off
	global_store_b64 v[2:3], v[82:83], off
	s_sendmsg sendmsg(MSG_DEALLOC_VGPRS)
	s_endpgm
	.section	.rodata,"a",@progbits
	.p2align	6, 0x0
	.amdhsa_kernel _ZN9rocsolver6v33100L18getri_kernel_smallILi61EdPdEEvT1_iilPiilS4_bb
		.amdhsa_group_segment_fixed_size 984
		.amdhsa_private_segment_fixed_size 496
		.amdhsa_kernarg_size 60
		.amdhsa_user_sgpr_count 2
		.amdhsa_user_sgpr_dispatch_ptr 0
		.amdhsa_user_sgpr_queue_ptr 0
		.amdhsa_user_sgpr_kernarg_segment_ptr 1
		.amdhsa_user_sgpr_dispatch_id 0
		.amdhsa_user_sgpr_kernarg_preload_length 0
		.amdhsa_user_sgpr_kernarg_preload_offset 0
		.amdhsa_user_sgpr_private_segment_size 0
		.amdhsa_wavefront_size32 1
		.amdhsa_uses_dynamic_stack 0
		.amdhsa_enable_private_segment 1
		.amdhsa_system_sgpr_workgroup_id_x 1
		.amdhsa_system_sgpr_workgroup_id_y 0
		.amdhsa_system_sgpr_workgroup_id_z 0
		.amdhsa_system_sgpr_workgroup_info 0
		.amdhsa_system_vgpr_workitem_id 0
		.amdhsa_next_free_vgpr 182
		.amdhsa_next_free_sgpr 19
		.amdhsa_named_barrier_count 0
		.amdhsa_reserve_vcc 1
		.amdhsa_float_round_mode_32 0
		.amdhsa_float_round_mode_16_64 0
		.amdhsa_float_denorm_mode_32 3
		.amdhsa_float_denorm_mode_16_64 3
		.amdhsa_fp16_overflow 0
		.amdhsa_memory_ordered 1
		.amdhsa_forward_progress 1
		.amdhsa_inst_pref_size 255
		.amdhsa_round_robin_scheduling 0
		.amdhsa_exception_fp_ieee_invalid_op 0
		.amdhsa_exception_fp_denorm_src 0
		.amdhsa_exception_fp_ieee_div_zero 0
		.amdhsa_exception_fp_ieee_overflow 0
		.amdhsa_exception_fp_ieee_underflow 0
		.amdhsa_exception_fp_ieee_inexact 0
		.amdhsa_exception_int_div_zero 0
	.end_amdhsa_kernel
	.section	.text._ZN9rocsolver6v33100L18getri_kernel_smallILi61EdPdEEvT1_iilPiilS4_bb,"axG",@progbits,_ZN9rocsolver6v33100L18getri_kernel_smallILi61EdPdEEvT1_iilPiilS4_bb,comdat
.Lfunc_end60:
	.size	_ZN9rocsolver6v33100L18getri_kernel_smallILi61EdPdEEvT1_iilPiilS4_bb, .Lfunc_end60-_ZN9rocsolver6v33100L18getri_kernel_smallILi61EdPdEEvT1_iilPiilS4_bb
                                        ; -- End function
	.set _ZN9rocsolver6v33100L18getri_kernel_smallILi61EdPdEEvT1_iilPiilS4_bb.num_vgpr, 182
	.set _ZN9rocsolver6v33100L18getri_kernel_smallILi61EdPdEEvT1_iilPiilS4_bb.num_agpr, 0
	.set _ZN9rocsolver6v33100L18getri_kernel_smallILi61EdPdEEvT1_iilPiilS4_bb.numbered_sgpr, 19
	.set _ZN9rocsolver6v33100L18getri_kernel_smallILi61EdPdEEvT1_iilPiilS4_bb.num_named_barrier, 0
	.set _ZN9rocsolver6v33100L18getri_kernel_smallILi61EdPdEEvT1_iilPiilS4_bb.private_seg_size, 496
	.set _ZN9rocsolver6v33100L18getri_kernel_smallILi61EdPdEEvT1_iilPiilS4_bb.uses_vcc, 1
	.set _ZN9rocsolver6v33100L18getri_kernel_smallILi61EdPdEEvT1_iilPiilS4_bb.uses_flat_scratch, 1
	.set _ZN9rocsolver6v33100L18getri_kernel_smallILi61EdPdEEvT1_iilPiilS4_bb.has_dyn_sized_stack, 0
	.set _ZN9rocsolver6v33100L18getri_kernel_smallILi61EdPdEEvT1_iilPiilS4_bb.has_recursion, 0
	.set _ZN9rocsolver6v33100L18getri_kernel_smallILi61EdPdEEvT1_iilPiilS4_bb.has_indirect_call, 0
	.section	.AMDGPU.csdata,"",@progbits
; Kernel info:
; codeLenInByte = 64440
; TotalNumSgprs: 21
; NumVgprs: 182
; ScratchSize: 496
; MemoryBound: 0
; FloatMode: 240
; IeeeMode: 1
; LDSByteSize: 984 bytes/workgroup (compile time only)
; SGPRBlocks: 0
; VGPRBlocks: 11
; NumSGPRsForWavesPerEU: 21
; NumVGPRsForWavesPerEU: 182
; NamedBarCnt: 0
; Occupancy: 5
; WaveLimiterHint : 1
; COMPUTE_PGM_RSRC2:SCRATCH_EN: 1
; COMPUTE_PGM_RSRC2:USER_SGPR: 2
; COMPUTE_PGM_RSRC2:TRAP_HANDLER: 0
; COMPUTE_PGM_RSRC2:TGID_X_EN: 1
; COMPUTE_PGM_RSRC2:TGID_Y_EN: 0
; COMPUTE_PGM_RSRC2:TGID_Z_EN: 0
; COMPUTE_PGM_RSRC2:TIDIG_COMP_CNT: 0
	.section	.text._ZN9rocsolver6v33100L18getri_kernel_smallILi62EdPdEEvT1_iilPiilS4_bb,"axG",@progbits,_ZN9rocsolver6v33100L18getri_kernel_smallILi62EdPdEEvT1_iilPiilS4_bb,comdat
	.globl	_ZN9rocsolver6v33100L18getri_kernel_smallILi62EdPdEEvT1_iilPiilS4_bb ; -- Begin function _ZN9rocsolver6v33100L18getri_kernel_smallILi62EdPdEEvT1_iilPiilS4_bb
	.p2align	8
	.type	_ZN9rocsolver6v33100L18getri_kernel_smallILi62EdPdEEvT1_iilPiilS4_bb,@function
_ZN9rocsolver6v33100L18getri_kernel_smallILi62EdPdEEvT1_iilPiilS4_bb: ; @_ZN9rocsolver6v33100L18getri_kernel_smallILi62EdPdEEvT1_iilPiilS4_bb
; %bb.0:
	s_mov_b32 s2, exec_lo
	v_cmpx_gt_u32_e32 62, v0
	s_cbranch_execz .LBB61_258
; %bb.1:
	s_clause 0x2
	s_load_b32 s2, s[0:1], 0x38
	s_load_b128 s[12:15], s[0:1], 0x10
	s_load_b128 s[4:7], s[0:1], 0x28
	s_getreg_b32 s9, hwreg(HW_REG_IB_STS2, 6, 4)
	s_wait_kmcnt 0x0
	s_bitcmp1_b32 s2, 8
	s_cselect_b32 s18, -1, 0
	s_bfe_u32 s3, ttmp6, 0x4000c
	s_and_b32 s8, ttmp6, 15
	s_add_co_i32 s3, s3, 1
	s_delay_alu instid0(SALU_CYCLE_1) | instskip(NEXT) | instid1(SALU_CYCLE_1)
	s_mul_i32 s3, ttmp9, s3
	s_add_co_i32 s8, s8, s3
	s_cmp_eq_u32 s9, 0
	s_cselect_b32 s16, ttmp9, s8
	s_bfe_u32 s2, s2, 0x10008
	s_ashr_i32 s17, s16, 31
	s_cmp_eq_u32 s2, 0
                                        ; implicit-def: $sgpr2_sgpr3
	s_cbranch_scc1 .LBB61_3
; %bb.2:
	s_load_b32 s2, s[0:1], 0x20
	s_mul_u64 s[4:5], s[4:5], s[16:17]
	s_delay_alu instid0(SALU_CYCLE_1) | instskip(NEXT) | instid1(SALU_CYCLE_1)
	s_lshl_b64 s[4:5], s[4:5], 2
	s_add_nc_u64 s[4:5], s[14:15], s[4:5]
	s_wait_kmcnt 0x0
	s_ashr_i32 s3, s2, 31
	s_delay_alu instid0(SALU_CYCLE_1) | instskip(NEXT) | instid1(SALU_CYCLE_1)
	s_lshl_b64 s[2:3], s[2:3], 2
	s_add_nc_u64 s[2:3], s[4:5], s[2:3]
.LBB61_3:
	s_clause 0x1
	s_load_b128 s[8:11], s[0:1], 0x0
	s_load_b32 s14, s[0:1], 0x38
	s_wait_xcnt 0x0
	s_mul_u64 s[0:1], s[12:13], s[16:17]
	v_mov_b32_e32 v3, 0
	s_lshl_b64 s[0:1], s[0:1], 3
	s_wait_kmcnt 0x0
	v_add3_u32 v8, s11, s11, v0
	s_ashr_i32 s5, s10, 31
	s_mov_b32 s4, s10
	s_add_nc_u64 s[0:1], s[8:9], s[0:1]
	s_lshl_b64 s[4:5], s[4:5], 3
	v_add_nc_u32_e32 v10, s11, v8
	s_add_nc_u64 s[4:5], s[0:1], s[4:5]
	s_ashr_i32 s1, s11, 31
	s_mov_b32 s0, s11
	s_bitcmp0_b32 s14, 0
	v_add_nc_u32_e32 v12, s11, v10
	s_delay_alu instid0(VALU_DEP_1) | instskip(NEXT) | instid1(VALU_DEP_1)
	v_add_nc_u32_e32 v14, s11, v12
	v_add_nc_u32_e32 v16, s11, v14
	s_delay_alu instid0(VALU_DEP_1) | instskip(NEXT) | instid1(VALU_DEP_1)
	v_add_nc_u32_e32 v18, s11, v16
	v_add_nc_u32_e32 v20, s11, v18
	s_delay_alu instid0(VALU_DEP_1) | instskip(NEXT) | instid1(VALU_DEP_1)
	v_add_nc_u32_e32 v22, s11, v20
	v_dual_lshlrev_b32 v2, 3, v0 :: v_dual_add_nc_u32 v24, s11, v22
	s_delay_alu instid0(VALU_DEP_1) | instskip(NEXT) | instid1(VALU_DEP_2)
	v_add_nc_u64_e32 v[6:7], s[4:5], v[2:3]
	v_add_nc_u32_e32 v26, s11, v24
	s_delay_alu instid0(VALU_DEP_2) | instskip(SKIP_1) | instid1(VALU_DEP_2)
	v_lshl_add_u64 v[4:5], s[0:1], 3, v[6:7]
	s_mov_b32 s1, -1
	v_add_nc_u32_e32 v28, s11, v26
	s_clause 0x9
	global_load_b64 v[92:93], v0, s[4:5] scale_offset
	global_load_b64 v[94:95], v[4:5], off
	global_load_b64 v[96:97], v8, s[4:5] scale_offset
	global_load_b64 v[98:99], v10, s[4:5] scale_offset
	;; [unrolled: 1-line block ×8, first 2 shown]
	v_add_nc_u32_e32 v30, s11, v28
	s_delay_alu instid0(VALU_DEP_1) | instskip(NEXT) | instid1(VALU_DEP_1)
	v_add_nc_u32_e32 v32, s11, v30
	v_add_nc_u32_e32 v34, s11, v32
	s_delay_alu instid0(VALU_DEP_1)
	v_add_nc_u32_e32 v36, s11, v34
	s_clause 0x5
	global_load_b64 v[112:113], v24, s[4:5] scale_offset
	global_load_b64 v[114:115], v26, s[4:5] scale_offset
	;; [unrolled: 1-line block ×6, first 2 shown]
	v_add_nc_u32_e32 v38, s11, v36
	s_delay_alu instid0(VALU_DEP_1) | instskip(NEXT) | instid1(VALU_DEP_1)
	v_add_nc_u32_e32 v40, s11, v38
	v_add_nc_u32_e32 v42, s11, v40
	s_delay_alu instid0(VALU_DEP_1) | instskip(NEXT) | instid1(VALU_DEP_1)
	v_add_nc_u32_e32 v44, s11, v42
	v_add_nc_u32_e32 v46, s11, v44
	s_delay_alu instid0(VALU_DEP_1)
	v_add_nc_u32_e32 v48, s11, v46
	s_clause 0x5
	global_load_b64 v[124:125], v36, s[4:5] scale_offset
	global_load_b64 v[126:127], v38, s[4:5] scale_offset
	;; [unrolled: 1-line block ×6, first 2 shown]
	v_add_nc_u32_e32 v50, s11, v48
	s_delay_alu instid0(VALU_DEP_1) | instskip(NEXT) | instid1(VALU_DEP_1)
	v_add_nc_u32_e32 v52, s11, v50
	v_add_nc_u32_e32 v54, s11, v52
	s_delay_alu instid0(VALU_DEP_1) | instskip(SKIP_4) | instid1(VALU_DEP_1)
	v_add_nc_u32_e32 v56, s11, v54
	s_clause 0x1
	global_load_b64 v[136:137], v48, s[4:5] scale_offset
	global_load_b64 v[138:139], v50, s[4:5] scale_offset
	v_add_nc_u32_e32 v58, s11, v56
	v_add_nc_u32_e32 v60, s11, v58
	s_clause 0x3
	global_load_b64 v[140:141], v52, s[4:5] scale_offset
	global_load_b64 v[142:143], v54, s[4:5] scale_offset
	;; [unrolled: 1-line block ×4, first 2 shown]
	v_add_nc_u32_e32 v62, s11, v60
	s_delay_alu instid0(VALU_DEP_1) | instskip(NEXT) | instid1(VALU_DEP_1)
	v_add_nc_u32_e32 v64, s11, v62
	v_add_nc_u32_e32 v66, s11, v64
	s_delay_alu instid0(VALU_DEP_1) | instskip(SKIP_4) | instid1(VALU_DEP_1)
	v_add_nc_u32_e32 v68, s11, v66
	s_clause 0x1
	global_load_b64 v[148:149], v60, s[4:5] scale_offset
	global_load_b64 v[150:151], v62, s[4:5] scale_offset
	v_add_nc_u32_e32 v70, s11, v68
	v_add_nc_u32_e32 v72, s11, v70
	s_delay_alu instid0(VALU_DEP_1) | instskip(NEXT) | instid1(VALU_DEP_1)
	v_add_nc_u32_e32 v74, s11, v72
	v_add_nc_u32_e32 v76, s11, v74
	s_delay_alu instid0(VALU_DEP_1) | instskip(NEXT) | instid1(VALU_DEP_1)
	;; [unrolled: 3-line block ×4, first 2 shown]
	v_add_nc_u32_e32 v86, s11, v84
	v_add_nc_u32_e32 v88, s11, v86
	s_delay_alu instid0(VALU_DEP_1)
	v_add_nc_u32_e32 v90, s11, v88
	s_wait_loadcnt 0x1c
	scratch_store_b128 off, v[92:95], off
	s_wait_xcnt 0x0
	v_add_nc_u32_e32 v92, s11, v90
	s_clause 0x3
	global_load_b64 v[152:153], v64, s[4:5] scale_offset
	global_load_b64 v[154:155], v66, s[4:5] scale_offset
	;; [unrolled: 1-line block ×4, first 2 shown]
	s_wait_loadcnt 0x1e
	scratch_store_b128 off, v[96:99], off offset:16
	s_wait_loadcnt 0x1c
	scratch_store_b128 off, v[100:103], off offset:32
	;; [unrolled: 2-line block ×3, first 2 shown]
	s_clause 0x3
	global_load_b64 v[160:161], v72, s[4:5] scale_offset
	global_load_b64 v[162:163], v74, s[4:5] scale_offset
	;; [unrolled: 1-line block ×4, first 2 shown]
	v_add_nc_u32_e32 v94, s11, v92
	s_wait_loadcnt 0x1c
	scratch_store_b128 off, v[108:111], off offset:64
	s_wait_loadcnt 0x1a
	scratch_store_b128 off, v[112:115], off offset:80
	s_wait_xcnt 0x8
	v_add_nc_u32_e32 v96, s11, v94
	s_clause 0x3
	global_load_b64 v[168:169], v80, s[4:5] scale_offset
	global_load_b64 v[170:171], v82, s[4:5] scale_offset
	;; [unrolled: 1-line block ×4, first 2 shown]
	s_wait_loadcnt 0x1c
	scratch_store_b128 off, v[116:119], off offset:96
	s_wait_loadcnt 0x1a
	scratch_store_b128 off, v[120:123], off offset:112
	s_clause 0x1
	global_load_b64 v[176:177], v88, s[4:5] scale_offset
	global_load_b64 v[178:179], v90, s[4:5] scale_offset
	v_add_nc_u32_e32 v98, s11, v96
	s_wait_xcnt 0xf
	s_delay_alu instid0(VALU_DEP_1) | instskip(NEXT) | instid1(VALU_DEP_1)
	v_add_nc_u32_e32 v100, s11, v98
	v_add_nc_u32_e32 v102, s11, v100
	s_wait_xcnt 0xe
	s_delay_alu instid0(VALU_DEP_1) | instskip(NEXT) | instid1(VALU_DEP_1)
	v_add_nc_u32_e32 v104, s11, v102
	v_add_nc_u32_e32 v106, s11, v104
	s_wait_loadcnt 0x1a
	scratch_store_b128 off, v[124:127], off offset:128
	s_clause 0x1
	global_load_b64 v[180:181], v92, s[4:5] scale_offset
	global_load_b64 v[182:183], v94, s[4:5] scale_offset
	s_wait_loadcnt 0x1a
	scratch_store_b128 off, v[128:131], off offset:144
	s_clause 0x1
	global_load_b64 v[128:129], v96, s[4:5] scale_offset
	global_load_b64 v[130:131], v98, s[4:5] scale_offset
	v_add_nc_u32_e32 v108, s11, v106
	s_wait_loadcnt 0x1a
	scratch_store_b128 off, v[132:135], off offset:160
	v_add_nc_u32_e32 v110, s11, v108
	s_delay_alu instid0(VALU_DEP_1) | instskip(NEXT) | instid1(VALU_DEP_1)
	v_add_nc_u32_e32 v112, s11, v110
	v_add_nc_u32_e32 v114, s11, v112
	s_wait_loadcnt 0x18
	scratch_store_b128 off, v[136:139], off offset:176
	v_add_nc_u32_e32 v116, s11, v114
	s_delay_alu instid0(VALU_DEP_1)
	v_add_nc_u32_e32 v118, s11, v116
	s_wait_loadcnt 0x16
	scratch_store_b128 off, v[140:143], off offset:192
	s_wait_loadcnt 0x14
	scratch_store_b128 off, v[144:147], off offset:208
	v_add_nc_u32_e32 v120, s11, v118
	s_delay_alu instid0(VALU_DEP_1) | instskip(NEXT) | instid1(VALU_DEP_1)
	v_add_nc_u32_e32 v122, s11, v120
	v_add_nc_u32_e32 v124, s11, v122
	s_delay_alu instid0(VALU_DEP_1)
	v_add_nc_u32_e32 v126, s11, v124
	s_wait_loadcnt 0x12
	scratch_store_b128 off, v[148:151], off offset:224
	s_wait_loadcnt 0x10
	scratch_store_b128 off, v[152:155], off offset:240
	;; [unrolled: 2-line block ×3, first 2 shown]
	s_clause 0x1
	global_load_b64 v[132:133], v100, s[4:5] scale_offset
	global_load_b64 v[134:135], v102, s[4:5] scale_offset
	s_wait_loadcnt 0xe
	scratch_store_b128 off, v[160:163], off offset:272
	s_wait_loadcnt 0xc
	scratch_store_b128 off, v[164:167], off offset:288
	s_clause 0x3
	global_load_b64 v[136:137], v104, s[4:5] scale_offset
	global_load_b64 v[138:139], v106, s[4:5] scale_offset
	;; [unrolled: 1-line block ×4, first 2 shown]
	s_wait_loadcnt 0xe
	scratch_store_b128 off, v[168:171], off offset:304
	s_wait_loadcnt 0xc
	scratch_store_b128 off, v[172:175], off offset:320
	;; [unrolled: 2-line block ×3, first 2 shown]
	s_clause 0x3
	global_load_b64 v[144:145], v112, s[4:5] scale_offset
	global_load_b64 v[146:147], v114, s[4:5] scale_offset
	;; [unrolled: 1-line block ×4, first 2 shown]
	s_wait_loadcnt 0xc
	scratch_store_b128 off, v[180:183], off offset:352
	s_clause 0x1
	global_load_b64 v[152:153], v120, s[4:5] scale_offset
	global_load_b64 v[154:155], v122, s[4:5] scale_offset
	s_wait_loadcnt 0xc
	scratch_store_b128 off, v[128:131], off offset:368
	s_clause 0x1
	global_load_b64 v[128:129], v124, s[4:5] scale_offset
	global_load_b64 v[130:131], v126, s[4:5] scale_offset
	s_wait_loadcnt 0xc
	scratch_store_b128 off, v[132:135], off offset:384
	s_wait_loadcnt 0xa
	scratch_store_b128 off, v[136:139], off offset:400
	;; [unrolled: 2-line block ×7, first 2 shown]
	s_cbranch_scc1 .LBB61_256
; %bb.4:
	v_cmp_eq_u32_e64 s0, 0, v0
	s_wait_xcnt 0x0
	s_and_saveexec_b32 s1, s0
; %bb.5:
	v_mov_b32_e32 v1, 0
	ds_store_b32 v1, v1 offset:992
; %bb.6:
	s_or_b32 exec_lo, exec_lo, s1
	s_wait_storecnt_dscnt 0x0
	s_barrier_signal -1
	s_barrier_wait -1
	scratch_load_b64 v[128:129], v0, off scale_offset
	s_mov_b32 s8, exec_lo
	s_wait_loadcnt 0x0
	v_cmpx_eq_f64_e32 0, v[128:129]
	s_cbranch_execz .LBB61_10
; %bb.7:
	v_mov_b32_e32 v1, 0
	s_mov_b32 s9, 0
	ds_load_b32 v3, v1 offset:992
	s_wait_dscnt 0x0
	v_readfirstlane_b32 s1, v3
	v_add_nc_u32_e32 v3, 1, v0
	s_cmp_eq_u32 s1, 0
	s_delay_alu instid0(VALU_DEP_1) | instskip(SKIP_1) | instid1(SALU_CYCLE_1)
	v_cmp_gt_i32_e32 vcc_lo, s1, v3
	s_cselect_b32 s10, -1, 0
	s_or_b32 s10, s10, vcc_lo
	s_delay_alu instid0(SALU_CYCLE_1)
	s_and_b32 exec_lo, exec_lo, s10
	s_cbranch_execz .LBB61_10
; %bb.8:
	v_mov_b32_e32 v9, s1
.LBB61_9:                               ; =>This Inner Loop Header: Depth=1
	ds_cmpstore_rtn_b32 v9, v1, v3, v9 offset:992
	s_wait_dscnt 0x0
	v_cmp_ne_u32_e32 vcc_lo, 0, v9
	v_cmp_le_i32_e64 s1, v9, v3
	s_and_b32 s1, vcc_lo, s1
	s_delay_alu instid0(SALU_CYCLE_1) | instskip(NEXT) | instid1(SALU_CYCLE_1)
	s_and_b32 s1, exec_lo, s1
	s_or_b32 s9, s1, s9
	s_delay_alu instid0(SALU_CYCLE_1)
	s_and_not1_b32 exec_lo, exec_lo, s9
	s_cbranch_execnz .LBB61_9
.LBB61_10:
	s_or_b32 exec_lo, exec_lo, s8
	v_mov_b32_e32 v1, 0
	s_barrier_signal -1
	s_barrier_wait -1
	ds_load_b32 v3, v1 offset:992
	s_and_saveexec_b32 s1, s0
	s_cbranch_execz .LBB61_12
; %bb.11:
	s_lshl_b64 s[8:9], s[16:17], 2
	s_delay_alu instid0(SALU_CYCLE_1)
	s_add_nc_u64 s[8:9], s[6:7], s[8:9]
	s_wait_dscnt 0x0
	global_store_b32 v1, v3, s[8:9]
.LBB61_12:
	s_wait_xcnt 0x0
	s_or_b32 exec_lo, exec_lo, s1
	s_wait_dscnt 0x0
	v_cmp_ne_u32_e32 vcc_lo, 0, v3
	s_mov_b32 s1, 0
	s_cbranch_vccnz .LBB61_256
; %bb.13:
	v_lshl_add_u32 v3, v0, 3, 0
	v_add_nc_u32_e32 v1, 0x1f0, v2
	scratch_load_b64 v[128:129], v3, off
	s_wait_loadcnt 0x0
	v_div_scale_f64 v[130:131], null, v[128:129], v[128:129], 1.0
	v_div_scale_f64 v[136:137], vcc_lo, 1.0, v[128:129], 1.0
	s_delay_alu instid0(VALU_DEP_2) | instskip(SKIP_1) | instid1(TRANS32_DEP_1)
	v_rcp_f64_e32 v[132:133], v[130:131]
	v_nop
	v_fma_f64 v[134:135], -v[130:131], v[132:133], 1.0
	s_delay_alu instid0(VALU_DEP_1) | instskip(NEXT) | instid1(VALU_DEP_1)
	v_fmac_f64_e32 v[132:133], v[132:133], v[134:135]
	v_fma_f64 v[134:135], -v[130:131], v[132:133], 1.0
	s_delay_alu instid0(VALU_DEP_1) | instskip(NEXT) | instid1(VALU_DEP_1)
	v_fmac_f64_e32 v[132:133], v[132:133], v[134:135]
	v_mul_f64_e32 v[134:135], v[136:137], v[132:133]
	s_delay_alu instid0(VALU_DEP_1) | instskip(NEXT) | instid1(VALU_DEP_1)
	v_fma_f64 v[130:131], -v[130:131], v[134:135], v[136:137]
	v_div_fmas_f64 v[130:131], v[130:131], v[132:133], v[134:135]
	s_delay_alu instid0(VALU_DEP_1)
	v_div_fixup_f64 v[128:129], v[130:131], v[128:129], 1.0
	scratch_store_b64 v3, v[128:129], off
	scratch_load_b64 v[130:131], off, off offset:8
	s_wait_xcnt 0x1
	v_xor_b32_e32 v129, 0x80000000, v129
	s_wait_loadcnt 0x0
	ds_store_2addr_b64 v2, v[128:129], v[130:131] offset1:62
	s_wait_storecnt_dscnt 0x0
	s_barrier_signal -1
	s_barrier_wait -1
	s_wait_xcnt 0x0
	s_and_saveexec_b32 s1, s0
	s_cbranch_execz .LBB61_15
; %bb.14:
	scratch_load_b64 v[128:129], v3, off
	ds_load_b64 v[130:131], v1
	s_wait_loadcnt_dscnt 0x0
	v_fma_f64 v[128:129], v[128:129], v[130:131], 0
	v_mov_b32_e32 v9, 0
	ds_load_b64 v[132:133], v9 offset:8
	s_wait_dscnt 0x0
	v_mul_f64_e32 v[128:129], v[128:129], v[132:133]
	scratch_store_b64 off, v[128:129], off offset:8
.LBB61_15:
	s_wait_xcnt 0x0
	s_or_b32 exec_lo, exec_lo, s1
	s_wait_storecnt 0x0
	s_barrier_signal -1
	s_barrier_wait -1
	scratch_load_b64 v[128:129], off, off offset:16
	s_mov_b32 s1, exec_lo
	s_wait_loadcnt 0x0
	ds_store_b64 v1, v[128:129]
	s_wait_dscnt 0x0
	s_barrier_signal -1
	s_barrier_wait -1
	v_cmpx_gt_u32_e32 2, v0
	s_cbranch_execz .LBB61_19
; %bb.16:
	scratch_load_b64 v[128:129], v3, off
	ds_load_b64 v[130:131], v1
	s_wait_loadcnt_dscnt 0x0
	v_fma_f64 v[128:129], v[128:129], v[130:131], 0
	s_and_saveexec_b32 s8, s0
	s_cbranch_execz .LBB61_18
; %bb.17:
	scratch_load_b64 v[130:131], off, off offset:8
	v_mov_b32_e32 v3, 0
	ds_load_b64 v[132:133], v3 offset:504
	s_wait_loadcnt_dscnt 0x0
	v_fmac_f64_e32 v[128:129], v[130:131], v[132:133]
.LBB61_18:
	s_or_b32 exec_lo, exec_lo, s8
	v_mov_b32_e32 v3, 0
	ds_load_b64 v[130:131], v3 offset:16
	s_wait_dscnt 0x0
	v_mul_f64_e32 v[128:129], v[128:129], v[130:131]
	scratch_store_b64 off, v[128:129], off offset:16
.LBB61_19:
	s_wait_xcnt 0x0
	s_or_b32 exec_lo, exec_lo, s1
	s_wait_storecnt 0x0
	s_barrier_signal -1
	s_barrier_wait -1
	scratch_load_b64 v[128:129], off, off offset:24
	v_add_nc_u32_e32 v3, -1, v0
	s_mov_b32 s0, exec_lo
	s_wait_loadcnt 0x0
	ds_store_b64 v1, v[128:129]
	s_wait_dscnt 0x0
	s_barrier_signal -1
	s_barrier_wait -1
	v_cmpx_gt_u32_e32 3, v0
	s_cbranch_execz .LBB61_23
; %bb.20:
	v_mov_b64_e32 v[128:129], 0
	v_dual_add_nc_u32 v9, -1, v0 :: v_dual_mov_b32 v13, v2
	v_add_nc_u32_e32 v11, 0x1f0, v2
	s_mov_b32 s1, 0
.LBB61_21:                              ; =>This Inner Loop Header: Depth=1
	scratch_load_b64 v[130:131], v13, off
	ds_load_b64 v[132:133], v11
	v_dual_add_nc_u32 v9, 1, v9 :: v_dual_add_nc_u32 v11, 8, v11
	s_wait_xcnt 0x0
	v_add_nc_u32_e32 v13, 8, v13
	s_delay_alu instid0(VALU_DEP_2)
	v_cmp_lt_u32_e32 vcc_lo, 1, v9
	s_or_b32 s1, vcc_lo, s1
	s_wait_loadcnt_dscnt 0x0
	v_fmac_f64_e32 v[128:129], v[130:131], v[132:133]
	s_and_not1_b32 exec_lo, exec_lo, s1
	s_cbranch_execnz .LBB61_21
; %bb.22:
	s_or_b32 exec_lo, exec_lo, s1
	v_mov_b32_e32 v9, 0
	ds_load_b64 v[130:131], v9 offset:24
	s_wait_dscnt 0x0
	v_mul_f64_e32 v[128:129], v[128:129], v[130:131]
	scratch_store_b64 off, v[128:129], off offset:24
.LBB61_23:
	s_wait_xcnt 0x0
	s_or_b32 exec_lo, exec_lo, s0
	s_wait_storecnt 0x0
	s_barrier_signal -1
	s_barrier_wait -1
	scratch_load_b64 v[128:129], off, off offset:32
	s_mov_b32 s0, exec_lo
	s_wait_loadcnt 0x0
	ds_store_b64 v1, v[128:129]
	s_wait_dscnt 0x0
	s_barrier_signal -1
	s_barrier_wait -1
	v_cmpx_gt_u32_e32 4, v0
	s_cbranch_execz .LBB61_27
; %bb.24:
	v_mov_b64_e32 v[128:129], 0
	v_dual_add_nc_u32 v9, -1, v0 :: v_dual_mov_b32 v13, v2
	v_add_nc_u32_e32 v11, 0x1f0, v2
	s_mov_b32 s1, 0
.LBB61_25:                              ; =>This Inner Loop Header: Depth=1
	scratch_load_b64 v[130:131], v13, off
	ds_load_b64 v[132:133], v11
	v_dual_add_nc_u32 v9, 1, v9 :: v_dual_add_nc_u32 v11, 8, v11
	s_wait_xcnt 0x0
	v_add_nc_u32_e32 v13, 8, v13
	s_delay_alu instid0(VALU_DEP_2)
	v_cmp_lt_u32_e32 vcc_lo, 2, v9
	s_or_b32 s1, vcc_lo, s1
	s_wait_loadcnt_dscnt 0x0
	v_fmac_f64_e32 v[128:129], v[130:131], v[132:133]
	s_and_not1_b32 exec_lo, exec_lo, s1
	s_cbranch_execnz .LBB61_25
; %bb.26:
	s_or_b32 exec_lo, exec_lo, s1
	v_mov_b32_e32 v9, 0
	ds_load_b64 v[130:131], v9 offset:32
	s_wait_dscnt 0x0
	v_mul_f64_e32 v[128:129], v[128:129], v[130:131]
	scratch_store_b64 off, v[128:129], off offset:32
.LBB61_27:
	s_wait_xcnt 0x0
	s_or_b32 exec_lo, exec_lo, s0
	s_wait_storecnt 0x0
	s_barrier_signal -1
	s_barrier_wait -1
	scratch_load_b64 v[128:129], off, off offset:40
	;; [unrolled: 40-line block ×20, first 2 shown]
	s_mov_b32 s0, exec_lo
	s_wait_loadcnt 0x0
	ds_store_b64 v1, v[128:129]
	s_wait_dscnt 0x0
	s_barrier_signal -1
	s_barrier_wait -1
	v_cmpx_gt_u32_e32 23, v0
	s_cbranch_execz .LBB61_103
; %bb.100:
	v_mov_b64_e32 v[128:129], 0
	v_dual_add_nc_u32 v9, -1, v0 :: v_dual_mov_b32 v13, v2
	v_add_nc_u32_e32 v11, 0x1f0, v2
	s_mov_b32 s1, 0
.LBB61_101:                             ; =>This Inner Loop Header: Depth=1
	scratch_load_b64 v[130:131], v13, off
	ds_load_b64 v[132:133], v11
	v_dual_add_nc_u32 v9, 1, v9 :: v_dual_add_nc_u32 v11, 8, v11
	s_wait_xcnt 0x0
	v_add_nc_u32_e32 v13, 8, v13
	s_delay_alu instid0(VALU_DEP_2)
	v_cmp_lt_u32_e32 vcc_lo, 21, v9
	s_or_b32 s1, vcc_lo, s1
	s_wait_loadcnt_dscnt 0x0
	v_fmac_f64_e32 v[128:129], v[130:131], v[132:133]
	s_and_not1_b32 exec_lo, exec_lo, s1
	s_cbranch_execnz .LBB61_101
; %bb.102:
	s_or_b32 exec_lo, exec_lo, s1
	v_mov_b32_e32 v9, 0
	ds_load_b64 v[130:131], v9 offset:184
	s_wait_dscnt 0x0
	v_mul_f64_e32 v[128:129], v[128:129], v[130:131]
	scratch_store_b64 off, v[128:129], off offset:184
.LBB61_103:
	s_wait_xcnt 0x0
	s_or_b32 exec_lo, exec_lo, s0
	s_wait_storecnt 0x0
	s_barrier_signal -1
	s_barrier_wait -1
	scratch_load_b64 v[128:129], off, off offset:192
	s_mov_b32 s0, exec_lo
	s_wait_loadcnt 0x0
	ds_store_b64 v1, v[128:129]
	s_wait_dscnt 0x0
	s_barrier_signal -1
	s_barrier_wait -1
	v_cmpx_gt_u32_e32 24, v0
	s_cbranch_execz .LBB61_107
; %bb.104:
	v_mov_b64_e32 v[128:129], 0
	v_dual_add_nc_u32 v9, -1, v0 :: v_dual_mov_b32 v13, v2
	v_add_nc_u32_e32 v11, 0x1f0, v2
	s_mov_b32 s1, 0
.LBB61_105:                             ; =>This Inner Loop Header: Depth=1
	scratch_load_b64 v[130:131], v13, off
	ds_load_b64 v[132:133], v11
	v_dual_add_nc_u32 v9, 1, v9 :: v_dual_add_nc_u32 v11, 8, v11
	s_wait_xcnt 0x0
	v_add_nc_u32_e32 v13, 8, v13
	s_delay_alu instid0(VALU_DEP_2)
	v_cmp_lt_u32_e32 vcc_lo, 22, v9
	s_or_b32 s1, vcc_lo, s1
	s_wait_loadcnt_dscnt 0x0
	v_fmac_f64_e32 v[128:129], v[130:131], v[132:133]
	s_and_not1_b32 exec_lo, exec_lo, s1
	s_cbranch_execnz .LBB61_105
; %bb.106:
	s_or_b32 exec_lo, exec_lo, s1
	v_mov_b32_e32 v9, 0
	ds_load_b64 v[130:131], v9 offset:192
	s_wait_dscnt 0x0
	v_mul_f64_e32 v[128:129], v[128:129], v[130:131]
	scratch_store_b64 off, v[128:129], off offset:192
.LBB61_107:
	s_wait_xcnt 0x0
	s_or_b32 exec_lo, exec_lo, s0
	s_wait_storecnt 0x0
	s_barrier_signal -1
	s_barrier_wait -1
	scratch_load_b64 v[128:129], off, off offset:200
	;; [unrolled: 40-line block ×38, first 2 shown]
	s_mov_b32 s0, exec_lo
	s_wait_loadcnt 0x0
	ds_store_b64 v1, v[128:129]
	s_wait_dscnt 0x0
	s_barrier_signal -1
	s_barrier_wait -1
	v_cmpx_ne_u32_e32 61, v0
	s_cbranch_execz .LBB61_255
; %bb.252:
	v_mov_b64_e32 v[128:129], 0
	s_mov_b32 s1, 0
.LBB61_253:                             ; =>This Inner Loop Header: Depth=1
	scratch_load_b64 v[130:131], v2, off
	ds_load_b64 v[132:133], v1
	v_dual_add_nc_u32 v3, 1, v3 :: v_dual_add_nc_u32 v1, 8, v1
	s_wait_xcnt 0x0
	v_add_nc_u32_e32 v2, 8, v2
	s_delay_alu instid0(VALU_DEP_2)
	v_cmp_lt_u32_e32 vcc_lo, 59, v3
	s_or_b32 s1, vcc_lo, s1
	s_wait_loadcnt_dscnt 0x0
	v_fmac_f64_e32 v[128:129], v[130:131], v[132:133]
	s_and_not1_b32 exec_lo, exec_lo, s1
	s_cbranch_execnz .LBB61_253
; %bb.254:
	s_or_b32 exec_lo, exec_lo, s1
	v_mov_b32_e32 v1, 0
	ds_load_b64 v[2:3], v1 offset:488
	s_wait_dscnt 0x0
	v_mul_f64_e32 v[2:3], v[128:129], v[2:3]
	scratch_store_b64 off, v[2:3], off offset:488
.LBB61_255:
	s_wait_xcnt 0x0
	s_or_b32 exec_lo, exec_lo, s0
	s_mov_b32 s1, -1
	s_wait_storecnt 0x0
	s_barrier_signal -1
	s_barrier_wait -1
.LBB61_256:
	s_and_b32 vcc_lo, exec_lo, s1
	s_cbranch_vccz .LBB61_258
; %bb.257:
	v_mov_b32_e32 v1, 0
	s_lshl_b64 s[0:1], s[16:17], 2
	s_delay_alu instid0(SALU_CYCLE_1)
	s_add_nc_u64 s[0:1], s[6:7], s[0:1]
	global_load_b32 v1, v1, s[0:1]
	s_wait_loadcnt 0x0
	v_cmp_ne_u32_e32 vcc_lo, 0, v1
	s_cbranch_vccz .LBB61_259
.LBB61_258:
	s_sendmsg sendmsg(MSG_DEALLOC_VGPRS)
	s_endpgm
.LBB61_259:
	s_wait_xcnt 0x0
	v_lshl_add_u32 v1, v0, 3, 0x1f0
	s_mov_b32 s0, exec_lo
	v_cmpx_eq_u32_e32 61, v0
	s_cbranch_execz .LBB61_261
; %bb.260:
	scratch_load_b64 v[2:3], off, off offset:480
	v_mov_b64_e32 v[128:129], 0
	scratch_store_b64 off, v[128:129], off offset:480
	s_wait_loadcnt 0x0
	ds_store_b64 v1, v[2:3]
.LBB61_261:
	s_wait_xcnt 0x0
	s_or_b32 exec_lo, exec_lo, s0
	s_wait_storecnt_dscnt 0x0
	s_barrier_signal -1
	s_barrier_wait -1
	scratch_load_b128 v[128:131], off, off offset:480
	v_mov_b32_e32 v2, 0
	s_mov_b32 s0, exec_lo
	ds_load_b64 v[132:133], v2 offset:984
	s_wait_loadcnt_dscnt 0x0
	v_fma_f64 v[130:131], v[130:131], v[132:133], 0
	s_delay_alu instid0(VALU_DEP_1)
	v_add_f64_e64 v[128:129], v[128:129], -v[130:131]
	scratch_store_b64 off, v[128:129], off offset:480
	s_wait_xcnt 0x0
	v_cmpx_lt_u32_e32 59, v0
	s_cbranch_execz .LBB61_263
; %bb.262:
	scratch_load_b64 v[128:129], off, off offset:472
	v_mov_b64_e32 v[130:131], 0
	scratch_store_b64 off, v[130:131], off offset:472
	s_wait_loadcnt 0x0
	ds_store_b64 v1, v[128:129]
.LBB61_263:
	s_wait_xcnt 0x0
	s_or_b32 exec_lo, exec_lo, s0
	s_wait_storecnt_dscnt 0x0
	s_barrier_signal -1
	s_barrier_wait -1
	s_clause 0x1
	scratch_load_b128 v[128:131], off, off offset:472
	scratch_load_b64 v[136:137], off, off offset:488
	ds_load_b128 v[132:135], v2 offset:976
	s_mov_b32 s0, exec_lo
	s_wait_loadcnt_dscnt 0x100
	v_fma_f64 v[2:3], v[130:131], v[132:133], 0
	s_wait_loadcnt 0x0
	s_delay_alu instid0(VALU_DEP_1) | instskip(NEXT) | instid1(VALU_DEP_1)
	v_fmac_f64_e32 v[2:3], v[136:137], v[134:135]
	v_add_f64_e64 v[2:3], v[128:129], -v[2:3]
	scratch_store_b64 off, v[2:3], off offset:472
	s_wait_xcnt 0x0
	v_cmpx_lt_u32_e32 58, v0
	s_cbranch_execz .LBB61_265
; %bb.264:
	scratch_load_b64 v[2:3], off, off offset:464
	v_mov_b64_e32 v[128:129], 0
	scratch_store_b64 off, v[128:129], off offset:464
	s_wait_loadcnt 0x0
	ds_store_b64 v1, v[2:3]
.LBB61_265:
	s_wait_xcnt 0x0
	s_or_b32 exec_lo, exec_lo, s0
	s_wait_storecnt_dscnt 0x0
	s_barrier_signal -1
	s_barrier_wait -1
	s_clause 0x1
	scratch_load_b128 v[128:131], off, off offset:464
	scratch_load_b128 v[132:135], off, off offset:480
	v_mov_b32_e32 v2, 0
	ds_load_2addr_b64 v[136:139], v2 offset0:121 offset1:122
	ds_load_b64 v[140:141], v2 offset:984
	s_mov_b32 s0, exec_lo
	s_wait_loadcnt_dscnt 0x101
	v_fma_f64 v[130:131], v[130:131], v[136:137], 0
	s_wait_loadcnt 0x0
	s_delay_alu instid0(VALU_DEP_1) | instskip(SKIP_1) | instid1(VALU_DEP_1)
	v_fmac_f64_e32 v[130:131], v[132:133], v[138:139]
	s_wait_dscnt 0x0
	v_fmac_f64_e32 v[130:131], v[134:135], v[140:141]
	s_delay_alu instid0(VALU_DEP_1)
	v_add_f64_e64 v[128:129], v[128:129], -v[130:131]
	scratch_store_b64 off, v[128:129], off offset:464
	s_wait_xcnt 0x0
	v_cmpx_lt_u32_e32 57, v0
	s_cbranch_execz .LBB61_267
; %bb.266:
	scratch_load_b64 v[128:129], off, off offset:456
	v_mov_b64_e32 v[130:131], 0
	scratch_store_b64 off, v[130:131], off offset:456
	s_wait_loadcnt 0x0
	ds_store_b64 v1, v[128:129]
.LBB61_267:
	s_wait_xcnt 0x0
	s_or_b32 exec_lo, exec_lo, s0
	s_wait_storecnt_dscnt 0x0
	s_barrier_signal -1
	s_barrier_wait -1
	s_clause 0x2
	scratch_load_b128 v[128:131], off, off offset:456
	scratch_load_b128 v[132:135], off, off offset:472
	scratch_load_b64 v[144:145], off, off offset:488
	ds_load_b128 v[136:139], v2 offset:960
	ds_load_b128 v[140:143], v2 offset:976
	s_mov_b32 s0, exec_lo
	s_wait_loadcnt_dscnt 0x201
	v_fma_f64 v[2:3], v[130:131], v[136:137], 0
	s_wait_loadcnt 0x1
	s_delay_alu instid0(VALU_DEP_1) | instskip(SKIP_1) | instid1(VALU_DEP_1)
	v_fmac_f64_e32 v[2:3], v[132:133], v[138:139]
	s_wait_dscnt 0x0
	v_fmac_f64_e32 v[2:3], v[134:135], v[140:141]
	s_wait_loadcnt 0x0
	s_delay_alu instid0(VALU_DEP_1) | instskip(NEXT) | instid1(VALU_DEP_1)
	v_fmac_f64_e32 v[2:3], v[144:145], v[142:143]
	v_add_f64_e64 v[2:3], v[128:129], -v[2:3]
	scratch_store_b64 off, v[2:3], off offset:456
	s_wait_xcnt 0x0
	v_cmpx_lt_u32_e32 56, v0
	s_cbranch_execz .LBB61_269
; %bb.268:
	scratch_load_b64 v[2:3], off, off offset:448
	v_mov_b64_e32 v[128:129], 0
	scratch_store_b64 off, v[128:129], off offset:448
	s_wait_loadcnt 0x0
	ds_store_b64 v1, v[2:3]
.LBB61_269:
	s_wait_xcnt 0x0
	s_or_b32 exec_lo, exec_lo, s0
	s_wait_storecnt_dscnt 0x0
	s_barrier_signal -1
	s_barrier_wait -1
	s_clause 0x2
	scratch_load_b128 v[128:131], off, off offset:448
	scratch_load_b128 v[132:135], off, off offset:464
	;; [unrolled: 1-line block ×3, first 2 shown]
	v_mov_b32_e32 v2, 0
	ds_load_2addr_b64 v[140:143], v2 offset0:119 offset1:120
	ds_load_2addr_b64 v[144:147], v2 offset0:121 offset1:122
	s_mov_b32 s0, exec_lo
	s_wait_loadcnt_dscnt 0x201
	v_fma_f64 v[130:131], v[130:131], v[140:141], 0
	s_wait_loadcnt 0x1
	s_delay_alu instid0(VALU_DEP_1) | instskip(SKIP_4) | instid1(VALU_DEP_1)
	v_fmac_f64_e32 v[130:131], v[132:133], v[142:143]
	ds_load_b64 v[132:133], v2 offset:984
	s_wait_dscnt 0x1
	v_fmac_f64_e32 v[130:131], v[134:135], v[144:145]
	s_wait_loadcnt 0x0
	v_fmac_f64_e32 v[130:131], v[136:137], v[146:147]
	s_wait_dscnt 0x0
	s_delay_alu instid0(VALU_DEP_1) | instskip(NEXT) | instid1(VALU_DEP_1)
	v_fmac_f64_e32 v[130:131], v[138:139], v[132:133]
	v_add_f64_e64 v[128:129], v[128:129], -v[130:131]
	scratch_store_b64 off, v[128:129], off offset:448
	s_wait_xcnt 0x0
	v_cmpx_lt_u32_e32 55, v0
	s_cbranch_execz .LBB61_271
; %bb.270:
	scratch_load_b64 v[128:129], off, off offset:440
	v_mov_b64_e32 v[130:131], 0
	scratch_store_b64 off, v[130:131], off offset:440
	s_wait_loadcnt 0x0
	ds_store_b64 v1, v[128:129]
.LBB61_271:
	s_wait_xcnt 0x0
	s_or_b32 exec_lo, exec_lo, s0
	s_wait_storecnt_dscnt 0x0
	s_barrier_signal -1
	s_barrier_wait -1
	s_clause 0x3
	scratch_load_b128 v[128:131], off, off offset:440
	scratch_load_b128 v[132:135], off, off offset:456
	;; [unrolled: 1-line block ×3, first 2 shown]
	scratch_load_b64 v[148:149], off, off offset:488
	ds_load_b128 v[140:143], v2 offset:944
	ds_load_b128 v[144:147], v2 offset:960
	s_mov_b32 s0, exec_lo
	s_wait_loadcnt_dscnt 0x301
	v_fma_f64 v[140:141], v[130:131], v[140:141], 0
	s_wait_loadcnt 0x2
	s_delay_alu instid0(VALU_DEP_1) | instskip(SKIP_4) | instid1(VALU_DEP_1)
	v_fmac_f64_e32 v[140:141], v[132:133], v[142:143]
	ds_load_b128 v[130:133], v2 offset:976
	s_wait_dscnt 0x1
	v_fmac_f64_e32 v[140:141], v[134:135], v[144:145]
	s_wait_loadcnt 0x1
	v_fmac_f64_e32 v[140:141], v[136:137], v[146:147]
	s_wait_dscnt 0x0
	s_delay_alu instid0(VALU_DEP_1) | instskip(SKIP_1) | instid1(VALU_DEP_1)
	v_fmac_f64_e32 v[140:141], v[138:139], v[130:131]
	s_wait_loadcnt 0x0
	v_fmac_f64_e32 v[140:141], v[148:149], v[132:133]
	s_delay_alu instid0(VALU_DEP_1)
	v_add_f64_e64 v[2:3], v[128:129], -v[140:141]
	scratch_store_b64 off, v[2:3], off offset:440
	s_wait_xcnt 0x0
	v_cmpx_lt_u32_e32 54, v0
	s_cbranch_execz .LBB61_273
; %bb.272:
	scratch_load_b64 v[2:3], off, off offset:432
	v_mov_b64_e32 v[128:129], 0
	scratch_store_b64 off, v[128:129], off offset:432
	s_wait_loadcnt 0x0
	ds_store_b64 v1, v[2:3]
.LBB61_273:
	s_wait_xcnt 0x0
	s_or_b32 exec_lo, exec_lo, s0
	s_wait_storecnt_dscnt 0x0
	s_barrier_signal -1
	s_barrier_wait -1
	s_clause 0x3
	scratch_load_b128 v[128:131], off, off offset:432
	scratch_load_b128 v[132:135], off, off offset:448
	scratch_load_b128 v[136:139], off, off offset:464
	scratch_load_b128 v[140:143], off, off offset:480
	v_mov_b32_e32 v2, 0
	ds_load_2addr_b64 v[144:147], v2 offset0:117 offset1:118
	ds_load_2addr_b64 v[148:151], v2 offset0:119 offset1:120
	s_mov_b32 s0, exec_lo
	s_wait_loadcnt_dscnt 0x301
	v_fma_f64 v[144:145], v[130:131], v[144:145], 0
	s_wait_loadcnt 0x2
	s_delay_alu instid0(VALU_DEP_1) | instskip(SKIP_1) | instid1(VALU_DEP_1)
	v_fmac_f64_e32 v[144:145], v[132:133], v[146:147]
	s_wait_dscnt 0x0
	v_fmac_f64_e32 v[144:145], v[134:135], v[148:149]
	ds_load_2addr_b64 v[130:133], v2 offset0:121 offset1:122
	ds_load_b64 v[134:135], v2 offset:984
	s_wait_loadcnt 0x1
	v_fmac_f64_e32 v[144:145], v[136:137], v[150:151]
	s_wait_dscnt 0x1
	s_delay_alu instid0(VALU_DEP_1) | instskip(SKIP_1) | instid1(VALU_DEP_1)
	v_fmac_f64_e32 v[144:145], v[138:139], v[130:131]
	s_wait_loadcnt 0x0
	v_fmac_f64_e32 v[144:145], v[140:141], v[132:133]
	s_wait_dscnt 0x0
	s_delay_alu instid0(VALU_DEP_1) | instskip(NEXT) | instid1(VALU_DEP_1)
	v_fmac_f64_e32 v[144:145], v[142:143], v[134:135]
	v_add_f64_e64 v[128:129], v[128:129], -v[144:145]
	scratch_store_b64 off, v[128:129], off offset:432
	s_wait_xcnt 0x0
	v_cmpx_lt_u32_e32 53, v0
	s_cbranch_execz .LBB61_275
; %bb.274:
	scratch_load_b64 v[128:129], off, off offset:424
	v_mov_b64_e32 v[130:131], 0
	scratch_store_b64 off, v[130:131], off offset:424
	s_wait_loadcnt 0x0
	ds_store_b64 v1, v[128:129]
.LBB61_275:
	s_wait_xcnt 0x0
	s_or_b32 exec_lo, exec_lo, s0
	s_wait_storecnt_dscnt 0x0
	s_barrier_signal -1
	s_barrier_wait -1
	s_clause 0x4
	scratch_load_b128 v[128:131], off, off offset:424
	scratch_load_b128 v[132:135], off, off offset:440
	;; [unrolled: 1-line block ×4, first 2 shown]
	scratch_load_b64 v[152:153], off, off offset:488
	ds_load_b128 v[144:147], v2 offset:928
	ds_load_b128 v[148:151], v2 offset:944
	s_mov_b32 s0, exec_lo
	s_wait_loadcnt_dscnt 0x401
	v_fma_f64 v[144:145], v[130:131], v[144:145], 0
	s_wait_loadcnt 0x3
	s_delay_alu instid0(VALU_DEP_1) | instskip(SKIP_1) | instid1(VALU_DEP_1)
	v_fmac_f64_e32 v[144:145], v[132:133], v[146:147]
	s_wait_dscnt 0x0
	v_fmac_f64_e32 v[144:145], v[134:135], v[148:149]
	s_wait_loadcnt 0x2
	s_delay_alu instid0(VALU_DEP_1)
	v_fmac_f64_e32 v[144:145], v[136:137], v[150:151]
	ds_load_b128 v[130:133], v2 offset:960
	ds_load_b128 v[134:137], v2 offset:976
	s_wait_dscnt 0x1
	v_fmac_f64_e32 v[144:145], v[138:139], v[130:131]
	s_wait_loadcnt 0x1
	s_delay_alu instid0(VALU_DEP_1) | instskip(SKIP_1) | instid1(VALU_DEP_1)
	v_fmac_f64_e32 v[144:145], v[140:141], v[132:133]
	s_wait_dscnt 0x0
	v_fmac_f64_e32 v[144:145], v[142:143], v[134:135]
	s_wait_loadcnt 0x0
	s_delay_alu instid0(VALU_DEP_1) | instskip(NEXT) | instid1(VALU_DEP_1)
	v_fmac_f64_e32 v[144:145], v[152:153], v[136:137]
	v_add_f64_e64 v[2:3], v[128:129], -v[144:145]
	scratch_store_b64 off, v[2:3], off offset:424
	s_wait_xcnt 0x0
	v_cmpx_lt_u32_e32 52, v0
	s_cbranch_execz .LBB61_277
; %bb.276:
	scratch_load_b64 v[2:3], off, off offset:416
	v_mov_b64_e32 v[128:129], 0
	scratch_store_b64 off, v[128:129], off offset:416
	s_wait_loadcnt 0x0
	ds_store_b64 v1, v[2:3]
.LBB61_277:
	s_wait_xcnt 0x0
	s_or_b32 exec_lo, exec_lo, s0
	s_wait_storecnt_dscnt 0x0
	s_barrier_signal -1
	s_barrier_wait -1
	s_clause 0x4
	scratch_load_b128 v[128:131], off, off offset:416
	scratch_load_b128 v[132:135], off, off offset:432
	;; [unrolled: 1-line block ×5, first 2 shown]
	v_mov_b32_e32 v2, 0
	ds_load_2addr_b64 v[148:151], v2 offset0:115 offset1:116
	ds_load_2addr_b64 v[152:155], v2 offset0:117 offset1:118
	s_mov_b32 s0, exec_lo
	s_wait_loadcnt_dscnt 0x401
	v_fma_f64 v[148:149], v[130:131], v[148:149], 0
	s_wait_loadcnt 0x3
	s_delay_alu instid0(VALU_DEP_1) | instskip(SKIP_1) | instid1(VALU_DEP_1)
	v_fmac_f64_e32 v[148:149], v[132:133], v[150:151]
	s_wait_dscnt 0x0
	v_fmac_f64_e32 v[148:149], v[134:135], v[152:153]
	s_wait_loadcnt 0x2
	s_delay_alu instid0(VALU_DEP_1)
	v_fmac_f64_e32 v[148:149], v[136:137], v[154:155]
	ds_load_2addr_b64 v[130:133], v2 offset0:119 offset1:120
	ds_load_2addr_b64 v[134:137], v2 offset0:121 offset1:122
	s_wait_dscnt 0x1
	v_fmac_f64_e32 v[148:149], v[138:139], v[130:131]
	ds_load_b64 v[130:131], v2 offset:984
	s_wait_loadcnt 0x1
	v_fmac_f64_e32 v[148:149], v[140:141], v[132:133]
	s_wait_dscnt 0x1
	s_delay_alu instid0(VALU_DEP_1) | instskip(SKIP_1) | instid1(VALU_DEP_1)
	v_fmac_f64_e32 v[148:149], v[142:143], v[134:135]
	s_wait_loadcnt 0x0
	v_fmac_f64_e32 v[148:149], v[144:145], v[136:137]
	s_wait_dscnt 0x0
	s_delay_alu instid0(VALU_DEP_1) | instskip(NEXT) | instid1(VALU_DEP_1)
	v_fmac_f64_e32 v[148:149], v[146:147], v[130:131]
	v_add_f64_e64 v[128:129], v[128:129], -v[148:149]
	scratch_store_b64 off, v[128:129], off offset:416
	s_wait_xcnt 0x0
	v_cmpx_lt_u32_e32 51, v0
	s_cbranch_execz .LBB61_279
; %bb.278:
	scratch_load_b64 v[128:129], off, off offset:408
	v_mov_b64_e32 v[130:131], 0
	scratch_store_b64 off, v[130:131], off offset:408
	s_wait_loadcnt 0x0
	ds_store_b64 v1, v[128:129]
.LBB61_279:
	s_wait_xcnt 0x0
	s_or_b32 exec_lo, exec_lo, s0
	s_wait_storecnt_dscnt 0x0
	s_barrier_signal -1
	s_barrier_wait -1
	s_clause 0x5
	scratch_load_b128 v[128:131], off, off offset:408
	scratch_load_b128 v[132:135], off, off offset:424
	;; [unrolled: 1-line block ×5, first 2 shown]
	scratch_load_b64 v[156:157], off, off offset:488
	ds_load_b128 v[148:151], v2 offset:912
	ds_load_b128 v[152:155], v2 offset:928
	s_mov_b32 s0, exec_lo
	s_wait_loadcnt_dscnt 0x501
	v_fma_f64 v[148:149], v[130:131], v[148:149], 0
	s_wait_loadcnt 0x4
	s_delay_alu instid0(VALU_DEP_1) | instskip(SKIP_1) | instid1(VALU_DEP_1)
	v_fmac_f64_e32 v[148:149], v[132:133], v[150:151]
	s_wait_dscnt 0x0
	v_fmac_f64_e32 v[148:149], v[134:135], v[152:153]
	s_wait_loadcnt 0x3
	s_delay_alu instid0(VALU_DEP_1)
	v_fmac_f64_e32 v[148:149], v[136:137], v[154:155]
	ds_load_b128 v[130:133], v2 offset:944
	ds_load_b128 v[134:137], v2 offset:960
	s_wait_dscnt 0x1
	v_fmac_f64_e32 v[148:149], v[138:139], v[130:131]
	s_wait_loadcnt 0x2
	s_delay_alu instid0(VALU_DEP_1) | instskip(SKIP_4) | instid1(VALU_DEP_1)
	v_fmac_f64_e32 v[148:149], v[140:141], v[132:133]
	ds_load_b128 v[130:133], v2 offset:976
	s_wait_dscnt 0x1
	v_fmac_f64_e32 v[148:149], v[142:143], v[134:135]
	s_wait_loadcnt 0x1
	v_fmac_f64_e32 v[148:149], v[144:145], v[136:137]
	s_wait_dscnt 0x0
	s_delay_alu instid0(VALU_DEP_1) | instskip(SKIP_1) | instid1(VALU_DEP_1)
	v_fmac_f64_e32 v[148:149], v[146:147], v[130:131]
	s_wait_loadcnt 0x0
	v_fmac_f64_e32 v[148:149], v[156:157], v[132:133]
	s_delay_alu instid0(VALU_DEP_1)
	v_add_f64_e64 v[2:3], v[128:129], -v[148:149]
	scratch_store_b64 off, v[2:3], off offset:408
	s_wait_xcnt 0x0
	v_cmpx_lt_u32_e32 50, v0
	s_cbranch_execz .LBB61_281
; %bb.280:
	scratch_load_b64 v[2:3], off, off offset:400
	v_mov_b64_e32 v[128:129], 0
	scratch_store_b64 off, v[128:129], off offset:400
	s_wait_loadcnt 0x0
	ds_store_b64 v1, v[2:3]
.LBB61_281:
	s_wait_xcnt 0x0
	s_or_b32 exec_lo, exec_lo, s0
	s_wait_storecnt_dscnt 0x0
	s_barrier_signal -1
	s_barrier_wait -1
	s_clause 0x5
	scratch_load_b128 v[128:131], off, off offset:400
	scratch_load_b128 v[132:135], off, off offset:416
	;; [unrolled: 1-line block ×6, first 2 shown]
	v_mov_b32_e32 v2, 0
	ds_load_2addr_b64 v[152:155], v2 offset0:113 offset1:114
	ds_load_2addr_b64 v[156:159], v2 offset0:115 offset1:116
	s_mov_b32 s0, exec_lo
	s_wait_loadcnt_dscnt 0x501
	v_fma_f64 v[152:153], v[130:131], v[152:153], 0
	s_wait_loadcnt 0x4
	s_delay_alu instid0(VALU_DEP_1) | instskip(SKIP_1) | instid1(VALU_DEP_1)
	v_fmac_f64_e32 v[152:153], v[132:133], v[154:155]
	s_wait_dscnt 0x0
	v_fmac_f64_e32 v[152:153], v[134:135], v[156:157]
	s_wait_loadcnt 0x3
	s_delay_alu instid0(VALU_DEP_1)
	v_fmac_f64_e32 v[152:153], v[136:137], v[158:159]
	ds_load_2addr_b64 v[130:133], v2 offset0:117 offset1:118
	ds_load_2addr_b64 v[134:137], v2 offset0:119 offset1:120
	s_wait_dscnt 0x1
	v_fmac_f64_e32 v[152:153], v[138:139], v[130:131]
	s_wait_loadcnt 0x2
	s_delay_alu instid0(VALU_DEP_1) | instskip(SKIP_1) | instid1(VALU_DEP_1)
	v_fmac_f64_e32 v[152:153], v[140:141], v[132:133]
	s_wait_dscnt 0x0
	v_fmac_f64_e32 v[152:153], v[142:143], v[134:135]
	ds_load_2addr_b64 v[130:133], v2 offset0:121 offset1:122
	ds_load_b64 v[134:135], v2 offset:984
	s_wait_loadcnt 0x1
	v_fmac_f64_e32 v[152:153], v[144:145], v[136:137]
	s_wait_dscnt 0x1
	s_delay_alu instid0(VALU_DEP_1) | instskip(SKIP_1) | instid1(VALU_DEP_1)
	v_fmac_f64_e32 v[152:153], v[146:147], v[130:131]
	s_wait_loadcnt 0x0
	v_fmac_f64_e32 v[152:153], v[148:149], v[132:133]
	s_wait_dscnt 0x0
	s_delay_alu instid0(VALU_DEP_1) | instskip(NEXT) | instid1(VALU_DEP_1)
	v_fmac_f64_e32 v[152:153], v[150:151], v[134:135]
	v_add_f64_e64 v[128:129], v[128:129], -v[152:153]
	scratch_store_b64 off, v[128:129], off offset:400
	s_wait_xcnt 0x0
	v_cmpx_lt_u32_e32 49, v0
	s_cbranch_execz .LBB61_283
; %bb.282:
	scratch_load_b64 v[128:129], off, off offset:392
	v_mov_b64_e32 v[130:131], 0
	scratch_store_b64 off, v[130:131], off offset:392
	s_wait_loadcnt 0x0
	ds_store_b64 v1, v[128:129]
.LBB61_283:
	s_wait_xcnt 0x0
	s_or_b32 exec_lo, exec_lo, s0
	s_wait_storecnt_dscnt 0x0
	s_barrier_signal -1
	s_barrier_wait -1
	s_clause 0x5
	scratch_load_b128 v[128:131], off, off offset:392
	scratch_load_b128 v[132:135], off, off offset:408
	;; [unrolled: 1-line block ×6, first 2 shown]
	ds_load_b128 v[152:155], v2 offset:896
	ds_load_b128 v[156:159], v2 offset:912
	s_mov_b32 s0, exec_lo
	s_wait_loadcnt_dscnt 0x501
	v_fma_f64 v[152:153], v[130:131], v[152:153], 0
	s_wait_loadcnt 0x4
	s_delay_alu instid0(VALU_DEP_1) | instskip(SKIP_4) | instid1(VALU_DEP_1)
	v_fmac_f64_e32 v[152:153], v[132:133], v[154:155]
	scratch_load_b64 v[154:155], off, off offset:488
	s_wait_dscnt 0x0
	v_fmac_f64_e32 v[152:153], v[134:135], v[156:157]
	s_wait_loadcnt 0x4
	v_fmac_f64_e32 v[152:153], v[136:137], v[158:159]
	ds_load_b128 v[130:133], v2 offset:928
	ds_load_b128 v[134:137], v2 offset:944
	s_wait_dscnt 0x1
	v_fmac_f64_e32 v[152:153], v[138:139], v[130:131]
	s_wait_loadcnt 0x3
	s_delay_alu instid0(VALU_DEP_1) | instskip(SKIP_1) | instid1(VALU_DEP_1)
	v_fmac_f64_e32 v[152:153], v[140:141], v[132:133]
	s_wait_dscnt 0x0
	v_fmac_f64_e32 v[152:153], v[142:143], v[134:135]
	s_wait_loadcnt 0x2
	s_delay_alu instid0(VALU_DEP_1)
	v_fmac_f64_e32 v[152:153], v[144:145], v[136:137]
	ds_load_b128 v[130:133], v2 offset:960
	ds_load_b128 v[134:137], v2 offset:976
	s_wait_dscnt 0x1
	v_fmac_f64_e32 v[152:153], v[146:147], v[130:131]
	s_wait_loadcnt 0x1
	s_delay_alu instid0(VALU_DEP_1) | instskip(SKIP_1) | instid1(VALU_DEP_1)
	v_fmac_f64_e32 v[152:153], v[148:149], v[132:133]
	s_wait_dscnt 0x0
	v_fmac_f64_e32 v[152:153], v[150:151], v[134:135]
	s_wait_loadcnt 0x0
	s_delay_alu instid0(VALU_DEP_1) | instskip(NEXT) | instid1(VALU_DEP_1)
	v_fmac_f64_e32 v[152:153], v[154:155], v[136:137]
	v_add_f64_e64 v[2:3], v[128:129], -v[152:153]
	scratch_store_b64 off, v[2:3], off offset:392
	s_wait_xcnt 0x0
	v_cmpx_lt_u32_e32 48, v0
	s_cbranch_execz .LBB61_285
; %bb.284:
	scratch_load_b64 v[2:3], off, off offset:384
	v_mov_b64_e32 v[128:129], 0
	scratch_store_b64 off, v[128:129], off offset:384
	s_wait_loadcnt 0x0
	ds_store_b64 v1, v[2:3]
.LBB61_285:
	s_wait_xcnt 0x0
	s_or_b32 exec_lo, exec_lo, s0
	s_wait_storecnt_dscnt 0x0
	s_barrier_signal -1
	s_barrier_wait -1
	s_clause 0x5
	scratch_load_b128 v[128:131], off, off offset:384
	scratch_load_b128 v[132:135], off, off offset:400
	;; [unrolled: 1-line block ×6, first 2 shown]
	v_mov_b32_e32 v2, 0
	ds_load_2addr_b64 v[152:155], v2 offset0:111 offset1:112
	ds_load_2addr_b64 v[156:159], v2 offset0:113 offset1:114
	s_mov_b32 s0, exec_lo
	s_wait_loadcnt_dscnt 0x501
	v_fma_f64 v[160:161], v[130:131], v[152:153], 0
	s_wait_loadcnt 0x4
	s_delay_alu instid0(VALU_DEP_1) | instskip(SKIP_4) | instid1(VALU_DEP_1)
	v_fmac_f64_e32 v[160:161], v[132:133], v[154:155]
	scratch_load_b128 v[130:133], off, off offset:480
	s_wait_dscnt 0x0
	v_fmac_f64_e32 v[160:161], v[134:135], v[156:157]
	s_wait_loadcnt 0x4
	v_fmac_f64_e32 v[160:161], v[136:137], v[158:159]
	ds_load_2addr_b64 v[134:137], v2 offset0:115 offset1:116
	ds_load_2addr_b64 v[152:155], v2 offset0:117 offset1:118
	s_wait_dscnt 0x1
	v_fmac_f64_e32 v[160:161], v[138:139], v[134:135]
	s_wait_loadcnt 0x3
	s_delay_alu instid0(VALU_DEP_1)
	v_fmac_f64_e32 v[160:161], v[140:141], v[136:137]
	ds_load_2addr_b64 v[134:137], v2 offset0:119 offset1:120
	ds_load_2addr_b64 v[138:141], v2 offset0:121 offset1:122
	s_wait_dscnt 0x2
	v_fmac_f64_e32 v[160:161], v[142:143], v[152:153]
	s_wait_loadcnt 0x2
	s_delay_alu instid0(VALU_DEP_1) | instskip(SKIP_1) | instid1(VALU_DEP_1)
	v_fmac_f64_e32 v[160:161], v[144:145], v[154:155]
	s_wait_dscnt 0x1
	v_fmac_f64_e32 v[160:161], v[146:147], v[134:135]
	s_wait_loadcnt 0x1
	s_delay_alu instid0(VALU_DEP_1) | instskip(SKIP_1) | instid1(VALU_DEP_1)
	v_fmac_f64_e32 v[160:161], v[148:149], v[136:137]
	s_wait_dscnt 0x0
	v_fmac_f64_e32 v[160:161], v[150:151], v[138:139]
	s_wait_loadcnt 0x0
	s_delay_alu instid0(VALU_DEP_1) | instskip(SKIP_3) | instid1(VALU_DEP_1)
	v_fmac_f64_e32 v[160:161], v[130:131], v[140:141]
	ds_load_b64 v[130:131], v2 offset:984
	s_wait_dscnt 0x0
	v_fmac_f64_e32 v[160:161], v[132:133], v[130:131]
	v_add_f64_e64 v[128:129], v[128:129], -v[160:161]
	scratch_store_b64 off, v[128:129], off offset:384
	s_wait_xcnt 0x0
	v_cmpx_lt_u32_e32 47, v0
	s_cbranch_execz .LBB61_287
; %bb.286:
	scratch_load_b64 v[128:129], off, off offset:376
	v_mov_b64_e32 v[130:131], 0
	scratch_store_b64 off, v[130:131], off offset:376
	s_wait_loadcnt 0x0
	ds_store_b64 v1, v[128:129]
.LBB61_287:
	s_wait_xcnt 0x0
	s_or_b32 exec_lo, exec_lo, s0
	s_wait_storecnt_dscnt 0x0
	s_barrier_signal -1
	s_barrier_wait -1
	s_clause 0x5
	scratch_load_b128 v[128:131], off, off offset:376
	scratch_load_b128 v[132:135], off, off offset:392
	;; [unrolled: 1-line block ×6, first 2 shown]
	ds_load_b128 v[152:155], v2 offset:880
	ds_load_b128 v[156:159], v2 offset:896
	s_mov_b32 s0, exec_lo
	s_wait_loadcnt_dscnt 0x501
	v_fma_f64 v[160:161], v[130:131], v[152:153], 0
	s_wait_loadcnt 0x4
	s_delay_alu instid0(VALU_DEP_1)
	v_fmac_f64_e32 v[160:161], v[132:133], v[154:155]
	scratch_load_b128 v[130:133], off, off offset:472
	s_wait_dscnt 0x0
	v_fmac_f64_e32 v[160:161], v[134:135], v[156:157]
	scratch_load_b64 v[156:157], off, off offset:488
	s_wait_loadcnt 0x5
	v_fmac_f64_e32 v[160:161], v[136:137], v[158:159]
	ds_load_b128 v[134:137], v2 offset:912
	ds_load_b128 v[152:155], v2 offset:928
	s_wait_dscnt 0x1
	v_fmac_f64_e32 v[160:161], v[138:139], v[134:135]
	s_wait_loadcnt 0x4
	s_delay_alu instid0(VALU_DEP_1)
	v_fmac_f64_e32 v[160:161], v[140:141], v[136:137]
	ds_load_b128 v[134:137], v2 offset:944
	ds_load_b128 v[138:141], v2 offset:960
	s_wait_dscnt 0x2
	v_fmac_f64_e32 v[160:161], v[142:143], v[152:153]
	s_wait_loadcnt 0x3
	s_delay_alu instid0(VALU_DEP_1) | instskip(SKIP_1) | instid1(VALU_DEP_1)
	v_fmac_f64_e32 v[160:161], v[144:145], v[154:155]
	s_wait_dscnt 0x1
	v_fmac_f64_e32 v[160:161], v[146:147], v[134:135]
	s_wait_loadcnt 0x2
	s_delay_alu instid0(VALU_DEP_1) | instskip(SKIP_4) | instid1(VALU_DEP_1)
	v_fmac_f64_e32 v[160:161], v[148:149], v[136:137]
	ds_load_b128 v[134:137], v2 offset:976
	s_wait_dscnt 0x1
	v_fmac_f64_e32 v[160:161], v[150:151], v[138:139]
	s_wait_loadcnt 0x1
	v_fmac_f64_e32 v[160:161], v[130:131], v[140:141]
	s_wait_dscnt 0x0
	s_delay_alu instid0(VALU_DEP_1) | instskip(SKIP_1) | instid1(VALU_DEP_1)
	v_fmac_f64_e32 v[160:161], v[132:133], v[134:135]
	s_wait_loadcnt 0x0
	v_fmac_f64_e32 v[160:161], v[156:157], v[136:137]
	s_delay_alu instid0(VALU_DEP_1)
	v_add_f64_e64 v[2:3], v[128:129], -v[160:161]
	scratch_store_b64 off, v[2:3], off offset:376
	s_wait_xcnt 0x0
	v_cmpx_lt_u32_e32 46, v0
	s_cbranch_execz .LBB61_289
; %bb.288:
	scratch_load_b64 v[2:3], off, off offset:368
	v_mov_b64_e32 v[128:129], 0
	scratch_store_b64 off, v[128:129], off offset:368
	s_wait_loadcnt 0x0
	ds_store_b64 v1, v[2:3]
.LBB61_289:
	s_wait_xcnt 0x0
	s_or_b32 exec_lo, exec_lo, s0
	s_wait_storecnt_dscnt 0x0
	s_barrier_signal -1
	s_barrier_wait -1
	s_clause 0x5
	scratch_load_b128 v[128:131], off, off offset:368
	scratch_load_b128 v[132:135], off, off offset:384
	;; [unrolled: 1-line block ×6, first 2 shown]
	v_mov_b32_e32 v2, 0
	ds_load_2addr_b64 v[152:155], v2 offset0:109 offset1:110
	ds_load_2addr_b64 v[156:159], v2 offset0:111 offset1:112
	s_mov_b32 s0, exec_lo
	s_wait_loadcnt_dscnt 0x501
	v_fma_f64 v[160:161], v[130:131], v[152:153], 0
	s_wait_loadcnt 0x4
	s_delay_alu instid0(VALU_DEP_1) | instskip(SKIP_4) | instid1(VALU_DEP_1)
	v_fmac_f64_e32 v[160:161], v[132:133], v[154:155]
	scratch_load_b128 v[130:133], off, off offset:464
	s_wait_dscnt 0x0
	v_fmac_f64_e32 v[160:161], v[134:135], v[156:157]
	s_wait_loadcnt 0x4
	v_fmac_f64_e32 v[160:161], v[136:137], v[158:159]
	scratch_load_b128 v[134:137], off, off offset:480
	ds_load_2addr_b64 v[152:155], v2 offset0:113 offset1:114
	ds_load_2addr_b64 v[156:159], v2 offset0:115 offset1:116
	s_wait_dscnt 0x1
	v_fmac_f64_e32 v[160:161], v[138:139], v[152:153]
	s_wait_loadcnt 0x4
	s_delay_alu instid0(VALU_DEP_1) | instskip(SKIP_1) | instid1(VALU_DEP_1)
	v_fmac_f64_e32 v[160:161], v[140:141], v[154:155]
	s_wait_dscnt 0x0
	v_fmac_f64_e32 v[160:161], v[142:143], v[156:157]
	s_wait_loadcnt 0x3
	s_delay_alu instid0(VALU_DEP_1)
	v_fmac_f64_e32 v[160:161], v[144:145], v[158:159]
	ds_load_2addr_b64 v[138:141], v2 offset0:117 offset1:118
	ds_load_2addr_b64 v[142:145], v2 offset0:119 offset1:120
	s_wait_dscnt 0x1
	v_fmac_f64_e32 v[160:161], v[146:147], v[138:139]
	s_wait_loadcnt 0x2
	s_delay_alu instid0(VALU_DEP_1) | instskip(SKIP_1) | instid1(VALU_DEP_1)
	v_fmac_f64_e32 v[160:161], v[148:149], v[140:141]
	s_wait_dscnt 0x0
	v_fmac_f64_e32 v[160:161], v[150:151], v[142:143]
	s_wait_loadcnt 0x1
	s_delay_alu instid0(VALU_DEP_1)
	v_fmac_f64_e32 v[160:161], v[130:131], v[144:145]
	ds_load_2addr_b64 v[138:141], v2 offset0:121 offset1:122
	ds_load_b64 v[130:131], v2 offset:984
	s_wait_dscnt 0x1
	v_fmac_f64_e32 v[160:161], v[132:133], v[138:139]
	s_wait_loadcnt 0x0
	s_delay_alu instid0(VALU_DEP_1) | instskip(SKIP_1) | instid1(VALU_DEP_1)
	v_fmac_f64_e32 v[160:161], v[134:135], v[140:141]
	s_wait_dscnt 0x0
	v_fmac_f64_e32 v[160:161], v[136:137], v[130:131]
	s_delay_alu instid0(VALU_DEP_1)
	v_add_f64_e64 v[128:129], v[128:129], -v[160:161]
	scratch_store_b64 off, v[128:129], off offset:368
	s_wait_xcnt 0x0
	v_cmpx_lt_u32_e32 45, v0
	s_cbranch_execz .LBB61_291
; %bb.290:
	scratch_load_b64 v[128:129], off, off offset:360
	v_mov_b64_e32 v[130:131], 0
	scratch_store_b64 off, v[130:131], off offset:360
	s_wait_loadcnt 0x0
	ds_store_b64 v1, v[128:129]
.LBB61_291:
	s_wait_xcnt 0x0
	s_or_b32 exec_lo, exec_lo, s0
	s_wait_storecnt_dscnt 0x0
	s_barrier_signal -1
	s_barrier_wait -1
	s_clause 0x5
	scratch_load_b128 v[128:131], off, off offset:360
	scratch_load_b128 v[132:135], off, off offset:376
	;; [unrolled: 1-line block ×6, first 2 shown]
	ds_load_b128 v[152:155], v2 offset:864
	ds_load_b128 v[156:159], v2 offset:880
	s_mov_b32 s0, exec_lo
	s_wait_loadcnt_dscnt 0x501
	v_fma_f64 v[160:161], v[130:131], v[152:153], 0
	s_wait_loadcnt 0x4
	s_delay_alu instid0(VALU_DEP_1) | instskip(SKIP_4) | instid1(VALU_DEP_1)
	v_fmac_f64_e32 v[160:161], v[132:133], v[154:155]
	scratch_load_b128 v[130:133], off, off offset:456
	s_wait_dscnt 0x0
	v_fmac_f64_e32 v[160:161], v[134:135], v[156:157]
	s_wait_loadcnt 0x4
	v_fmac_f64_e32 v[160:161], v[136:137], v[158:159]
	scratch_load_b128 v[134:137], off, off offset:472
	ds_load_b128 v[152:155], v2 offset:896
	ds_load_b128 v[156:159], v2 offset:912
	s_wait_dscnt 0x1
	v_fmac_f64_e32 v[160:161], v[138:139], v[152:153]
	scratch_load_b64 v[152:153], off, off offset:488
	s_wait_loadcnt 0x5
	v_fmac_f64_e32 v[160:161], v[140:141], v[154:155]
	s_wait_dscnt 0x0
	s_delay_alu instid0(VALU_DEP_1) | instskip(SKIP_1) | instid1(VALU_DEP_1)
	v_fmac_f64_e32 v[160:161], v[142:143], v[156:157]
	s_wait_loadcnt 0x4
	v_fmac_f64_e32 v[160:161], v[144:145], v[158:159]
	ds_load_b128 v[138:141], v2 offset:928
	ds_load_b128 v[142:145], v2 offset:944
	s_wait_dscnt 0x1
	v_fmac_f64_e32 v[160:161], v[146:147], v[138:139]
	s_wait_loadcnt 0x3
	s_delay_alu instid0(VALU_DEP_1) | instskip(SKIP_1) | instid1(VALU_DEP_1)
	v_fmac_f64_e32 v[160:161], v[148:149], v[140:141]
	s_wait_dscnt 0x0
	v_fmac_f64_e32 v[160:161], v[150:151], v[142:143]
	s_wait_loadcnt 0x2
	s_delay_alu instid0(VALU_DEP_1)
	v_fmac_f64_e32 v[160:161], v[130:131], v[144:145]
	ds_load_b128 v[138:141], v2 offset:960
	ds_load_b128 v[142:145], v2 offset:976
	s_wait_dscnt 0x1
	v_fmac_f64_e32 v[160:161], v[132:133], v[138:139]
	s_wait_loadcnt 0x1
	s_delay_alu instid0(VALU_DEP_1) | instskip(SKIP_1) | instid1(VALU_DEP_1)
	v_fmac_f64_e32 v[160:161], v[134:135], v[140:141]
	s_wait_dscnt 0x0
	v_fmac_f64_e32 v[160:161], v[136:137], v[142:143]
	s_wait_loadcnt 0x0
	s_delay_alu instid0(VALU_DEP_1) | instskip(NEXT) | instid1(VALU_DEP_1)
	v_fmac_f64_e32 v[160:161], v[152:153], v[144:145]
	v_add_f64_e64 v[2:3], v[128:129], -v[160:161]
	scratch_store_b64 off, v[2:3], off offset:360
	s_wait_xcnt 0x0
	v_cmpx_lt_u32_e32 44, v0
	s_cbranch_execz .LBB61_293
; %bb.292:
	scratch_load_b64 v[2:3], off, off offset:352
	v_mov_b64_e32 v[128:129], 0
	scratch_store_b64 off, v[128:129], off offset:352
	s_wait_loadcnt 0x0
	ds_store_b64 v1, v[2:3]
.LBB61_293:
	s_wait_xcnt 0x0
	s_or_b32 exec_lo, exec_lo, s0
	s_wait_storecnt_dscnt 0x0
	s_barrier_signal -1
	s_barrier_wait -1
	s_clause 0x5
	scratch_load_b128 v[128:131], off, off offset:352
	scratch_load_b128 v[132:135], off, off offset:368
	scratch_load_b128 v[136:139], off, off offset:384
	scratch_load_b128 v[140:143], off, off offset:400
	scratch_load_b128 v[144:147], off, off offset:416
	scratch_load_b128 v[148:151], off, off offset:432
	v_mov_b32_e32 v2, 0
	ds_load_2addr_b64 v[152:155], v2 offset0:107 offset1:108
	ds_load_2addr_b64 v[156:159], v2 offset0:109 offset1:110
	s_mov_b32 s0, exec_lo
	s_wait_loadcnt_dscnt 0x501
	v_fma_f64 v[160:161], v[130:131], v[152:153], 0
	s_wait_loadcnt 0x4
	s_delay_alu instid0(VALU_DEP_1) | instskip(SKIP_4) | instid1(VALU_DEP_1)
	v_fmac_f64_e32 v[160:161], v[132:133], v[154:155]
	scratch_load_b128 v[130:133], off, off offset:448
	s_wait_dscnt 0x0
	v_fmac_f64_e32 v[160:161], v[134:135], v[156:157]
	s_wait_loadcnt 0x4
	v_fmac_f64_e32 v[160:161], v[136:137], v[158:159]
	scratch_load_b128 v[134:137], off, off offset:464
	ds_load_2addr_b64 v[152:155], v2 offset0:111 offset1:112
	ds_load_2addr_b64 v[156:159], v2 offset0:113 offset1:114
	s_wait_dscnt 0x1
	v_fmac_f64_e32 v[160:161], v[138:139], v[152:153]
	s_wait_loadcnt 0x4
	s_delay_alu instid0(VALU_DEP_1) | instskip(SKIP_4) | instid1(VALU_DEP_1)
	v_fmac_f64_e32 v[160:161], v[140:141], v[154:155]
	scratch_load_b128 v[138:141], off, off offset:480
	s_wait_dscnt 0x0
	v_fmac_f64_e32 v[160:161], v[142:143], v[156:157]
	s_wait_loadcnt 0x4
	v_fmac_f64_e32 v[160:161], v[144:145], v[158:159]
	ds_load_2addr_b64 v[142:145], v2 offset0:115 offset1:116
	ds_load_2addr_b64 v[152:155], v2 offset0:117 offset1:118
	s_wait_dscnt 0x1
	v_fmac_f64_e32 v[160:161], v[146:147], v[142:143]
	s_wait_loadcnt 0x3
	s_delay_alu instid0(VALU_DEP_1)
	v_fmac_f64_e32 v[160:161], v[148:149], v[144:145]
	ds_load_2addr_b64 v[142:145], v2 offset0:119 offset1:120
	ds_load_2addr_b64 v[146:149], v2 offset0:121 offset1:122
	s_wait_dscnt 0x2
	v_fmac_f64_e32 v[160:161], v[150:151], v[152:153]
	s_wait_loadcnt 0x2
	s_delay_alu instid0(VALU_DEP_1) | instskip(SKIP_4) | instid1(VALU_DEP_1)
	v_fmac_f64_e32 v[160:161], v[130:131], v[154:155]
	ds_load_b64 v[130:131], v2 offset:984
	s_wait_dscnt 0x2
	v_fmac_f64_e32 v[160:161], v[132:133], v[142:143]
	s_wait_loadcnt 0x1
	v_fmac_f64_e32 v[160:161], v[134:135], v[144:145]
	s_wait_dscnt 0x1
	s_delay_alu instid0(VALU_DEP_1) | instskip(SKIP_1) | instid1(VALU_DEP_1)
	v_fmac_f64_e32 v[160:161], v[136:137], v[146:147]
	s_wait_loadcnt 0x0
	v_fmac_f64_e32 v[160:161], v[138:139], v[148:149]
	s_wait_dscnt 0x0
	s_delay_alu instid0(VALU_DEP_1) | instskip(NEXT) | instid1(VALU_DEP_1)
	v_fmac_f64_e32 v[160:161], v[140:141], v[130:131]
	v_add_f64_e64 v[128:129], v[128:129], -v[160:161]
	scratch_store_b64 off, v[128:129], off offset:352
	s_wait_xcnt 0x0
	v_cmpx_lt_u32_e32 43, v0
	s_cbranch_execz .LBB61_295
; %bb.294:
	scratch_load_b64 v[128:129], off, off offset:344
	v_mov_b64_e32 v[130:131], 0
	scratch_store_b64 off, v[130:131], off offset:344
	s_wait_loadcnt 0x0
	ds_store_b64 v1, v[128:129]
.LBB61_295:
	s_wait_xcnt 0x0
	s_or_b32 exec_lo, exec_lo, s0
	s_wait_storecnt_dscnt 0x0
	s_barrier_signal -1
	s_barrier_wait -1
	s_clause 0x5
	scratch_load_b128 v[128:131], off, off offset:344
	scratch_load_b128 v[132:135], off, off offset:360
	;; [unrolled: 1-line block ×6, first 2 shown]
	ds_load_b128 v[152:155], v2 offset:848
	ds_load_b128 v[156:159], v2 offset:864
	s_mov_b32 s0, exec_lo
	s_wait_loadcnt_dscnt 0x501
	v_fma_f64 v[160:161], v[130:131], v[152:153], 0
	s_wait_loadcnt 0x4
	s_delay_alu instid0(VALU_DEP_1) | instskip(SKIP_4) | instid1(VALU_DEP_1)
	v_fmac_f64_e32 v[160:161], v[132:133], v[154:155]
	scratch_load_b128 v[130:133], off, off offset:440
	s_wait_dscnt 0x0
	v_fmac_f64_e32 v[160:161], v[134:135], v[156:157]
	s_wait_loadcnt 0x4
	v_fmac_f64_e32 v[160:161], v[136:137], v[158:159]
	scratch_load_b128 v[134:137], off, off offset:456
	ds_load_b128 v[152:155], v2 offset:880
	ds_load_b128 v[156:159], v2 offset:896
	s_wait_dscnt 0x1
	v_fmac_f64_e32 v[160:161], v[138:139], v[152:153]
	s_wait_loadcnt 0x4
	s_delay_alu instid0(VALU_DEP_1)
	v_fmac_f64_e32 v[160:161], v[140:141], v[154:155]
	scratch_load_b128 v[138:141], off, off offset:472
	s_wait_dscnt 0x0
	v_fmac_f64_e32 v[160:161], v[142:143], v[156:157]
	scratch_load_b64 v[156:157], off, off offset:488
	s_wait_loadcnt 0x5
	v_fmac_f64_e32 v[160:161], v[144:145], v[158:159]
	ds_load_b128 v[142:145], v2 offset:912
	ds_load_b128 v[152:155], v2 offset:928
	s_wait_dscnt 0x1
	v_fmac_f64_e32 v[160:161], v[146:147], v[142:143]
	s_wait_loadcnt 0x4
	s_delay_alu instid0(VALU_DEP_1)
	v_fmac_f64_e32 v[160:161], v[148:149], v[144:145]
	ds_load_b128 v[142:145], v2 offset:944
	ds_load_b128 v[146:149], v2 offset:960
	s_wait_dscnt 0x2
	v_fmac_f64_e32 v[160:161], v[150:151], v[152:153]
	s_wait_loadcnt 0x3
	s_delay_alu instid0(VALU_DEP_1) | instskip(SKIP_1) | instid1(VALU_DEP_1)
	v_fmac_f64_e32 v[160:161], v[130:131], v[154:155]
	s_wait_dscnt 0x1
	v_fmac_f64_e32 v[160:161], v[132:133], v[142:143]
	ds_load_b128 v[130:133], v2 offset:976
	s_wait_loadcnt 0x2
	v_fmac_f64_e32 v[160:161], v[134:135], v[144:145]
	s_wait_dscnt 0x1
	s_delay_alu instid0(VALU_DEP_1) | instskip(SKIP_1) | instid1(VALU_DEP_1)
	v_fmac_f64_e32 v[160:161], v[136:137], v[146:147]
	s_wait_loadcnt 0x1
	v_fmac_f64_e32 v[160:161], v[138:139], v[148:149]
	s_wait_dscnt 0x0
	s_delay_alu instid0(VALU_DEP_1) | instskip(SKIP_1) | instid1(VALU_DEP_1)
	v_fmac_f64_e32 v[160:161], v[140:141], v[130:131]
	s_wait_loadcnt 0x0
	v_fmac_f64_e32 v[160:161], v[156:157], v[132:133]
	s_delay_alu instid0(VALU_DEP_1)
	v_add_f64_e64 v[2:3], v[128:129], -v[160:161]
	scratch_store_b64 off, v[2:3], off offset:344
	s_wait_xcnt 0x0
	v_cmpx_lt_u32_e32 42, v0
	s_cbranch_execz .LBB61_297
; %bb.296:
	scratch_load_b64 v[2:3], off, off offset:336
	v_mov_b64_e32 v[128:129], 0
	scratch_store_b64 off, v[128:129], off offset:336
	s_wait_loadcnt 0x0
	ds_store_b64 v1, v[2:3]
.LBB61_297:
	s_wait_xcnt 0x0
	s_or_b32 exec_lo, exec_lo, s0
	s_wait_storecnt_dscnt 0x0
	s_barrier_signal -1
	s_barrier_wait -1
	s_clause 0x5
	scratch_load_b128 v[128:131], off, off offset:336
	scratch_load_b128 v[132:135], off, off offset:352
	;; [unrolled: 1-line block ×6, first 2 shown]
	v_mov_b32_e32 v2, 0
	ds_load_2addr_b64 v[152:155], v2 offset0:105 offset1:106
	ds_load_2addr_b64 v[156:159], v2 offset0:107 offset1:108
	s_mov_b32 s0, exec_lo
	s_wait_loadcnt_dscnt 0x501
	v_fma_f64 v[160:161], v[130:131], v[152:153], 0
	s_wait_loadcnt 0x4
	s_delay_alu instid0(VALU_DEP_1) | instskip(SKIP_4) | instid1(VALU_DEP_1)
	v_fmac_f64_e32 v[160:161], v[132:133], v[154:155]
	scratch_load_b128 v[130:133], off, off offset:432
	s_wait_dscnt 0x0
	v_fmac_f64_e32 v[160:161], v[134:135], v[156:157]
	s_wait_loadcnt 0x4
	v_fmac_f64_e32 v[160:161], v[136:137], v[158:159]
	scratch_load_b128 v[134:137], off, off offset:448
	ds_load_2addr_b64 v[152:155], v2 offset0:109 offset1:110
	ds_load_2addr_b64 v[156:159], v2 offset0:111 offset1:112
	s_wait_dscnt 0x1
	v_fmac_f64_e32 v[160:161], v[138:139], v[152:153]
	s_wait_loadcnt 0x4
	s_delay_alu instid0(VALU_DEP_1) | instskip(SKIP_4) | instid1(VALU_DEP_1)
	v_fmac_f64_e32 v[160:161], v[140:141], v[154:155]
	scratch_load_b128 v[138:141], off, off offset:464
	s_wait_dscnt 0x0
	v_fmac_f64_e32 v[160:161], v[142:143], v[156:157]
	s_wait_loadcnt 0x4
	v_fmac_f64_e32 v[160:161], v[144:145], v[158:159]
	scratch_load_b128 v[142:145], off, off offset:480
	ds_load_2addr_b64 v[152:155], v2 offset0:113 offset1:114
	ds_load_2addr_b64 v[156:159], v2 offset0:115 offset1:116
	s_wait_dscnt 0x1
	v_fmac_f64_e32 v[160:161], v[146:147], v[152:153]
	s_wait_loadcnt 0x4
	s_delay_alu instid0(VALU_DEP_1) | instskip(SKIP_1) | instid1(VALU_DEP_1)
	v_fmac_f64_e32 v[160:161], v[148:149], v[154:155]
	s_wait_dscnt 0x0
	v_fmac_f64_e32 v[160:161], v[150:151], v[156:157]
	ds_load_2addr_b64 v[146:149], v2 offset0:117 offset1:118
	ds_load_2addr_b64 v[150:153], v2 offset0:119 offset1:120
	s_wait_loadcnt 0x3
	v_fmac_f64_e32 v[160:161], v[130:131], v[158:159]
	s_wait_dscnt 0x1
	s_delay_alu instid0(VALU_DEP_1) | instskip(SKIP_1) | instid1(VALU_DEP_1)
	v_fmac_f64_e32 v[160:161], v[132:133], v[146:147]
	s_wait_loadcnt 0x2
	v_fmac_f64_e32 v[160:161], v[134:135], v[148:149]
	ds_load_2addr_b64 v[130:133], v2 offset0:121 offset1:122
	ds_load_b64 v[134:135], v2 offset:984
	s_wait_dscnt 0x2
	v_fmac_f64_e32 v[160:161], v[136:137], v[150:151]
	s_wait_loadcnt 0x1
	s_delay_alu instid0(VALU_DEP_1) | instskip(SKIP_1) | instid1(VALU_DEP_1)
	v_fmac_f64_e32 v[160:161], v[138:139], v[152:153]
	s_wait_dscnt 0x1
	v_fmac_f64_e32 v[160:161], v[140:141], v[130:131]
	s_wait_loadcnt 0x0
	s_delay_alu instid0(VALU_DEP_1) | instskip(SKIP_1) | instid1(VALU_DEP_1)
	v_fmac_f64_e32 v[160:161], v[142:143], v[132:133]
	s_wait_dscnt 0x0
	v_fmac_f64_e32 v[160:161], v[144:145], v[134:135]
	s_delay_alu instid0(VALU_DEP_1)
	v_add_f64_e64 v[128:129], v[128:129], -v[160:161]
	scratch_store_b64 off, v[128:129], off offset:336
	s_wait_xcnt 0x0
	v_cmpx_lt_u32_e32 41, v0
	s_cbranch_execz .LBB61_299
; %bb.298:
	scratch_load_b64 v[128:129], off, off offset:328
	v_mov_b64_e32 v[130:131], 0
	scratch_store_b64 off, v[130:131], off offset:328
	s_wait_loadcnt 0x0
	ds_store_b64 v1, v[128:129]
.LBB61_299:
	s_wait_xcnt 0x0
	s_or_b32 exec_lo, exec_lo, s0
	s_wait_storecnt_dscnt 0x0
	s_barrier_signal -1
	s_barrier_wait -1
	s_clause 0x5
	scratch_load_b128 v[128:131], off, off offset:328
	scratch_load_b128 v[132:135], off, off offset:344
	scratch_load_b128 v[136:139], off, off offset:360
	scratch_load_b128 v[140:143], off, off offset:376
	scratch_load_b128 v[144:147], off, off offset:392
	scratch_load_b128 v[148:151], off, off offset:408
	ds_load_b128 v[152:155], v2 offset:832
	ds_load_b128 v[156:159], v2 offset:848
	s_mov_b32 s0, exec_lo
	s_wait_loadcnt_dscnt 0x501
	v_fma_f64 v[160:161], v[130:131], v[152:153], 0
	s_wait_loadcnt 0x4
	s_delay_alu instid0(VALU_DEP_1) | instskip(SKIP_4) | instid1(VALU_DEP_1)
	v_fmac_f64_e32 v[160:161], v[132:133], v[154:155]
	scratch_load_b128 v[130:133], off, off offset:424
	s_wait_dscnt 0x0
	v_fmac_f64_e32 v[160:161], v[134:135], v[156:157]
	s_wait_loadcnt 0x4
	v_fmac_f64_e32 v[160:161], v[136:137], v[158:159]
	scratch_load_b128 v[134:137], off, off offset:440
	ds_load_b128 v[152:155], v2 offset:864
	ds_load_b128 v[156:159], v2 offset:880
	s_wait_dscnt 0x1
	v_fmac_f64_e32 v[160:161], v[138:139], v[152:153]
	s_wait_loadcnt 0x4
	s_delay_alu instid0(VALU_DEP_1) | instskip(SKIP_4) | instid1(VALU_DEP_1)
	v_fmac_f64_e32 v[160:161], v[140:141], v[154:155]
	scratch_load_b128 v[138:141], off, off offset:456
	s_wait_dscnt 0x0
	v_fmac_f64_e32 v[160:161], v[142:143], v[156:157]
	s_wait_loadcnt 0x4
	v_fmac_f64_e32 v[160:161], v[144:145], v[158:159]
	scratch_load_b128 v[142:145], off, off offset:472
	ds_load_b128 v[152:155], v2 offset:896
	ds_load_b128 v[156:159], v2 offset:912
	s_wait_dscnt 0x1
	v_fmac_f64_e32 v[160:161], v[146:147], v[152:153]
	s_wait_loadcnt 0x4
	s_delay_alu instid0(VALU_DEP_1)
	v_fmac_f64_e32 v[160:161], v[148:149], v[154:155]
	scratch_load_b64 v[154:155], off, off offset:488
	s_wait_dscnt 0x0
	v_fmac_f64_e32 v[160:161], v[150:151], v[156:157]
	ds_load_b128 v[146:149], v2 offset:928
	ds_load_b128 v[150:153], v2 offset:944
	s_wait_loadcnt 0x4
	v_fmac_f64_e32 v[160:161], v[130:131], v[158:159]
	s_wait_dscnt 0x1
	s_delay_alu instid0(VALU_DEP_1) | instskip(SKIP_1) | instid1(VALU_DEP_1)
	v_fmac_f64_e32 v[160:161], v[132:133], v[146:147]
	s_wait_loadcnt 0x3
	v_fmac_f64_e32 v[160:161], v[134:135], v[148:149]
	s_wait_dscnt 0x0
	s_delay_alu instid0(VALU_DEP_1)
	v_fmac_f64_e32 v[160:161], v[136:137], v[150:151]
	ds_load_b128 v[130:133], v2 offset:960
	ds_load_b128 v[134:137], v2 offset:976
	s_wait_loadcnt 0x2
	v_fmac_f64_e32 v[160:161], v[138:139], v[152:153]
	s_wait_dscnt 0x1
	s_delay_alu instid0(VALU_DEP_1) | instskip(SKIP_1) | instid1(VALU_DEP_1)
	v_fmac_f64_e32 v[160:161], v[140:141], v[130:131]
	s_wait_loadcnt 0x1
	v_fmac_f64_e32 v[160:161], v[142:143], v[132:133]
	s_wait_dscnt 0x0
	s_delay_alu instid0(VALU_DEP_1) | instskip(SKIP_1) | instid1(VALU_DEP_1)
	v_fmac_f64_e32 v[160:161], v[144:145], v[134:135]
	s_wait_loadcnt 0x0
	v_fmac_f64_e32 v[160:161], v[154:155], v[136:137]
	s_delay_alu instid0(VALU_DEP_1)
	v_add_f64_e64 v[2:3], v[128:129], -v[160:161]
	scratch_store_b64 off, v[2:3], off offset:328
	s_wait_xcnt 0x0
	v_cmpx_lt_u32_e32 40, v0
	s_cbranch_execz .LBB61_301
; %bb.300:
	scratch_load_b64 v[2:3], off, off offset:320
	v_mov_b64_e32 v[128:129], 0
	scratch_store_b64 off, v[128:129], off offset:320
	s_wait_loadcnt 0x0
	ds_store_b64 v1, v[2:3]
.LBB61_301:
	s_wait_xcnt 0x0
	s_or_b32 exec_lo, exec_lo, s0
	s_wait_storecnt_dscnt 0x0
	s_barrier_signal -1
	s_barrier_wait -1
	s_clause 0x5
	scratch_load_b128 v[128:131], off, off offset:320
	scratch_load_b128 v[132:135], off, off offset:336
	;; [unrolled: 1-line block ×6, first 2 shown]
	v_mov_b32_e32 v2, 0
	ds_load_2addr_b64 v[152:155], v2 offset0:103 offset1:104
	ds_load_2addr_b64 v[156:159], v2 offset0:105 offset1:106
	s_mov_b32 s0, exec_lo
	s_wait_loadcnt_dscnt 0x501
	v_fma_f64 v[160:161], v[130:131], v[152:153], 0
	s_wait_loadcnt 0x4
	s_delay_alu instid0(VALU_DEP_1) | instskip(SKIP_4) | instid1(VALU_DEP_1)
	v_fmac_f64_e32 v[160:161], v[132:133], v[154:155]
	scratch_load_b128 v[130:133], off, off offset:416
	s_wait_dscnt 0x0
	v_fmac_f64_e32 v[160:161], v[134:135], v[156:157]
	s_wait_loadcnt 0x4
	v_fmac_f64_e32 v[160:161], v[136:137], v[158:159]
	scratch_load_b128 v[134:137], off, off offset:432
	ds_load_2addr_b64 v[152:155], v2 offset0:107 offset1:108
	ds_load_2addr_b64 v[156:159], v2 offset0:109 offset1:110
	s_wait_dscnt 0x1
	v_fmac_f64_e32 v[160:161], v[138:139], v[152:153]
	s_wait_loadcnt 0x4
	s_delay_alu instid0(VALU_DEP_1) | instskip(SKIP_4) | instid1(VALU_DEP_1)
	v_fmac_f64_e32 v[160:161], v[140:141], v[154:155]
	scratch_load_b128 v[138:141], off, off offset:448
	s_wait_dscnt 0x0
	v_fmac_f64_e32 v[160:161], v[142:143], v[156:157]
	s_wait_loadcnt 0x4
	v_fmac_f64_e32 v[160:161], v[144:145], v[158:159]
	scratch_load_b128 v[142:145], off, off offset:464
	ds_load_2addr_b64 v[152:155], v2 offset0:111 offset1:112
	ds_load_2addr_b64 v[156:159], v2 offset0:113 offset1:114
	s_wait_dscnt 0x1
	v_fmac_f64_e32 v[160:161], v[146:147], v[152:153]
	s_wait_loadcnt 0x4
	s_delay_alu instid0(VALU_DEP_1)
	v_fmac_f64_e32 v[160:161], v[148:149], v[154:155]
	scratch_load_b128 v[146:149], off, off offset:480
	s_wait_dscnt 0x0
	v_fmac_f64_e32 v[160:161], v[150:151], v[156:157]
	ds_load_2addr_b64 v[150:153], v2 offset0:115 offset1:116
	ds_load_2addr_b64 v[154:157], v2 offset0:117 offset1:118
	s_wait_loadcnt 0x4
	v_fmac_f64_e32 v[160:161], v[130:131], v[158:159]
	s_wait_dscnt 0x1
	s_delay_alu instid0(VALU_DEP_1) | instskip(SKIP_1) | instid1(VALU_DEP_1)
	v_fmac_f64_e32 v[160:161], v[132:133], v[150:151]
	s_wait_loadcnt 0x3
	v_fmac_f64_e32 v[160:161], v[134:135], v[152:153]
	s_wait_dscnt 0x0
	s_delay_alu instid0(VALU_DEP_1)
	v_fmac_f64_e32 v[160:161], v[136:137], v[154:155]
	ds_load_2addr_b64 v[130:133], v2 offset0:119 offset1:120
	ds_load_2addr_b64 v[134:137], v2 offset0:121 offset1:122
	s_wait_loadcnt 0x2
	v_fmac_f64_e32 v[160:161], v[138:139], v[156:157]
	s_wait_dscnt 0x1
	s_delay_alu instid0(VALU_DEP_1) | instskip(SKIP_4) | instid1(VALU_DEP_1)
	v_fmac_f64_e32 v[160:161], v[140:141], v[130:131]
	ds_load_b64 v[130:131], v2 offset:984
	s_wait_loadcnt 0x1
	v_fmac_f64_e32 v[160:161], v[142:143], v[132:133]
	s_wait_dscnt 0x1
	v_fmac_f64_e32 v[160:161], v[144:145], v[134:135]
	s_wait_loadcnt 0x0
	s_delay_alu instid0(VALU_DEP_1) | instskip(SKIP_1) | instid1(VALU_DEP_1)
	v_fmac_f64_e32 v[160:161], v[146:147], v[136:137]
	s_wait_dscnt 0x0
	v_fmac_f64_e32 v[160:161], v[148:149], v[130:131]
	s_delay_alu instid0(VALU_DEP_1)
	v_add_f64_e64 v[128:129], v[128:129], -v[160:161]
	scratch_store_b64 off, v[128:129], off offset:320
	s_wait_xcnt 0x0
	v_cmpx_lt_u32_e32 39, v0
	s_cbranch_execz .LBB61_303
; %bb.302:
	scratch_load_b64 v[128:129], off, off offset:312
	v_mov_b64_e32 v[130:131], 0
	scratch_store_b64 off, v[130:131], off offset:312
	s_wait_loadcnt 0x0
	ds_store_b64 v1, v[128:129]
.LBB61_303:
	s_wait_xcnt 0x0
	s_or_b32 exec_lo, exec_lo, s0
	s_wait_storecnt_dscnt 0x0
	s_barrier_signal -1
	s_barrier_wait -1
	s_clause 0x5
	scratch_load_b128 v[128:131], off, off offset:312
	scratch_load_b128 v[132:135], off, off offset:328
	;; [unrolled: 1-line block ×6, first 2 shown]
	ds_load_b128 v[152:155], v2 offset:816
	ds_load_b128 v[156:159], v2 offset:832
	scratch_load_b128 v[160:163], off, off offset:408
	s_mov_b32 s0, exec_lo
	s_wait_loadcnt_dscnt 0x601
	v_fma_f64 v[164:165], v[130:131], v[152:153], 0
	s_wait_loadcnt 0x5
	s_delay_alu instid0(VALU_DEP_1) | instskip(SKIP_4) | instid1(VALU_DEP_1)
	v_fmac_f64_e32 v[164:165], v[132:133], v[154:155]
	scratch_load_b128 v[130:133], off, off offset:424
	s_wait_dscnt 0x0
	v_fmac_f64_e32 v[164:165], v[134:135], v[156:157]
	s_wait_loadcnt 0x5
	v_fmac_f64_e32 v[164:165], v[136:137], v[158:159]
	ds_load_b128 v[134:137], v2 offset:848
	ds_load_b128 v[152:155], v2 offset:864
	s_wait_dscnt 0x1
	v_fmac_f64_e32 v[164:165], v[138:139], v[134:135]
	s_wait_loadcnt 0x4
	s_delay_alu instid0(VALU_DEP_1)
	v_fmac_f64_e32 v[164:165], v[140:141], v[136:137]
	s_clause 0x1
	scratch_load_b128 v[134:137], off, off offset:440
	scratch_load_b128 v[138:141], off, off offset:456
	s_wait_dscnt 0x0
	v_fmac_f64_e32 v[164:165], v[142:143], v[152:153]
	s_wait_loadcnt 0x5
	s_delay_alu instid0(VALU_DEP_1)
	v_fmac_f64_e32 v[164:165], v[144:145], v[154:155]
	ds_load_b128 v[142:145], v2 offset:880
	ds_load_b128 v[152:155], v2 offset:896
	s_wait_dscnt 0x1
	v_fmac_f64_e32 v[164:165], v[146:147], v[142:143]
	s_wait_loadcnt 0x4
	s_delay_alu instid0(VALU_DEP_1) | instskip(SKIP_4) | instid1(VALU_DEP_1)
	v_fmac_f64_e32 v[164:165], v[148:149], v[144:145]
	scratch_load_b128 v[142:145], off, off offset:472
	s_wait_dscnt 0x0
	v_fmac_f64_e32 v[164:165], v[150:151], v[152:153]
	s_wait_loadcnt 0x4
	v_fmac_f64_e32 v[164:165], v[160:161], v[154:155]
	scratch_load_b64 v[154:155], off, off offset:488
	ds_load_b128 v[146:149], v2 offset:912
	ds_load_b128 v[150:153], v2 offset:928
	s_wait_dscnt 0x1
	v_fmac_f64_e32 v[164:165], v[162:163], v[146:147]
	s_wait_loadcnt 0x4
	s_delay_alu instid0(VALU_DEP_1) | instskip(SKIP_1) | instid1(VALU_DEP_1)
	v_fmac_f64_e32 v[164:165], v[130:131], v[148:149]
	s_wait_dscnt 0x0
	v_fmac_f64_e32 v[164:165], v[132:133], v[150:151]
	ds_load_b128 v[130:133], v2 offset:944
	ds_load_b128 v[146:149], v2 offset:960
	s_wait_loadcnt 0x3
	v_fmac_f64_e32 v[164:165], v[134:135], v[152:153]
	s_wait_dscnt 0x1
	s_delay_alu instid0(VALU_DEP_1) | instskip(SKIP_1) | instid1(VALU_DEP_1)
	v_fmac_f64_e32 v[164:165], v[136:137], v[130:131]
	s_wait_loadcnt 0x2
	v_fmac_f64_e32 v[164:165], v[138:139], v[132:133]
	ds_load_b128 v[130:133], v2 offset:976
	s_wait_dscnt 0x1
	v_fmac_f64_e32 v[164:165], v[140:141], v[146:147]
	s_wait_loadcnt 0x1
	s_delay_alu instid0(VALU_DEP_1) | instskip(SKIP_1) | instid1(VALU_DEP_1)
	v_fmac_f64_e32 v[164:165], v[142:143], v[148:149]
	s_wait_dscnt 0x0
	v_fmac_f64_e32 v[164:165], v[144:145], v[130:131]
	s_wait_loadcnt 0x0
	s_delay_alu instid0(VALU_DEP_1) | instskip(NEXT) | instid1(VALU_DEP_1)
	v_fmac_f64_e32 v[164:165], v[154:155], v[132:133]
	v_add_f64_e64 v[2:3], v[128:129], -v[164:165]
	scratch_store_b64 off, v[2:3], off offset:312
	s_wait_xcnt 0x0
	v_cmpx_lt_u32_e32 38, v0
	s_cbranch_execz .LBB61_305
; %bb.304:
	scratch_load_b64 v[2:3], off, off offset:304
	v_mov_b64_e32 v[128:129], 0
	scratch_store_b64 off, v[128:129], off offset:304
	s_wait_loadcnt 0x0
	ds_store_b64 v1, v[2:3]
.LBB61_305:
	s_wait_xcnt 0x0
	s_or_b32 exec_lo, exec_lo, s0
	s_wait_storecnt_dscnt 0x0
	s_barrier_signal -1
	s_barrier_wait -1
	s_clause 0x5
	scratch_load_b128 v[128:131], off, off offset:304
	scratch_load_b128 v[132:135], off, off offset:320
	;; [unrolled: 1-line block ×6, first 2 shown]
	v_mov_b32_e32 v2, 0
	ds_load_2addr_b64 v[152:155], v2 offset0:101 offset1:102
	ds_load_2addr_b64 v[156:159], v2 offset0:103 offset1:104
	scratch_load_b128 v[160:163], off, off offset:400
	s_mov_b32 s0, exec_lo
	s_wait_loadcnt_dscnt 0x601
	v_fma_f64 v[164:165], v[130:131], v[152:153], 0
	s_wait_loadcnt 0x5
	s_delay_alu instid0(VALU_DEP_1) | instskip(SKIP_4) | instid1(VALU_DEP_1)
	v_fmac_f64_e32 v[164:165], v[132:133], v[154:155]
	scratch_load_b128 v[130:133], off, off offset:416
	s_wait_dscnt 0x0
	v_fmac_f64_e32 v[164:165], v[134:135], v[156:157]
	s_wait_loadcnt 0x5
	v_fmac_f64_e32 v[164:165], v[136:137], v[158:159]
	ds_load_2addr_b64 v[134:137], v2 offset0:105 offset1:106
	ds_load_2addr_b64 v[152:155], v2 offset0:107 offset1:108
	s_wait_dscnt 0x1
	v_fmac_f64_e32 v[164:165], v[138:139], v[134:135]
	s_wait_loadcnt 0x4
	s_delay_alu instid0(VALU_DEP_1)
	v_fmac_f64_e32 v[164:165], v[140:141], v[136:137]
	s_clause 0x1
	scratch_load_b128 v[134:137], off, off offset:432
	scratch_load_b128 v[138:141], off, off offset:448
	s_wait_dscnt 0x0
	v_fmac_f64_e32 v[164:165], v[142:143], v[152:153]
	s_wait_loadcnt 0x5
	s_delay_alu instid0(VALU_DEP_1)
	v_fmac_f64_e32 v[164:165], v[144:145], v[154:155]
	ds_load_2addr_b64 v[142:145], v2 offset0:109 offset1:110
	ds_load_2addr_b64 v[152:155], v2 offset0:111 offset1:112
	s_wait_dscnt 0x1
	v_fmac_f64_e32 v[164:165], v[146:147], v[142:143]
	s_wait_loadcnt 0x4
	s_delay_alu instid0(VALU_DEP_1)
	v_fmac_f64_e32 v[164:165], v[148:149], v[144:145]
	s_clause 0x1
	scratch_load_b128 v[142:145], off, off offset:464
	scratch_load_b128 v[146:149], off, off offset:480
	s_wait_dscnt 0x0
	v_fmac_f64_e32 v[164:165], v[150:151], v[152:153]
	s_wait_loadcnt 0x5
	s_delay_alu instid0(VALU_DEP_1)
	v_fmac_f64_e32 v[164:165], v[160:161], v[154:155]
	ds_load_2addr_b64 v[150:153], v2 offset0:113 offset1:114
	ds_load_2addr_b64 v[154:157], v2 offset0:115 offset1:116
	s_wait_dscnt 0x1
	v_fmac_f64_e32 v[164:165], v[162:163], v[150:151]
	s_wait_loadcnt 0x4
	s_delay_alu instid0(VALU_DEP_1) | instskip(SKIP_1) | instid1(VALU_DEP_1)
	v_fmac_f64_e32 v[164:165], v[130:131], v[152:153]
	s_wait_dscnt 0x0
	v_fmac_f64_e32 v[164:165], v[132:133], v[154:155]
	ds_load_2addr_b64 v[130:133], v2 offset0:117 offset1:118
	ds_load_2addr_b64 v[150:153], v2 offset0:119 offset1:120
	s_wait_loadcnt 0x3
	v_fmac_f64_e32 v[164:165], v[134:135], v[156:157]
	s_wait_dscnt 0x1
	s_delay_alu instid0(VALU_DEP_1) | instskip(SKIP_1) | instid1(VALU_DEP_1)
	v_fmac_f64_e32 v[164:165], v[136:137], v[130:131]
	s_wait_loadcnt 0x2
	v_fmac_f64_e32 v[164:165], v[138:139], v[132:133]
	ds_load_2addr_b64 v[130:133], v2 offset0:121 offset1:122
	ds_load_b64 v[134:135], v2 offset:984
	s_wait_dscnt 0x2
	v_fmac_f64_e32 v[164:165], v[140:141], v[150:151]
	s_wait_loadcnt 0x1
	s_delay_alu instid0(VALU_DEP_1) | instskip(SKIP_1) | instid1(VALU_DEP_1)
	v_fmac_f64_e32 v[164:165], v[142:143], v[152:153]
	s_wait_dscnt 0x1
	v_fmac_f64_e32 v[164:165], v[144:145], v[130:131]
	s_wait_loadcnt 0x0
	s_delay_alu instid0(VALU_DEP_1) | instskip(SKIP_1) | instid1(VALU_DEP_1)
	v_fmac_f64_e32 v[164:165], v[146:147], v[132:133]
	s_wait_dscnt 0x0
	v_fmac_f64_e32 v[164:165], v[148:149], v[134:135]
	s_delay_alu instid0(VALU_DEP_1)
	v_add_f64_e64 v[128:129], v[128:129], -v[164:165]
	scratch_store_b64 off, v[128:129], off offset:304
	s_wait_xcnt 0x0
	v_cmpx_lt_u32_e32 37, v0
	s_cbranch_execz .LBB61_307
; %bb.306:
	scratch_load_b64 v[128:129], off, off offset:296
	v_mov_b64_e32 v[130:131], 0
	scratch_store_b64 off, v[130:131], off offset:296
	s_wait_loadcnt 0x0
	ds_store_b64 v1, v[128:129]
.LBB61_307:
	s_wait_xcnt 0x0
	s_or_b32 exec_lo, exec_lo, s0
	s_wait_storecnt_dscnt 0x0
	s_barrier_signal -1
	s_barrier_wait -1
	s_clause 0x5
	scratch_load_b128 v[128:131], off, off offset:296
	scratch_load_b128 v[132:135], off, off offset:312
	scratch_load_b128 v[136:139], off, off offset:328
	scratch_load_b128 v[140:143], off, off offset:344
	scratch_load_b128 v[144:147], off, off offset:360
	scratch_load_b128 v[148:151], off, off offset:376
	ds_load_b128 v[152:155], v2 offset:800
	ds_load_b128 v[156:159], v2 offset:816
	scratch_load_b128 v[160:163], off, off offset:392
	s_mov_b32 s0, exec_lo
	s_wait_loadcnt_dscnt 0x601
	v_fma_f64 v[164:165], v[130:131], v[152:153], 0
	s_wait_loadcnt 0x5
	s_delay_alu instid0(VALU_DEP_1) | instskip(SKIP_4) | instid1(VALU_DEP_1)
	v_fmac_f64_e32 v[164:165], v[132:133], v[154:155]
	scratch_load_b128 v[130:133], off, off offset:408
	s_wait_dscnt 0x0
	v_fmac_f64_e32 v[164:165], v[134:135], v[156:157]
	s_wait_loadcnt 0x5
	v_fmac_f64_e32 v[164:165], v[136:137], v[158:159]
	ds_load_b128 v[134:137], v2 offset:832
	ds_load_b128 v[152:155], v2 offset:848
	s_wait_dscnt 0x1
	v_fmac_f64_e32 v[164:165], v[138:139], v[134:135]
	s_wait_loadcnt 0x4
	s_delay_alu instid0(VALU_DEP_1)
	v_fmac_f64_e32 v[164:165], v[140:141], v[136:137]
	s_clause 0x1
	scratch_load_b128 v[134:137], off, off offset:424
	scratch_load_b128 v[138:141], off, off offset:440
	s_wait_dscnt 0x0
	v_fmac_f64_e32 v[164:165], v[142:143], v[152:153]
	s_wait_loadcnt 0x5
	s_delay_alu instid0(VALU_DEP_1)
	v_fmac_f64_e32 v[164:165], v[144:145], v[154:155]
	ds_load_b128 v[142:145], v2 offset:864
	ds_load_b128 v[152:155], v2 offset:880
	s_wait_dscnt 0x1
	v_fmac_f64_e32 v[164:165], v[146:147], v[142:143]
	s_wait_loadcnt 0x4
	s_delay_alu instid0(VALU_DEP_1)
	v_fmac_f64_e32 v[164:165], v[148:149], v[144:145]
	s_clause 0x1
	scratch_load_b128 v[142:145], off, off offset:456
	scratch_load_b128 v[146:149], off, off offset:472
	s_wait_dscnt 0x0
	v_fmac_f64_e32 v[164:165], v[150:151], v[152:153]
	s_wait_loadcnt 0x5
	s_delay_alu instid0(VALU_DEP_1)
	v_fmac_f64_e32 v[164:165], v[160:161], v[154:155]
	ds_load_b128 v[150:153], v2 offset:896
	ds_load_b128 v[154:157], v2 offset:912
	scratch_load_b64 v[158:159], off, off offset:488
	s_wait_dscnt 0x1
	v_fmac_f64_e32 v[164:165], v[162:163], v[150:151]
	s_wait_loadcnt 0x5
	s_delay_alu instid0(VALU_DEP_1) | instskip(SKIP_1) | instid1(VALU_DEP_1)
	v_fmac_f64_e32 v[164:165], v[130:131], v[152:153]
	s_wait_dscnt 0x0
	v_fmac_f64_e32 v[164:165], v[132:133], v[154:155]
	ds_load_b128 v[130:133], v2 offset:928
	ds_load_b128 v[150:153], v2 offset:944
	s_wait_loadcnt 0x4
	v_fmac_f64_e32 v[164:165], v[134:135], v[156:157]
	s_wait_dscnt 0x1
	s_delay_alu instid0(VALU_DEP_1) | instskip(SKIP_1) | instid1(VALU_DEP_1)
	v_fmac_f64_e32 v[164:165], v[136:137], v[130:131]
	s_wait_loadcnt 0x3
	v_fmac_f64_e32 v[164:165], v[138:139], v[132:133]
	ds_load_b128 v[130:133], v2 offset:960
	ds_load_b128 v[134:137], v2 offset:976
	s_wait_dscnt 0x2
	v_fmac_f64_e32 v[164:165], v[140:141], v[150:151]
	s_wait_loadcnt 0x2
	s_delay_alu instid0(VALU_DEP_1) | instskip(SKIP_1) | instid1(VALU_DEP_1)
	v_fmac_f64_e32 v[164:165], v[142:143], v[152:153]
	s_wait_dscnt 0x1
	v_fmac_f64_e32 v[164:165], v[144:145], v[130:131]
	s_wait_loadcnt 0x1
	s_delay_alu instid0(VALU_DEP_1) | instskip(SKIP_1) | instid1(VALU_DEP_1)
	v_fmac_f64_e32 v[164:165], v[146:147], v[132:133]
	s_wait_dscnt 0x0
	v_fmac_f64_e32 v[164:165], v[148:149], v[134:135]
	s_wait_loadcnt 0x0
	s_delay_alu instid0(VALU_DEP_1) | instskip(NEXT) | instid1(VALU_DEP_1)
	v_fmac_f64_e32 v[164:165], v[158:159], v[136:137]
	v_add_f64_e64 v[2:3], v[128:129], -v[164:165]
	scratch_store_b64 off, v[2:3], off offset:296
	s_wait_xcnt 0x0
	v_cmpx_lt_u32_e32 36, v0
	s_cbranch_execz .LBB61_309
; %bb.308:
	scratch_load_b64 v[2:3], off, off offset:288
	v_mov_b64_e32 v[128:129], 0
	scratch_store_b64 off, v[128:129], off offset:288
	s_wait_loadcnt 0x0
	ds_store_b64 v1, v[2:3]
.LBB61_309:
	s_wait_xcnt 0x0
	s_or_b32 exec_lo, exec_lo, s0
	s_wait_storecnt_dscnt 0x0
	s_barrier_signal -1
	s_barrier_wait -1
	s_clause 0x5
	scratch_load_b128 v[128:131], off, off offset:288
	scratch_load_b128 v[132:135], off, off offset:304
	;; [unrolled: 1-line block ×6, first 2 shown]
	v_mov_b32_e32 v2, 0
	ds_load_2addr_b64 v[152:155], v2 offset0:99 offset1:100
	ds_load_2addr_b64 v[156:159], v2 offset0:101 offset1:102
	scratch_load_b128 v[160:163], off, off offset:384
	s_mov_b32 s0, exec_lo
	s_wait_loadcnt_dscnt 0x601
	v_fma_f64 v[164:165], v[130:131], v[152:153], 0
	s_wait_loadcnt 0x5
	s_delay_alu instid0(VALU_DEP_1) | instskip(SKIP_4) | instid1(VALU_DEP_1)
	v_fmac_f64_e32 v[164:165], v[132:133], v[154:155]
	scratch_load_b128 v[130:133], off, off offset:400
	s_wait_dscnt 0x0
	v_fmac_f64_e32 v[164:165], v[134:135], v[156:157]
	s_wait_loadcnt 0x5
	v_fmac_f64_e32 v[164:165], v[136:137], v[158:159]
	ds_load_2addr_b64 v[134:137], v2 offset0:103 offset1:104
	ds_load_2addr_b64 v[152:155], v2 offset0:105 offset1:106
	s_wait_dscnt 0x1
	v_fmac_f64_e32 v[164:165], v[138:139], v[134:135]
	s_wait_loadcnt 0x4
	s_delay_alu instid0(VALU_DEP_1)
	v_fmac_f64_e32 v[164:165], v[140:141], v[136:137]
	s_clause 0x1
	scratch_load_b128 v[134:137], off, off offset:416
	scratch_load_b128 v[138:141], off, off offset:432
	s_wait_dscnt 0x0
	v_fmac_f64_e32 v[164:165], v[142:143], v[152:153]
	s_wait_loadcnt 0x5
	s_delay_alu instid0(VALU_DEP_1)
	v_fmac_f64_e32 v[164:165], v[144:145], v[154:155]
	ds_load_2addr_b64 v[142:145], v2 offset0:107 offset1:108
	ds_load_2addr_b64 v[152:155], v2 offset0:109 offset1:110
	s_wait_dscnt 0x1
	v_fmac_f64_e32 v[164:165], v[146:147], v[142:143]
	s_wait_loadcnt 0x4
	s_delay_alu instid0(VALU_DEP_1)
	v_fmac_f64_e32 v[164:165], v[148:149], v[144:145]
	s_clause 0x1
	scratch_load_b128 v[142:145], off, off offset:448
	scratch_load_b128 v[146:149], off, off offset:464
	s_wait_dscnt 0x0
	v_fmac_f64_e32 v[164:165], v[150:151], v[152:153]
	s_wait_loadcnt 0x5
	s_delay_alu instid0(VALU_DEP_1)
	v_fmac_f64_e32 v[164:165], v[160:161], v[154:155]
	ds_load_2addr_b64 v[150:153], v2 offset0:111 offset1:112
	ds_load_2addr_b64 v[154:157], v2 offset0:113 offset1:114
	s_wait_dscnt 0x1
	v_fmac_f64_e32 v[164:165], v[162:163], v[150:151]
	s_wait_loadcnt 0x4
	s_delay_alu instid0(VALU_DEP_1) | instskip(SKIP_4) | instid1(VALU_DEP_1)
	v_fmac_f64_e32 v[164:165], v[130:131], v[152:153]
	scratch_load_b128 v[150:153], off, off offset:480
	s_wait_dscnt 0x0
	v_fmac_f64_e32 v[164:165], v[132:133], v[154:155]
	s_wait_loadcnt 0x4
	v_fmac_f64_e32 v[164:165], v[134:135], v[156:157]
	ds_load_2addr_b64 v[130:133], v2 offset0:115 offset1:116
	ds_load_2addr_b64 v[154:157], v2 offset0:117 offset1:118
	s_wait_dscnt 0x1
	v_fmac_f64_e32 v[164:165], v[136:137], v[130:131]
	s_wait_loadcnt 0x3
	s_delay_alu instid0(VALU_DEP_1)
	v_fmac_f64_e32 v[164:165], v[138:139], v[132:133]
	ds_load_2addr_b64 v[130:133], v2 offset0:119 offset1:120
	ds_load_2addr_b64 v[134:137], v2 offset0:121 offset1:122
	s_wait_dscnt 0x2
	v_fmac_f64_e32 v[164:165], v[140:141], v[154:155]
	s_wait_loadcnt 0x2
	s_delay_alu instid0(VALU_DEP_1) | instskip(SKIP_1) | instid1(VALU_DEP_1)
	v_fmac_f64_e32 v[164:165], v[142:143], v[156:157]
	s_wait_dscnt 0x1
	v_fmac_f64_e32 v[164:165], v[144:145], v[130:131]
	ds_load_b64 v[130:131], v2 offset:984
	s_wait_loadcnt 0x1
	v_fmac_f64_e32 v[164:165], v[146:147], v[132:133]
	s_wait_dscnt 0x1
	s_delay_alu instid0(VALU_DEP_1) | instskip(SKIP_1) | instid1(VALU_DEP_1)
	v_fmac_f64_e32 v[164:165], v[148:149], v[134:135]
	s_wait_loadcnt 0x0
	v_fmac_f64_e32 v[164:165], v[150:151], v[136:137]
	s_wait_dscnt 0x0
	s_delay_alu instid0(VALU_DEP_1) | instskip(NEXT) | instid1(VALU_DEP_1)
	v_fmac_f64_e32 v[164:165], v[152:153], v[130:131]
	v_add_f64_e64 v[128:129], v[128:129], -v[164:165]
	scratch_store_b64 off, v[128:129], off offset:288
	s_wait_xcnt 0x0
	v_cmpx_lt_u32_e32 35, v0
	s_cbranch_execz .LBB61_311
; %bb.310:
	scratch_load_b64 v[128:129], off, off offset:280
	v_mov_b64_e32 v[130:131], 0
	scratch_store_b64 off, v[130:131], off offset:280
	s_wait_loadcnt 0x0
	ds_store_b64 v1, v[128:129]
.LBB61_311:
	s_wait_xcnt 0x0
	s_or_b32 exec_lo, exec_lo, s0
	s_wait_storecnt_dscnt 0x0
	s_barrier_signal -1
	s_barrier_wait -1
	s_clause 0x5
	scratch_load_b128 v[128:131], off, off offset:280
	scratch_load_b128 v[132:135], off, off offset:296
	scratch_load_b128 v[136:139], off, off offset:312
	scratch_load_b128 v[140:143], off, off offset:328
	scratch_load_b128 v[144:147], off, off offset:344
	scratch_load_b128 v[148:151], off, off offset:360
	ds_load_b128 v[152:155], v2 offset:784
	ds_load_b128 v[156:159], v2 offset:800
	scratch_load_b128 v[160:163], off, off offset:376
	s_mov_b32 s0, exec_lo
	s_wait_loadcnt_dscnt 0x601
	v_fma_f64 v[164:165], v[130:131], v[152:153], 0
	s_wait_loadcnt 0x5
	s_delay_alu instid0(VALU_DEP_1) | instskip(SKIP_4) | instid1(VALU_DEP_1)
	v_fmac_f64_e32 v[164:165], v[132:133], v[154:155]
	scratch_load_b128 v[130:133], off, off offset:392
	s_wait_dscnt 0x0
	v_fmac_f64_e32 v[164:165], v[134:135], v[156:157]
	s_wait_loadcnt 0x5
	v_fmac_f64_e32 v[164:165], v[136:137], v[158:159]
	ds_load_b128 v[134:137], v2 offset:816
	ds_load_b128 v[152:155], v2 offset:832
	scratch_load_b128 v[156:159], off, off offset:408
	s_wait_dscnt 0x1
	v_fmac_f64_e32 v[164:165], v[138:139], v[134:135]
	s_wait_loadcnt 0x5
	s_delay_alu instid0(VALU_DEP_1) | instskip(SKIP_4) | instid1(VALU_DEP_1)
	v_fmac_f64_e32 v[164:165], v[140:141], v[136:137]
	scratch_load_b128 v[134:137], off, off offset:424
	s_wait_dscnt 0x0
	v_fmac_f64_e32 v[164:165], v[142:143], v[152:153]
	s_wait_loadcnt 0x5
	v_fmac_f64_e32 v[164:165], v[144:145], v[154:155]
	ds_load_b128 v[138:141], v2 offset:848
	ds_load_b128 v[142:145], v2 offset:864
	s_wait_dscnt 0x1
	v_fmac_f64_e32 v[164:165], v[146:147], v[138:139]
	s_wait_loadcnt 0x4
	s_delay_alu instid0(VALU_DEP_1) | instskip(SKIP_4) | instid1(VALU_DEP_1)
	v_fmac_f64_e32 v[164:165], v[148:149], v[140:141]
	scratch_load_b128 v[138:141], off, off offset:440
	s_wait_dscnt 0x0
	v_fmac_f64_e32 v[164:165], v[150:151], v[142:143]
	s_wait_loadcnt 0x4
	v_fmac_f64_e32 v[164:165], v[160:161], v[144:145]
	scratch_load_b128 v[142:145], off, off offset:456
	ds_load_b128 v[146:149], v2 offset:880
	ds_load_b128 v[150:153], v2 offset:896
	scratch_load_b64 v[154:155], off, off offset:488
	s_wait_dscnt 0x1
	v_fmac_f64_e32 v[164:165], v[162:163], v[146:147]
	s_wait_loadcnt 0x5
	s_delay_alu instid0(VALU_DEP_1) | instskip(SKIP_4) | instid1(VALU_DEP_1)
	v_fmac_f64_e32 v[164:165], v[130:131], v[148:149]
	scratch_load_b128 v[146:149], off, off offset:472
	s_wait_dscnt 0x0
	v_fmac_f64_e32 v[164:165], v[132:133], v[150:151]
	s_wait_loadcnt 0x5
	v_fmac_f64_e32 v[164:165], v[156:157], v[152:153]
	ds_load_b128 v[130:133], v2 offset:912
	ds_load_b128 v[150:153], v2 offset:928
	s_wait_dscnt 0x1
	v_fmac_f64_e32 v[164:165], v[158:159], v[130:131]
	s_wait_loadcnt 0x4
	s_delay_alu instid0(VALU_DEP_1) | instskip(SKIP_1) | instid1(VALU_DEP_1)
	v_fmac_f64_e32 v[164:165], v[134:135], v[132:133]
	s_wait_dscnt 0x0
	v_fmac_f64_e32 v[164:165], v[136:137], v[150:151]
	ds_load_b128 v[130:133], v2 offset:944
	ds_load_b128 v[134:137], v2 offset:960
	s_wait_loadcnt 0x3
	v_fmac_f64_e32 v[164:165], v[138:139], v[152:153]
	s_wait_dscnt 0x1
	s_delay_alu instid0(VALU_DEP_1) | instskip(SKIP_1) | instid1(VALU_DEP_1)
	v_fmac_f64_e32 v[164:165], v[140:141], v[130:131]
	s_wait_loadcnt 0x2
	v_fmac_f64_e32 v[164:165], v[142:143], v[132:133]
	ds_load_b128 v[130:133], v2 offset:976
	s_wait_dscnt 0x1
	v_fmac_f64_e32 v[164:165], v[144:145], v[134:135]
	s_wait_loadcnt 0x0
	s_delay_alu instid0(VALU_DEP_1) | instskip(SKIP_1) | instid1(VALU_DEP_1)
	v_fmac_f64_e32 v[164:165], v[146:147], v[136:137]
	s_wait_dscnt 0x0
	v_fmac_f64_e32 v[164:165], v[148:149], v[130:131]
	s_delay_alu instid0(VALU_DEP_1) | instskip(NEXT) | instid1(VALU_DEP_1)
	v_fmac_f64_e32 v[164:165], v[154:155], v[132:133]
	v_add_f64_e64 v[2:3], v[128:129], -v[164:165]
	scratch_store_b64 off, v[2:3], off offset:280
	s_wait_xcnt 0x0
	v_cmpx_lt_u32_e32 34, v0
	s_cbranch_execz .LBB61_313
; %bb.312:
	scratch_load_b64 v[2:3], off, off offset:272
	v_mov_b64_e32 v[128:129], 0
	scratch_store_b64 off, v[128:129], off offset:272
	s_wait_loadcnt 0x0
	ds_store_b64 v1, v[2:3]
.LBB61_313:
	s_wait_xcnt 0x0
	s_or_b32 exec_lo, exec_lo, s0
	s_wait_storecnt_dscnt 0x0
	s_barrier_signal -1
	s_barrier_wait -1
	s_clause 0x5
	scratch_load_b128 v[128:131], off, off offset:272
	scratch_load_b128 v[132:135], off, off offset:288
	;; [unrolled: 1-line block ×6, first 2 shown]
	v_mov_b32_e32 v2, 0
	ds_load_2addr_b64 v[152:155], v2 offset0:97 offset1:98
	ds_load_2addr_b64 v[156:159], v2 offset0:99 offset1:100
	scratch_load_b128 v[160:163], off, off offset:368
	s_mov_b32 s0, exec_lo
	s_wait_loadcnt_dscnt 0x601
	v_fma_f64 v[164:165], v[130:131], v[152:153], 0
	s_wait_loadcnt 0x5
	s_delay_alu instid0(VALU_DEP_1) | instskip(SKIP_4) | instid1(VALU_DEP_1)
	v_fmac_f64_e32 v[164:165], v[132:133], v[154:155]
	scratch_load_b128 v[130:133], off, off offset:384
	s_wait_dscnt 0x0
	v_fmac_f64_e32 v[164:165], v[134:135], v[156:157]
	s_wait_loadcnt 0x5
	v_fmac_f64_e32 v[164:165], v[136:137], v[158:159]
	ds_load_2addr_b64 v[134:137], v2 offset0:101 offset1:102
	ds_load_2addr_b64 v[152:155], v2 offset0:103 offset1:104
	scratch_load_b128 v[156:159], off, off offset:400
	s_wait_dscnt 0x1
	v_fmac_f64_e32 v[164:165], v[138:139], v[134:135]
	s_wait_loadcnt 0x5
	s_delay_alu instid0(VALU_DEP_1) | instskip(SKIP_4) | instid1(VALU_DEP_1)
	v_fmac_f64_e32 v[164:165], v[140:141], v[136:137]
	scratch_load_b128 v[134:137], off, off offset:416
	s_wait_dscnt 0x0
	v_fmac_f64_e32 v[164:165], v[142:143], v[152:153]
	s_wait_loadcnt 0x5
	v_fmac_f64_e32 v[164:165], v[144:145], v[154:155]
	ds_load_2addr_b64 v[138:141], v2 offset0:105 offset1:106
	ds_load_2addr_b64 v[142:145], v2 offset0:107 offset1:108
	s_wait_dscnt 0x1
	v_fmac_f64_e32 v[164:165], v[146:147], v[138:139]
	s_wait_loadcnt 0x4
	s_delay_alu instid0(VALU_DEP_1) | instskip(SKIP_4) | instid1(VALU_DEP_1)
	v_fmac_f64_e32 v[164:165], v[148:149], v[140:141]
	scratch_load_b128 v[138:141], off, off offset:432
	s_wait_dscnt 0x0
	v_fmac_f64_e32 v[164:165], v[150:151], v[142:143]
	s_wait_loadcnt 0x4
	v_fmac_f64_e32 v[164:165], v[160:161], v[144:145]
	scratch_load_b128 v[142:145], off, off offset:448
	ds_load_2addr_b64 v[146:149], v2 offset0:109 offset1:110
	ds_load_2addr_b64 v[150:153], v2 offset0:111 offset1:112
	s_wait_dscnt 0x1
	v_fmac_f64_e32 v[164:165], v[162:163], v[146:147]
	s_wait_loadcnt 0x4
	s_delay_alu instid0(VALU_DEP_1)
	v_fmac_f64_e32 v[164:165], v[130:131], v[148:149]
	scratch_load_b128 v[146:149], off, off offset:464
	s_wait_dscnt 0x0
	v_fmac_f64_e32 v[164:165], v[132:133], v[150:151]
	scratch_load_b128 v[130:133], off, off offset:480
	s_wait_loadcnt 0x5
	v_fmac_f64_e32 v[164:165], v[156:157], v[152:153]
	ds_load_2addr_b64 v[150:153], v2 offset0:113 offset1:114
	ds_load_2addr_b64 v[154:157], v2 offset0:115 offset1:116
	s_wait_dscnt 0x1
	v_fmac_f64_e32 v[164:165], v[158:159], v[150:151]
	s_wait_loadcnt 0x4
	s_delay_alu instid0(VALU_DEP_1) | instskip(SKIP_1) | instid1(VALU_DEP_1)
	v_fmac_f64_e32 v[164:165], v[134:135], v[152:153]
	s_wait_dscnt 0x0
	v_fmac_f64_e32 v[164:165], v[136:137], v[154:155]
	ds_load_2addr_b64 v[134:137], v2 offset0:117 offset1:118
	ds_load_2addr_b64 v[150:153], v2 offset0:119 offset1:120
	s_wait_loadcnt 0x3
	v_fmac_f64_e32 v[164:165], v[138:139], v[156:157]
	s_wait_dscnt 0x1
	s_delay_alu instid0(VALU_DEP_1) | instskip(SKIP_1) | instid1(VALU_DEP_1)
	v_fmac_f64_e32 v[164:165], v[140:141], v[134:135]
	s_wait_loadcnt 0x2
	v_fmac_f64_e32 v[164:165], v[142:143], v[136:137]
	ds_load_2addr_b64 v[134:137], v2 offset0:121 offset1:122
	ds_load_b64 v[138:139], v2 offset:984
	s_wait_dscnt 0x2
	v_fmac_f64_e32 v[164:165], v[144:145], v[150:151]
	s_wait_loadcnt 0x1
	s_delay_alu instid0(VALU_DEP_1) | instskip(SKIP_1) | instid1(VALU_DEP_1)
	v_fmac_f64_e32 v[164:165], v[146:147], v[152:153]
	s_wait_dscnt 0x1
	v_fmac_f64_e32 v[164:165], v[148:149], v[134:135]
	s_wait_loadcnt 0x0
	s_delay_alu instid0(VALU_DEP_1) | instskip(SKIP_1) | instid1(VALU_DEP_1)
	v_fmac_f64_e32 v[164:165], v[130:131], v[136:137]
	s_wait_dscnt 0x0
	v_fmac_f64_e32 v[164:165], v[132:133], v[138:139]
	s_delay_alu instid0(VALU_DEP_1)
	v_add_f64_e64 v[128:129], v[128:129], -v[164:165]
	scratch_store_b64 off, v[128:129], off offset:272
	s_wait_xcnt 0x0
	v_cmpx_lt_u32_e32 33, v0
	s_cbranch_execz .LBB61_315
; %bb.314:
	scratch_load_b64 v[128:129], off, off offset:264
	v_mov_b64_e32 v[130:131], 0
	scratch_store_b64 off, v[130:131], off offset:264
	s_wait_loadcnt 0x0
	ds_store_b64 v1, v[128:129]
.LBB61_315:
	s_wait_xcnt 0x0
	s_or_b32 exec_lo, exec_lo, s0
	s_wait_storecnt_dscnt 0x0
	s_barrier_signal -1
	s_barrier_wait -1
	s_clause 0x5
	scratch_load_b128 v[128:131], off, off offset:264
	scratch_load_b128 v[132:135], off, off offset:280
	;; [unrolled: 1-line block ×6, first 2 shown]
	ds_load_b128 v[152:155], v2 offset:768
	ds_load_b128 v[156:159], v2 offset:784
	scratch_load_b128 v[160:163], off, off offset:360
	s_mov_b32 s0, exec_lo
	s_wait_loadcnt_dscnt 0x601
	v_fma_f64 v[164:165], v[130:131], v[152:153], 0
	s_wait_loadcnt 0x5
	s_delay_alu instid0(VALU_DEP_1) | instskip(SKIP_4) | instid1(VALU_DEP_1)
	v_fmac_f64_e32 v[164:165], v[132:133], v[154:155]
	scratch_load_b128 v[130:133], off, off offset:376
	s_wait_dscnt 0x0
	v_fmac_f64_e32 v[164:165], v[134:135], v[156:157]
	s_wait_loadcnt 0x5
	v_fmac_f64_e32 v[164:165], v[136:137], v[158:159]
	ds_load_b128 v[134:137], v2 offset:800
	ds_load_b128 v[152:155], v2 offset:816
	scratch_load_b128 v[156:159], off, off offset:392
	s_wait_dscnt 0x1
	v_fmac_f64_e32 v[164:165], v[138:139], v[134:135]
	s_wait_loadcnt 0x5
	s_delay_alu instid0(VALU_DEP_1) | instskip(SKIP_4) | instid1(VALU_DEP_1)
	v_fmac_f64_e32 v[164:165], v[140:141], v[136:137]
	scratch_load_b128 v[134:137], off, off offset:408
	s_wait_dscnt 0x0
	v_fmac_f64_e32 v[164:165], v[142:143], v[152:153]
	s_wait_loadcnt 0x5
	v_fmac_f64_e32 v[164:165], v[144:145], v[154:155]
	ds_load_b128 v[138:141], v2 offset:832
	ds_load_b128 v[142:145], v2 offset:848
	s_wait_dscnt 0x1
	v_fmac_f64_e32 v[164:165], v[146:147], v[138:139]
	s_wait_loadcnt 0x4
	s_delay_alu instid0(VALU_DEP_1) | instskip(SKIP_4) | instid1(VALU_DEP_1)
	v_fmac_f64_e32 v[164:165], v[148:149], v[140:141]
	scratch_load_b128 v[138:141], off, off offset:424
	s_wait_dscnt 0x0
	v_fmac_f64_e32 v[164:165], v[150:151], v[142:143]
	s_wait_loadcnt 0x4
	v_fmac_f64_e32 v[164:165], v[160:161], v[144:145]
	scratch_load_b128 v[142:145], off, off offset:440
	ds_load_b128 v[146:149], v2 offset:864
	ds_load_b128 v[150:153], v2 offset:880
	s_wait_dscnt 0x1
	v_fmac_f64_e32 v[164:165], v[162:163], v[146:147]
	s_wait_loadcnt 0x4
	s_delay_alu instid0(VALU_DEP_1)
	v_fmac_f64_e32 v[164:165], v[130:131], v[148:149]
	scratch_load_b128 v[146:149], off, off offset:456
	s_wait_dscnt 0x0
	v_fmac_f64_e32 v[164:165], v[132:133], v[150:151]
	scratch_load_b128 v[130:133], off, off offset:472
	s_wait_loadcnt 0x5
	v_fmac_f64_e32 v[164:165], v[156:157], v[152:153]
	ds_load_b128 v[150:153], v2 offset:896
	ds_load_b128 v[154:157], v2 offset:912
	s_wait_dscnt 0x1
	v_fmac_f64_e32 v[164:165], v[158:159], v[150:151]
	scratch_load_b64 v[158:159], off, off offset:488
	s_wait_loadcnt 0x5
	v_fmac_f64_e32 v[164:165], v[134:135], v[152:153]
	s_wait_dscnt 0x0
	s_delay_alu instid0(VALU_DEP_1)
	v_fmac_f64_e32 v[164:165], v[136:137], v[154:155]
	ds_load_b128 v[134:137], v2 offset:928
	ds_load_b128 v[150:153], v2 offset:944
	s_wait_loadcnt 0x4
	v_fmac_f64_e32 v[164:165], v[138:139], v[156:157]
	s_wait_dscnt 0x1
	s_delay_alu instid0(VALU_DEP_1) | instskip(SKIP_1) | instid1(VALU_DEP_1)
	v_fmac_f64_e32 v[164:165], v[140:141], v[134:135]
	s_wait_loadcnt 0x3
	v_fmac_f64_e32 v[164:165], v[142:143], v[136:137]
	ds_load_b128 v[134:137], v2 offset:960
	ds_load_b128 v[138:141], v2 offset:976
	s_wait_dscnt 0x2
	v_fmac_f64_e32 v[164:165], v[144:145], v[150:151]
	s_wait_loadcnt 0x2
	s_delay_alu instid0(VALU_DEP_1) | instskip(SKIP_1) | instid1(VALU_DEP_1)
	v_fmac_f64_e32 v[164:165], v[146:147], v[152:153]
	s_wait_dscnt 0x1
	v_fmac_f64_e32 v[164:165], v[148:149], v[134:135]
	s_wait_loadcnt 0x1
	s_delay_alu instid0(VALU_DEP_1) | instskip(SKIP_1) | instid1(VALU_DEP_1)
	v_fmac_f64_e32 v[164:165], v[130:131], v[136:137]
	s_wait_dscnt 0x0
	v_fmac_f64_e32 v[164:165], v[132:133], v[138:139]
	s_wait_loadcnt 0x0
	s_delay_alu instid0(VALU_DEP_1) | instskip(NEXT) | instid1(VALU_DEP_1)
	v_fmac_f64_e32 v[164:165], v[158:159], v[140:141]
	v_add_f64_e64 v[2:3], v[128:129], -v[164:165]
	scratch_store_b64 off, v[2:3], off offset:264
	s_wait_xcnt 0x0
	v_cmpx_lt_u32_e32 32, v0
	s_cbranch_execz .LBB61_317
; %bb.316:
	scratch_load_b64 v[2:3], off, off offset:256
	v_mov_b64_e32 v[128:129], 0
	scratch_store_b64 off, v[128:129], off offset:256
	s_wait_loadcnt 0x0
	ds_store_b64 v1, v[2:3]
.LBB61_317:
	s_wait_xcnt 0x0
	s_or_b32 exec_lo, exec_lo, s0
	s_wait_storecnt_dscnt 0x0
	s_barrier_signal -1
	s_barrier_wait -1
	s_clause 0x5
	scratch_load_b128 v[128:131], off, off offset:256
	scratch_load_b128 v[132:135], off, off offset:272
	scratch_load_b128 v[136:139], off, off offset:288
	scratch_load_b128 v[140:143], off, off offset:304
	scratch_load_b128 v[144:147], off, off offset:320
	scratch_load_b128 v[148:151], off, off offset:336
	v_mov_b32_e32 v2, 0
	ds_load_2addr_b64 v[152:155], v2 offset0:95 offset1:96
	ds_load_2addr_b64 v[156:159], v2 offset0:97 offset1:98
	scratch_load_b128 v[160:163], off, off offset:352
	s_mov_b32 s0, exec_lo
	s_wait_loadcnt_dscnt 0x601
	v_fma_f64 v[164:165], v[130:131], v[152:153], 0
	s_wait_loadcnt 0x5
	s_delay_alu instid0(VALU_DEP_1) | instskip(SKIP_4) | instid1(VALU_DEP_1)
	v_fmac_f64_e32 v[164:165], v[132:133], v[154:155]
	scratch_load_b128 v[130:133], off, off offset:368
	s_wait_dscnt 0x0
	v_fmac_f64_e32 v[164:165], v[134:135], v[156:157]
	s_wait_loadcnt 0x5
	v_fmac_f64_e32 v[164:165], v[136:137], v[158:159]
	ds_load_2addr_b64 v[134:137], v2 offset0:99 offset1:100
	ds_load_2addr_b64 v[152:155], v2 offset0:101 offset1:102
	scratch_load_b128 v[156:159], off, off offset:384
	s_wait_dscnt 0x1
	v_fmac_f64_e32 v[164:165], v[138:139], v[134:135]
	s_wait_loadcnt 0x5
	s_delay_alu instid0(VALU_DEP_1) | instskip(SKIP_4) | instid1(VALU_DEP_1)
	v_fmac_f64_e32 v[164:165], v[140:141], v[136:137]
	scratch_load_b128 v[134:137], off, off offset:400
	s_wait_dscnt 0x0
	v_fmac_f64_e32 v[164:165], v[142:143], v[152:153]
	s_wait_loadcnt 0x5
	v_fmac_f64_e32 v[164:165], v[144:145], v[154:155]
	ds_load_2addr_b64 v[138:141], v2 offset0:103 offset1:104
	ds_load_2addr_b64 v[142:145], v2 offset0:105 offset1:106
	s_wait_dscnt 0x1
	v_fmac_f64_e32 v[164:165], v[146:147], v[138:139]
	s_wait_loadcnt 0x4
	s_delay_alu instid0(VALU_DEP_1) | instskip(SKIP_4) | instid1(VALU_DEP_1)
	v_fmac_f64_e32 v[164:165], v[148:149], v[140:141]
	scratch_load_b128 v[138:141], off, off offset:416
	s_wait_dscnt 0x0
	v_fmac_f64_e32 v[164:165], v[150:151], v[142:143]
	s_wait_loadcnt 0x4
	v_fmac_f64_e32 v[164:165], v[160:161], v[144:145]
	scratch_load_b128 v[142:145], off, off offset:432
	ds_load_2addr_b64 v[146:149], v2 offset0:107 offset1:108
	ds_load_2addr_b64 v[150:153], v2 offset0:109 offset1:110
	s_wait_dscnt 0x1
	v_fmac_f64_e32 v[164:165], v[162:163], v[146:147]
	s_wait_loadcnt 0x4
	s_delay_alu instid0(VALU_DEP_1)
	v_fmac_f64_e32 v[164:165], v[130:131], v[148:149]
	scratch_load_b128 v[146:149], off, off offset:448
	s_wait_dscnt 0x0
	v_fmac_f64_e32 v[164:165], v[132:133], v[150:151]
	scratch_load_b128 v[130:133], off, off offset:464
	s_wait_loadcnt 0x5
	v_fmac_f64_e32 v[164:165], v[156:157], v[152:153]
	ds_load_2addr_b64 v[150:153], v2 offset0:111 offset1:112
	ds_load_2addr_b64 v[154:157], v2 offset0:113 offset1:114
	s_wait_dscnt 0x1
	v_fmac_f64_e32 v[164:165], v[158:159], v[150:151]
	s_wait_loadcnt 0x4
	s_delay_alu instid0(VALU_DEP_1) | instskip(SKIP_4) | instid1(VALU_DEP_1)
	v_fmac_f64_e32 v[164:165], v[134:135], v[152:153]
	scratch_load_b128 v[150:153], off, off offset:480
	s_wait_dscnt 0x0
	v_fmac_f64_e32 v[164:165], v[136:137], v[154:155]
	s_wait_loadcnt 0x4
	v_fmac_f64_e32 v[164:165], v[138:139], v[156:157]
	ds_load_2addr_b64 v[134:137], v2 offset0:115 offset1:116
	ds_load_2addr_b64 v[154:157], v2 offset0:117 offset1:118
	s_wait_dscnt 0x1
	v_fmac_f64_e32 v[164:165], v[140:141], v[134:135]
	s_wait_loadcnt 0x3
	s_delay_alu instid0(VALU_DEP_1)
	v_fmac_f64_e32 v[164:165], v[142:143], v[136:137]
	ds_load_2addr_b64 v[134:137], v2 offset0:119 offset1:120
	ds_load_2addr_b64 v[138:141], v2 offset0:121 offset1:122
	s_wait_dscnt 0x2
	v_fmac_f64_e32 v[164:165], v[144:145], v[154:155]
	s_wait_loadcnt 0x2
	s_delay_alu instid0(VALU_DEP_1) | instskip(SKIP_1) | instid1(VALU_DEP_1)
	v_fmac_f64_e32 v[164:165], v[146:147], v[156:157]
	s_wait_dscnt 0x1
	v_fmac_f64_e32 v[164:165], v[148:149], v[134:135]
	s_wait_loadcnt 0x1
	s_delay_alu instid0(VALU_DEP_1) | instskip(SKIP_4) | instid1(VALU_DEP_1)
	v_fmac_f64_e32 v[164:165], v[130:131], v[136:137]
	ds_load_b64 v[130:131], v2 offset:984
	s_wait_dscnt 0x1
	v_fmac_f64_e32 v[164:165], v[132:133], v[138:139]
	s_wait_loadcnt 0x0
	v_fmac_f64_e32 v[164:165], v[150:151], v[140:141]
	s_wait_dscnt 0x0
	s_delay_alu instid0(VALU_DEP_1) | instskip(NEXT) | instid1(VALU_DEP_1)
	v_fmac_f64_e32 v[164:165], v[152:153], v[130:131]
	v_add_f64_e64 v[128:129], v[128:129], -v[164:165]
	scratch_store_b64 off, v[128:129], off offset:256
	s_wait_xcnt 0x0
	v_cmpx_lt_u32_e32 31, v0
	s_cbranch_execz .LBB61_319
; %bb.318:
	scratch_load_b64 v[128:129], off, off offset:248
	v_mov_b64_e32 v[130:131], 0
	scratch_store_b64 off, v[130:131], off offset:248
	s_wait_loadcnt 0x0
	ds_store_b64 v1, v[128:129]
.LBB61_319:
	s_wait_xcnt 0x0
	s_or_b32 exec_lo, exec_lo, s0
	s_wait_storecnt_dscnt 0x0
	s_barrier_signal -1
	s_barrier_wait -1
	s_clause 0x5
	scratch_load_b128 v[128:131], off, off offset:248
	scratch_load_b128 v[132:135], off, off offset:264
	;; [unrolled: 1-line block ×6, first 2 shown]
	ds_load_b128 v[152:155], v2 offset:752
	ds_load_b128 v[156:159], v2 offset:768
	scratch_load_b128 v[160:163], off, off offset:344
	s_mov_b32 s0, exec_lo
	s_wait_loadcnt_dscnt 0x601
	v_fma_f64 v[164:165], v[130:131], v[152:153], 0
	s_wait_loadcnt 0x5
	s_delay_alu instid0(VALU_DEP_1) | instskip(SKIP_4) | instid1(VALU_DEP_1)
	v_fmac_f64_e32 v[164:165], v[132:133], v[154:155]
	scratch_load_b128 v[130:133], off, off offset:360
	s_wait_dscnt 0x0
	v_fmac_f64_e32 v[164:165], v[134:135], v[156:157]
	s_wait_loadcnt 0x5
	v_fmac_f64_e32 v[164:165], v[136:137], v[158:159]
	ds_load_b128 v[134:137], v2 offset:784
	ds_load_b128 v[152:155], v2 offset:800
	scratch_load_b128 v[156:159], off, off offset:376
	s_wait_dscnt 0x1
	v_fmac_f64_e32 v[164:165], v[138:139], v[134:135]
	s_wait_loadcnt 0x5
	s_delay_alu instid0(VALU_DEP_1) | instskip(SKIP_4) | instid1(VALU_DEP_1)
	v_fmac_f64_e32 v[164:165], v[140:141], v[136:137]
	scratch_load_b128 v[134:137], off, off offset:392
	s_wait_dscnt 0x0
	v_fmac_f64_e32 v[164:165], v[142:143], v[152:153]
	s_wait_loadcnt 0x5
	v_fmac_f64_e32 v[164:165], v[144:145], v[154:155]
	ds_load_b128 v[138:141], v2 offset:816
	ds_load_b128 v[142:145], v2 offset:832
	scratch_load_b128 v[152:155], off, off offset:408
	s_wait_dscnt 0x1
	v_fmac_f64_e32 v[164:165], v[146:147], v[138:139]
	s_wait_loadcnt 0x5
	s_delay_alu instid0(VALU_DEP_1) | instskip(SKIP_4) | instid1(VALU_DEP_1)
	v_fmac_f64_e32 v[164:165], v[148:149], v[140:141]
	scratch_load_b128 v[138:141], off, off offset:424
	s_wait_dscnt 0x0
	v_fmac_f64_e32 v[164:165], v[150:151], v[142:143]
	s_wait_loadcnt 0x5
	v_fmac_f64_e32 v[164:165], v[160:161], v[144:145]
	ds_load_b128 v[142:145], v2 offset:848
	ds_load_b128 v[146:149], v2 offset:864
	s_wait_dscnt 0x1
	v_fmac_f64_e32 v[164:165], v[162:163], v[142:143]
	s_wait_loadcnt 0x4
	s_delay_alu instid0(VALU_DEP_1)
	v_fmac_f64_e32 v[164:165], v[130:131], v[144:145]
	scratch_load_b128 v[142:145], off, off offset:440
	s_wait_dscnt 0x0
	v_fmac_f64_e32 v[164:165], v[132:133], v[146:147]
	scratch_load_b128 v[130:133], off, off offset:456
	s_wait_loadcnt 0x5
	v_fmac_f64_e32 v[164:165], v[156:157], v[148:149]
	ds_load_b128 v[146:149], v2 offset:880
	ds_load_b128 v[160:163], v2 offset:896
	scratch_load_b64 v[156:157], off, off offset:488
	s_wait_dscnt 0x1
	v_fmac_f64_e32 v[164:165], v[158:159], v[146:147]
	s_wait_loadcnt 0x5
	s_delay_alu instid0(VALU_DEP_1) | instskip(SKIP_4) | instid1(VALU_DEP_1)
	v_fmac_f64_e32 v[164:165], v[134:135], v[148:149]
	scratch_load_b128 v[146:149], off, off offset:472
	s_wait_dscnt 0x0
	v_fmac_f64_e32 v[164:165], v[136:137], v[160:161]
	s_wait_loadcnt 0x5
	v_fmac_f64_e32 v[164:165], v[152:153], v[162:163]
	ds_load_b128 v[134:137], v2 offset:912
	ds_load_b128 v[150:153], v2 offset:928
	s_wait_dscnt 0x1
	v_fmac_f64_e32 v[164:165], v[154:155], v[134:135]
	s_wait_loadcnt 0x4
	s_delay_alu instid0(VALU_DEP_1) | instskip(SKIP_1) | instid1(VALU_DEP_1)
	v_fmac_f64_e32 v[164:165], v[138:139], v[136:137]
	s_wait_dscnt 0x0
	v_fmac_f64_e32 v[164:165], v[140:141], v[150:151]
	ds_load_b128 v[134:137], v2 offset:944
	ds_load_b128 v[138:141], v2 offset:960
	s_wait_loadcnt 0x3
	v_fmac_f64_e32 v[164:165], v[142:143], v[152:153]
	s_wait_dscnt 0x1
	s_delay_alu instid0(VALU_DEP_1) | instskip(SKIP_1) | instid1(VALU_DEP_1)
	v_fmac_f64_e32 v[164:165], v[144:145], v[134:135]
	s_wait_loadcnt 0x2
	v_fmac_f64_e32 v[164:165], v[130:131], v[136:137]
	s_wait_dscnt 0x0
	s_delay_alu instid0(VALU_DEP_1) | instskip(SKIP_4) | instid1(VALU_DEP_1)
	v_fmac_f64_e32 v[164:165], v[132:133], v[138:139]
	ds_load_b128 v[130:133], v2 offset:976
	s_wait_loadcnt 0x0
	v_fmac_f64_e32 v[164:165], v[146:147], v[140:141]
	s_wait_dscnt 0x0
	v_fmac_f64_e32 v[164:165], v[148:149], v[130:131]
	s_delay_alu instid0(VALU_DEP_1) | instskip(NEXT) | instid1(VALU_DEP_1)
	v_fmac_f64_e32 v[164:165], v[156:157], v[132:133]
	v_add_f64_e64 v[2:3], v[128:129], -v[164:165]
	scratch_store_b64 off, v[2:3], off offset:248
	s_wait_xcnt 0x0
	v_cmpx_lt_u32_e32 30, v0
	s_cbranch_execz .LBB61_321
; %bb.320:
	scratch_load_b64 v[2:3], off, off offset:240
	v_mov_b64_e32 v[128:129], 0
	scratch_store_b64 off, v[128:129], off offset:240
	s_wait_loadcnt 0x0
	ds_store_b64 v1, v[2:3]
.LBB61_321:
	s_wait_xcnt 0x0
	s_or_b32 exec_lo, exec_lo, s0
	s_wait_storecnt_dscnt 0x0
	s_barrier_signal -1
	s_barrier_wait -1
	s_clause 0x5
	scratch_load_b128 v[128:131], off, off offset:240
	scratch_load_b128 v[132:135], off, off offset:256
	;; [unrolled: 1-line block ×6, first 2 shown]
	v_mov_b32_e32 v2, 0
	ds_load_2addr_b64 v[152:155], v2 offset0:93 offset1:94
	ds_load_2addr_b64 v[156:159], v2 offset0:95 offset1:96
	scratch_load_b128 v[160:163], off, off offset:336
	s_mov_b32 s0, exec_lo
	s_wait_loadcnt_dscnt 0x601
	v_fma_f64 v[164:165], v[130:131], v[152:153], 0
	s_wait_loadcnt 0x5
	s_delay_alu instid0(VALU_DEP_1) | instskip(SKIP_4) | instid1(VALU_DEP_1)
	v_fmac_f64_e32 v[164:165], v[132:133], v[154:155]
	scratch_load_b128 v[130:133], off, off offset:352
	s_wait_dscnt 0x0
	v_fmac_f64_e32 v[164:165], v[134:135], v[156:157]
	s_wait_loadcnt 0x5
	v_fmac_f64_e32 v[164:165], v[136:137], v[158:159]
	ds_load_2addr_b64 v[134:137], v2 offset0:97 offset1:98
	ds_load_2addr_b64 v[152:155], v2 offset0:99 offset1:100
	scratch_load_b128 v[156:159], off, off offset:368
	s_wait_dscnt 0x1
	v_fmac_f64_e32 v[164:165], v[138:139], v[134:135]
	s_wait_loadcnt 0x5
	s_delay_alu instid0(VALU_DEP_1) | instskip(SKIP_4) | instid1(VALU_DEP_1)
	v_fmac_f64_e32 v[164:165], v[140:141], v[136:137]
	scratch_load_b128 v[134:137], off, off offset:384
	s_wait_dscnt 0x0
	v_fmac_f64_e32 v[164:165], v[142:143], v[152:153]
	s_wait_loadcnt 0x5
	v_fmac_f64_e32 v[164:165], v[144:145], v[154:155]
	ds_load_2addr_b64 v[138:141], v2 offset0:101 offset1:102
	ds_load_2addr_b64 v[142:145], v2 offset0:103 offset1:104
	scratch_load_b128 v[152:155], off, off offset:400
	s_wait_dscnt 0x1
	v_fmac_f64_e32 v[164:165], v[146:147], v[138:139]
	s_wait_loadcnt 0x5
	s_delay_alu instid0(VALU_DEP_1) | instskip(SKIP_4) | instid1(VALU_DEP_1)
	v_fmac_f64_e32 v[164:165], v[148:149], v[140:141]
	scratch_load_b128 v[138:141], off, off offset:416
	s_wait_dscnt 0x0
	v_fmac_f64_e32 v[164:165], v[150:151], v[142:143]
	s_wait_loadcnt 0x5
	v_fmac_f64_e32 v[164:165], v[160:161], v[144:145]
	ds_load_2addr_b64 v[142:145], v2 offset0:105 offset1:106
	ds_load_2addr_b64 v[146:149], v2 offset0:107 offset1:108
	s_wait_dscnt 0x1
	v_fmac_f64_e32 v[164:165], v[162:163], v[142:143]
	s_wait_loadcnt 0x4
	s_delay_alu instid0(VALU_DEP_1)
	v_fmac_f64_e32 v[164:165], v[130:131], v[144:145]
	scratch_load_b128 v[142:145], off, off offset:432
	s_wait_dscnt 0x0
	v_fmac_f64_e32 v[164:165], v[132:133], v[146:147]
	scratch_load_b128 v[130:133], off, off offset:448
	s_wait_loadcnt 0x5
	v_fmac_f64_e32 v[164:165], v[156:157], v[148:149]
	ds_load_2addr_b64 v[146:149], v2 offset0:109 offset1:110
	ds_load_2addr_b64 v[160:163], v2 offset0:111 offset1:112
	s_wait_dscnt 0x1
	v_fmac_f64_e32 v[164:165], v[158:159], v[146:147]
	s_wait_loadcnt 0x4
	s_delay_alu instid0(VALU_DEP_1)
	v_fmac_f64_e32 v[164:165], v[134:135], v[148:149]
	scratch_load_b128 v[146:149], off, off offset:464
	s_wait_dscnt 0x0
	v_fmac_f64_e32 v[164:165], v[136:137], v[160:161]
	scratch_load_b128 v[134:137], off, off offset:480
	s_wait_loadcnt 0x5
	v_fmac_f64_e32 v[164:165], v[152:153], v[162:163]
	ds_load_2addr_b64 v[150:153], v2 offset0:113 offset1:114
	ds_load_2addr_b64 v[156:159], v2 offset0:115 offset1:116
	s_wait_dscnt 0x1
	v_fmac_f64_e32 v[164:165], v[154:155], v[150:151]
	s_wait_loadcnt 0x4
	s_delay_alu instid0(VALU_DEP_1) | instskip(SKIP_1) | instid1(VALU_DEP_1)
	v_fmac_f64_e32 v[164:165], v[138:139], v[152:153]
	s_wait_dscnt 0x0
	v_fmac_f64_e32 v[164:165], v[140:141], v[156:157]
	ds_load_2addr_b64 v[138:141], v2 offset0:117 offset1:118
	ds_load_2addr_b64 v[150:153], v2 offset0:119 offset1:120
	s_wait_loadcnt 0x3
	v_fmac_f64_e32 v[164:165], v[142:143], v[158:159]
	s_wait_dscnt 0x1
	s_delay_alu instid0(VALU_DEP_1) | instskip(SKIP_1) | instid1(VALU_DEP_1)
	v_fmac_f64_e32 v[164:165], v[144:145], v[138:139]
	s_wait_loadcnt 0x2
	v_fmac_f64_e32 v[164:165], v[130:131], v[140:141]
	s_wait_dscnt 0x0
	s_delay_alu instid0(VALU_DEP_1)
	v_fmac_f64_e32 v[164:165], v[132:133], v[150:151]
	ds_load_2addr_b64 v[130:133], v2 offset0:121 offset1:122
	ds_load_b64 v[138:139], v2 offset:984
	s_wait_loadcnt 0x1
	v_fmac_f64_e32 v[164:165], v[146:147], v[152:153]
	s_wait_dscnt 0x1
	s_delay_alu instid0(VALU_DEP_1) | instskip(SKIP_1) | instid1(VALU_DEP_1)
	v_fmac_f64_e32 v[164:165], v[148:149], v[130:131]
	s_wait_loadcnt 0x0
	v_fmac_f64_e32 v[164:165], v[134:135], v[132:133]
	s_wait_dscnt 0x0
	s_delay_alu instid0(VALU_DEP_1) | instskip(NEXT) | instid1(VALU_DEP_1)
	v_fmac_f64_e32 v[164:165], v[136:137], v[138:139]
	v_add_f64_e64 v[128:129], v[128:129], -v[164:165]
	scratch_store_b64 off, v[128:129], off offset:240
	s_wait_xcnt 0x0
	v_cmpx_lt_u32_e32 29, v0
	s_cbranch_execz .LBB61_323
; %bb.322:
	scratch_load_b64 v[128:129], off, off offset:232
	v_mov_b64_e32 v[130:131], 0
	scratch_store_b64 off, v[130:131], off offset:232
	s_wait_loadcnt 0x0
	ds_store_b64 v1, v[128:129]
.LBB61_323:
	s_wait_xcnt 0x0
	s_or_b32 exec_lo, exec_lo, s0
	s_wait_storecnt_dscnt 0x0
	s_barrier_signal -1
	s_barrier_wait -1
	s_clause 0x5
	scratch_load_b128 v[128:131], off, off offset:232
	scratch_load_b128 v[132:135], off, off offset:248
	;; [unrolled: 1-line block ×6, first 2 shown]
	ds_load_b128 v[152:155], v2 offset:736
	ds_load_b128 v[156:159], v2 offset:752
	scratch_load_b128 v[160:163], off, off offset:328
	s_mov_b32 s0, exec_lo
	s_wait_loadcnt_dscnt 0x601
	v_fma_f64 v[164:165], v[130:131], v[152:153], 0
	s_wait_loadcnt 0x5
	s_delay_alu instid0(VALU_DEP_1) | instskip(SKIP_4) | instid1(VALU_DEP_1)
	v_fmac_f64_e32 v[164:165], v[132:133], v[154:155]
	scratch_load_b128 v[130:133], off, off offset:344
	s_wait_dscnt 0x0
	v_fmac_f64_e32 v[164:165], v[134:135], v[156:157]
	s_wait_loadcnt 0x5
	v_fmac_f64_e32 v[164:165], v[136:137], v[158:159]
	ds_load_b128 v[134:137], v2 offset:768
	ds_load_b128 v[152:155], v2 offset:784
	scratch_load_b128 v[156:159], off, off offset:360
	s_wait_dscnt 0x1
	v_fmac_f64_e32 v[164:165], v[138:139], v[134:135]
	s_wait_loadcnt 0x5
	s_delay_alu instid0(VALU_DEP_1) | instskip(SKIP_4) | instid1(VALU_DEP_1)
	v_fmac_f64_e32 v[164:165], v[140:141], v[136:137]
	scratch_load_b128 v[134:137], off, off offset:376
	s_wait_dscnt 0x0
	v_fmac_f64_e32 v[164:165], v[142:143], v[152:153]
	s_wait_loadcnt 0x5
	v_fmac_f64_e32 v[164:165], v[144:145], v[154:155]
	ds_load_b128 v[138:141], v2 offset:800
	ds_load_b128 v[142:145], v2 offset:816
	scratch_load_b128 v[152:155], off, off offset:392
	s_wait_dscnt 0x1
	v_fmac_f64_e32 v[164:165], v[146:147], v[138:139]
	s_wait_loadcnt 0x5
	s_delay_alu instid0(VALU_DEP_1) | instskip(SKIP_4) | instid1(VALU_DEP_1)
	v_fmac_f64_e32 v[164:165], v[148:149], v[140:141]
	scratch_load_b128 v[138:141], off, off offset:408
	s_wait_dscnt 0x0
	v_fmac_f64_e32 v[164:165], v[150:151], v[142:143]
	s_wait_loadcnt 0x5
	v_fmac_f64_e32 v[164:165], v[160:161], v[144:145]
	ds_load_b128 v[142:145], v2 offset:832
	ds_load_b128 v[146:149], v2 offset:848
	s_wait_dscnt 0x1
	v_fmac_f64_e32 v[164:165], v[162:163], v[142:143]
	s_wait_loadcnt 0x4
	s_delay_alu instid0(VALU_DEP_1)
	v_fmac_f64_e32 v[164:165], v[130:131], v[144:145]
	scratch_load_b128 v[142:145], off, off offset:424
	s_wait_dscnt 0x0
	v_fmac_f64_e32 v[164:165], v[132:133], v[146:147]
	scratch_load_b128 v[130:133], off, off offset:440
	s_wait_loadcnt 0x5
	v_fmac_f64_e32 v[164:165], v[156:157], v[148:149]
	ds_load_b128 v[146:149], v2 offset:864
	ds_load_b128 v[160:163], v2 offset:880
	s_wait_dscnt 0x1
	v_fmac_f64_e32 v[164:165], v[158:159], v[146:147]
	s_wait_loadcnt 0x4
	s_delay_alu instid0(VALU_DEP_1)
	v_fmac_f64_e32 v[164:165], v[134:135], v[148:149]
	scratch_load_b128 v[146:149], off, off offset:456
	s_wait_dscnt 0x0
	v_fmac_f64_e32 v[164:165], v[136:137], v[160:161]
	scratch_load_b128 v[134:137], off, off offset:472
	s_wait_loadcnt 0x5
	v_fmac_f64_e32 v[164:165], v[152:153], v[162:163]
	ds_load_b128 v[150:153], v2 offset:896
	ds_load_b128 v[156:159], v2 offset:912
	s_wait_dscnt 0x1
	v_fmac_f64_e32 v[164:165], v[154:155], v[150:151]
	scratch_load_b64 v[154:155], off, off offset:488
	s_wait_loadcnt 0x5
	v_fmac_f64_e32 v[164:165], v[138:139], v[152:153]
	s_wait_dscnt 0x0
	s_delay_alu instid0(VALU_DEP_1)
	v_fmac_f64_e32 v[164:165], v[140:141], v[156:157]
	ds_load_b128 v[138:141], v2 offset:928
	ds_load_b128 v[150:153], v2 offset:944
	s_wait_loadcnt 0x4
	v_fmac_f64_e32 v[164:165], v[142:143], v[158:159]
	s_wait_dscnt 0x1
	s_delay_alu instid0(VALU_DEP_1) | instskip(SKIP_1) | instid1(VALU_DEP_1)
	v_fmac_f64_e32 v[164:165], v[144:145], v[138:139]
	s_wait_loadcnt 0x3
	v_fmac_f64_e32 v[164:165], v[130:131], v[140:141]
	s_wait_dscnt 0x0
	s_delay_alu instid0(VALU_DEP_1)
	v_fmac_f64_e32 v[164:165], v[132:133], v[150:151]
	ds_load_b128 v[130:133], v2 offset:960
	ds_load_b128 v[138:141], v2 offset:976
	s_wait_loadcnt 0x2
	v_fmac_f64_e32 v[164:165], v[146:147], v[152:153]
	s_wait_dscnt 0x1
	s_delay_alu instid0(VALU_DEP_1) | instskip(SKIP_1) | instid1(VALU_DEP_1)
	v_fmac_f64_e32 v[164:165], v[148:149], v[130:131]
	s_wait_loadcnt 0x1
	v_fmac_f64_e32 v[164:165], v[134:135], v[132:133]
	s_wait_dscnt 0x0
	s_delay_alu instid0(VALU_DEP_1) | instskip(SKIP_1) | instid1(VALU_DEP_1)
	v_fmac_f64_e32 v[164:165], v[136:137], v[138:139]
	s_wait_loadcnt 0x0
	v_fmac_f64_e32 v[164:165], v[154:155], v[140:141]
	s_delay_alu instid0(VALU_DEP_1)
	v_add_f64_e64 v[2:3], v[128:129], -v[164:165]
	scratch_store_b64 off, v[2:3], off offset:232
	s_wait_xcnt 0x0
	v_cmpx_lt_u32_e32 28, v0
	s_cbranch_execz .LBB61_325
; %bb.324:
	scratch_load_b64 v[2:3], off, off offset:224
	v_mov_b64_e32 v[128:129], 0
	scratch_store_b64 off, v[128:129], off offset:224
	s_wait_loadcnt 0x0
	ds_store_b64 v1, v[2:3]
.LBB61_325:
	s_wait_xcnt 0x0
	s_or_b32 exec_lo, exec_lo, s0
	s_wait_storecnt_dscnt 0x0
	s_barrier_signal -1
	s_barrier_wait -1
	s_clause 0x5
	scratch_load_b128 v[128:131], off, off offset:224
	scratch_load_b128 v[132:135], off, off offset:240
	;; [unrolled: 1-line block ×6, first 2 shown]
	v_mov_b32_e32 v2, 0
	ds_load_2addr_b64 v[152:155], v2 offset0:91 offset1:92
	ds_load_2addr_b64 v[156:159], v2 offset0:93 offset1:94
	scratch_load_b128 v[160:163], off, off offset:320
	s_mov_b32 s0, exec_lo
	s_wait_loadcnt_dscnt 0x601
	v_fma_f64 v[164:165], v[130:131], v[152:153], 0
	s_wait_loadcnt 0x5
	s_delay_alu instid0(VALU_DEP_1) | instskip(SKIP_4) | instid1(VALU_DEP_1)
	v_fmac_f64_e32 v[164:165], v[132:133], v[154:155]
	scratch_load_b128 v[130:133], off, off offset:336
	s_wait_dscnt 0x0
	v_fmac_f64_e32 v[164:165], v[134:135], v[156:157]
	s_wait_loadcnt 0x5
	v_fmac_f64_e32 v[164:165], v[136:137], v[158:159]
	ds_load_2addr_b64 v[134:137], v2 offset0:95 offset1:96
	ds_load_2addr_b64 v[152:155], v2 offset0:97 offset1:98
	scratch_load_b128 v[156:159], off, off offset:352
	s_wait_dscnt 0x1
	v_fmac_f64_e32 v[164:165], v[138:139], v[134:135]
	s_wait_loadcnt 0x5
	s_delay_alu instid0(VALU_DEP_1) | instskip(SKIP_4) | instid1(VALU_DEP_1)
	v_fmac_f64_e32 v[164:165], v[140:141], v[136:137]
	scratch_load_b128 v[134:137], off, off offset:368
	s_wait_dscnt 0x0
	v_fmac_f64_e32 v[164:165], v[142:143], v[152:153]
	s_wait_loadcnt 0x5
	v_fmac_f64_e32 v[164:165], v[144:145], v[154:155]
	ds_load_2addr_b64 v[138:141], v2 offset0:99 offset1:100
	ds_load_2addr_b64 v[142:145], v2 offset0:101 offset1:102
	scratch_load_b128 v[152:155], off, off offset:384
	s_wait_dscnt 0x1
	v_fmac_f64_e32 v[164:165], v[146:147], v[138:139]
	s_wait_loadcnt 0x5
	s_delay_alu instid0(VALU_DEP_1) | instskip(SKIP_4) | instid1(VALU_DEP_1)
	v_fmac_f64_e32 v[164:165], v[148:149], v[140:141]
	scratch_load_b128 v[138:141], off, off offset:400
	s_wait_dscnt 0x0
	v_fmac_f64_e32 v[164:165], v[150:151], v[142:143]
	s_wait_loadcnt 0x5
	v_fmac_f64_e32 v[164:165], v[160:161], v[144:145]
	ds_load_2addr_b64 v[142:145], v2 offset0:103 offset1:104
	ds_load_2addr_b64 v[146:149], v2 offset0:105 offset1:106
	s_wait_dscnt 0x1
	v_fmac_f64_e32 v[164:165], v[162:163], v[142:143]
	s_wait_loadcnt 0x4
	s_delay_alu instid0(VALU_DEP_1)
	v_fmac_f64_e32 v[164:165], v[130:131], v[144:145]
	scratch_load_b128 v[142:145], off, off offset:416
	s_wait_dscnt 0x0
	v_fmac_f64_e32 v[164:165], v[132:133], v[146:147]
	scratch_load_b128 v[130:133], off, off offset:432
	s_wait_loadcnt 0x5
	v_fmac_f64_e32 v[164:165], v[156:157], v[148:149]
	ds_load_2addr_b64 v[146:149], v2 offset0:107 offset1:108
	ds_load_2addr_b64 v[160:163], v2 offset0:109 offset1:110
	s_wait_dscnt 0x1
	v_fmac_f64_e32 v[164:165], v[158:159], v[146:147]
	s_wait_loadcnt 0x4
	s_delay_alu instid0(VALU_DEP_1)
	v_fmac_f64_e32 v[164:165], v[134:135], v[148:149]
	scratch_load_b128 v[146:149], off, off offset:448
	s_wait_dscnt 0x0
	v_fmac_f64_e32 v[164:165], v[136:137], v[160:161]
	scratch_load_b128 v[134:137], off, off offset:464
	s_wait_loadcnt 0x5
	v_fmac_f64_e32 v[164:165], v[152:153], v[162:163]
	ds_load_2addr_b64 v[150:153], v2 offset0:111 offset1:112
	ds_load_2addr_b64 v[156:159], v2 offset0:113 offset1:114
	s_wait_dscnt 0x1
	v_fmac_f64_e32 v[164:165], v[154:155], v[150:151]
	s_wait_loadcnt 0x4
	s_delay_alu instid0(VALU_DEP_1)
	v_fmac_f64_e32 v[164:165], v[138:139], v[152:153]
	scratch_load_b128 v[150:153], off, off offset:480
	s_wait_dscnt 0x0
	v_fmac_f64_e32 v[164:165], v[140:141], v[156:157]
	ds_load_2addr_b64 v[138:141], v2 offset0:115 offset1:116
	ds_load_2addr_b64 v[154:157], v2 offset0:117 offset1:118
	s_wait_loadcnt 0x4
	v_fmac_f64_e32 v[164:165], v[142:143], v[158:159]
	s_wait_dscnt 0x1
	s_delay_alu instid0(VALU_DEP_1) | instskip(SKIP_1) | instid1(VALU_DEP_1)
	v_fmac_f64_e32 v[164:165], v[144:145], v[138:139]
	s_wait_loadcnt 0x3
	v_fmac_f64_e32 v[164:165], v[130:131], v[140:141]
	s_wait_dscnt 0x0
	s_delay_alu instid0(VALU_DEP_1)
	v_fmac_f64_e32 v[164:165], v[132:133], v[154:155]
	ds_load_2addr_b64 v[130:133], v2 offset0:119 offset1:120
	ds_load_2addr_b64 v[138:141], v2 offset0:121 offset1:122
	s_wait_loadcnt 0x2
	v_fmac_f64_e32 v[164:165], v[146:147], v[156:157]
	s_wait_dscnt 0x1
	s_delay_alu instid0(VALU_DEP_1) | instskip(SKIP_4) | instid1(VALU_DEP_1)
	v_fmac_f64_e32 v[164:165], v[148:149], v[130:131]
	ds_load_b64 v[130:131], v2 offset:984
	s_wait_loadcnt 0x1
	v_fmac_f64_e32 v[164:165], v[134:135], v[132:133]
	s_wait_dscnt 0x1
	v_fmac_f64_e32 v[164:165], v[136:137], v[138:139]
	s_wait_loadcnt 0x0
	s_delay_alu instid0(VALU_DEP_1) | instskip(SKIP_1) | instid1(VALU_DEP_1)
	v_fmac_f64_e32 v[164:165], v[150:151], v[140:141]
	s_wait_dscnt 0x0
	v_fmac_f64_e32 v[164:165], v[152:153], v[130:131]
	s_delay_alu instid0(VALU_DEP_1)
	v_add_f64_e64 v[128:129], v[128:129], -v[164:165]
	scratch_store_b64 off, v[128:129], off offset:224
	s_wait_xcnt 0x0
	v_cmpx_lt_u32_e32 27, v0
	s_cbranch_execz .LBB61_327
; %bb.326:
	scratch_load_b64 v[128:129], off, off offset:216
	v_mov_b64_e32 v[130:131], 0
	scratch_store_b64 off, v[130:131], off offset:216
	s_wait_loadcnt 0x0
	ds_store_b64 v1, v[128:129]
.LBB61_327:
	s_wait_xcnt 0x0
	s_or_b32 exec_lo, exec_lo, s0
	s_wait_storecnt_dscnt 0x0
	s_barrier_signal -1
	s_barrier_wait -1
	s_clause 0x5
	scratch_load_b128 v[128:131], off, off offset:216
	scratch_load_b128 v[132:135], off, off offset:232
	;; [unrolled: 1-line block ×6, first 2 shown]
	ds_load_b128 v[152:155], v2 offset:720
	ds_load_b128 v[156:159], v2 offset:736
	scratch_load_b128 v[160:163], off, off offset:312
	s_mov_b32 s0, exec_lo
	s_wait_loadcnt_dscnt 0x601
	v_fma_f64 v[164:165], v[130:131], v[152:153], 0
	s_wait_loadcnt 0x5
	s_delay_alu instid0(VALU_DEP_1) | instskip(SKIP_4) | instid1(VALU_DEP_1)
	v_fmac_f64_e32 v[164:165], v[132:133], v[154:155]
	scratch_load_b128 v[130:133], off, off offset:328
	s_wait_dscnt 0x0
	v_fmac_f64_e32 v[164:165], v[134:135], v[156:157]
	s_wait_loadcnt 0x5
	v_fmac_f64_e32 v[164:165], v[136:137], v[158:159]
	ds_load_b128 v[134:137], v2 offset:752
	ds_load_b128 v[152:155], v2 offset:768
	scratch_load_b128 v[156:159], off, off offset:344
	s_wait_dscnt 0x1
	v_fmac_f64_e32 v[164:165], v[138:139], v[134:135]
	s_wait_loadcnt 0x5
	s_delay_alu instid0(VALU_DEP_1) | instskip(SKIP_4) | instid1(VALU_DEP_1)
	v_fmac_f64_e32 v[164:165], v[140:141], v[136:137]
	scratch_load_b128 v[134:137], off, off offset:360
	s_wait_dscnt 0x0
	v_fmac_f64_e32 v[164:165], v[142:143], v[152:153]
	s_wait_loadcnt 0x5
	v_fmac_f64_e32 v[164:165], v[144:145], v[154:155]
	ds_load_b128 v[138:141], v2 offset:784
	ds_load_b128 v[142:145], v2 offset:800
	scratch_load_b128 v[152:155], off, off offset:376
	s_wait_dscnt 0x1
	v_fmac_f64_e32 v[164:165], v[146:147], v[138:139]
	s_wait_loadcnt 0x5
	s_delay_alu instid0(VALU_DEP_1) | instskip(SKIP_4) | instid1(VALU_DEP_1)
	v_fmac_f64_e32 v[164:165], v[148:149], v[140:141]
	scratch_load_b128 v[138:141], off, off offset:392
	s_wait_dscnt 0x0
	v_fmac_f64_e32 v[164:165], v[150:151], v[142:143]
	s_wait_loadcnt 0x5
	v_fmac_f64_e32 v[164:165], v[160:161], v[144:145]
	ds_load_b128 v[142:145], v2 offset:816
	ds_load_b128 v[146:149], v2 offset:832
	s_wait_dscnt 0x1
	v_fmac_f64_e32 v[164:165], v[162:163], v[142:143]
	scratch_load_b128 v[160:163], off, off offset:408
	s_wait_loadcnt 0x5
	v_fmac_f64_e32 v[164:165], v[130:131], v[144:145]
	s_wait_dscnt 0x0
	s_delay_alu instid0(VALU_DEP_1)
	v_fmac_f64_e32 v[164:165], v[132:133], v[146:147]
	scratch_load_b128 v[130:133], off, off offset:424
	s_wait_loadcnt 0x5
	v_fmac_f64_e32 v[164:165], v[156:157], v[148:149]
	ds_load_b128 v[142:145], v2 offset:848
	ds_load_b128 v[146:149], v2 offset:864
	s_wait_dscnt 0x1
	v_fmac_f64_e32 v[164:165], v[158:159], v[142:143]
	s_wait_loadcnt 0x4
	s_delay_alu instid0(VALU_DEP_1)
	v_fmac_f64_e32 v[164:165], v[134:135], v[144:145]
	scratch_load_b128 v[142:145], off, off offset:440
	s_wait_dscnt 0x0
	v_fmac_f64_e32 v[164:165], v[136:137], v[146:147]
	scratch_load_b128 v[134:137], off, off offset:456
	s_wait_loadcnt 0x5
	v_fmac_f64_e32 v[164:165], v[152:153], v[148:149]
	ds_load_b128 v[146:149], v2 offset:880
	ds_load_b128 v[150:153], v2 offset:896
	s_wait_dscnt 0x1
	v_fmac_f64_e32 v[164:165], v[154:155], v[146:147]
	scratch_load_b64 v[154:155], off, off offset:488
	s_wait_loadcnt 0x5
	v_fmac_f64_e32 v[164:165], v[138:139], v[148:149]
	scratch_load_b128 v[146:149], off, off offset:472
	s_wait_dscnt 0x0
	v_fmac_f64_e32 v[164:165], v[140:141], v[150:151]
	s_wait_loadcnt 0x5
	s_delay_alu instid0(VALU_DEP_1)
	v_fmac_f64_e32 v[164:165], v[160:161], v[152:153]
	ds_load_b128 v[138:141], v2 offset:912
	ds_load_b128 v[150:153], v2 offset:928
	s_wait_dscnt 0x1
	v_fmac_f64_e32 v[164:165], v[162:163], v[138:139]
	s_wait_loadcnt 0x4
	s_delay_alu instid0(VALU_DEP_1) | instskip(SKIP_1) | instid1(VALU_DEP_1)
	v_fmac_f64_e32 v[164:165], v[130:131], v[140:141]
	s_wait_dscnt 0x0
	v_fmac_f64_e32 v[164:165], v[132:133], v[150:151]
	ds_load_b128 v[130:133], v2 offset:944
	ds_load_b128 v[138:141], v2 offset:960
	s_wait_loadcnt 0x3
	v_fmac_f64_e32 v[164:165], v[142:143], v[152:153]
	s_wait_dscnt 0x1
	s_delay_alu instid0(VALU_DEP_1) | instskip(SKIP_1) | instid1(VALU_DEP_1)
	v_fmac_f64_e32 v[164:165], v[144:145], v[130:131]
	s_wait_loadcnt 0x2
	v_fmac_f64_e32 v[164:165], v[134:135], v[132:133]
	ds_load_b128 v[130:133], v2 offset:976
	s_wait_dscnt 0x1
	v_fmac_f64_e32 v[164:165], v[136:137], v[138:139]
	s_wait_loadcnt 0x0
	s_delay_alu instid0(VALU_DEP_1) | instskip(SKIP_1) | instid1(VALU_DEP_1)
	v_fmac_f64_e32 v[164:165], v[146:147], v[140:141]
	s_wait_dscnt 0x0
	v_fmac_f64_e32 v[164:165], v[148:149], v[130:131]
	s_delay_alu instid0(VALU_DEP_1) | instskip(NEXT) | instid1(VALU_DEP_1)
	v_fmac_f64_e32 v[164:165], v[154:155], v[132:133]
	v_add_f64_e64 v[2:3], v[128:129], -v[164:165]
	scratch_store_b64 off, v[2:3], off offset:216
	s_wait_xcnt 0x0
	v_cmpx_lt_u32_e32 26, v0
	s_cbranch_execz .LBB61_329
; %bb.328:
	scratch_load_b64 v[2:3], off, off offset:208
	v_mov_b64_e32 v[128:129], 0
	scratch_store_b64 off, v[128:129], off offset:208
	s_wait_loadcnt 0x0
	ds_store_b64 v1, v[2:3]
.LBB61_329:
	s_wait_xcnt 0x0
	s_or_b32 exec_lo, exec_lo, s0
	s_wait_storecnt_dscnt 0x0
	s_barrier_signal -1
	s_barrier_wait -1
	s_clause 0x5
	scratch_load_b128 v[128:131], off, off offset:208
	scratch_load_b128 v[132:135], off, off offset:224
	;; [unrolled: 1-line block ×6, first 2 shown]
	v_mov_b32_e32 v2, 0
	ds_load_2addr_b64 v[152:155], v2 offset0:89 offset1:90
	ds_load_2addr_b64 v[156:159], v2 offset0:91 offset1:92
	scratch_load_b128 v[160:163], off, off offset:304
	s_mov_b32 s0, exec_lo
	s_wait_loadcnt_dscnt 0x601
	v_fma_f64 v[164:165], v[130:131], v[152:153], 0
	s_wait_loadcnt 0x5
	s_delay_alu instid0(VALU_DEP_1) | instskip(SKIP_4) | instid1(VALU_DEP_1)
	v_fmac_f64_e32 v[164:165], v[132:133], v[154:155]
	scratch_load_b128 v[130:133], off, off offset:320
	s_wait_dscnt 0x0
	v_fmac_f64_e32 v[164:165], v[134:135], v[156:157]
	s_wait_loadcnt 0x5
	v_fmac_f64_e32 v[164:165], v[136:137], v[158:159]
	ds_load_2addr_b64 v[134:137], v2 offset0:93 offset1:94
	ds_load_2addr_b64 v[152:155], v2 offset0:95 offset1:96
	scratch_load_b128 v[156:159], off, off offset:336
	s_wait_dscnt 0x1
	v_fmac_f64_e32 v[164:165], v[138:139], v[134:135]
	s_wait_loadcnt 0x5
	s_delay_alu instid0(VALU_DEP_1) | instskip(SKIP_4) | instid1(VALU_DEP_1)
	v_fmac_f64_e32 v[164:165], v[140:141], v[136:137]
	scratch_load_b128 v[134:137], off, off offset:352
	s_wait_dscnt 0x0
	v_fmac_f64_e32 v[164:165], v[142:143], v[152:153]
	s_wait_loadcnt 0x5
	v_fmac_f64_e32 v[164:165], v[144:145], v[154:155]
	ds_load_2addr_b64 v[138:141], v2 offset0:97 offset1:98
	ds_load_2addr_b64 v[142:145], v2 offset0:99 offset1:100
	scratch_load_b128 v[152:155], off, off offset:368
	s_wait_dscnt 0x1
	v_fmac_f64_e32 v[164:165], v[146:147], v[138:139]
	s_wait_loadcnt 0x5
	s_delay_alu instid0(VALU_DEP_1) | instskip(SKIP_4) | instid1(VALU_DEP_1)
	v_fmac_f64_e32 v[164:165], v[148:149], v[140:141]
	scratch_load_b128 v[138:141], off, off offset:384
	s_wait_dscnt 0x0
	v_fmac_f64_e32 v[164:165], v[150:151], v[142:143]
	s_wait_loadcnt 0x5
	v_fmac_f64_e32 v[164:165], v[160:161], v[144:145]
	ds_load_2addr_b64 v[142:145], v2 offset0:101 offset1:102
	ds_load_2addr_b64 v[146:149], v2 offset0:103 offset1:104
	s_wait_dscnt 0x1
	v_fmac_f64_e32 v[164:165], v[162:163], v[142:143]
	scratch_load_b128 v[160:163], off, off offset:400
	s_wait_loadcnt 0x5
	v_fmac_f64_e32 v[164:165], v[130:131], v[144:145]
	s_wait_dscnt 0x0
	s_delay_alu instid0(VALU_DEP_1)
	v_fmac_f64_e32 v[164:165], v[132:133], v[146:147]
	scratch_load_b128 v[130:133], off, off offset:416
	s_wait_loadcnt 0x5
	v_fmac_f64_e32 v[164:165], v[156:157], v[148:149]
	ds_load_2addr_b64 v[142:145], v2 offset0:105 offset1:106
	ds_load_2addr_b64 v[146:149], v2 offset0:107 offset1:108
	s_wait_dscnt 0x1
	v_fmac_f64_e32 v[164:165], v[158:159], v[142:143]
	s_wait_loadcnt 0x4
	s_delay_alu instid0(VALU_DEP_1)
	v_fmac_f64_e32 v[164:165], v[134:135], v[144:145]
	scratch_load_b128 v[142:145], off, off offset:432
	s_wait_dscnt 0x0
	v_fmac_f64_e32 v[164:165], v[136:137], v[146:147]
	scratch_load_b128 v[134:137], off, off offset:448
	s_wait_loadcnt 0x5
	v_fmac_f64_e32 v[164:165], v[152:153], v[148:149]
	ds_load_2addr_b64 v[146:149], v2 offset0:109 offset1:110
	ds_load_2addr_b64 v[150:153], v2 offset0:111 offset1:112
	s_wait_dscnt 0x1
	v_fmac_f64_e32 v[164:165], v[154:155], v[146:147]
	s_wait_loadcnt 0x4
	s_delay_alu instid0(VALU_DEP_1)
	v_fmac_f64_e32 v[164:165], v[138:139], v[148:149]
	scratch_load_b128 v[146:149], off, off offset:464
	s_wait_dscnt 0x0
	v_fmac_f64_e32 v[164:165], v[140:141], v[150:151]
	scratch_load_b128 v[138:141], off, off offset:480
	s_wait_loadcnt 0x5
	v_fmac_f64_e32 v[164:165], v[160:161], v[152:153]
	ds_load_2addr_b64 v[150:153], v2 offset0:113 offset1:114
	ds_load_2addr_b64 v[154:157], v2 offset0:115 offset1:116
	s_wait_dscnt 0x1
	v_fmac_f64_e32 v[164:165], v[162:163], v[150:151]
	s_wait_loadcnt 0x4
	s_delay_alu instid0(VALU_DEP_1) | instskip(SKIP_1) | instid1(VALU_DEP_1)
	v_fmac_f64_e32 v[164:165], v[130:131], v[152:153]
	s_wait_dscnt 0x0
	v_fmac_f64_e32 v[164:165], v[132:133], v[154:155]
	ds_load_2addr_b64 v[130:133], v2 offset0:117 offset1:118
	ds_load_2addr_b64 v[150:153], v2 offset0:119 offset1:120
	s_wait_loadcnt 0x3
	v_fmac_f64_e32 v[164:165], v[142:143], v[156:157]
	s_wait_dscnt 0x1
	s_delay_alu instid0(VALU_DEP_1) | instskip(SKIP_1) | instid1(VALU_DEP_1)
	v_fmac_f64_e32 v[164:165], v[144:145], v[130:131]
	s_wait_loadcnt 0x2
	v_fmac_f64_e32 v[164:165], v[134:135], v[132:133]
	ds_load_2addr_b64 v[130:133], v2 offset0:121 offset1:122
	ds_load_b64 v[134:135], v2 offset:984
	s_wait_dscnt 0x2
	v_fmac_f64_e32 v[164:165], v[136:137], v[150:151]
	s_wait_loadcnt 0x1
	s_delay_alu instid0(VALU_DEP_1) | instskip(SKIP_1) | instid1(VALU_DEP_1)
	v_fmac_f64_e32 v[164:165], v[146:147], v[152:153]
	s_wait_dscnt 0x1
	v_fmac_f64_e32 v[164:165], v[148:149], v[130:131]
	s_wait_loadcnt 0x0
	s_delay_alu instid0(VALU_DEP_1) | instskip(SKIP_1) | instid1(VALU_DEP_1)
	v_fmac_f64_e32 v[164:165], v[138:139], v[132:133]
	s_wait_dscnt 0x0
	v_fmac_f64_e32 v[164:165], v[140:141], v[134:135]
	s_delay_alu instid0(VALU_DEP_1)
	v_add_f64_e64 v[128:129], v[128:129], -v[164:165]
	scratch_store_b64 off, v[128:129], off offset:208
	s_wait_xcnt 0x0
	v_cmpx_lt_u32_e32 25, v0
	s_cbranch_execz .LBB61_331
; %bb.330:
	scratch_load_b64 v[128:129], off, off offset:200
	v_mov_b64_e32 v[130:131], 0
	scratch_store_b64 off, v[130:131], off offset:200
	s_wait_loadcnt 0x0
	ds_store_b64 v1, v[128:129]
.LBB61_331:
	s_wait_xcnt 0x0
	s_or_b32 exec_lo, exec_lo, s0
	s_wait_storecnt_dscnt 0x0
	s_barrier_signal -1
	s_barrier_wait -1
	s_clause 0x5
	scratch_load_b128 v[128:131], off, off offset:200
	scratch_load_b128 v[132:135], off, off offset:216
	;; [unrolled: 1-line block ×6, first 2 shown]
	ds_load_b128 v[152:155], v2 offset:704
	ds_load_b128 v[156:159], v2 offset:720
	scratch_load_b128 v[160:163], off, off offset:296
	s_mov_b32 s0, exec_lo
	s_wait_loadcnt_dscnt 0x601
	v_fma_f64 v[164:165], v[130:131], v[152:153], 0
	s_wait_loadcnt 0x5
	s_delay_alu instid0(VALU_DEP_1) | instskip(SKIP_4) | instid1(VALU_DEP_1)
	v_fmac_f64_e32 v[164:165], v[132:133], v[154:155]
	scratch_load_b128 v[130:133], off, off offset:312
	s_wait_dscnt 0x0
	v_fmac_f64_e32 v[164:165], v[134:135], v[156:157]
	s_wait_loadcnt 0x5
	v_fmac_f64_e32 v[164:165], v[136:137], v[158:159]
	ds_load_b128 v[134:137], v2 offset:736
	ds_load_b128 v[152:155], v2 offset:752
	scratch_load_b128 v[156:159], off, off offset:328
	s_wait_dscnt 0x1
	v_fmac_f64_e32 v[164:165], v[138:139], v[134:135]
	s_wait_loadcnt 0x5
	s_delay_alu instid0(VALU_DEP_1) | instskip(SKIP_4) | instid1(VALU_DEP_1)
	v_fmac_f64_e32 v[164:165], v[140:141], v[136:137]
	scratch_load_b128 v[134:137], off, off offset:344
	s_wait_dscnt 0x0
	v_fmac_f64_e32 v[164:165], v[142:143], v[152:153]
	s_wait_loadcnt 0x5
	v_fmac_f64_e32 v[164:165], v[144:145], v[154:155]
	ds_load_b128 v[138:141], v2 offset:768
	ds_load_b128 v[142:145], v2 offset:784
	scratch_load_b128 v[152:155], off, off offset:360
	s_wait_dscnt 0x1
	v_fmac_f64_e32 v[164:165], v[146:147], v[138:139]
	s_wait_loadcnt 0x5
	s_delay_alu instid0(VALU_DEP_1) | instskip(SKIP_4) | instid1(VALU_DEP_1)
	v_fmac_f64_e32 v[164:165], v[148:149], v[140:141]
	scratch_load_b128 v[138:141], off, off offset:376
	s_wait_dscnt 0x0
	v_fmac_f64_e32 v[164:165], v[150:151], v[142:143]
	s_wait_loadcnt 0x5
	v_fmac_f64_e32 v[164:165], v[160:161], v[144:145]
	ds_load_b128 v[142:145], v2 offset:800
	ds_load_b128 v[146:149], v2 offset:816
	s_wait_dscnt 0x1
	v_fmac_f64_e32 v[164:165], v[162:163], v[142:143]
	scratch_load_b128 v[160:163], off, off offset:392
	s_wait_loadcnt 0x5
	v_fmac_f64_e32 v[164:165], v[130:131], v[144:145]
	s_wait_dscnt 0x0
	s_delay_alu instid0(VALU_DEP_1)
	v_fmac_f64_e32 v[164:165], v[132:133], v[146:147]
	scratch_load_b128 v[130:133], off, off offset:408
	s_wait_loadcnt 0x5
	v_fmac_f64_e32 v[164:165], v[156:157], v[148:149]
	ds_load_b128 v[142:145], v2 offset:832
	ds_load_b128 v[146:149], v2 offset:848
	s_wait_dscnt 0x1
	v_fmac_f64_e32 v[164:165], v[158:159], v[142:143]
	s_wait_loadcnt 0x4
	s_delay_alu instid0(VALU_DEP_1)
	v_fmac_f64_e32 v[164:165], v[134:135], v[144:145]
	scratch_load_b128 v[142:145], off, off offset:424
	s_wait_dscnt 0x0
	v_fmac_f64_e32 v[164:165], v[136:137], v[146:147]
	scratch_load_b128 v[134:137], off, off offset:440
	s_wait_loadcnt 0x5
	v_fmac_f64_e32 v[164:165], v[152:153], v[148:149]
	ds_load_b128 v[146:149], v2 offset:864
	ds_load_b128 v[150:153], v2 offset:880
	s_wait_dscnt 0x1
	v_fmac_f64_e32 v[164:165], v[154:155], v[146:147]
	s_wait_loadcnt 0x4
	s_delay_alu instid0(VALU_DEP_1)
	v_fmac_f64_e32 v[164:165], v[138:139], v[148:149]
	scratch_load_b128 v[146:149], off, off offset:456
	s_wait_dscnt 0x0
	v_fmac_f64_e32 v[164:165], v[140:141], v[150:151]
	scratch_load_b128 v[138:141], off, off offset:472
	s_wait_loadcnt 0x5
	v_fmac_f64_e32 v[164:165], v[160:161], v[152:153]
	ds_load_b128 v[150:153], v2 offset:896
	ds_load_b128 v[154:157], v2 offset:912
	scratch_load_b64 v[158:159], off, off offset:488
	s_wait_dscnt 0x1
	v_fmac_f64_e32 v[164:165], v[162:163], v[150:151]
	s_wait_loadcnt 0x5
	s_delay_alu instid0(VALU_DEP_1) | instskip(SKIP_1) | instid1(VALU_DEP_1)
	v_fmac_f64_e32 v[164:165], v[130:131], v[152:153]
	s_wait_dscnt 0x0
	v_fmac_f64_e32 v[164:165], v[132:133], v[154:155]
	ds_load_b128 v[130:133], v2 offset:928
	ds_load_b128 v[150:153], v2 offset:944
	s_wait_loadcnt 0x4
	v_fmac_f64_e32 v[164:165], v[142:143], v[156:157]
	s_wait_dscnt 0x1
	s_delay_alu instid0(VALU_DEP_1) | instskip(SKIP_1) | instid1(VALU_DEP_1)
	v_fmac_f64_e32 v[164:165], v[144:145], v[130:131]
	s_wait_loadcnt 0x3
	v_fmac_f64_e32 v[164:165], v[134:135], v[132:133]
	s_wait_dscnt 0x0
	s_delay_alu instid0(VALU_DEP_1)
	v_fmac_f64_e32 v[164:165], v[136:137], v[150:151]
	ds_load_b128 v[130:133], v2 offset:960
	ds_load_b128 v[134:137], v2 offset:976
	s_wait_loadcnt 0x2
	v_fmac_f64_e32 v[164:165], v[146:147], v[152:153]
	s_wait_dscnt 0x1
	s_delay_alu instid0(VALU_DEP_1) | instskip(SKIP_1) | instid1(VALU_DEP_1)
	v_fmac_f64_e32 v[164:165], v[148:149], v[130:131]
	s_wait_loadcnt 0x1
	v_fmac_f64_e32 v[164:165], v[138:139], v[132:133]
	s_wait_dscnt 0x0
	s_delay_alu instid0(VALU_DEP_1) | instskip(SKIP_1) | instid1(VALU_DEP_1)
	v_fmac_f64_e32 v[164:165], v[140:141], v[134:135]
	s_wait_loadcnt 0x0
	v_fmac_f64_e32 v[164:165], v[158:159], v[136:137]
	s_delay_alu instid0(VALU_DEP_1)
	v_add_f64_e64 v[2:3], v[128:129], -v[164:165]
	scratch_store_b64 off, v[2:3], off offset:200
	s_wait_xcnt 0x0
	v_cmpx_lt_u32_e32 24, v0
	s_cbranch_execz .LBB61_333
; %bb.332:
	scratch_load_b64 v[2:3], off, off offset:192
	v_mov_b64_e32 v[128:129], 0
	scratch_store_b64 off, v[128:129], off offset:192
	s_wait_loadcnt 0x0
	ds_store_b64 v1, v[2:3]
.LBB61_333:
	s_wait_xcnt 0x0
	s_or_b32 exec_lo, exec_lo, s0
	s_wait_storecnt_dscnt 0x0
	s_barrier_signal -1
	s_barrier_wait -1
	s_clause 0x5
	scratch_load_b128 v[128:131], off, off offset:192
	scratch_load_b128 v[132:135], off, off offset:208
	;; [unrolled: 1-line block ×6, first 2 shown]
	v_mov_b32_e32 v2, 0
	ds_load_2addr_b64 v[152:155], v2 offset0:87 offset1:88
	ds_load_2addr_b64 v[156:159], v2 offset0:89 offset1:90
	scratch_load_b128 v[160:163], off, off offset:288
	s_mov_b32 s0, exec_lo
	s_wait_loadcnt_dscnt 0x601
	v_fma_f64 v[164:165], v[130:131], v[152:153], 0
	s_wait_loadcnt 0x5
	s_delay_alu instid0(VALU_DEP_1) | instskip(SKIP_4) | instid1(VALU_DEP_1)
	v_fmac_f64_e32 v[164:165], v[132:133], v[154:155]
	scratch_load_b128 v[130:133], off, off offset:304
	s_wait_dscnt 0x0
	v_fmac_f64_e32 v[164:165], v[134:135], v[156:157]
	s_wait_loadcnt 0x5
	v_fmac_f64_e32 v[164:165], v[136:137], v[158:159]
	ds_load_2addr_b64 v[134:137], v2 offset0:91 offset1:92
	ds_load_2addr_b64 v[152:155], v2 offset0:93 offset1:94
	scratch_load_b128 v[156:159], off, off offset:320
	s_wait_dscnt 0x1
	v_fmac_f64_e32 v[164:165], v[138:139], v[134:135]
	s_wait_loadcnt 0x5
	s_delay_alu instid0(VALU_DEP_1) | instskip(SKIP_4) | instid1(VALU_DEP_1)
	v_fmac_f64_e32 v[164:165], v[140:141], v[136:137]
	scratch_load_b128 v[134:137], off, off offset:336
	s_wait_dscnt 0x0
	v_fmac_f64_e32 v[164:165], v[142:143], v[152:153]
	s_wait_loadcnt 0x5
	v_fmac_f64_e32 v[164:165], v[144:145], v[154:155]
	ds_load_2addr_b64 v[138:141], v2 offset0:95 offset1:96
	ds_load_2addr_b64 v[142:145], v2 offset0:97 offset1:98
	scratch_load_b128 v[152:155], off, off offset:352
	s_wait_dscnt 0x1
	v_fmac_f64_e32 v[164:165], v[146:147], v[138:139]
	s_wait_loadcnt 0x5
	s_delay_alu instid0(VALU_DEP_1) | instskip(SKIP_4) | instid1(VALU_DEP_1)
	v_fmac_f64_e32 v[164:165], v[148:149], v[140:141]
	scratch_load_b128 v[138:141], off, off offset:368
	s_wait_dscnt 0x0
	v_fmac_f64_e32 v[164:165], v[150:151], v[142:143]
	s_wait_loadcnt 0x5
	v_fmac_f64_e32 v[164:165], v[160:161], v[144:145]
	ds_load_2addr_b64 v[142:145], v2 offset0:99 offset1:100
	ds_load_2addr_b64 v[146:149], v2 offset0:101 offset1:102
	s_wait_dscnt 0x1
	v_fmac_f64_e32 v[164:165], v[162:163], v[142:143]
	scratch_load_b128 v[160:163], off, off offset:384
	s_wait_loadcnt 0x5
	v_fmac_f64_e32 v[164:165], v[130:131], v[144:145]
	s_wait_dscnt 0x0
	s_delay_alu instid0(VALU_DEP_1)
	v_fmac_f64_e32 v[164:165], v[132:133], v[146:147]
	scratch_load_b128 v[130:133], off, off offset:400
	s_wait_loadcnt 0x5
	v_fmac_f64_e32 v[164:165], v[156:157], v[148:149]
	ds_load_2addr_b64 v[142:145], v2 offset0:103 offset1:104
	ds_load_2addr_b64 v[146:149], v2 offset0:105 offset1:106
	s_wait_dscnt 0x1
	v_fmac_f64_e32 v[164:165], v[158:159], v[142:143]
	s_wait_loadcnt 0x4
	s_delay_alu instid0(VALU_DEP_1)
	v_fmac_f64_e32 v[164:165], v[134:135], v[144:145]
	scratch_load_b128 v[142:145], off, off offset:416
	s_wait_dscnt 0x0
	v_fmac_f64_e32 v[164:165], v[136:137], v[146:147]
	scratch_load_b128 v[134:137], off, off offset:432
	s_wait_loadcnt 0x5
	v_fmac_f64_e32 v[164:165], v[152:153], v[148:149]
	ds_load_2addr_b64 v[146:149], v2 offset0:107 offset1:108
	ds_load_2addr_b64 v[150:153], v2 offset0:109 offset1:110
	s_wait_dscnt 0x1
	v_fmac_f64_e32 v[164:165], v[154:155], v[146:147]
	s_wait_loadcnt 0x4
	s_delay_alu instid0(VALU_DEP_1)
	v_fmac_f64_e32 v[164:165], v[138:139], v[148:149]
	scratch_load_b128 v[146:149], off, off offset:448
	s_wait_dscnt 0x0
	v_fmac_f64_e32 v[164:165], v[140:141], v[150:151]
	scratch_load_b128 v[138:141], off, off offset:464
	s_wait_loadcnt 0x5
	v_fmac_f64_e32 v[164:165], v[160:161], v[152:153]
	ds_load_2addr_b64 v[150:153], v2 offset0:111 offset1:112
	ds_load_2addr_b64 v[154:157], v2 offset0:113 offset1:114
	s_wait_dscnt 0x1
	v_fmac_f64_e32 v[164:165], v[162:163], v[150:151]
	s_wait_loadcnt 0x4
	s_delay_alu instid0(VALU_DEP_1) | instskip(SKIP_4) | instid1(VALU_DEP_1)
	v_fmac_f64_e32 v[164:165], v[130:131], v[152:153]
	scratch_load_b128 v[150:153], off, off offset:480
	s_wait_dscnt 0x0
	v_fmac_f64_e32 v[164:165], v[132:133], v[154:155]
	s_wait_loadcnt 0x4
	v_fmac_f64_e32 v[164:165], v[142:143], v[156:157]
	ds_load_2addr_b64 v[130:133], v2 offset0:115 offset1:116
	ds_load_2addr_b64 v[154:157], v2 offset0:117 offset1:118
	s_wait_dscnt 0x1
	v_fmac_f64_e32 v[164:165], v[144:145], v[130:131]
	s_wait_loadcnt 0x3
	s_delay_alu instid0(VALU_DEP_1) | instskip(SKIP_1) | instid1(VALU_DEP_1)
	v_fmac_f64_e32 v[164:165], v[134:135], v[132:133]
	s_wait_dscnt 0x0
	v_fmac_f64_e32 v[164:165], v[136:137], v[154:155]
	ds_load_2addr_b64 v[130:133], v2 offset0:119 offset1:120
	ds_load_2addr_b64 v[134:137], v2 offset0:121 offset1:122
	s_wait_loadcnt 0x2
	v_fmac_f64_e32 v[164:165], v[146:147], v[156:157]
	s_wait_dscnt 0x1
	s_delay_alu instid0(VALU_DEP_1) | instskip(SKIP_4) | instid1(VALU_DEP_1)
	v_fmac_f64_e32 v[164:165], v[148:149], v[130:131]
	ds_load_b64 v[130:131], v2 offset:984
	s_wait_loadcnt 0x1
	v_fmac_f64_e32 v[164:165], v[138:139], v[132:133]
	s_wait_dscnt 0x1
	v_fmac_f64_e32 v[164:165], v[140:141], v[134:135]
	s_wait_loadcnt 0x0
	s_delay_alu instid0(VALU_DEP_1) | instskip(SKIP_1) | instid1(VALU_DEP_1)
	v_fmac_f64_e32 v[164:165], v[150:151], v[136:137]
	s_wait_dscnt 0x0
	v_fmac_f64_e32 v[164:165], v[152:153], v[130:131]
	s_delay_alu instid0(VALU_DEP_1)
	v_add_f64_e64 v[128:129], v[128:129], -v[164:165]
	scratch_store_b64 off, v[128:129], off offset:192
	s_wait_xcnt 0x0
	v_cmpx_lt_u32_e32 23, v0
	s_cbranch_execz .LBB61_335
; %bb.334:
	scratch_load_b64 v[128:129], off, off offset:184
	v_mov_b64_e32 v[130:131], 0
	scratch_store_b64 off, v[130:131], off offset:184
	s_wait_loadcnt 0x0
	ds_store_b64 v1, v[128:129]
.LBB61_335:
	s_wait_xcnt 0x0
	s_or_b32 exec_lo, exec_lo, s0
	s_wait_storecnt_dscnt 0x0
	s_barrier_signal -1
	s_barrier_wait -1
	s_clause 0x5
	scratch_load_b128 v[128:131], off, off offset:184
	scratch_load_b128 v[132:135], off, off offset:200
	;; [unrolled: 1-line block ×6, first 2 shown]
	ds_load_b128 v[152:155], v2 offset:688
	ds_load_b128 v[156:159], v2 offset:704
	scratch_load_b128 v[160:163], off, off offset:280
	s_mov_b32 s0, exec_lo
	s_wait_loadcnt_dscnt 0x601
	v_fma_f64 v[164:165], v[130:131], v[152:153], 0
	s_wait_loadcnt 0x5
	s_delay_alu instid0(VALU_DEP_1) | instskip(SKIP_4) | instid1(VALU_DEP_1)
	v_fmac_f64_e32 v[164:165], v[132:133], v[154:155]
	scratch_load_b128 v[130:133], off, off offset:296
	s_wait_dscnt 0x0
	v_fmac_f64_e32 v[164:165], v[134:135], v[156:157]
	s_wait_loadcnt 0x5
	v_fmac_f64_e32 v[164:165], v[136:137], v[158:159]
	ds_load_b128 v[134:137], v2 offset:720
	ds_load_b128 v[152:155], v2 offset:736
	scratch_load_b128 v[156:159], off, off offset:312
	s_wait_dscnt 0x1
	v_fmac_f64_e32 v[164:165], v[138:139], v[134:135]
	s_wait_loadcnt 0x5
	s_delay_alu instid0(VALU_DEP_1) | instskip(SKIP_4) | instid1(VALU_DEP_1)
	v_fmac_f64_e32 v[164:165], v[140:141], v[136:137]
	scratch_load_b128 v[134:137], off, off offset:328
	s_wait_dscnt 0x0
	v_fmac_f64_e32 v[164:165], v[142:143], v[152:153]
	s_wait_loadcnt 0x5
	v_fmac_f64_e32 v[164:165], v[144:145], v[154:155]
	ds_load_b128 v[138:141], v2 offset:752
	ds_load_b128 v[142:145], v2 offset:768
	scratch_load_b128 v[152:155], off, off offset:344
	s_wait_dscnt 0x1
	v_fmac_f64_e32 v[164:165], v[146:147], v[138:139]
	s_wait_loadcnt 0x5
	s_delay_alu instid0(VALU_DEP_1) | instskip(SKIP_4) | instid1(VALU_DEP_1)
	v_fmac_f64_e32 v[164:165], v[148:149], v[140:141]
	scratch_load_b128 v[138:141], off, off offset:360
	s_wait_dscnt 0x0
	v_fmac_f64_e32 v[164:165], v[150:151], v[142:143]
	s_wait_loadcnt 0x5
	v_fmac_f64_e32 v[164:165], v[160:161], v[144:145]
	ds_load_b128 v[142:145], v2 offset:784
	ds_load_b128 v[146:149], v2 offset:800
	s_wait_dscnt 0x1
	v_fmac_f64_e32 v[164:165], v[162:163], v[142:143]
	scratch_load_b128 v[160:163], off, off offset:376
	s_wait_loadcnt 0x5
	v_fmac_f64_e32 v[164:165], v[130:131], v[144:145]
	s_wait_dscnt 0x0
	s_delay_alu instid0(VALU_DEP_1)
	v_fmac_f64_e32 v[164:165], v[132:133], v[146:147]
	scratch_load_b128 v[130:133], off, off offset:392
	s_wait_loadcnt 0x5
	v_fmac_f64_e32 v[164:165], v[156:157], v[148:149]
	ds_load_b128 v[142:145], v2 offset:816
	ds_load_b128 v[146:149], v2 offset:832
	s_wait_dscnt 0x1
	v_fmac_f64_e32 v[164:165], v[158:159], v[142:143]
	scratch_load_b128 v[156:159], off, off offset:408
	s_wait_loadcnt 0x5
	v_fmac_f64_e32 v[164:165], v[134:135], v[144:145]
	s_wait_dscnt 0x0
	s_delay_alu instid0(VALU_DEP_1)
	v_fmac_f64_e32 v[164:165], v[136:137], v[146:147]
	scratch_load_b128 v[134:137], off, off offset:424
	s_wait_loadcnt 0x5
	v_fmac_f64_e32 v[164:165], v[152:153], v[148:149]
	ds_load_b128 v[142:145], v2 offset:848
	ds_load_b128 v[146:149], v2 offset:864
	s_wait_dscnt 0x1
	v_fmac_f64_e32 v[164:165], v[154:155], v[142:143]
	s_wait_loadcnt 0x4
	s_delay_alu instid0(VALU_DEP_1)
	v_fmac_f64_e32 v[164:165], v[138:139], v[144:145]
	scratch_load_b128 v[142:145], off, off offset:440
	s_wait_dscnt 0x0
	v_fmac_f64_e32 v[164:165], v[140:141], v[146:147]
	scratch_load_b128 v[138:141], off, off offset:456
	s_wait_loadcnt 0x5
	v_fmac_f64_e32 v[164:165], v[160:161], v[148:149]
	ds_load_b128 v[146:149], v2 offset:880
	ds_load_b128 v[150:153], v2 offset:896
	scratch_load_b64 v[154:155], off, off offset:488
	s_wait_dscnt 0x1
	v_fmac_f64_e32 v[164:165], v[162:163], v[146:147]
	s_wait_loadcnt 0x5
	s_delay_alu instid0(VALU_DEP_1) | instskip(SKIP_4) | instid1(VALU_DEP_1)
	v_fmac_f64_e32 v[164:165], v[130:131], v[148:149]
	scratch_load_b128 v[146:149], off, off offset:472
	s_wait_dscnt 0x0
	v_fmac_f64_e32 v[164:165], v[132:133], v[150:151]
	s_wait_loadcnt 0x5
	v_fmac_f64_e32 v[164:165], v[156:157], v[152:153]
	ds_load_b128 v[130:133], v2 offset:912
	ds_load_b128 v[150:153], v2 offset:928
	s_wait_dscnt 0x1
	v_fmac_f64_e32 v[164:165], v[158:159], v[130:131]
	s_wait_loadcnt 0x4
	s_delay_alu instid0(VALU_DEP_1) | instskip(SKIP_1) | instid1(VALU_DEP_1)
	v_fmac_f64_e32 v[164:165], v[134:135], v[132:133]
	s_wait_dscnt 0x0
	v_fmac_f64_e32 v[164:165], v[136:137], v[150:151]
	ds_load_b128 v[130:133], v2 offset:944
	ds_load_b128 v[134:137], v2 offset:960
	s_wait_loadcnt 0x3
	v_fmac_f64_e32 v[164:165], v[142:143], v[152:153]
	s_wait_dscnt 0x1
	s_delay_alu instid0(VALU_DEP_1) | instskip(SKIP_1) | instid1(VALU_DEP_1)
	v_fmac_f64_e32 v[164:165], v[144:145], v[130:131]
	s_wait_loadcnt 0x2
	v_fmac_f64_e32 v[164:165], v[138:139], v[132:133]
	ds_load_b128 v[130:133], v2 offset:976
	s_wait_dscnt 0x1
	v_fmac_f64_e32 v[164:165], v[140:141], v[134:135]
	s_wait_loadcnt 0x0
	s_delay_alu instid0(VALU_DEP_1) | instskip(SKIP_1) | instid1(VALU_DEP_1)
	v_fmac_f64_e32 v[164:165], v[146:147], v[136:137]
	s_wait_dscnt 0x0
	v_fmac_f64_e32 v[164:165], v[148:149], v[130:131]
	s_delay_alu instid0(VALU_DEP_1) | instskip(NEXT) | instid1(VALU_DEP_1)
	v_fmac_f64_e32 v[164:165], v[154:155], v[132:133]
	v_add_f64_e64 v[2:3], v[128:129], -v[164:165]
	scratch_store_b64 off, v[2:3], off offset:184
	s_wait_xcnt 0x0
	v_cmpx_lt_u32_e32 22, v0
	s_cbranch_execz .LBB61_337
; %bb.336:
	scratch_load_b64 v[2:3], off, off offset:176
	v_mov_b64_e32 v[128:129], 0
	scratch_store_b64 off, v[128:129], off offset:176
	s_wait_loadcnt 0x0
	ds_store_b64 v1, v[2:3]
.LBB61_337:
	s_wait_xcnt 0x0
	s_or_b32 exec_lo, exec_lo, s0
	s_wait_storecnt_dscnt 0x0
	s_barrier_signal -1
	s_barrier_wait -1
	s_clause 0x5
	scratch_load_b128 v[128:131], off, off offset:176
	scratch_load_b128 v[132:135], off, off offset:192
	;; [unrolled: 1-line block ×6, first 2 shown]
	v_mov_b32_e32 v2, 0
	ds_load_2addr_b64 v[152:155], v2 offset0:85 offset1:86
	ds_load_2addr_b64 v[156:159], v2 offset0:87 offset1:88
	scratch_load_b128 v[160:163], off, off offset:272
	s_mov_b32 s0, exec_lo
	s_wait_loadcnt_dscnt 0x601
	v_fma_f64 v[164:165], v[130:131], v[152:153], 0
	s_wait_loadcnt 0x5
	s_delay_alu instid0(VALU_DEP_1) | instskip(SKIP_4) | instid1(VALU_DEP_1)
	v_fmac_f64_e32 v[164:165], v[132:133], v[154:155]
	scratch_load_b128 v[130:133], off, off offset:288
	s_wait_dscnt 0x0
	v_fmac_f64_e32 v[164:165], v[134:135], v[156:157]
	s_wait_loadcnt 0x5
	v_fmac_f64_e32 v[164:165], v[136:137], v[158:159]
	ds_load_2addr_b64 v[134:137], v2 offset0:89 offset1:90
	ds_load_2addr_b64 v[152:155], v2 offset0:91 offset1:92
	scratch_load_b128 v[156:159], off, off offset:304
	s_wait_dscnt 0x1
	v_fmac_f64_e32 v[164:165], v[138:139], v[134:135]
	s_wait_loadcnt 0x5
	s_delay_alu instid0(VALU_DEP_1) | instskip(SKIP_4) | instid1(VALU_DEP_1)
	v_fmac_f64_e32 v[164:165], v[140:141], v[136:137]
	scratch_load_b128 v[134:137], off, off offset:320
	s_wait_dscnt 0x0
	v_fmac_f64_e32 v[164:165], v[142:143], v[152:153]
	s_wait_loadcnt 0x5
	v_fmac_f64_e32 v[164:165], v[144:145], v[154:155]
	ds_load_2addr_b64 v[138:141], v2 offset0:93 offset1:94
	ds_load_2addr_b64 v[142:145], v2 offset0:95 offset1:96
	scratch_load_b128 v[152:155], off, off offset:336
	s_wait_dscnt 0x1
	v_fmac_f64_e32 v[164:165], v[146:147], v[138:139]
	s_wait_loadcnt 0x5
	s_delay_alu instid0(VALU_DEP_1) | instskip(SKIP_4) | instid1(VALU_DEP_1)
	v_fmac_f64_e32 v[164:165], v[148:149], v[140:141]
	scratch_load_b128 v[138:141], off, off offset:352
	s_wait_dscnt 0x0
	v_fmac_f64_e32 v[164:165], v[150:151], v[142:143]
	s_wait_loadcnt 0x5
	v_fmac_f64_e32 v[164:165], v[160:161], v[144:145]
	ds_load_2addr_b64 v[142:145], v2 offset0:97 offset1:98
	ds_load_2addr_b64 v[146:149], v2 offset0:99 offset1:100
	s_wait_dscnt 0x1
	v_fmac_f64_e32 v[164:165], v[162:163], v[142:143]
	scratch_load_b128 v[160:163], off, off offset:368
	s_wait_loadcnt 0x5
	v_fmac_f64_e32 v[164:165], v[130:131], v[144:145]
	s_wait_dscnt 0x0
	s_delay_alu instid0(VALU_DEP_1)
	v_fmac_f64_e32 v[164:165], v[132:133], v[146:147]
	scratch_load_b128 v[130:133], off, off offset:384
	s_wait_loadcnt 0x5
	v_fmac_f64_e32 v[164:165], v[156:157], v[148:149]
	ds_load_2addr_b64 v[142:145], v2 offset0:101 offset1:102
	ds_load_2addr_b64 v[146:149], v2 offset0:103 offset1:104
	s_wait_dscnt 0x1
	v_fmac_f64_e32 v[164:165], v[158:159], v[142:143]
	scratch_load_b128 v[156:159], off, off offset:400
	s_wait_loadcnt 0x5
	v_fmac_f64_e32 v[164:165], v[134:135], v[144:145]
	s_wait_dscnt 0x0
	s_delay_alu instid0(VALU_DEP_1)
	v_fmac_f64_e32 v[164:165], v[136:137], v[146:147]
	scratch_load_b128 v[134:137], off, off offset:416
	s_wait_loadcnt 0x5
	v_fmac_f64_e32 v[164:165], v[152:153], v[148:149]
	ds_load_2addr_b64 v[142:145], v2 offset0:105 offset1:106
	ds_load_2addr_b64 v[146:149], v2 offset0:107 offset1:108
	s_wait_dscnt 0x1
	v_fmac_f64_e32 v[164:165], v[154:155], v[142:143]
	s_wait_loadcnt 0x4
	s_delay_alu instid0(VALU_DEP_1)
	v_fmac_f64_e32 v[164:165], v[138:139], v[144:145]
	scratch_load_b128 v[142:145], off, off offset:432
	s_wait_dscnt 0x0
	v_fmac_f64_e32 v[164:165], v[140:141], v[146:147]
	scratch_load_b128 v[138:141], off, off offset:448
	s_wait_loadcnt 0x5
	v_fmac_f64_e32 v[164:165], v[160:161], v[148:149]
	ds_load_2addr_b64 v[146:149], v2 offset0:109 offset1:110
	ds_load_2addr_b64 v[150:153], v2 offset0:111 offset1:112
	s_wait_dscnt 0x1
	v_fmac_f64_e32 v[164:165], v[162:163], v[146:147]
	s_wait_loadcnt 0x4
	s_delay_alu instid0(VALU_DEP_1)
	v_fmac_f64_e32 v[164:165], v[130:131], v[148:149]
	scratch_load_b128 v[146:149], off, off offset:464
	s_wait_dscnt 0x0
	v_fmac_f64_e32 v[164:165], v[132:133], v[150:151]
	scratch_load_b128 v[130:133], off, off offset:480
	s_wait_loadcnt 0x5
	v_fmac_f64_e32 v[164:165], v[156:157], v[152:153]
	ds_load_2addr_b64 v[150:153], v2 offset0:113 offset1:114
	ds_load_2addr_b64 v[154:157], v2 offset0:115 offset1:116
	s_wait_dscnt 0x1
	v_fmac_f64_e32 v[164:165], v[158:159], v[150:151]
	s_wait_loadcnt 0x4
	s_delay_alu instid0(VALU_DEP_1) | instskip(SKIP_1) | instid1(VALU_DEP_1)
	v_fmac_f64_e32 v[164:165], v[134:135], v[152:153]
	s_wait_dscnt 0x0
	v_fmac_f64_e32 v[164:165], v[136:137], v[154:155]
	ds_load_2addr_b64 v[134:137], v2 offset0:117 offset1:118
	ds_load_2addr_b64 v[150:153], v2 offset0:119 offset1:120
	s_wait_loadcnt 0x3
	v_fmac_f64_e32 v[164:165], v[142:143], v[156:157]
	s_wait_dscnt 0x1
	s_delay_alu instid0(VALU_DEP_1) | instskip(SKIP_1) | instid1(VALU_DEP_1)
	v_fmac_f64_e32 v[164:165], v[144:145], v[134:135]
	s_wait_loadcnt 0x2
	v_fmac_f64_e32 v[164:165], v[138:139], v[136:137]
	ds_load_2addr_b64 v[134:137], v2 offset0:121 offset1:122
	ds_load_b64 v[138:139], v2 offset:984
	s_wait_dscnt 0x2
	v_fmac_f64_e32 v[164:165], v[140:141], v[150:151]
	s_wait_loadcnt 0x1
	s_delay_alu instid0(VALU_DEP_1) | instskip(SKIP_1) | instid1(VALU_DEP_1)
	v_fmac_f64_e32 v[164:165], v[146:147], v[152:153]
	s_wait_dscnt 0x1
	v_fmac_f64_e32 v[164:165], v[148:149], v[134:135]
	s_wait_loadcnt 0x0
	s_delay_alu instid0(VALU_DEP_1) | instskip(SKIP_1) | instid1(VALU_DEP_1)
	v_fmac_f64_e32 v[164:165], v[130:131], v[136:137]
	s_wait_dscnt 0x0
	v_fmac_f64_e32 v[164:165], v[132:133], v[138:139]
	s_delay_alu instid0(VALU_DEP_1)
	v_add_f64_e64 v[128:129], v[128:129], -v[164:165]
	scratch_store_b64 off, v[128:129], off offset:176
	s_wait_xcnt 0x0
	v_cmpx_lt_u32_e32 21, v0
	s_cbranch_execz .LBB61_339
; %bb.338:
	scratch_load_b64 v[128:129], off, off offset:168
	v_mov_b64_e32 v[130:131], 0
	scratch_store_b64 off, v[130:131], off offset:168
	s_wait_loadcnt 0x0
	ds_store_b64 v1, v[128:129]
.LBB61_339:
	s_wait_xcnt 0x0
	s_or_b32 exec_lo, exec_lo, s0
	s_wait_storecnt_dscnt 0x0
	s_barrier_signal -1
	s_barrier_wait -1
	s_clause 0x5
	scratch_load_b128 v[128:131], off, off offset:168
	scratch_load_b128 v[132:135], off, off offset:184
	;; [unrolled: 1-line block ×6, first 2 shown]
	ds_load_b128 v[152:155], v2 offset:672
	ds_load_b128 v[156:159], v2 offset:688
	scratch_load_b128 v[160:163], off, off offset:264
	s_mov_b32 s0, exec_lo
	s_wait_loadcnt_dscnt 0x601
	v_fma_f64 v[164:165], v[130:131], v[152:153], 0
	s_wait_loadcnt 0x5
	s_delay_alu instid0(VALU_DEP_1) | instskip(SKIP_4) | instid1(VALU_DEP_1)
	v_fmac_f64_e32 v[164:165], v[132:133], v[154:155]
	scratch_load_b128 v[130:133], off, off offset:280
	s_wait_dscnt 0x0
	v_fmac_f64_e32 v[164:165], v[134:135], v[156:157]
	s_wait_loadcnt 0x5
	v_fmac_f64_e32 v[164:165], v[136:137], v[158:159]
	ds_load_b128 v[134:137], v2 offset:704
	ds_load_b128 v[152:155], v2 offset:720
	scratch_load_b128 v[156:159], off, off offset:296
	s_wait_dscnt 0x1
	v_fmac_f64_e32 v[164:165], v[138:139], v[134:135]
	s_wait_loadcnt 0x5
	s_delay_alu instid0(VALU_DEP_1) | instskip(SKIP_4) | instid1(VALU_DEP_1)
	v_fmac_f64_e32 v[164:165], v[140:141], v[136:137]
	scratch_load_b128 v[134:137], off, off offset:312
	s_wait_dscnt 0x0
	v_fmac_f64_e32 v[164:165], v[142:143], v[152:153]
	s_wait_loadcnt 0x5
	v_fmac_f64_e32 v[164:165], v[144:145], v[154:155]
	ds_load_b128 v[138:141], v2 offset:736
	ds_load_b128 v[142:145], v2 offset:752
	scratch_load_b128 v[152:155], off, off offset:328
	s_wait_dscnt 0x1
	v_fmac_f64_e32 v[164:165], v[146:147], v[138:139]
	s_wait_loadcnt 0x5
	s_delay_alu instid0(VALU_DEP_1) | instskip(SKIP_4) | instid1(VALU_DEP_1)
	v_fmac_f64_e32 v[164:165], v[148:149], v[140:141]
	scratch_load_b128 v[138:141], off, off offset:344
	s_wait_dscnt 0x0
	v_fmac_f64_e32 v[164:165], v[150:151], v[142:143]
	s_wait_loadcnt 0x5
	v_fmac_f64_e32 v[164:165], v[160:161], v[144:145]
	ds_load_b128 v[142:145], v2 offset:768
	ds_load_b128 v[146:149], v2 offset:784
	s_wait_dscnt 0x1
	v_fmac_f64_e32 v[164:165], v[162:163], v[142:143]
	scratch_load_b128 v[160:163], off, off offset:360
	s_wait_loadcnt 0x5
	v_fmac_f64_e32 v[164:165], v[130:131], v[144:145]
	s_wait_dscnt 0x0
	s_delay_alu instid0(VALU_DEP_1)
	v_fmac_f64_e32 v[164:165], v[132:133], v[146:147]
	scratch_load_b128 v[130:133], off, off offset:376
	s_wait_loadcnt 0x5
	v_fmac_f64_e32 v[164:165], v[156:157], v[148:149]
	ds_load_b128 v[142:145], v2 offset:800
	ds_load_b128 v[146:149], v2 offset:816
	s_wait_dscnt 0x1
	v_fmac_f64_e32 v[164:165], v[158:159], v[142:143]
	scratch_load_b128 v[156:159], off, off offset:392
	s_wait_loadcnt 0x5
	v_fmac_f64_e32 v[164:165], v[134:135], v[144:145]
	s_wait_dscnt 0x0
	s_delay_alu instid0(VALU_DEP_1)
	v_fmac_f64_e32 v[164:165], v[136:137], v[146:147]
	scratch_load_b128 v[134:137], off, off offset:408
	s_wait_loadcnt 0x5
	v_fmac_f64_e32 v[164:165], v[152:153], v[148:149]
	ds_load_b128 v[142:145], v2 offset:832
	ds_load_b128 v[146:149], v2 offset:848
	s_wait_dscnt 0x1
	v_fmac_f64_e32 v[164:165], v[154:155], v[142:143]
	s_wait_loadcnt 0x4
	s_delay_alu instid0(VALU_DEP_1)
	v_fmac_f64_e32 v[164:165], v[138:139], v[144:145]
	scratch_load_b128 v[142:145], off, off offset:424
	s_wait_dscnt 0x0
	v_fmac_f64_e32 v[164:165], v[140:141], v[146:147]
	scratch_load_b128 v[138:141], off, off offset:440
	s_wait_loadcnt 0x5
	v_fmac_f64_e32 v[164:165], v[160:161], v[148:149]
	ds_load_b128 v[146:149], v2 offset:864
	ds_load_b128 v[150:153], v2 offset:880
	s_wait_dscnt 0x1
	v_fmac_f64_e32 v[164:165], v[162:163], v[146:147]
	s_wait_loadcnt 0x4
	s_delay_alu instid0(VALU_DEP_1)
	v_fmac_f64_e32 v[164:165], v[130:131], v[148:149]
	scratch_load_b128 v[146:149], off, off offset:456
	s_wait_dscnt 0x0
	v_fmac_f64_e32 v[164:165], v[132:133], v[150:151]
	scratch_load_b128 v[130:133], off, off offset:472
	s_wait_loadcnt 0x5
	v_fmac_f64_e32 v[164:165], v[156:157], v[152:153]
	ds_load_b128 v[150:153], v2 offset:896
	ds_load_b128 v[154:157], v2 offset:912
	s_wait_dscnt 0x1
	v_fmac_f64_e32 v[164:165], v[158:159], v[150:151]
	scratch_load_b64 v[158:159], off, off offset:488
	s_wait_loadcnt 0x5
	v_fmac_f64_e32 v[164:165], v[134:135], v[152:153]
	s_wait_dscnt 0x0
	s_delay_alu instid0(VALU_DEP_1)
	v_fmac_f64_e32 v[164:165], v[136:137], v[154:155]
	ds_load_b128 v[134:137], v2 offset:928
	ds_load_b128 v[150:153], v2 offset:944
	s_wait_loadcnt 0x4
	v_fmac_f64_e32 v[164:165], v[142:143], v[156:157]
	s_wait_dscnt 0x1
	s_delay_alu instid0(VALU_DEP_1) | instskip(SKIP_1) | instid1(VALU_DEP_1)
	v_fmac_f64_e32 v[164:165], v[144:145], v[134:135]
	s_wait_loadcnt 0x3
	v_fmac_f64_e32 v[164:165], v[138:139], v[136:137]
	s_wait_dscnt 0x0
	s_delay_alu instid0(VALU_DEP_1)
	v_fmac_f64_e32 v[164:165], v[140:141], v[150:151]
	ds_load_b128 v[134:137], v2 offset:960
	ds_load_b128 v[138:141], v2 offset:976
	s_wait_loadcnt 0x2
	v_fmac_f64_e32 v[164:165], v[146:147], v[152:153]
	s_wait_dscnt 0x1
	s_delay_alu instid0(VALU_DEP_1) | instskip(SKIP_1) | instid1(VALU_DEP_1)
	v_fmac_f64_e32 v[164:165], v[148:149], v[134:135]
	s_wait_loadcnt 0x1
	v_fmac_f64_e32 v[164:165], v[130:131], v[136:137]
	s_wait_dscnt 0x0
	s_delay_alu instid0(VALU_DEP_1) | instskip(SKIP_1) | instid1(VALU_DEP_1)
	v_fmac_f64_e32 v[164:165], v[132:133], v[138:139]
	s_wait_loadcnt 0x0
	v_fmac_f64_e32 v[164:165], v[158:159], v[140:141]
	s_delay_alu instid0(VALU_DEP_1)
	v_add_f64_e64 v[2:3], v[128:129], -v[164:165]
	scratch_store_b64 off, v[2:3], off offset:168
	s_wait_xcnt 0x0
	v_cmpx_lt_u32_e32 20, v0
	s_cbranch_execz .LBB61_341
; %bb.340:
	scratch_load_b64 v[2:3], off, off offset:160
	v_mov_b64_e32 v[128:129], 0
	scratch_store_b64 off, v[128:129], off offset:160
	s_wait_loadcnt 0x0
	ds_store_b64 v1, v[2:3]
.LBB61_341:
	s_wait_xcnt 0x0
	s_or_b32 exec_lo, exec_lo, s0
	s_wait_storecnt_dscnt 0x0
	s_barrier_signal -1
	s_barrier_wait -1
	s_clause 0x5
	scratch_load_b128 v[128:131], off, off offset:160
	scratch_load_b128 v[132:135], off, off offset:176
	;; [unrolled: 1-line block ×6, first 2 shown]
	v_mov_b32_e32 v2, 0
	ds_load_2addr_b64 v[152:155], v2 offset0:83 offset1:84
	ds_load_2addr_b64 v[156:159], v2 offset0:85 offset1:86
	scratch_load_b128 v[160:163], off, off offset:256
	s_mov_b32 s0, exec_lo
	s_wait_loadcnt_dscnt 0x601
	v_fma_f64 v[164:165], v[130:131], v[152:153], 0
	s_wait_loadcnt 0x5
	s_delay_alu instid0(VALU_DEP_1) | instskip(SKIP_4) | instid1(VALU_DEP_1)
	v_fmac_f64_e32 v[164:165], v[132:133], v[154:155]
	scratch_load_b128 v[130:133], off, off offset:272
	s_wait_dscnt 0x0
	v_fmac_f64_e32 v[164:165], v[134:135], v[156:157]
	s_wait_loadcnt 0x5
	v_fmac_f64_e32 v[164:165], v[136:137], v[158:159]
	ds_load_2addr_b64 v[134:137], v2 offset0:87 offset1:88
	ds_load_2addr_b64 v[152:155], v2 offset0:89 offset1:90
	scratch_load_b128 v[156:159], off, off offset:288
	s_wait_dscnt 0x1
	v_fmac_f64_e32 v[164:165], v[138:139], v[134:135]
	s_wait_loadcnt 0x5
	s_delay_alu instid0(VALU_DEP_1) | instskip(SKIP_4) | instid1(VALU_DEP_1)
	v_fmac_f64_e32 v[164:165], v[140:141], v[136:137]
	scratch_load_b128 v[134:137], off, off offset:304
	s_wait_dscnt 0x0
	v_fmac_f64_e32 v[164:165], v[142:143], v[152:153]
	s_wait_loadcnt 0x5
	v_fmac_f64_e32 v[164:165], v[144:145], v[154:155]
	ds_load_2addr_b64 v[138:141], v2 offset0:91 offset1:92
	ds_load_2addr_b64 v[142:145], v2 offset0:93 offset1:94
	scratch_load_b128 v[152:155], off, off offset:320
	s_wait_dscnt 0x1
	v_fmac_f64_e32 v[164:165], v[146:147], v[138:139]
	s_wait_loadcnt 0x5
	s_delay_alu instid0(VALU_DEP_1) | instskip(SKIP_4) | instid1(VALU_DEP_1)
	v_fmac_f64_e32 v[164:165], v[148:149], v[140:141]
	scratch_load_b128 v[138:141], off, off offset:336
	s_wait_dscnt 0x0
	v_fmac_f64_e32 v[164:165], v[150:151], v[142:143]
	s_wait_loadcnt 0x5
	v_fmac_f64_e32 v[164:165], v[160:161], v[144:145]
	ds_load_2addr_b64 v[142:145], v2 offset0:95 offset1:96
	ds_load_2addr_b64 v[146:149], v2 offset0:97 offset1:98
	s_wait_dscnt 0x1
	v_fmac_f64_e32 v[164:165], v[162:163], v[142:143]
	scratch_load_b128 v[160:163], off, off offset:352
	s_wait_loadcnt 0x5
	v_fmac_f64_e32 v[164:165], v[130:131], v[144:145]
	s_wait_dscnt 0x0
	s_delay_alu instid0(VALU_DEP_1)
	v_fmac_f64_e32 v[164:165], v[132:133], v[146:147]
	scratch_load_b128 v[130:133], off, off offset:368
	s_wait_loadcnt 0x5
	v_fmac_f64_e32 v[164:165], v[156:157], v[148:149]
	ds_load_2addr_b64 v[142:145], v2 offset0:99 offset1:100
	ds_load_2addr_b64 v[146:149], v2 offset0:101 offset1:102
	s_wait_dscnt 0x1
	v_fmac_f64_e32 v[164:165], v[158:159], v[142:143]
	scratch_load_b128 v[156:159], off, off offset:384
	s_wait_loadcnt 0x5
	v_fmac_f64_e32 v[164:165], v[134:135], v[144:145]
	s_wait_dscnt 0x0
	s_delay_alu instid0(VALU_DEP_1)
	v_fmac_f64_e32 v[164:165], v[136:137], v[146:147]
	scratch_load_b128 v[134:137], off, off offset:400
	s_wait_loadcnt 0x5
	v_fmac_f64_e32 v[164:165], v[152:153], v[148:149]
	ds_load_2addr_b64 v[142:145], v2 offset0:103 offset1:104
	ds_load_2addr_b64 v[146:149], v2 offset0:105 offset1:106
	s_wait_dscnt 0x1
	v_fmac_f64_e32 v[164:165], v[154:155], v[142:143]
	s_wait_loadcnt 0x4
	s_delay_alu instid0(VALU_DEP_1)
	v_fmac_f64_e32 v[164:165], v[138:139], v[144:145]
	scratch_load_b128 v[142:145], off, off offset:416
	s_wait_dscnt 0x0
	v_fmac_f64_e32 v[164:165], v[140:141], v[146:147]
	scratch_load_b128 v[138:141], off, off offset:432
	s_wait_loadcnt 0x5
	v_fmac_f64_e32 v[164:165], v[160:161], v[148:149]
	ds_load_2addr_b64 v[146:149], v2 offset0:107 offset1:108
	ds_load_2addr_b64 v[150:153], v2 offset0:109 offset1:110
	s_wait_dscnt 0x1
	v_fmac_f64_e32 v[164:165], v[162:163], v[146:147]
	s_wait_loadcnt 0x4
	s_delay_alu instid0(VALU_DEP_1)
	v_fmac_f64_e32 v[164:165], v[130:131], v[148:149]
	scratch_load_b128 v[146:149], off, off offset:448
	s_wait_dscnt 0x0
	v_fmac_f64_e32 v[164:165], v[132:133], v[150:151]
	scratch_load_b128 v[130:133], off, off offset:464
	s_wait_loadcnt 0x5
	v_fmac_f64_e32 v[164:165], v[156:157], v[152:153]
	ds_load_2addr_b64 v[150:153], v2 offset0:111 offset1:112
	ds_load_2addr_b64 v[154:157], v2 offset0:113 offset1:114
	s_wait_dscnt 0x1
	v_fmac_f64_e32 v[164:165], v[158:159], v[150:151]
	s_wait_loadcnt 0x4
	s_delay_alu instid0(VALU_DEP_1) | instskip(SKIP_4) | instid1(VALU_DEP_1)
	v_fmac_f64_e32 v[164:165], v[134:135], v[152:153]
	scratch_load_b128 v[150:153], off, off offset:480
	s_wait_dscnt 0x0
	v_fmac_f64_e32 v[164:165], v[136:137], v[154:155]
	s_wait_loadcnt 0x4
	v_fmac_f64_e32 v[164:165], v[142:143], v[156:157]
	ds_load_2addr_b64 v[134:137], v2 offset0:115 offset1:116
	ds_load_2addr_b64 v[154:157], v2 offset0:117 offset1:118
	s_wait_dscnt 0x1
	v_fmac_f64_e32 v[164:165], v[144:145], v[134:135]
	s_wait_loadcnt 0x3
	s_delay_alu instid0(VALU_DEP_1) | instskip(SKIP_1) | instid1(VALU_DEP_1)
	v_fmac_f64_e32 v[164:165], v[138:139], v[136:137]
	s_wait_dscnt 0x0
	v_fmac_f64_e32 v[164:165], v[140:141], v[154:155]
	ds_load_2addr_b64 v[134:137], v2 offset0:119 offset1:120
	ds_load_2addr_b64 v[138:141], v2 offset0:121 offset1:122
	s_wait_loadcnt 0x2
	v_fmac_f64_e32 v[164:165], v[146:147], v[156:157]
	s_wait_dscnt 0x1
	s_delay_alu instid0(VALU_DEP_1) | instskip(SKIP_1) | instid1(VALU_DEP_1)
	v_fmac_f64_e32 v[164:165], v[148:149], v[134:135]
	s_wait_loadcnt 0x1
	v_fmac_f64_e32 v[164:165], v[130:131], v[136:137]
	ds_load_b64 v[130:131], v2 offset:984
	s_wait_dscnt 0x1
	v_fmac_f64_e32 v[164:165], v[132:133], v[138:139]
	s_wait_loadcnt 0x0
	s_delay_alu instid0(VALU_DEP_1) | instskip(SKIP_1) | instid1(VALU_DEP_1)
	v_fmac_f64_e32 v[164:165], v[150:151], v[140:141]
	s_wait_dscnt 0x0
	v_fmac_f64_e32 v[164:165], v[152:153], v[130:131]
	s_delay_alu instid0(VALU_DEP_1)
	v_add_f64_e64 v[128:129], v[128:129], -v[164:165]
	scratch_store_b64 off, v[128:129], off offset:160
	s_wait_xcnt 0x0
	v_cmpx_lt_u32_e32 19, v0
	s_cbranch_execz .LBB61_343
; %bb.342:
	scratch_load_b64 v[128:129], off, off offset:152
	v_mov_b64_e32 v[130:131], 0
	scratch_store_b64 off, v[130:131], off offset:152
	s_wait_loadcnt 0x0
	ds_store_b64 v1, v[128:129]
.LBB61_343:
	s_wait_xcnt 0x0
	s_or_b32 exec_lo, exec_lo, s0
	s_wait_storecnt_dscnt 0x0
	s_barrier_signal -1
	s_barrier_wait -1
	s_clause 0x5
	scratch_load_b128 v[128:131], off, off offset:152
	scratch_load_b128 v[132:135], off, off offset:168
	;; [unrolled: 1-line block ×6, first 2 shown]
	ds_load_b128 v[152:155], v2 offset:656
	ds_load_b128 v[156:159], v2 offset:672
	scratch_load_b128 v[160:163], off, off offset:248
	s_mov_b32 s0, exec_lo
	s_wait_loadcnt_dscnt 0x601
	v_fma_f64 v[164:165], v[130:131], v[152:153], 0
	s_wait_loadcnt 0x5
	s_delay_alu instid0(VALU_DEP_1) | instskip(SKIP_4) | instid1(VALU_DEP_1)
	v_fmac_f64_e32 v[164:165], v[132:133], v[154:155]
	scratch_load_b128 v[130:133], off, off offset:264
	s_wait_dscnt 0x0
	v_fmac_f64_e32 v[164:165], v[134:135], v[156:157]
	s_wait_loadcnt 0x5
	v_fmac_f64_e32 v[164:165], v[136:137], v[158:159]
	ds_load_b128 v[134:137], v2 offset:688
	ds_load_b128 v[152:155], v2 offset:704
	scratch_load_b128 v[156:159], off, off offset:280
	s_wait_dscnt 0x1
	v_fmac_f64_e32 v[164:165], v[138:139], v[134:135]
	s_wait_loadcnt 0x5
	s_delay_alu instid0(VALU_DEP_1) | instskip(SKIP_4) | instid1(VALU_DEP_1)
	v_fmac_f64_e32 v[164:165], v[140:141], v[136:137]
	scratch_load_b128 v[134:137], off, off offset:296
	s_wait_dscnt 0x0
	v_fmac_f64_e32 v[164:165], v[142:143], v[152:153]
	s_wait_loadcnt 0x5
	v_fmac_f64_e32 v[164:165], v[144:145], v[154:155]
	ds_load_b128 v[138:141], v2 offset:720
	ds_load_b128 v[142:145], v2 offset:736
	scratch_load_b128 v[152:155], off, off offset:312
	s_wait_dscnt 0x1
	v_fmac_f64_e32 v[164:165], v[146:147], v[138:139]
	s_wait_loadcnt 0x5
	s_delay_alu instid0(VALU_DEP_1) | instskip(SKIP_4) | instid1(VALU_DEP_1)
	v_fmac_f64_e32 v[164:165], v[148:149], v[140:141]
	scratch_load_b128 v[138:141], off, off offset:328
	s_wait_dscnt 0x0
	v_fmac_f64_e32 v[164:165], v[150:151], v[142:143]
	s_wait_loadcnt 0x5
	v_fmac_f64_e32 v[164:165], v[160:161], v[144:145]
	ds_load_b128 v[142:145], v2 offset:752
	ds_load_b128 v[146:149], v2 offset:768
	s_wait_dscnt 0x1
	v_fmac_f64_e32 v[164:165], v[162:163], v[142:143]
	scratch_load_b128 v[160:163], off, off offset:344
	s_wait_loadcnt 0x5
	v_fmac_f64_e32 v[164:165], v[130:131], v[144:145]
	s_wait_dscnt 0x0
	s_delay_alu instid0(VALU_DEP_1)
	v_fmac_f64_e32 v[164:165], v[132:133], v[146:147]
	scratch_load_b128 v[130:133], off, off offset:360
	s_wait_loadcnt 0x5
	v_fmac_f64_e32 v[164:165], v[156:157], v[148:149]
	ds_load_b128 v[142:145], v2 offset:784
	ds_load_b128 v[146:149], v2 offset:800
	s_wait_dscnt 0x1
	v_fmac_f64_e32 v[164:165], v[158:159], v[142:143]
	scratch_load_b128 v[156:159], off, off offset:376
	s_wait_loadcnt 0x5
	v_fmac_f64_e32 v[164:165], v[134:135], v[144:145]
	s_wait_dscnt 0x0
	s_delay_alu instid0(VALU_DEP_1)
	v_fmac_f64_e32 v[164:165], v[136:137], v[146:147]
	scratch_load_b128 v[134:137], off, off offset:392
	s_wait_loadcnt 0x5
	v_fmac_f64_e32 v[164:165], v[152:153], v[148:149]
	ds_load_b128 v[142:145], v2 offset:816
	ds_load_b128 v[146:149], v2 offset:832
	scratch_load_b128 v[150:153], off, off offset:408
	s_wait_dscnt 0x1
	v_fmac_f64_e32 v[164:165], v[154:155], v[142:143]
	s_wait_loadcnt 0x5
	s_delay_alu instid0(VALU_DEP_1) | instskip(SKIP_1) | instid1(VALU_DEP_1)
	v_fmac_f64_e32 v[164:165], v[138:139], v[144:145]
	s_wait_dscnt 0x0
	v_fmac_f64_e32 v[164:165], v[140:141], v[146:147]
	scratch_load_b128 v[138:141], off, off offset:424
	s_wait_loadcnt 0x5
	v_fmac_f64_e32 v[164:165], v[160:161], v[148:149]
	ds_load_b128 v[142:145], v2 offset:848
	ds_load_b128 v[146:149], v2 offset:864
	s_wait_dscnt 0x1
	v_fmac_f64_e32 v[164:165], v[162:163], v[142:143]
	s_wait_loadcnt 0x4
	s_delay_alu instid0(VALU_DEP_1)
	v_fmac_f64_e32 v[164:165], v[130:131], v[144:145]
	scratch_load_b128 v[142:145], off, off offset:440
	s_wait_dscnt 0x0
	v_fmac_f64_e32 v[164:165], v[132:133], v[146:147]
	scratch_load_b128 v[130:133], off, off offset:456
	s_wait_loadcnt 0x5
	v_fmac_f64_e32 v[164:165], v[156:157], v[148:149]
	ds_load_b128 v[146:149], v2 offset:880
	ds_load_b128 v[154:157], v2 offset:896
	s_wait_dscnt 0x1
	v_fmac_f64_e32 v[164:165], v[158:159], v[146:147]
	s_wait_loadcnt 0x4
	s_delay_alu instid0(VALU_DEP_1) | instskip(SKIP_4) | instid1(VALU_DEP_1)
	v_fmac_f64_e32 v[164:165], v[134:135], v[148:149]
	scratch_load_b128 v[146:149], off, off offset:472
	s_wait_dscnt 0x0
	v_fmac_f64_e32 v[164:165], v[136:137], v[154:155]
	s_wait_loadcnt 0x4
	v_fmac_f64_e32 v[164:165], v[150:151], v[156:157]
	scratch_load_b64 v[150:151], off, off offset:488
	ds_load_b128 v[134:137], v2 offset:912
	ds_load_b128 v[154:157], v2 offset:928
	s_wait_dscnt 0x1
	v_fmac_f64_e32 v[164:165], v[152:153], v[134:135]
	s_wait_loadcnt 0x4
	s_delay_alu instid0(VALU_DEP_1) | instskip(SKIP_1) | instid1(VALU_DEP_1)
	v_fmac_f64_e32 v[164:165], v[138:139], v[136:137]
	s_wait_dscnt 0x0
	v_fmac_f64_e32 v[164:165], v[140:141], v[154:155]
	ds_load_b128 v[134:137], v2 offset:944
	ds_load_b128 v[138:141], v2 offset:960
	s_wait_loadcnt 0x3
	v_fmac_f64_e32 v[164:165], v[142:143], v[156:157]
	s_wait_dscnt 0x1
	s_delay_alu instid0(VALU_DEP_1) | instskip(SKIP_1) | instid1(VALU_DEP_1)
	v_fmac_f64_e32 v[164:165], v[144:145], v[134:135]
	s_wait_loadcnt 0x2
	v_fmac_f64_e32 v[164:165], v[130:131], v[136:137]
	s_wait_dscnt 0x0
	s_delay_alu instid0(VALU_DEP_1) | instskip(SKIP_4) | instid1(VALU_DEP_1)
	v_fmac_f64_e32 v[164:165], v[132:133], v[138:139]
	ds_load_b128 v[130:133], v2 offset:976
	s_wait_loadcnt 0x1
	v_fmac_f64_e32 v[164:165], v[146:147], v[140:141]
	s_wait_dscnt 0x0
	v_fmac_f64_e32 v[164:165], v[148:149], v[130:131]
	s_wait_loadcnt 0x0
	s_delay_alu instid0(VALU_DEP_1) | instskip(NEXT) | instid1(VALU_DEP_1)
	v_fmac_f64_e32 v[164:165], v[150:151], v[132:133]
	v_add_f64_e64 v[2:3], v[128:129], -v[164:165]
	scratch_store_b64 off, v[2:3], off offset:152
	s_wait_xcnt 0x0
	v_cmpx_lt_u32_e32 18, v0
	s_cbranch_execz .LBB61_345
; %bb.344:
	scratch_load_b64 v[2:3], off, off offset:144
	v_mov_b64_e32 v[128:129], 0
	scratch_store_b64 off, v[128:129], off offset:144
	s_wait_loadcnt 0x0
	ds_store_b64 v1, v[2:3]
.LBB61_345:
	s_wait_xcnt 0x0
	s_or_b32 exec_lo, exec_lo, s0
	s_wait_storecnt_dscnt 0x0
	s_barrier_signal -1
	s_barrier_wait -1
	s_clause 0x5
	scratch_load_b128 v[128:131], off, off offset:144
	scratch_load_b128 v[132:135], off, off offset:160
	;; [unrolled: 1-line block ×6, first 2 shown]
	v_mov_b32_e32 v2, 0
	ds_load_2addr_b64 v[152:155], v2 offset0:81 offset1:82
	ds_load_2addr_b64 v[156:159], v2 offset0:83 offset1:84
	scratch_load_b128 v[160:163], off, off offset:240
	s_mov_b32 s0, exec_lo
	s_wait_loadcnt_dscnt 0x601
	v_fma_f64 v[164:165], v[130:131], v[152:153], 0
	s_wait_loadcnt 0x5
	s_delay_alu instid0(VALU_DEP_1) | instskip(SKIP_4) | instid1(VALU_DEP_1)
	v_fmac_f64_e32 v[164:165], v[132:133], v[154:155]
	scratch_load_b128 v[130:133], off, off offset:256
	s_wait_dscnt 0x0
	v_fmac_f64_e32 v[164:165], v[134:135], v[156:157]
	s_wait_loadcnt 0x5
	v_fmac_f64_e32 v[164:165], v[136:137], v[158:159]
	ds_load_2addr_b64 v[134:137], v2 offset0:85 offset1:86
	ds_load_2addr_b64 v[152:155], v2 offset0:87 offset1:88
	scratch_load_b128 v[156:159], off, off offset:272
	s_wait_dscnt 0x1
	v_fmac_f64_e32 v[164:165], v[138:139], v[134:135]
	s_wait_loadcnt 0x5
	s_delay_alu instid0(VALU_DEP_1) | instskip(SKIP_4) | instid1(VALU_DEP_1)
	v_fmac_f64_e32 v[164:165], v[140:141], v[136:137]
	scratch_load_b128 v[134:137], off, off offset:288
	s_wait_dscnt 0x0
	v_fmac_f64_e32 v[164:165], v[142:143], v[152:153]
	s_wait_loadcnt 0x5
	v_fmac_f64_e32 v[164:165], v[144:145], v[154:155]
	ds_load_2addr_b64 v[138:141], v2 offset0:89 offset1:90
	ds_load_2addr_b64 v[142:145], v2 offset0:91 offset1:92
	scratch_load_b128 v[152:155], off, off offset:304
	s_wait_dscnt 0x1
	v_fmac_f64_e32 v[164:165], v[146:147], v[138:139]
	s_wait_loadcnt 0x5
	s_delay_alu instid0(VALU_DEP_1) | instskip(SKIP_4) | instid1(VALU_DEP_1)
	v_fmac_f64_e32 v[164:165], v[148:149], v[140:141]
	scratch_load_b128 v[138:141], off, off offset:320
	s_wait_dscnt 0x0
	v_fmac_f64_e32 v[164:165], v[150:151], v[142:143]
	s_wait_loadcnt 0x5
	v_fmac_f64_e32 v[164:165], v[160:161], v[144:145]
	ds_load_2addr_b64 v[142:145], v2 offset0:93 offset1:94
	ds_load_2addr_b64 v[146:149], v2 offset0:95 offset1:96
	s_wait_dscnt 0x1
	v_fmac_f64_e32 v[164:165], v[162:163], v[142:143]
	scratch_load_b128 v[160:163], off, off offset:336
	s_wait_loadcnt 0x5
	v_fmac_f64_e32 v[164:165], v[130:131], v[144:145]
	s_wait_dscnt 0x0
	s_delay_alu instid0(VALU_DEP_1)
	v_fmac_f64_e32 v[164:165], v[132:133], v[146:147]
	scratch_load_b128 v[130:133], off, off offset:352
	s_wait_loadcnt 0x5
	v_fmac_f64_e32 v[164:165], v[156:157], v[148:149]
	ds_load_2addr_b64 v[142:145], v2 offset0:97 offset1:98
	ds_load_2addr_b64 v[146:149], v2 offset0:99 offset1:100
	s_wait_dscnt 0x1
	v_fmac_f64_e32 v[164:165], v[158:159], v[142:143]
	scratch_load_b128 v[156:159], off, off offset:368
	s_wait_loadcnt 0x5
	v_fmac_f64_e32 v[164:165], v[134:135], v[144:145]
	s_wait_dscnt 0x0
	s_delay_alu instid0(VALU_DEP_1)
	v_fmac_f64_e32 v[164:165], v[136:137], v[146:147]
	scratch_load_b128 v[134:137], off, off offset:384
	s_wait_loadcnt 0x5
	v_fmac_f64_e32 v[164:165], v[152:153], v[148:149]
	ds_load_2addr_b64 v[142:145], v2 offset0:101 offset1:102
	ds_load_2addr_b64 v[146:149], v2 offset0:103 offset1:104
	scratch_load_b128 v[150:153], off, off offset:400
	s_wait_dscnt 0x1
	v_fmac_f64_e32 v[164:165], v[154:155], v[142:143]
	s_wait_loadcnt 0x5
	s_delay_alu instid0(VALU_DEP_1) | instskip(SKIP_1) | instid1(VALU_DEP_1)
	v_fmac_f64_e32 v[164:165], v[138:139], v[144:145]
	s_wait_dscnt 0x0
	v_fmac_f64_e32 v[164:165], v[140:141], v[146:147]
	scratch_load_b128 v[138:141], off, off offset:416
	s_wait_loadcnt 0x5
	v_fmac_f64_e32 v[164:165], v[160:161], v[148:149]
	ds_load_2addr_b64 v[142:145], v2 offset0:105 offset1:106
	ds_load_2addr_b64 v[146:149], v2 offset0:107 offset1:108
	s_wait_dscnt 0x1
	v_fmac_f64_e32 v[164:165], v[162:163], v[142:143]
	s_wait_loadcnt 0x4
	s_delay_alu instid0(VALU_DEP_1)
	v_fmac_f64_e32 v[164:165], v[130:131], v[144:145]
	scratch_load_b128 v[142:145], off, off offset:432
	s_wait_dscnt 0x0
	v_fmac_f64_e32 v[164:165], v[132:133], v[146:147]
	scratch_load_b128 v[130:133], off, off offset:448
	s_wait_loadcnt 0x5
	v_fmac_f64_e32 v[164:165], v[156:157], v[148:149]
	ds_load_2addr_b64 v[146:149], v2 offset0:109 offset1:110
	ds_load_2addr_b64 v[154:157], v2 offset0:111 offset1:112
	s_wait_dscnt 0x1
	v_fmac_f64_e32 v[164:165], v[158:159], v[146:147]
	s_wait_loadcnt 0x4
	s_delay_alu instid0(VALU_DEP_1)
	v_fmac_f64_e32 v[164:165], v[134:135], v[148:149]
	scratch_load_b128 v[146:149], off, off offset:464
	s_wait_dscnt 0x0
	v_fmac_f64_e32 v[164:165], v[136:137], v[154:155]
	scratch_load_b128 v[134:137], off, off offset:480
	s_wait_loadcnt 0x5
	v_fmac_f64_e32 v[164:165], v[150:151], v[156:157]
	ds_load_2addr_b64 v[154:157], v2 offset0:113 offset1:114
	ds_load_2addr_b64 v[158:161], v2 offset0:115 offset1:116
	s_wait_dscnt 0x1
	v_fmac_f64_e32 v[164:165], v[152:153], v[154:155]
	s_wait_loadcnt 0x4
	s_delay_alu instid0(VALU_DEP_1) | instskip(SKIP_1) | instid1(VALU_DEP_1)
	v_fmac_f64_e32 v[164:165], v[138:139], v[156:157]
	s_wait_dscnt 0x0
	v_fmac_f64_e32 v[164:165], v[140:141], v[158:159]
	ds_load_2addr_b64 v[138:141], v2 offset0:117 offset1:118
	ds_load_2addr_b64 v[150:153], v2 offset0:119 offset1:120
	s_wait_loadcnt 0x3
	v_fmac_f64_e32 v[164:165], v[142:143], v[160:161]
	s_wait_dscnt 0x1
	s_delay_alu instid0(VALU_DEP_1) | instskip(SKIP_1) | instid1(VALU_DEP_1)
	v_fmac_f64_e32 v[164:165], v[144:145], v[138:139]
	s_wait_loadcnt 0x2
	v_fmac_f64_e32 v[164:165], v[130:131], v[140:141]
	s_wait_dscnt 0x0
	s_delay_alu instid0(VALU_DEP_1)
	v_fmac_f64_e32 v[164:165], v[132:133], v[150:151]
	ds_load_2addr_b64 v[130:133], v2 offset0:121 offset1:122
	ds_load_b64 v[138:139], v2 offset:984
	s_wait_loadcnt 0x1
	v_fmac_f64_e32 v[164:165], v[146:147], v[152:153]
	s_wait_dscnt 0x1
	s_delay_alu instid0(VALU_DEP_1) | instskip(SKIP_1) | instid1(VALU_DEP_1)
	v_fmac_f64_e32 v[164:165], v[148:149], v[130:131]
	s_wait_loadcnt 0x0
	v_fmac_f64_e32 v[164:165], v[134:135], v[132:133]
	s_wait_dscnt 0x0
	s_delay_alu instid0(VALU_DEP_1) | instskip(NEXT) | instid1(VALU_DEP_1)
	v_fmac_f64_e32 v[164:165], v[136:137], v[138:139]
	v_add_f64_e64 v[128:129], v[128:129], -v[164:165]
	scratch_store_b64 off, v[128:129], off offset:144
	s_wait_xcnt 0x0
	v_cmpx_lt_u32_e32 17, v0
	s_cbranch_execz .LBB61_347
; %bb.346:
	scratch_load_b64 v[128:129], off, off offset:136
	v_mov_b64_e32 v[130:131], 0
	scratch_store_b64 off, v[130:131], off offset:136
	s_wait_loadcnt 0x0
	ds_store_b64 v1, v[128:129]
.LBB61_347:
	s_wait_xcnt 0x0
	s_or_b32 exec_lo, exec_lo, s0
	s_wait_storecnt_dscnt 0x0
	s_barrier_signal -1
	s_barrier_wait -1
	s_clause 0x5
	scratch_load_b128 v[128:131], off, off offset:136
	scratch_load_b128 v[132:135], off, off offset:152
	;; [unrolled: 1-line block ×6, first 2 shown]
	ds_load_b128 v[152:155], v2 offset:640
	ds_load_b128 v[156:159], v2 offset:656
	scratch_load_b128 v[160:163], off, off offset:232
	s_mov_b32 s0, exec_lo
	s_wait_loadcnt_dscnt 0x601
	v_fma_f64 v[164:165], v[130:131], v[152:153], 0
	s_wait_loadcnt 0x5
	s_delay_alu instid0(VALU_DEP_1) | instskip(SKIP_4) | instid1(VALU_DEP_1)
	v_fmac_f64_e32 v[164:165], v[132:133], v[154:155]
	scratch_load_b128 v[130:133], off, off offset:248
	s_wait_dscnt 0x0
	v_fmac_f64_e32 v[164:165], v[134:135], v[156:157]
	s_wait_loadcnt 0x5
	v_fmac_f64_e32 v[164:165], v[136:137], v[158:159]
	ds_load_b128 v[134:137], v2 offset:672
	ds_load_b128 v[152:155], v2 offset:688
	scratch_load_b128 v[156:159], off, off offset:264
	s_wait_dscnt 0x1
	v_fmac_f64_e32 v[164:165], v[138:139], v[134:135]
	s_wait_loadcnt 0x5
	s_delay_alu instid0(VALU_DEP_1) | instskip(SKIP_4) | instid1(VALU_DEP_1)
	v_fmac_f64_e32 v[164:165], v[140:141], v[136:137]
	scratch_load_b128 v[134:137], off, off offset:280
	s_wait_dscnt 0x0
	v_fmac_f64_e32 v[164:165], v[142:143], v[152:153]
	s_wait_loadcnt 0x5
	v_fmac_f64_e32 v[164:165], v[144:145], v[154:155]
	ds_load_b128 v[138:141], v2 offset:704
	ds_load_b128 v[142:145], v2 offset:720
	scratch_load_b128 v[152:155], off, off offset:296
	s_wait_dscnt 0x1
	v_fmac_f64_e32 v[164:165], v[146:147], v[138:139]
	s_wait_loadcnt 0x5
	s_delay_alu instid0(VALU_DEP_1) | instskip(SKIP_4) | instid1(VALU_DEP_1)
	v_fmac_f64_e32 v[164:165], v[148:149], v[140:141]
	scratch_load_b128 v[138:141], off, off offset:312
	s_wait_dscnt 0x0
	v_fmac_f64_e32 v[164:165], v[150:151], v[142:143]
	s_wait_loadcnt 0x5
	v_fmac_f64_e32 v[164:165], v[160:161], v[144:145]
	ds_load_b128 v[142:145], v2 offset:736
	ds_load_b128 v[146:149], v2 offset:752
	s_wait_dscnt 0x1
	v_fmac_f64_e32 v[164:165], v[162:163], v[142:143]
	scratch_load_b128 v[160:163], off, off offset:328
	s_wait_loadcnt 0x5
	v_fmac_f64_e32 v[164:165], v[130:131], v[144:145]
	s_wait_dscnt 0x0
	s_delay_alu instid0(VALU_DEP_1)
	v_fmac_f64_e32 v[164:165], v[132:133], v[146:147]
	scratch_load_b128 v[130:133], off, off offset:344
	s_wait_loadcnt 0x5
	v_fmac_f64_e32 v[164:165], v[156:157], v[148:149]
	ds_load_b128 v[142:145], v2 offset:768
	ds_load_b128 v[146:149], v2 offset:784
	s_wait_dscnt 0x1
	v_fmac_f64_e32 v[164:165], v[158:159], v[142:143]
	scratch_load_b128 v[156:159], off, off offset:360
	s_wait_loadcnt 0x5
	v_fmac_f64_e32 v[164:165], v[134:135], v[144:145]
	s_wait_dscnt 0x0
	s_delay_alu instid0(VALU_DEP_1)
	v_fmac_f64_e32 v[164:165], v[136:137], v[146:147]
	scratch_load_b128 v[134:137], off, off offset:376
	s_wait_loadcnt 0x5
	v_fmac_f64_e32 v[164:165], v[152:153], v[148:149]
	ds_load_b128 v[142:145], v2 offset:800
	ds_load_b128 v[146:149], v2 offset:816
	scratch_load_b128 v[150:153], off, off offset:392
	s_wait_dscnt 0x1
	v_fmac_f64_e32 v[164:165], v[154:155], v[142:143]
	s_wait_loadcnt 0x5
	s_delay_alu instid0(VALU_DEP_1) | instskip(SKIP_1) | instid1(VALU_DEP_1)
	v_fmac_f64_e32 v[164:165], v[138:139], v[144:145]
	s_wait_dscnt 0x0
	v_fmac_f64_e32 v[164:165], v[140:141], v[146:147]
	scratch_load_b128 v[138:141], off, off offset:408
	s_wait_loadcnt 0x5
	v_fmac_f64_e32 v[164:165], v[160:161], v[148:149]
	ds_load_b128 v[142:145], v2 offset:832
	ds_load_b128 v[146:149], v2 offset:848
	s_wait_dscnt 0x1
	v_fmac_f64_e32 v[164:165], v[162:163], v[142:143]
	s_wait_loadcnt 0x4
	s_delay_alu instid0(VALU_DEP_1)
	v_fmac_f64_e32 v[164:165], v[130:131], v[144:145]
	scratch_load_b128 v[142:145], off, off offset:424
	s_wait_dscnt 0x0
	v_fmac_f64_e32 v[164:165], v[132:133], v[146:147]
	scratch_load_b128 v[130:133], off, off offset:440
	s_wait_loadcnt 0x5
	v_fmac_f64_e32 v[164:165], v[156:157], v[148:149]
	ds_load_b128 v[146:149], v2 offset:864
	ds_load_b128 v[154:157], v2 offset:880
	s_wait_dscnt 0x1
	v_fmac_f64_e32 v[164:165], v[158:159], v[146:147]
	s_wait_loadcnt 0x4
	s_delay_alu instid0(VALU_DEP_1)
	v_fmac_f64_e32 v[164:165], v[134:135], v[148:149]
	scratch_load_b128 v[146:149], off, off offset:456
	s_wait_dscnt 0x0
	v_fmac_f64_e32 v[164:165], v[136:137], v[154:155]
	scratch_load_b128 v[134:137], off, off offset:472
	s_wait_loadcnt 0x5
	v_fmac_f64_e32 v[164:165], v[150:151], v[156:157]
	ds_load_b128 v[154:157], v2 offset:896
	ds_load_b128 v[158:161], v2 offset:912
	s_wait_dscnt 0x1
	v_fmac_f64_e32 v[164:165], v[152:153], v[154:155]
	scratch_load_b64 v[154:155], off, off offset:488
	s_wait_loadcnt 0x5
	v_fmac_f64_e32 v[164:165], v[138:139], v[156:157]
	s_wait_dscnt 0x0
	s_delay_alu instid0(VALU_DEP_1)
	v_fmac_f64_e32 v[164:165], v[140:141], v[158:159]
	ds_load_b128 v[138:141], v2 offset:928
	ds_load_b128 v[150:153], v2 offset:944
	s_wait_loadcnt 0x4
	v_fmac_f64_e32 v[164:165], v[142:143], v[160:161]
	s_wait_dscnt 0x1
	s_delay_alu instid0(VALU_DEP_1) | instskip(SKIP_1) | instid1(VALU_DEP_1)
	v_fmac_f64_e32 v[164:165], v[144:145], v[138:139]
	s_wait_loadcnt 0x3
	v_fmac_f64_e32 v[164:165], v[130:131], v[140:141]
	s_wait_dscnt 0x0
	s_delay_alu instid0(VALU_DEP_1)
	v_fmac_f64_e32 v[164:165], v[132:133], v[150:151]
	ds_load_b128 v[130:133], v2 offset:960
	ds_load_b128 v[138:141], v2 offset:976
	s_wait_loadcnt 0x2
	v_fmac_f64_e32 v[164:165], v[146:147], v[152:153]
	s_wait_dscnt 0x1
	s_delay_alu instid0(VALU_DEP_1) | instskip(SKIP_1) | instid1(VALU_DEP_1)
	v_fmac_f64_e32 v[164:165], v[148:149], v[130:131]
	s_wait_loadcnt 0x1
	v_fmac_f64_e32 v[164:165], v[134:135], v[132:133]
	s_wait_dscnt 0x0
	s_delay_alu instid0(VALU_DEP_1) | instskip(SKIP_1) | instid1(VALU_DEP_1)
	v_fmac_f64_e32 v[164:165], v[136:137], v[138:139]
	s_wait_loadcnt 0x0
	v_fmac_f64_e32 v[164:165], v[154:155], v[140:141]
	s_delay_alu instid0(VALU_DEP_1)
	v_add_f64_e64 v[2:3], v[128:129], -v[164:165]
	scratch_store_b64 off, v[2:3], off offset:136
	s_wait_xcnt 0x0
	v_cmpx_lt_u32_e32 16, v0
	s_cbranch_execz .LBB61_349
; %bb.348:
	scratch_load_b64 v[2:3], off, off offset:128
	v_mov_b64_e32 v[128:129], 0
	scratch_store_b64 off, v[128:129], off offset:128
	s_wait_loadcnt 0x0
	ds_store_b64 v1, v[2:3]
.LBB61_349:
	s_wait_xcnt 0x0
	s_or_b32 exec_lo, exec_lo, s0
	s_wait_storecnt_dscnt 0x0
	s_barrier_signal -1
	s_barrier_wait -1
	s_clause 0x5
	scratch_load_b128 v[128:131], off, off offset:128
	scratch_load_b128 v[132:135], off, off offset:144
	;; [unrolled: 1-line block ×6, first 2 shown]
	v_mov_b32_e32 v2, 0
	ds_load_2addr_b64 v[152:155], v2 offset0:79 offset1:80
	ds_load_2addr_b64 v[156:159], v2 offset0:81 offset1:82
	scratch_load_b128 v[160:163], off, off offset:224
	s_mov_b32 s0, exec_lo
	s_wait_loadcnt_dscnt 0x601
	v_fma_f64 v[164:165], v[130:131], v[152:153], 0
	s_wait_loadcnt 0x5
	s_delay_alu instid0(VALU_DEP_1) | instskip(SKIP_4) | instid1(VALU_DEP_1)
	v_fmac_f64_e32 v[164:165], v[132:133], v[154:155]
	scratch_load_b128 v[130:133], off, off offset:240
	s_wait_dscnt 0x0
	v_fmac_f64_e32 v[164:165], v[134:135], v[156:157]
	s_wait_loadcnt 0x5
	v_fmac_f64_e32 v[164:165], v[136:137], v[158:159]
	ds_load_2addr_b64 v[134:137], v2 offset0:83 offset1:84
	ds_load_2addr_b64 v[152:155], v2 offset0:85 offset1:86
	scratch_load_b128 v[156:159], off, off offset:256
	s_wait_dscnt 0x1
	v_fmac_f64_e32 v[164:165], v[138:139], v[134:135]
	s_wait_loadcnt 0x5
	s_delay_alu instid0(VALU_DEP_1) | instskip(SKIP_4) | instid1(VALU_DEP_1)
	v_fmac_f64_e32 v[164:165], v[140:141], v[136:137]
	scratch_load_b128 v[134:137], off, off offset:272
	s_wait_dscnt 0x0
	v_fmac_f64_e32 v[164:165], v[142:143], v[152:153]
	s_wait_loadcnt 0x5
	v_fmac_f64_e32 v[164:165], v[144:145], v[154:155]
	ds_load_2addr_b64 v[138:141], v2 offset0:87 offset1:88
	ds_load_2addr_b64 v[142:145], v2 offset0:89 offset1:90
	scratch_load_b128 v[152:155], off, off offset:288
	s_wait_dscnt 0x1
	v_fmac_f64_e32 v[164:165], v[146:147], v[138:139]
	s_wait_loadcnt 0x5
	s_delay_alu instid0(VALU_DEP_1) | instskip(SKIP_4) | instid1(VALU_DEP_1)
	v_fmac_f64_e32 v[164:165], v[148:149], v[140:141]
	scratch_load_b128 v[138:141], off, off offset:304
	s_wait_dscnt 0x0
	v_fmac_f64_e32 v[164:165], v[150:151], v[142:143]
	s_wait_loadcnt 0x5
	v_fmac_f64_e32 v[164:165], v[160:161], v[144:145]
	ds_load_2addr_b64 v[142:145], v2 offset0:91 offset1:92
	ds_load_2addr_b64 v[146:149], v2 offset0:93 offset1:94
	s_wait_dscnt 0x1
	v_fmac_f64_e32 v[164:165], v[162:163], v[142:143]
	scratch_load_b128 v[160:163], off, off offset:320
	s_wait_loadcnt 0x5
	v_fmac_f64_e32 v[164:165], v[130:131], v[144:145]
	s_wait_dscnt 0x0
	s_delay_alu instid0(VALU_DEP_1)
	v_fmac_f64_e32 v[164:165], v[132:133], v[146:147]
	scratch_load_b128 v[130:133], off, off offset:336
	s_wait_loadcnt 0x5
	v_fmac_f64_e32 v[164:165], v[156:157], v[148:149]
	ds_load_2addr_b64 v[142:145], v2 offset0:95 offset1:96
	ds_load_2addr_b64 v[146:149], v2 offset0:97 offset1:98
	s_wait_dscnt 0x1
	v_fmac_f64_e32 v[164:165], v[158:159], v[142:143]
	scratch_load_b128 v[156:159], off, off offset:352
	s_wait_loadcnt 0x5
	v_fmac_f64_e32 v[164:165], v[134:135], v[144:145]
	s_wait_dscnt 0x0
	s_delay_alu instid0(VALU_DEP_1)
	v_fmac_f64_e32 v[164:165], v[136:137], v[146:147]
	scratch_load_b128 v[134:137], off, off offset:368
	s_wait_loadcnt 0x5
	v_fmac_f64_e32 v[164:165], v[152:153], v[148:149]
	ds_load_2addr_b64 v[142:145], v2 offset0:99 offset1:100
	ds_load_2addr_b64 v[146:149], v2 offset0:101 offset1:102
	scratch_load_b128 v[150:153], off, off offset:384
	s_wait_dscnt 0x1
	v_fmac_f64_e32 v[164:165], v[154:155], v[142:143]
	s_wait_loadcnt 0x5
	s_delay_alu instid0(VALU_DEP_1) | instskip(SKIP_1) | instid1(VALU_DEP_1)
	v_fmac_f64_e32 v[164:165], v[138:139], v[144:145]
	s_wait_dscnt 0x0
	v_fmac_f64_e32 v[164:165], v[140:141], v[146:147]
	scratch_load_b128 v[138:141], off, off offset:400
	s_wait_loadcnt 0x5
	v_fmac_f64_e32 v[164:165], v[160:161], v[148:149]
	ds_load_2addr_b64 v[142:145], v2 offset0:103 offset1:104
	ds_load_2addr_b64 v[146:149], v2 offset0:105 offset1:106
	s_wait_dscnt 0x1
	v_fmac_f64_e32 v[164:165], v[162:163], v[142:143]
	s_wait_loadcnt 0x4
	s_delay_alu instid0(VALU_DEP_1)
	v_fmac_f64_e32 v[164:165], v[130:131], v[144:145]
	scratch_load_b128 v[142:145], off, off offset:416
	s_wait_dscnt 0x0
	v_fmac_f64_e32 v[164:165], v[132:133], v[146:147]
	scratch_load_b128 v[130:133], off, off offset:432
	s_wait_loadcnt 0x5
	v_fmac_f64_e32 v[164:165], v[156:157], v[148:149]
	ds_load_2addr_b64 v[146:149], v2 offset0:107 offset1:108
	ds_load_2addr_b64 v[154:157], v2 offset0:109 offset1:110
	s_wait_dscnt 0x1
	v_fmac_f64_e32 v[164:165], v[158:159], v[146:147]
	s_wait_loadcnt 0x4
	s_delay_alu instid0(VALU_DEP_1)
	v_fmac_f64_e32 v[164:165], v[134:135], v[148:149]
	scratch_load_b128 v[146:149], off, off offset:448
	s_wait_dscnt 0x0
	v_fmac_f64_e32 v[164:165], v[136:137], v[154:155]
	scratch_load_b128 v[134:137], off, off offset:464
	s_wait_loadcnt 0x5
	v_fmac_f64_e32 v[164:165], v[150:151], v[156:157]
	ds_load_2addr_b64 v[154:157], v2 offset0:111 offset1:112
	ds_load_2addr_b64 v[158:161], v2 offset0:113 offset1:114
	s_wait_dscnt 0x1
	v_fmac_f64_e32 v[164:165], v[152:153], v[154:155]
	scratch_load_b128 v[150:153], off, off offset:480
	s_wait_loadcnt 0x5
	v_fmac_f64_e32 v[164:165], v[138:139], v[156:157]
	s_wait_dscnt 0x0
	s_delay_alu instid0(VALU_DEP_1)
	v_fmac_f64_e32 v[164:165], v[140:141], v[158:159]
	ds_load_2addr_b64 v[138:141], v2 offset0:115 offset1:116
	ds_load_2addr_b64 v[154:157], v2 offset0:117 offset1:118
	s_wait_loadcnt 0x4
	v_fmac_f64_e32 v[164:165], v[142:143], v[160:161]
	s_wait_dscnt 0x1
	s_delay_alu instid0(VALU_DEP_1) | instskip(SKIP_1) | instid1(VALU_DEP_1)
	v_fmac_f64_e32 v[164:165], v[144:145], v[138:139]
	s_wait_loadcnt 0x3
	v_fmac_f64_e32 v[164:165], v[130:131], v[140:141]
	s_wait_dscnt 0x0
	s_delay_alu instid0(VALU_DEP_1)
	v_fmac_f64_e32 v[164:165], v[132:133], v[154:155]
	ds_load_2addr_b64 v[130:133], v2 offset0:119 offset1:120
	ds_load_2addr_b64 v[138:141], v2 offset0:121 offset1:122
	s_wait_loadcnt 0x2
	v_fmac_f64_e32 v[164:165], v[146:147], v[156:157]
	s_wait_dscnt 0x1
	s_delay_alu instid0(VALU_DEP_1) | instskip(SKIP_4) | instid1(VALU_DEP_1)
	v_fmac_f64_e32 v[164:165], v[148:149], v[130:131]
	ds_load_b64 v[130:131], v2 offset:984
	s_wait_loadcnt 0x1
	v_fmac_f64_e32 v[164:165], v[134:135], v[132:133]
	s_wait_dscnt 0x1
	v_fmac_f64_e32 v[164:165], v[136:137], v[138:139]
	s_wait_loadcnt 0x0
	s_delay_alu instid0(VALU_DEP_1) | instskip(SKIP_1) | instid1(VALU_DEP_1)
	v_fmac_f64_e32 v[164:165], v[150:151], v[140:141]
	s_wait_dscnt 0x0
	v_fmac_f64_e32 v[164:165], v[152:153], v[130:131]
	s_delay_alu instid0(VALU_DEP_1)
	v_add_f64_e64 v[128:129], v[128:129], -v[164:165]
	scratch_store_b64 off, v[128:129], off offset:128
	s_wait_xcnt 0x0
	v_cmpx_lt_u32_e32 15, v0
	s_cbranch_execz .LBB61_351
; %bb.350:
	scratch_load_b64 v[128:129], off, off offset:120
	v_mov_b64_e32 v[130:131], 0
	scratch_store_b64 off, v[130:131], off offset:120
	s_wait_loadcnt 0x0
	ds_store_b64 v1, v[128:129]
.LBB61_351:
	s_wait_xcnt 0x0
	s_or_b32 exec_lo, exec_lo, s0
	s_wait_storecnt_dscnt 0x0
	s_barrier_signal -1
	s_barrier_wait -1
	s_clause 0x5
	scratch_load_b128 v[128:131], off, off offset:120
	scratch_load_b128 v[132:135], off, off offset:136
	;; [unrolled: 1-line block ×6, first 2 shown]
	ds_load_b128 v[152:155], v2 offset:624
	ds_load_b128 v[156:159], v2 offset:640
	scratch_load_b128 v[160:163], off, off offset:216
	s_mov_b32 s0, exec_lo
	s_wait_loadcnt_dscnt 0x601
	v_fma_f64 v[164:165], v[130:131], v[152:153], 0
	s_wait_loadcnt 0x5
	s_delay_alu instid0(VALU_DEP_1) | instskip(SKIP_4) | instid1(VALU_DEP_1)
	v_fmac_f64_e32 v[164:165], v[132:133], v[154:155]
	scratch_load_b128 v[130:133], off, off offset:232
	s_wait_dscnt 0x0
	v_fmac_f64_e32 v[164:165], v[134:135], v[156:157]
	s_wait_loadcnt 0x5
	v_fmac_f64_e32 v[164:165], v[136:137], v[158:159]
	ds_load_b128 v[134:137], v2 offset:656
	ds_load_b128 v[152:155], v2 offset:672
	scratch_load_b128 v[156:159], off, off offset:248
	s_wait_dscnt 0x1
	v_fmac_f64_e32 v[164:165], v[138:139], v[134:135]
	s_wait_loadcnt 0x5
	s_delay_alu instid0(VALU_DEP_1) | instskip(SKIP_4) | instid1(VALU_DEP_1)
	v_fmac_f64_e32 v[164:165], v[140:141], v[136:137]
	scratch_load_b128 v[134:137], off, off offset:264
	s_wait_dscnt 0x0
	v_fmac_f64_e32 v[164:165], v[142:143], v[152:153]
	s_wait_loadcnt 0x5
	v_fmac_f64_e32 v[164:165], v[144:145], v[154:155]
	ds_load_b128 v[138:141], v2 offset:688
	ds_load_b128 v[142:145], v2 offset:704
	scratch_load_b128 v[152:155], off, off offset:280
	s_wait_dscnt 0x1
	v_fmac_f64_e32 v[164:165], v[146:147], v[138:139]
	s_wait_loadcnt 0x5
	s_delay_alu instid0(VALU_DEP_1) | instskip(SKIP_4) | instid1(VALU_DEP_1)
	v_fmac_f64_e32 v[164:165], v[148:149], v[140:141]
	scratch_load_b128 v[138:141], off, off offset:296
	s_wait_dscnt 0x0
	v_fmac_f64_e32 v[164:165], v[150:151], v[142:143]
	s_wait_loadcnt 0x5
	v_fmac_f64_e32 v[164:165], v[160:161], v[144:145]
	ds_load_b128 v[142:145], v2 offset:720
	ds_load_b128 v[146:149], v2 offset:736
	s_wait_dscnt 0x1
	v_fmac_f64_e32 v[164:165], v[162:163], v[142:143]
	scratch_load_b128 v[160:163], off, off offset:312
	s_wait_loadcnt 0x5
	v_fmac_f64_e32 v[164:165], v[130:131], v[144:145]
	s_wait_dscnt 0x0
	s_delay_alu instid0(VALU_DEP_1)
	v_fmac_f64_e32 v[164:165], v[132:133], v[146:147]
	scratch_load_b128 v[130:133], off, off offset:328
	s_wait_loadcnt 0x5
	v_fmac_f64_e32 v[164:165], v[156:157], v[148:149]
	ds_load_b128 v[142:145], v2 offset:752
	ds_load_b128 v[146:149], v2 offset:768
	s_wait_dscnt 0x1
	v_fmac_f64_e32 v[164:165], v[158:159], v[142:143]
	scratch_load_b128 v[156:159], off, off offset:344
	s_wait_loadcnt 0x5
	v_fmac_f64_e32 v[164:165], v[134:135], v[144:145]
	s_wait_dscnt 0x0
	s_delay_alu instid0(VALU_DEP_1)
	v_fmac_f64_e32 v[164:165], v[136:137], v[146:147]
	scratch_load_b128 v[134:137], off, off offset:360
	s_wait_loadcnt 0x5
	v_fmac_f64_e32 v[164:165], v[152:153], v[148:149]
	ds_load_b128 v[142:145], v2 offset:784
	ds_load_b128 v[146:149], v2 offset:800
	scratch_load_b128 v[150:153], off, off offset:376
	s_wait_dscnt 0x1
	v_fmac_f64_e32 v[164:165], v[154:155], v[142:143]
	s_wait_loadcnt 0x5
	s_delay_alu instid0(VALU_DEP_1) | instskip(SKIP_1) | instid1(VALU_DEP_1)
	v_fmac_f64_e32 v[164:165], v[138:139], v[144:145]
	s_wait_dscnt 0x0
	v_fmac_f64_e32 v[164:165], v[140:141], v[146:147]
	scratch_load_b128 v[138:141], off, off offset:392
	s_wait_loadcnt 0x5
	v_fmac_f64_e32 v[164:165], v[160:161], v[148:149]
	ds_load_b128 v[142:145], v2 offset:816
	ds_load_b128 v[146:149], v2 offset:832
	s_wait_dscnt 0x1
	v_fmac_f64_e32 v[164:165], v[162:163], v[142:143]
	scratch_load_b128 v[160:163], off, off offset:408
	s_wait_loadcnt 0x5
	v_fmac_f64_e32 v[164:165], v[130:131], v[144:145]
	s_wait_dscnt 0x0
	s_delay_alu instid0(VALU_DEP_1)
	v_fmac_f64_e32 v[164:165], v[132:133], v[146:147]
	scratch_load_b128 v[130:133], off, off offset:424
	s_wait_loadcnt 0x5
	v_fmac_f64_e32 v[164:165], v[156:157], v[148:149]
	ds_load_b128 v[142:145], v2 offset:848
	ds_load_b128 v[146:149], v2 offset:864
	s_wait_dscnt 0x1
	v_fmac_f64_e32 v[164:165], v[158:159], v[142:143]
	s_wait_loadcnt 0x4
	s_delay_alu instid0(VALU_DEP_1)
	v_fmac_f64_e32 v[164:165], v[134:135], v[144:145]
	scratch_load_b128 v[142:145], off, off offset:440
	s_wait_dscnt 0x0
	v_fmac_f64_e32 v[164:165], v[136:137], v[146:147]
	scratch_load_b128 v[134:137], off, off offset:456
	s_wait_loadcnt 0x5
	v_fmac_f64_e32 v[164:165], v[150:151], v[148:149]
	ds_load_b128 v[146:149], v2 offset:880
	ds_load_b128 v[154:157], v2 offset:896
	s_wait_dscnt 0x1
	v_fmac_f64_e32 v[164:165], v[152:153], v[146:147]
	s_wait_loadcnt 0x4
	s_delay_alu instid0(VALU_DEP_1)
	v_fmac_f64_e32 v[164:165], v[138:139], v[148:149]
	scratch_load_b128 v[146:149], off, off offset:472
	s_wait_dscnt 0x0
	v_fmac_f64_e32 v[164:165], v[140:141], v[154:155]
	scratch_load_b64 v[154:155], off, off offset:488
	ds_load_b128 v[138:141], v2 offset:912
	ds_load_b128 v[150:153], v2 offset:928
	s_wait_loadcnt 0x5
	v_fmac_f64_e32 v[164:165], v[160:161], v[156:157]
	s_wait_dscnt 0x1
	s_delay_alu instid0(VALU_DEP_1) | instskip(SKIP_1) | instid1(VALU_DEP_1)
	v_fmac_f64_e32 v[164:165], v[162:163], v[138:139]
	s_wait_loadcnt 0x4
	v_fmac_f64_e32 v[164:165], v[130:131], v[140:141]
	s_wait_dscnt 0x0
	s_delay_alu instid0(VALU_DEP_1)
	v_fmac_f64_e32 v[164:165], v[132:133], v[150:151]
	ds_load_b128 v[130:133], v2 offset:944
	ds_load_b128 v[138:141], v2 offset:960
	s_wait_loadcnt 0x3
	v_fmac_f64_e32 v[164:165], v[142:143], v[152:153]
	s_wait_dscnt 0x1
	s_delay_alu instid0(VALU_DEP_1) | instskip(SKIP_1) | instid1(VALU_DEP_1)
	v_fmac_f64_e32 v[164:165], v[144:145], v[130:131]
	s_wait_loadcnt 0x2
	v_fmac_f64_e32 v[164:165], v[134:135], v[132:133]
	ds_load_b128 v[130:133], v2 offset:976
	s_wait_dscnt 0x1
	v_fmac_f64_e32 v[164:165], v[136:137], v[138:139]
	s_wait_loadcnt 0x1
	s_delay_alu instid0(VALU_DEP_1) | instskip(SKIP_1) | instid1(VALU_DEP_1)
	v_fmac_f64_e32 v[164:165], v[146:147], v[140:141]
	s_wait_dscnt 0x0
	v_fmac_f64_e32 v[164:165], v[148:149], v[130:131]
	s_wait_loadcnt 0x0
	s_delay_alu instid0(VALU_DEP_1) | instskip(NEXT) | instid1(VALU_DEP_1)
	v_fmac_f64_e32 v[164:165], v[154:155], v[132:133]
	v_add_f64_e64 v[2:3], v[128:129], -v[164:165]
	scratch_store_b64 off, v[2:3], off offset:120
	s_wait_xcnt 0x0
	v_cmpx_lt_u32_e32 14, v0
	s_cbranch_execz .LBB61_353
; %bb.352:
	scratch_load_b64 v[2:3], off, off offset:112
	v_mov_b64_e32 v[128:129], 0
	scratch_store_b64 off, v[128:129], off offset:112
	s_wait_loadcnt 0x0
	ds_store_b64 v1, v[2:3]
.LBB61_353:
	s_wait_xcnt 0x0
	s_or_b32 exec_lo, exec_lo, s0
	s_wait_storecnt_dscnt 0x0
	s_barrier_signal -1
	s_barrier_wait -1
	s_clause 0x5
	scratch_load_b128 v[128:131], off, off offset:112
	scratch_load_b128 v[132:135], off, off offset:128
	;; [unrolled: 1-line block ×6, first 2 shown]
	v_mov_b32_e32 v2, 0
	ds_load_2addr_b64 v[152:155], v2 offset0:77 offset1:78
	ds_load_2addr_b64 v[156:159], v2 offset0:79 offset1:80
	scratch_load_b128 v[160:163], off, off offset:208
	s_mov_b32 s0, exec_lo
	s_wait_loadcnt_dscnt 0x601
	v_fma_f64 v[164:165], v[130:131], v[152:153], 0
	s_wait_loadcnt 0x5
	s_delay_alu instid0(VALU_DEP_1) | instskip(SKIP_4) | instid1(VALU_DEP_1)
	v_fmac_f64_e32 v[164:165], v[132:133], v[154:155]
	scratch_load_b128 v[130:133], off, off offset:224
	s_wait_dscnt 0x0
	v_fmac_f64_e32 v[164:165], v[134:135], v[156:157]
	s_wait_loadcnt 0x5
	v_fmac_f64_e32 v[164:165], v[136:137], v[158:159]
	ds_load_2addr_b64 v[134:137], v2 offset0:81 offset1:82
	ds_load_2addr_b64 v[152:155], v2 offset0:83 offset1:84
	scratch_load_b128 v[156:159], off, off offset:240
	s_wait_dscnt 0x1
	v_fmac_f64_e32 v[164:165], v[138:139], v[134:135]
	s_wait_loadcnt 0x5
	s_delay_alu instid0(VALU_DEP_1) | instskip(SKIP_4) | instid1(VALU_DEP_1)
	v_fmac_f64_e32 v[164:165], v[140:141], v[136:137]
	scratch_load_b128 v[134:137], off, off offset:256
	s_wait_dscnt 0x0
	v_fmac_f64_e32 v[164:165], v[142:143], v[152:153]
	s_wait_loadcnt 0x5
	v_fmac_f64_e32 v[164:165], v[144:145], v[154:155]
	ds_load_2addr_b64 v[138:141], v2 offset0:85 offset1:86
	ds_load_2addr_b64 v[142:145], v2 offset0:87 offset1:88
	scratch_load_b128 v[152:155], off, off offset:272
	s_wait_dscnt 0x1
	v_fmac_f64_e32 v[164:165], v[146:147], v[138:139]
	s_wait_loadcnt 0x5
	s_delay_alu instid0(VALU_DEP_1) | instskip(SKIP_4) | instid1(VALU_DEP_1)
	v_fmac_f64_e32 v[164:165], v[148:149], v[140:141]
	scratch_load_b128 v[138:141], off, off offset:288
	s_wait_dscnt 0x0
	v_fmac_f64_e32 v[164:165], v[150:151], v[142:143]
	s_wait_loadcnt 0x5
	v_fmac_f64_e32 v[164:165], v[160:161], v[144:145]
	ds_load_2addr_b64 v[142:145], v2 offset0:89 offset1:90
	ds_load_2addr_b64 v[146:149], v2 offset0:91 offset1:92
	s_wait_dscnt 0x1
	v_fmac_f64_e32 v[164:165], v[162:163], v[142:143]
	scratch_load_b128 v[160:163], off, off offset:304
	s_wait_loadcnt 0x5
	v_fmac_f64_e32 v[164:165], v[130:131], v[144:145]
	s_wait_dscnt 0x0
	s_delay_alu instid0(VALU_DEP_1)
	v_fmac_f64_e32 v[164:165], v[132:133], v[146:147]
	scratch_load_b128 v[130:133], off, off offset:320
	s_wait_loadcnt 0x5
	v_fmac_f64_e32 v[164:165], v[156:157], v[148:149]
	ds_load_2addr_b64 v[142:145], v2 offset0:93 offset1:94
	ds_load_2addr_b64 v[146:149], v2 offset0:95 offset1:96
	s_wait_dscnt 0x1
	v_fmac_f64_e32 v[164:165], v[158:159], v[142:143]
	scratch_load_b128 v[156:159], off, off offset:336
	s_wait_loadcnt 0x5
	v_fmac_f64_e32 v[164:165], v[134:135], v[144:145]
	s_wait_dscnt 0x0
	s_delay_alu instid0(VALU_DEP_1)
	v_fmac_f64_e32 v[164:165], v[136:137], v[146:147]
	scratch_load_b128 v[134:137], off, off offset:352
	s_wait_loadcnt 0x5
	v_fmac_f64_e32 v[164:165], v[152:153], v[148:149]
	ds_load_2addr_b64 v[142:145], v2 offset0:97 offset1:98
	ds_load_2addr_b64 v[146:149], v2 offset0:99 offset1:100
	scratch_load_b128 v[150:153], off, off offset:368
	s_wait_dscnt 0x1
	v_fmac_f64_e32 v[164:165], v[154:155], v[142:143]
	s_wait_loadcnt 0x5
	s_delay_alu instid0(VALU_DEP_1) | instskip(SKIP_1) | instid1(VALU_DEP_1)
	v_fmac_f64_e32 v[164:165], v[138:139], v[144:145]
	s_wait_dscnt 0x0
	v_fmac_f64_e32 v[164:165], v[140:141], v[146:147]
	scratch_load_b128 v[138:141], off, off offset:384
	s_wait_loadcnt 0x5
	v_fmac_f64_e32 v[164:165], v[160:161], v[148:149]
	ds_load_2addr_b64 v[142:145], v2 offset0:101 offset1:102
	ds_load_2addr_b64 v[146:149], v2 offset0:103 offset1:104
	s_wait_dscnt 0x1
	v_fmac_f64_e32 v[164:165], v[162:163], v[142:143]
	scratch_load_b128 v[160:163], off, off offset:400
	s_wait_loadcnt 0x5
	v_fmac_f64_e32 v[164:165], v[130:131], v[144:145]
	s_wait_dscnt 0x0
	s_delay_alu instid0(VALU_DEP_1)
	v_fmac_f64_e32 v[164:165], v[132:133], v[146:147]
	scratch_load_b128 v[130:133], off, off offset:416
	s_wait_loadcnt 0x5
	v_fmac_f64_e32 v[164:165], v[156:157], v[148:149]
	ds_load_2addr_b64 v[142:145], v2 offset0:105 offset1:106
	ds_load_2addr_b64 v[146:149], v2 offset0:107 offset1:108
	s_wait_dscnt 0x1
	v_fmac_f64_e32 v[164:165], v[158:159], v[142:143]
	s_wait_loadcnt 0x4
	s_delay_alu instid0(VALU_DEP_1)
	v_fmac_f64_e32 v[164:165], v[134:135], v[144:145]
	scratch_load_b128 v[142:145], off, off offset:432
	s_wait_dscnt 0x0
	v_fmac_f64_e32 v[164:165], v[136:137], v[146:147]
	scratch_load_b128 v[134:137], off, off offset:448
	s_wait_loadcnt 0x5
	v_fmac_f64_e32 v[164:165], v[150:151], v[148:149]
	ds_load_2addr_b64 v[146:149], v2 offset0:109 offset1:110
	ds_load_2addr_b64 v[154:157], v2 offset0:111 offset1:112
	s_wait_dscnt 0x1
	v_fmac_f64_e32 v[164:165], v[152:153], v[146:147]
	s_wait_loadcnt 0x4
	s_delay_alu instid0(VALU_DEP_1)
	v_fmac_f64_e32 v[164:165], v[138:139], v[148:149]
	scratch_load_b128 v[146:149], off, off offset:464
	s_wait_dscnt 0x0
	v_fmac_f64_e32 v[164:165], v[140:141], v[154:155]
	scratch_load_b128 v[138:141], off, off offset:480
	s_wait_loadcnt 0x5
	v_fmac_f64_e32 v[164:165], v[160:161], v[156:157]
	ds_load_2addr_b64 v[150:153], v2 offset0:113 offset1:114
	ds_load_2addr_b64 v[154:157], v2 offset0:115 offset1:116
	s_wait_dscnt 0x1
	v_fmac_f64_e32 v[164:165], v[162:163], v[150:151]
	s_wait_loadcnt 0x4
	s_delay_alu instid0(VALU_DEP_1) | instskip(SKIP_1) | instid1(VALU_DEP_1)
	v_fmac_f64_e32 v[164:165], v[130:131], v[152:153]
	s_wait_dscnt 0x0
	v_fmac_f64_e32 v[164:165], v[132:133], v[154:155]
	ds_load_2addr_b64 v[130:133], v2 offset0:117 offset1:118
	ds_load_2addr_b64 v[150:153], v2 offset0:119 offset1:120
	s_wait_loadcnt 0x3
	v_fmac_f64_e32 v[164:165], v[142:143], v[156:157]
	s_wait_dscnt 0x1
	s_delay_alu instid0(VALU_DEP_1) | instskip(SKIP_1) | instid1(VALU_DEP_1)
	v_fmac_f64_e32 v[164:165], v[144:145], v[130:131]
	s_wait_loadcnt 0x2
	v_fmac_f64_e32 v[164:165], v[134:135], v[132:133]
	ds_load_2addr_b64 v[130:133], v2 offset0:121 offset1:122
	ds_load_b64 v[134:135], v2 offset:984
	s_wait_dscnt 0x2
	v_fmac_f64_e32 v[164:165], v[136:137], v[150:151]
	s_wait_loadcnt 0x1
	s_delay_alu instid0(VALU_DEP_1) | instskip(SKIP_1) | instid1(VALU_DEP_1)
	v_fmac_f64_e32 v[164:165], v[146:147], v[152:153]
	s_wait_dscnt 0x1
	v_fmac_f64_e32 v[164:165], v[148:149], v[130:131]
	s_wait_loadcnt 0x0
	s_delay_alu instid0(VALU_DEP_1) | instskip(SKIP_1) | instid1(VALU_DEP_1)
	v_fmac_f64_e32 v[164:165], v[138:139], v[132:133]
	s_wait_dscnt 0x0
	v_fmac_f64_e32 v[164:165], v[140:141], v[134:135]
	s_delay_alu instid0(VALU_DEP_1)
	v_add_f64_e64 v[128:129], v[128:129], -v[164:165]
	scratch_store_b64 off, v[128:129], off offset:112
	s_wait_xcnt 0x0
	v_cmpx_lt_u32_e32 13, v0
	s_cbranch_execz .LBB61_355
; %bb.354:
	scratch_load_b64 v[128:129], off, off offset:104
	v_mov_b64_e32 v[130:131], 0
	scratch_store_b64 off, v[130:131], off offset:104
	s_wait_loadcnt 0x0
	ds_store_b64 v1, v[128:129]
.LBB61_355:
	s_wait_xcnt 0x0
	s_or_b32 exec_lo, exec_lo, s0
	s_wait_storecnt_dscnt 0x0
	s_barrier_signal -1
	s_barrier_wait -1
	s_clause 0x5
	scratch_load_b128 v[128:131], off, off offset:104
	scratch_load_b128 v[132:135], off, off offset:120
	;; [unrolled: 1-line block ×6, first 2 shown]
	ds_load_b128 v[152:155], v2 offset:608
	ds_load_b128 v[156:159], v2 offset:624
	scratch_load_b128 v[160:163], off, off offset:200
	s_mov_b32 s0, exec_lo
	s_wait_loadcnt_dscnt 0x601
	v_fma_f64 v[164:165], v[130:131], v[152:153], 0
	s_wait_loadcnt 0x5
	s_delay_alu instid0(VALU_DEP_1) | instskip(SKIP_4) | instid1(VALU_DEP_1)
	v_fmac_f64_e32 v[164:165], v[132:133], v[154:155]
	scratch_load_b128 v[130:133], off, off offset:216
	s_wait_dscnt 0x0
	v_fmac_f64_e32 v[164:165], v[134:135], v[156:157]
	s_wait_loadcnt 0x5
	v_fmac_f64_e32 v[164:165], v[136:137], v[158:159]
	ds_load_b128 v[134:137], v2 offset:640
	ds_load_b128 v[152:155], v2 offset:656
	scratch_load_b128 v[156:159], off, off offset:232
	s_wait_dscnt 0x1
	v_fmac_f64_e32 v[164:165], v[138:139], v[134:135]
	s_wait_loadcnt 0x5
	s_delay_alu instid0(VALU_DEP_1) | instskip(SKIP_4) | instid1(VALU_DEP_1)
	v_fmac_f64_e32 v[164:165], v[140:141], v[136:137]
	scratch_load_b128 v[134:137], off, off offset:248
	s_wait_dscnt 0x0
	v_fmac_f64_e32 v[164:165], v[142:143], v[152:153]
	s_wait_loadcnt 0x5
	v_fmac_f64_e32 v[164:165], v[144:145], v[154:155]
	ds_load_b128 v[138:141], v2 offset:672
	ds_load_b128 v[142:145], v2 offset:688
	scratch_load_b128 v[152:155], off, off offset:264
	s_wait_dscnt 0x1
	v_fmac_f64_e32 v[164:165], v[146:147], v[138:139]
	s_wait_loadcnt 0x5
	s_delay_alu instid0(VALU_DEP_1) | instskip(SKIP_4) | instid1(VALU_DEP_1)
	v_fmac_f64_e32 v[164:165], v[148:149], v[140:141]
	scratch_load_b128 v[138:141], off, off offset:280
	s_wait_dscnt 0x0
	v_fmac_f64_e32 v[164:165], v[150:151], v[142:143]
	s_wait_loadcnt 0x5
	v_fmac_f64_e32 v[164:165], v[160:161], v[144:145]
	ds_load_b128 v[142:145], v2 offset:704
	ds_load_b128 v[146:149], v2 offset:720
	s_wait_dscnt 0x1
	v_fmac_f64_e32 v[164:165], v[162:163], v[142:143]
	scratch_load_b128 v[160:163], off, off offset:296
	s_wait_loadcnt 0x5
	v_fmac_f64_e32 v[164:165], v[130:131], v[144:145]
	s_wait_dscnt 0x0
	s_delay_alu instid0(VALU_DEP_1)
	v_fmac_f64_e32 v[164:165], v[132:133], v[146:147]
	scratch_load_b128 v[130:133], off, off offset:312
	s_wait_loadcnt 0x5
	v_fmac_f64_e32 v[164:165], v[156:157], v[148:149]
	ds_load_b128 v[142:145], v2 offset:736
	ds_load_b128 v[146:149], v2 offset:752
	s_wait_dscnt 0x1
	v_fmac_f64_e32 v[164:165], v[158:159], v[142:143]
	scratch_load_b128 v[156:159], off, off offset:328
	s_wait_loadcnt 0x5
	v_fmac_f64_e32 v[164:165], v[134:135], v[144:145]
	s_wait_dscnt 0x0
	s_delay_alu instid0(VALU_DEP_1)
	v_fmac_f64_e32 v[164:165], v[136:137], v[146:147]
	scratch_load_b128 v[134:137], off, off offset:344
	s_wait_loadcnt 0x5
	v_fmac_f64_e32 v[164:165], v[152:153], v[148:149]
	ds_load_b128 v[142:145], v2 offset:768
	ds_load_b128 v[146:149], v2 offset:784
	scratch_load_b128 v[150:153], off, off offset:360
	s_wait_dscnt 0x1
	v_fmac_f64_e32 v[164:165], v[154:155], v[142:143]
	s_wait_loadcnt 0x5
	s_delay_alu instid0(VALU_DEP_1) | instskip(SKIP_1) | instid1(VALU_DEP_1)
	v_fmac_f64_e32 v[164:165], v[138:139], v[144:145]
	s_wait_dscnt 0x0
	v_fmac_f64_e32 v[164:165], v[140:141], v[146:147]
	scratch_load_b128 v[138:141], off, off offset:376
	s_wait_loadcnt 0x5
	v_fmac_f64_e32 v[164:165], v[160:161], v[148:149]
	ds_load_b128 v[142:145], v2 offset:800
	ds_load_b128 v[146:149], v2 offset:816
	s_wait_dscnt 0x1
	v_fmac_f64_e32 v[164:165], v[162:163], v[142:143]
	scratch_load_b128 v[160:163], off, off offset:392
	s_wait_loadcnt 0x5
	v_fmac_f64_e32 v[164:165], v[130:131], v[144:145]
	s_wait_dscnt 0x0
	s_delay_alu instid0(VALU_DEP_1)
	v_fmac_f64_e32 v[164:165], v[132:133], v[146:147]
	scratch_load_b128 v[130:133], off, off offset:408
	s_wait_loadcnt 0x5
	v_fmac_f64_e32 v[164:165], v[156:157], v[148:149]
	ds_load_b128 v[142:145], v2 offset:832
	ds_load_b128 v[146:149], v2 offset:848
	s_wait_dscnt 0x1
	v_fmac_f64_e32 v[164:165], v[158:159], v[142:143]
	s_wait_loadcnt 0x4
	s_delay_alu instid0(VALU_DEP_1)
	v_fmac_f64_e32 v[164:165], v[134:135], v[144:145]
	scratch_load_b128 v[142:145], off, off offset:424
	s_wait_dscnt 0x0
	v_fmac_f64_e32 v[164:165], v[136:137], v[146:147]
	scratch_load_b128 v[134:137], off, off offset:440
	s_wait_loadcnt 0x5
	v_fmac_f64_e32 v[164:165], v[150:151], v[148:149]
	ds_load_b128 v[146:149], v2 offset:864
	ds_load_b128 v[154:157], v2 offset:880
	s_wait_dscnt 0x1
	v_fmac_f64_e32 v[164:165], v[152:153], v[146:147]
	s_wait_loadcnt 0x4
	s_delay_alu instid0(VALU_DEP_1)
	v_fmac_f64_e32 v[164:165], v[138:139], v[148:149]
	scratch_load_b128 v[146:149], off, off offset:456
	s_wait_dscnt 0x0
	v_fmac_f64_e32 v[164:165], v[140:141], v[154:155]
	scratch_load_b128 v[138:141], off, off offset:472
	s_wait_loadcnt 0x5
	v_fmac_f64_e32 v[164:165], v[160:161], v[156:157]
	ds_load_b128 v[150:153], v2 offset:896
	ds_load_b128 v[154:157], v2 offset:912
	scratch_load_b64 v[158:159], off, off offset:488
	s_wait_dscnt 0x1
	v_fmac_f64_e32 v[164:165], v[162:163], v[150:151]
	s_wait_loadcnt 0x5
	s_delay_alu instid0(VALU_DEP_1) | instskip(SKIP_1) | instid1(VALU_DEP_1)
	v_fmac_f64_e32 v[164:165], v[130:131], v[152:153]
	s_wait_dscnt 0x0
	v_fmac_f64_e32 v[164:165], v[132:133], v[154:155]
	ds_load_b128 v[130:133], v2 offset:928
	ds_load_b128 v[150:153], v2 offset:944
	s_wait_loadcnt 0x4
	v_fmac_f64_e32 v[164:165], v[142:143], v[156:157]
	s_wait_dscnt 0x1
	s_delay_alu instid0(VALU_DEP_1) | instskip(SKIP_1) | instid1(VALU_DEP_1)
	v_fmac_f64_e32 v[164:165], v[144:145], v[130:131]
	s_wait_loadcnt 0x3
	v_fmac_f64_e32 v[164:165], v[134:135], v[132:133]
	s_wait_dscnt 0x0
	s_delay_alu instid0(VALU_DEP_1)
	v_fmac_f64_e32 v[164:165], v[136:137], v[150:151]
	ds_load_b128 v[130:133], v2 offset:960
	ds_load_b128 v[134:137], v2 offset:976
	s_wait_loadcnt 0x2
	v_fmac_f64_e32 v[164:165], v[146:147], v[152:153]
	s_wait_dscnt 0x1
	s_delay_alu instid0(VALU_DEP_1) | instskip(SKIP_1) | instid1(VALU_DEP_1)
	v_fmac_f64_e32 v[164:165], v[148:149], v[130:131]
	s_wait_loadcnt 0x1
	v_fmac_f64_e32 v[164:165], v[138:139], v[132:133]
	s_wait_dscnt 0x0
	s_delay_alu instid0(VALU_DEP_1) | instskip(SKIP_1) | instid1(VALU_DEP_1)
	v_fmac_f64_e32 v[164:165], v[140:141], v[134:135]
	s_wait_loadcnt 0x0
	v_fmac_f64_e32 v[164:165], v[158:159], v[136:137]
	s_delay_alu instid0(VALU_DEP_1)
	v_add_f64_e64 v[2:3], v[128:129], -v[164:165]
	scratch_store_b64 off, v[2:3], off offset:104
	s_wait_xcnt 0x0
	v_cmpx_lt_u32_e32 12, v0
	s_cbranch_execz .LBB61_357
; %bb.356:
	scratch_load_b64 v[2:3], off, off offset:96
	v_mov_b64_e32 v[128:129], 0
	scratch_store_b64 off, v[128:129], off offset:96
	s_wait_loadcnt 0x0
	ds_store_b64 v1, v[2:3]
.LBB61_357:
	s_wait_xcnt 0x0
	s_or_b32 exec_lo, exec_lo, s0
	s_wait_storecnt_dscnt 0x0
	s_barrier_signal -1
	s_barrier_wait -1
	s_clause 0x5
	scratch_load_b128 v[128:131], off, off offset:96
	scratch_load_b128 v[132:135], off, off offset:112
	;; [unrolled: 1-line block ×6, first 2 shown]
	v_mov_b32_e32 v2, 0
	ds_load_2addr_b64 v[152:155], v2 offset0:75 offset1:76
	ds_load_2addr_b64 v[156:159], v2 offset0:77 offset1:78
	scratch_load_b128 v[160:163], off, off offset:192
	s_mov_b32 s0, exec_lo
	s_wait_loadcnt_dscnt 0x601
	v_fma_f64 v[164:165], v[130:131], v[152:153], 0
	s_wait_loadcnt 0x5
	s_delay_alu instid0(VALU_DEP_1) | instskip(SKIP_4) | instid1(VALU_DEP_1)
	v_fmac_f64_e32 v[164:165], v[132:133], v[154:155]
	scratch_load_b128 v[130:133], off, off offset:208
	s_wait_dscnt 0x0
	v_fmac_f64_e32 v[164:165], v[134:135], v[156:157]
	s_wait_loadcnt 0x5
	v_fmac_f64_e32 v[164:165], v[136:137], v[158:159]
	ds_load_2addr_b64 v[134:137], v2 offset0:79 offset1:80
	ds_load_2addr_b64 v[152:155], v2 offset0:81 offset1:82
	scratch_load_b128 v[156:159], off, off offset:224
	s_wait_dscnt 0x1
	v_fmac_f64_e32 v[164:165], v[138:139], v[134:135]
	s_wait_loadcnt 0x5
	s_delay_alu instid0(VALU_DEP_1) | instskip(SKIP_4) | instid1(VALU_DEP_1)
	v_fmac_f64_e32 v[164:165], v[140:141], v[136:137]
	scratch_load_b128 v[134:137], off, off offset:240
	s_wait_dscnt 0x0
	v_fmac_f64_e32 v[164:165], v[142:143], v[152:153]
	s_wait_loadcnt 0x5
	v_fmac_f64_e32 v[164:165], v[144:145], v[154:155]
	ds_load_2addr_b64 v[138:141], v2 offset0:83 offset1:84
	ds_load_2addr_b64 v[142:145], v2 offset0:85 offset1:86
	scratch_load_b128 v[152:155], off, off offset:256
	s_wait_dscnt 0x1
	v_fmac_f64_e32 v[164:165], v[146:147], v[138:139]
	s_wait_loadcnt 0x5
	s_delay_alu instid0(VALU_DEP_1) | instskip(SKIP_4) | instid1(VALU_DEP_1)
	v_fmac_f64_e32 v[164:165], v[148:149], v[140:141]
	scratch_load_b128 v[138:141], off, off offset:272
	s_wait_dscnt 0x0
	v_fmac_f64_e32 v[164:165], v[150:151], v[142:143]
	s_wait_loadcnt 0x5
	v_fmac_f64_e32 v[164:165], v[160:161], v[144:145]
	ds_load_2addr_b64 v[142:145], v2 offset0:87 offset1:88
	ds_load_2addr_b64 v[146:149], v2 offset0:89 offset1:90
	s_wait_dscnt 0x1
	v_fmac_f64_e32 v[164:165], v[162:163], v[142:143]
	scratch_load_b128 v[160:163], off, off offset:288
	s_wait_loadcnt 0x5
	v_fmac_f64_e32 v[164:165], v[130:131], v[144:145]
	s_wait_dscnt 0x0
	s_delay_alu instid0(VALU_DEP_1)
	v_fmac_f64_e32 v[164:165], v[132:133], v[146:147]
	scratch_load_b128 v[130:133], off, off offset:304
	s_wait_loadcnt 0x5
	v_fmac_f64_e32 v[164:165], v[156:157], v[148:149]
	ds_load_2addr_b64 v[142:145], v2 offset0:91 offset1:92
	ds_load_2addr_b64 v[146:149], v2 offset0:93 offset1:94
	s_wait_dscnt 0x1
	v_fmac_f64_e32 v[164:165], v[158:159], v[142:143]
	scratch_load_b128 v[156:159], off, off offset:320
	s_wait_loadcnt 0x5
	v_fmac_f64_e32 v[164:165], v[134:135], v[144:145]
	s_wait_dscnt 0x0
	s_delay_alu instid0(VALU_DEP_1)
	v_fmac_f64_e32 v[164:165], v[136:137], v[146:147]
	scratch_load_b128 v[134:137], off, off offset:336
	s_wait_loadcnt 0x5
	v_fmac_f64_e32 v[164:165], v[152:153], v[148:149]
	ds_load_2addr_b64 v[142:145], v2 offset0:95 offset1:96
	ds_load_2addr_b64 v[146:149], v2 offset0:97 offset1:98
	scratch_load_b128 v[150:153], off, off offset:352
	s_wait_dscnt 0x1
	v_fmac_f64_e32 v[164:165], v[154:155], v[142:143]
	s_wait_loadcnt 0x5
	s_delay_alu instid0(VALU_DEP_1) | instskip(SKIP_1) | instid1(VALU_DEP_1)
	v_fmac_f64_e32 v[164:165], v[138:139], v[144:145]
	s_wait_dscnt 0x0
	v_fmac_f64_e32 v[164:165], v[140:141], v[146:147]
	scratch_load_b128 v[138:141], off, off offset:368
	s_wait_loadcnt 0x5
	v_fmac_f64_e32 v[164:165], v[160:161], v[148:149]
	ds_load_2addr_b64 v[142:145], v2 offset0:99 offset1:100
	ds_load_2addr_b64 v[146:149], v2 offset0:101 offset1:102
	s_wait_dscnt 0x1
	v_fmac_f64_e32 v[164:165], v[162:163], v[142:143]
	scratch_load_b128 v[160:163], off, off offset:384
	s_wait_loadcnt 0x5
	v_fmac_f64_e32 v[164:165], v[130:131], v[144:145]
	s_wait_dscnt 0x0
	s_delay_alu instid0(VALU_DEP_1)
	v_fmac_f64_e32 v[164:165], v[132:133], v[146:147]
	scratch_load_b128 v[130:133], off, off offset:400
	s_wait_loadcnt 0x5
	v_fmac_f64_e32 v[164:165], v[156:157], v[148:149]
	ds_load_2addr_b64 v[142:145], v2 offset0:103 offset1:104
	ds_load_2addr_b64 v[146:149], v2 offset0:105 offset1:106
	s_wait_dscnt 0x1
	v_fmac_f64_e32 v[164:165], v[158:159], v[142:143]
	s_wait_loadcnt 0x4
	s_delay_alu instid0(VALU_DEP_1)
	v_fmac_f64_e32 v[164:165], v[134:135], v[144:145]
	scratch_load_b128 v[142:145], off, off offset:416
	s_wait_dscnt 0x0
	v_fmac_f64_e32 v[164:165], v[136:137], v[146:147]
	scratch_load_b128 v[134:137], off, off offset:432
	s_wait_loadcnt 0x5
	v_fmac_f64_e32 v[164:165], v[150:151], v[148:149]
	ds_load_2addr_b64 v[146:149], v2 offset0:107 offset1:108
	ds_load_2addr_b64 v[154:157], v2 offset0:109 offset1:110
	s_wait_dscnt 0x1
	v_fmac_f64_e32 v[164:165], v[152:153], v[146:147]
	s_wait_loadcnt 0x4
	s_delay_alu instid0(VALU_DEP_1)
	v_fmac_f64_e32 v[164:165], v[138:139], v[148:149]
	scratch_load_b128 v[146:149], off, off offset:448
	s_wait_dscnt 0x0
	v_fmac_f64_e32 v[164:165], v[140:141], v[154:155]
	scratch_load_b128 v[138:141], off, off offset:464
	s_wait_loadcnt 0x5
	v_fmac_f64_e32 v[164:165], v[160:161], v[156:157]
	ds_load_2addr_b64 v[150:153], v2 offset0:111 offset1:112
	ds_load_2addr_b64 v[154:157], v2 offset0:113 offset1:114
	s_wait_dscnt 0x1
	v_fmac_f64_e32 v[164:165], v[162:163], v[150:151]
	s_wait_loadcnt 0x4
	s_delay_alu instid0(VALU_DEP_1) | instskip(SKIP_4) | instid1(VALU_DEP_1)
	v_fmac_f64_e32 v[164:165], v[130:131], v[152:153]
	scratch_load_b128 v[150:153], off, off offset:480
	s_wait_dscnt 0x0
	v_fmac_f64_e32 v[164:165], v[132:133], v[154:155]
	s_wait_loadcnt 0x4
	v_fmac_f64_e32 v[164:165], v[142:143], v[156:157]
	ds_load_2addr_b64 v[130:133], v2 offset0:115 offset1:116
	ds_load_2addr_b64 v[154:157], v2 offset0:117 offset1:118
	s_wait_dscnt 0x1
	v_fmac_f64_e32 v[164:165], v[144:145], v[130:131]
	s_wait_loadcnt 0x3
	s_delay_alu instid0(VALU_DEP_1) | instskip(SKIP_1) | instid1(VALU_DEP_1)
	v_fmac_f64_e32 v[164:165], v[134:135], v[132:133]
	s_wait_dscnt 0x0
	v_fmac_f64_e32 v[164:165], v[136:137], v[154:155]
	ds_load_2addr_b64 v[130:133], v2 offset0:119 offset1:120
	ds_load_2addr_b64 v[134:137], v2 offset0:121 offset1:122
	s_wait_loadcnt 0x2
	v_fmac_f64_e32 v[164:165], v[146:147], v[156:157]
	s_wait_dscnt 0x1
	s_delay_alu instid0(VALU_DEP_1) | instskip(SKIP_4) | instid1(VALU_DEP_1)
	v_fmac_f64_e32 v[164:165], v[148:149], v[130:131]
	ds_load_b64 v[130:131], v2 offset:984
	s_wait_loadcnt 0x1
	v_fmac_f64_e32 v[164:165], v[138:139], v[132:133]
	s_wait_dscnt 0x1
	v_fmac_f64_e32 v[164:165], v[140:141], v[134:135]
	s_wait_loadcnt 0x0
	s_delay_alu instid0(VALU_DEP_1) | instskip(SKIP_1) | instid1(VALU_DEP_1)
	v_fmac_f64_e32 v[164:165], v[150:151], v[136:137]
	s_wait_dscnt 0x0
	v_fmac_f64_e32 v[164:165], v[152:153], v[130:131]
	s_delay_alu instid0(VALU_DEP_1)
	v_add_f64_e64 v[128:129], v[128:129], -v[164:165]
	scratch_store_b64 off, v[128:129], off offset:96
	s_wait_xcnt 0x0
	v_cmpx_lt_u32_e32 11, v0
	s_cbranch_execz .LBB61_359
; %bb.358:
	scratch_load_b64 v[128:129], off, off offset:88
	v_mov_b64_e32 v[130:131], 0
	scratch_store_b64 off, v[130:131], off offset:88
	s_wait_loadcnt 0x0
	ds_store_b64 v1, v[128:129]
.LBB61_359:
	s_wait_xcnt 0x0
	s_or_b32 exec_lo, exec_lo, s0
	s_wait_storecnt_dscnt 0x0
	s_barrier_signal -1
	s_barrier_wait -1
	s_clause 0x5
	scratch_load_b128 v[128:131], off, off offset:88
	scratch_load_b128 v[132:135], off, off offset:104
	;; [unrolled: 1-line block ×6, first 2 shown]
	ds_load_b128 v[152:155], v2 offset:592
	ds_load_b128 v[156:159], v2 offset:608
	scratch_load_b128 v[160:163], off, off offset:184
	s_mov_b32 s0, exec_lo
	s_wait_loadcnt_dscnt 0x601
	v_fma_f64 v[164:165], v[130:131], v[152:153], 0
	s_wait_loadcnt 0x5
	s_delay_alu instid0(VALU_DEP_1) | instskip(SKIP_4) | instid1(VALU_DEP_1)
	v_fmac_f64_e32 v[164:165], v[132:133], v[154:155]
	scratch_load_b128 v[130:133], off, off offset:200
	s_wait_dscnt 0x0
	v_fmac_f64_e32 v[164:165], v[134:135], v[156:157]
	s_wait_loadcnt 0x5
	v_fmac_f64_e32 v[164:165], v[136:137], v[158:159]
	ds_load_b128 v[134:137], v2 offset:624
	ds_load_b128 v[152:155], v2 offset:640
	scratch_load_b128 v[156:159], off, off offset:216
	s_wait_dscnt 0x1
	v_fmac_f64_e32 v[164:165], v[138:139], v[134:135]
	s_wait_loadcnt 0x5
	s_delay_alu instid0(VALU_DEP_1) | instskip(SKIP_4) | instid1(VALU_DEP_1)
	v_fmac_f64_e32 v[164:165], v[140:141], v[136:137]
	scratch_load_b128 v[134:137], off, off offset:232
	s_wait_dscnt 0x0
	v_fmac_f64_e32 v[164:165], v[142:143], v[152:153]
	s_wait_loadcnt 0x5
	v_fmac_f64_e32 v[164:165], v[144:145], v[154:155]
	ds_load_b128 v[138:141], v2 offset:656
	ds_load_b128 v[142:145], v2 offset:672
	scratch_load_b128 v[152:155], off, off offset:248
	s_wait_dscnt 0x1
	v_fmac_f64_e32 v[164:165], v[146:147], v[138:139]
	s_wait_loadcnt 0x5
	s_delay_alu instid0(VALU_DEP_1) | instskip(SKIP_4) | instid1(VALU_DEP_1)
	v_fmac_f64_e32 v[164:165], v[148:149], v[140:141]
	scratch_load_b128 v[138:141], off, off offset:264
	s_wait_dscnt 0x0
	v_fmac_f64_e32 v[164:165], v[150:151], v[142:143]
	s_wait_loadcnt 0x5
	v_fmac_f64_e32 v[164:165], v[160:161], v[144:145]
	ds_load_b128 v[142:145], v2 offset:688
	ds_load_b128 v[146:149], v2 offset:704
	s_wait_dscnt 0x1
	v_fmac_f64_e32 v[164:165], v[162:163], v[142:143]
	scratch_load_b128 v[160:163], off, off offset:280
	s_wait_loadcnt 0x5
	v_fmac_f64_e32 v[164:165], v[130:131], v[144:145]
	s_wait_dscnt 0x0
	s_delay_alu instid0(VALU_DEP_1)
	v_fmac_f64_e32 v[164:165], v[132:133], v[146:147]
	scratch_load_b128 v[130:133], off, off offset:296
	s_wait_loadcnt 0x5
	v_fmac_f64_e32 v[164:165], v[156:157], v[148:149]
	ds_load_b128 v[142:145], v2 offset:720
	ds_load_b128 v[146:149], v2 offset:736
	s_wait_dscnt 0x1
	v_fmac_f64_e32 v[164:165], v[158:159], v[142:143]
	scratch_load_b128 v[156:159], off, off offset:312
	s_wait_loadcnt 0x5
	v_fmac_f64_e32 v[164:165], v[134:135], v[144:145]
	s_wait_dscnt 0x0
	s_delay_alu instid0(VALU_DEP_1)
	v_fmac_f64_e32 v[164:165], v[136:137], v[146:147]
	scratch_load_b128 v[134:137], off, off offset:328
	s_wait_loadcnt 0x5
	v_fmac_f64_e32 v[164:165], v[152:153], v[148:149]
	ds_load_b128 v[142:145], v2 offset:752
	ds_load_b128 v[146:149], v2 offset:768
	scratch_load_b128 v[150:153], off, off offset:344
	s_wait_dscnt 0x1
	v_fmac_f64_e32 v[164:165], v[154:155], v[142:143]
	s_wait_loadcnt 0x5
	s_delay_alu instid0(VALU_DEP_1) | instskip(SKIP_1) | instid1(VALU_DEP_1)
	v_fmac_f64_e32 v[164:165], v[138:139], v[144:145]
	s_wait_dscnt 0x0
	v_fmac_f64_e32 v[164:165], v[140:141], v[146:147]
	scratch_load_b128 v[138:141], off, off offset:360
	s_wait_loadcnt 0x5
	v_fmac_f64_e32 v[164:165], v[160:161], v[148:149]
	ds_load_b128 v[142:145], v2 offset:784
	ds_load_b128 v[146:149], v2 offset:800
	s_wait_dscnt 0x1
	v_fmac_f64_e32 v[164:165], v[162:163], v[142:143]
	scratch_load_b128 v[160:163], off, off offset:376
	s_wait_loadcnt 0x5
	v_fmac_f64_e32 v[164:165], v[130:131], v[144:145]
	s_wait_dscnt 0x0
	s_delay_alu instid0(VALU_DEP_1)
	v_fmac_f64_e32 v[164:165], v[132:133], v[146:147]
	scratch_load_b128 v[130:133], off, off offset:392
	s_wait_loadcnt 0x5
	v_fmac_f64_e32 v[164:165], v[156:157], v[148:149]
	ds_load_b128 v[142:145], v2 offset:816
	ds_load_b128 v[146:149], v2 offset:832
	scratch_load_b128 v[154:157], off, off offset:408
	s_wait_dscnt 0x1
	v_fmac_f64_e32 v[164:165], v[158:159], v[142:143]
	s_wait_loadcnt 0x5
	s_delay_alu instid0(VALU_DEP_1) | instskip(SKIP_1) | instid1(VALU_DEP_1)
	v_fmac_f64_e32 v[164:165], v[134:135], v[144:145]
	s_wait_dscnt 0x0
	v_fmac_f64_e32 v[164:165], v[136:137], v[146:147]
	scratch_load_b128 v[134:137], off, off offset:424
	s_wait_loadcnt 0x5
	v_fmac_f64_e32 v[164:165], v[150:151], v[148:149]
	ds_load_b128 v[142:145], v2 offset:848
	ds_load_b128 v[146:149], v2 offset:864
	s_wait_dscnt 0x1
	v_fmac_f64_e32 v[164:165], v[152:153], v[142:143]
	s_wait_loadcnt 0x4
	s_delay_alu instid0(VALU_DEP_1)
	v_fmac_f64_e32 v[164:165], v[138:139], v[144:145]
	scratch_load_b128 v[142:145], off, off offset:440
	s_wait_dscnt 0x0
	v_fmac_f64_e32 v[164:165], v[140:141], v[146:147]
	scratch_load_b128 v[138:141], off, off offset:456
	s_wait_loadcnt 0x5
	v_fmac_f64_e32 v[164:165], v[160:161], v[148:149]
	ds_load_b128 v[146:149], v2 offset:880
	ds_load_b128 v[150:153], v2 offset:896
	s_wait_dscnt 0x1
	v_fmac_f64_e32 v[164:165], v[162:163], v[146:147]
	s_wait_loadcnt 0x4
	s_delay_alu instid0(VALU_DEP_1) | instskip(SKIP_4) | instid1(VALU_DEP_1)
	v_fmac_f64_e32 v[164:165], v[130:131], v[148:149]
	scratch_load_b128 v[146:149], off, off offset:472
	s_wait_dscnt 0x0
	v_fmac_f64_e32 v[164:165], v[132:133], v[150:151]
	s_wait_loadcnt 0x4
	v_fmac_f64_e32 v[164:165], v[154:155], v[152:153]
	scratch_load_b64 v[154:155], off, off offset:488
	ds_load_b128 v[130:133], v2 offset:912
	ds_load_b128 v[150:153], v2 offset:928
	s_wait_dscnt 0x1
	v_fmac_f64_e32 v[164:165], v[156:157], v[130:131]
	s_wait_loadcnt 0x4
	s_delay_alu instid0(VALU_DEP_1) | instskip(SKIP_1) | instid1(VALU_DEP_1)
	v_fmac_f64_e32 v[164:165], v[134:135], v[132:133]
	s_wait_dscnt 0x0
	v_fmac_f64_e32 v[164:165], v[136:137], v[150:151]
	ds_load_b128 v[130:133], v2 offset:944
	ds_load_b128 v[134:137], v2 offset:960
	s_wait_loadcnt 0x3
	v_fmac_f64_e32 v[164:165], v[142:143], v[152:153]
	s_wait_dscnt 0x1
	s_delay_alu instid0(VALU_DEP_1) | instskip(SKIP_1) | instid1(VALU_DEP_1)
	v_fmac_f64_e32 v[164:165], v[144:145], v[130:131]
	s_wait_loadcnt 0x2
	v_fmac_f64_e32 v[164:165], v[138:139], v[132:133]
	ds_load_b128 v[130:133], v2 offset:976
	s_wait_dscnt 0x1
	v_fmac_f64_e32 v[164:165], v[140:141], v[134:135]
	s_wait_loadcnt 0x1
	s_delay_alu instid0(VALU_DEP_1) | instskip(SKIP_1) | instid1(VALU_DEP_1)
	v_fmac_f64_e32 v[164:165], v[146:147], v[136:137]
	s_wait_dscnt 0x0
	v_fmac_f64_e32 v[164:165], v[148:149], v[130:131]
	s_wait_loadcnt 0x0
	s_delay_alu instid0(VALU_DEP_1) | instskip(NEXT) | instid1(VALU_DEP_1)
	v_fmac_f64_e32 v[164:165], v[154:155], v[132:133]
	v_add_f64_e64 v[2:3], v[128:129], -v[164:165]
	scratch_store_b64 off, v[2:3], off offset:88
	s_wait_xcnt 0x0
	v_cmpx_lt_u32_e32 10, v0
	s_cbranch_execz .LBB61_361
; %bb.360:
	scratch_load_b64 v[2:3], off, off offset:80
	v_mov_b64_e32 v[128:129], 0
	scratch_store_b64 off, v[128:129], off offset:80
	s_wait_loadcnt 0x0
	ds_store_b64 v1, v[2:3]
.LBB61_361:
	s_wait_xcnt 0x0
	s_or_b32 exec_lo, exec_lo, s0
	s_wait_storecnt_dscnt 0x0
	s_barrier_signal -1
	s_barrier_wait -1
	s_clause 0x5
	scratch_load_b128 v[128:131], off, off offset:80
	scratch_load_b128 v[132:135], off, off offset:96
	;; [unrolled: 1-line block ×6, first 2 shown]
	v_mov_b32_e32 v2, 0
	ds_load_2addr_b64 v[152:155], v2 offset0:73 offset1:74
	ds_load_2addr_b64 v[156:159], v2 offset0:75 offset1:76
	scratch_load_b128 v[160:163], off, off offset:176
	s_mov_b32 s0, exec_lo
	s_wait_loadcnt_dscnt 0x601
	v_fma_f64 v[164:165], v[130:131], v[152:153], 0
	s_wait_loadcnt 0x5
	s_delay_alu instid0(VALU_DEP_1) | instskip(SKIP_4) | instid1(VALU_DEP_1)
	v_fmac_f64_e32 v[164:165], v[132:133], v[154:155]
	scratch_load_b128 v[130:133], off, off offset:192
	s_wait_dscnt 0x0
	v_fmac_f64_e32 v[164:165], v[134:135], v[156:157]
	s_wait_loadcnt 0x5
	v_fmac_f64_e32 v[164:165], v[136:137], v[158:159]
	ds_load_2addr_b64 v[134:137], v2 offset0:77 offset1:78
	ds_load_2addr_b64 v[152:155], v2 offset0:79 offset1:80
	scratch_load_b128 v[156:159], off, off offset:208
	s_wait_dscnt 0x1
	v_fmac_f64_e32 v[164:165], v[138:139], v[134:135]
	s_wait_loadcnt 0x5
	s_delay_alu instid0(VALU_DEP_1) | instskip(SKIP_4) | instid1(VALU_DEP_1)
	v_fmac_f64_e32 v[164:165], v[140:141], v[136:137]
	scratch_load_b128 v[134:137], off, off offset:224
	s_wait_dscnt 0x0
	v_fmac_f64_e32 v[164:165], v[142:143], v[152:153]
	s_wait_loadcnt 0x5
	v_fmac_f64_e32 v[164:165], v[144:145], v[154:155]
	ds_load_2addr_b64 v[138:141], v2 offset0:81 offset1:82
	ds_load_2addr_b64 v[142:145], v2 offset0:83 offset1:84
	scratch_load_b128 v[152:155], off, off offset:240
	s_wait_dscnt 0x1
	v_fmac_f64_e32 v[164:165], v[146:147], v[138:139]
	s_wait_loadcnt 0x5
	s_delay_alu instid0(VALU_DEP_1) | instskip(SKIP_4) | instid1(VALU_DEP_1)
	v_fmac_f64_e32 v[164:165], v[148:149], v[140:141]
	scratch_load_b128 v[138:141], off, off offset:256
	s_wait_dscnt 0x0
	v_fmac_f64_e32 v[164:165], v[150:151], v[142:143]
	s_wait_loadcnt 0x5
	v_fmac_f64_e32 v[164:165], v[160:161], v[144:145]
	ds_load_2addr_b64 v[142:145], v2 offset0:85 offset1:86
	ds_load_2addr_b64 v[146:149], v2 offset0:87 offset1:88
	s_wait_dscnt 0x1
	v_fmac_f64_e32 v[164:165], v[162:163], v[142:143]
	scratch_load_b128 v[160:163], off, off offset:272
	s_wait_loadcnt 0x5
	v_fmac_f64_e32 v[164:165], v[130:131], v[144:145]
	s_wait_dscnt 0x0
	s_delay_alu instid0(VALU_DEP_1)
	v_fmac_f64_e32 v[164:165], v[132:133], v[146:147]
	scratch_load_b128 v[130:133], off, off offset:288
	s_wait_loadcnt 0x5
	v_fmac_f64_e32 v[164:165], v[156:157], v[148:149]
	ds_load_2addr_b64 v[142:145], v2 offset0:89 offset1:90
	ds_load_2addr_b64 v[146:149], v2 offset0:91 offset1:92
	s_wait_dscnt 0x1
	v_fmac_f64_e32 v[164:165], v[158:159], v[142:143]
	scratch_load_b128 v[156:159], off, off offset:304
	s_wait_loadcnt 0x5
	v_fmac_f64_e32 v[164:165], v[134:135], v[144:145]
	s_wait_dscnt 0x0
	s_delay_alu instid0(VALU_DEP_1)
	v_fmac_f64_e32 v[164:165], v[136:137], v[146:147]
	scratch_load_b128 v[134:137], off, off offset:320
	s_wait_loadcnt 0x5
	v_fmac_f64_e32 v[164:165], v[152:153], v[148:149]
	ds_load_2addr_b64 v[142:145], v2 offset0:93 offset1:94
	ds_load_2addr_b64 v[146:149], v2 offset0:95 offset1:96
	scratch_load_b128 v[150:153], off, off offset:336
	s_wait_dscnt 0x1
	v_fmac_f64_e32 v[164:165], v[154:155], v[142:143]
	s_wait_loadcnt 0x5
	s_delay_alu instid0(VALU_DEP_1) | instskip(SKIP_1) | instid1(VALU_DEP_1)
	v_fmac_f64_e32 v[164:165], v[138:139], v[144:145]
	s_wait_dscnt 0x0
	v_fmac_f64_e32 v[164:165], v[140:141], v[146:147]
	scratch_load_b128 v[138:141], off, off offset:352
	s_wait_loadcnt 0x5
	v_fmac_f64_e32 v[164:165], v[160:161], v[148:149]
	ds_load_2addr_b64 v[142:145], v2 offset0:97 offset1:98
	ds_load_2addr_b64 v[146:149], v2 offset0:99 offset1:100
	s_wait_dscnt 0x1
	v_fmac_f64_e32 v[164:165], v[162:163], v[142:143]
	scratch_load_b128 v[160:163], off, off offset:368
	s_wait_loadcnt 0x5
	v_fmac_f64_e32 v[164:165], v[130:131], v[144:145]
	s_wait_dscnt 0x0
	s_delay_alu instid0(VALU_DEP_1)
	v_fmac_f64_e32 v[164:165], v[132:133], v[146:147]
	scratch_load_b128 v[130:133], off, off offset:384
	s_wait_loadcnt 0x5
	v_fmac_f64_e32 v[164:165], v[156:157], v[148:149]
	ds_load_2addr_b64 v[142:145], v2 offset0:101 offset1:102
	ds_load_2addr_b64 v[146:149], v2 offset0:103 offset1:104
	scratch_load_b128 v[154:157], off, off offset:400
	s_wait_dscnt 0x1
	v_fmac_f64_e32 v[164:165], v[158:159], v[142:143]
	s_wait_loadcnt 0x5
	s_delay_alu instid0(VALU_DEP_1) | instskip(SKIP_1) | instid1(VALU_DEP_1)
	v_fmac_f64_e32 v[164:165], v[134:135], v[144:145]
	s_wait_dscnt 0x0
	v_fmac_f64_e32 v[164:165], v[136:137], v[146:147]
	scratch_load_b128 v[134:137], off, off offset:416
	s_wait_loadcnt 0x5
	v_fmac_f64_e32 v[164:165], v[150:151], v[148:149]
	ds_load_2addr_b64 v[142:145], v2 offset0:105 offset1:106
	ds_load_2addr_b64 v[146:149], v2 offset0:107 offset1:108
	s_wait_dscnt 0x1
	v_fmac_f64_e32 v[164:165], v[152:153], v[142:143]
	s_wait_loadcnt 0x4
	s_delay_alu instid0(VALU_DEP_1)
	v_fmac_f64_e32 v[164:165], v[138:139], v[144:145]
	scratch_load_b128 v[142:145], off, off offset:432
	s_wait_dscnt 0x0
	v_fmac_f64_e32 v[164:165], v[140:141], v[146:147]
	scratch_load_b128 v[138:141], off, off offset:448
	s_wait_loadcnt 0x5
	v_fmac_f64_e32 v[164:165], v[160:161], v[148:149]
	ds_load_2addr_b64 v[146:149], v2 offset0:109 offset1:110
	ds_load_2addr_b64 v[150:153], v2 offset0:111 offset1:112
	s_wait_dscnt 0x1
	v_fmac_f64_e32 v[164:165], v[162:163], v[146:147]
	s_wait_loadcnt 0x4
	s_delay_alu instid0(VALU_DEP_1)
	v_fmac_f64_e32 v[164:165], v[130:131], v[148:149]
	scratch_load_b128 v[146:149], off, off offset:464
	s_wait_dscnt 0x0
	v_fmac_f64_e32 v[164:165], v[132:133], v[150:151]
	scratch_load_b128 v[130:133], off, off offset:480
	s_wait_loadcnt 0x5
	v_fmac_f64_e32 v[164:165], v[154:155], v[152:153]
	ds_load_2addr_b64 v[150:153], v2 offset0:113 offset1:114
	ds_load_2addr_b64 v[158:161], v2 offset0:115 offset1:116
	s_wait_dscnt 0x1
	v_fmac_f64_e32 v[164:165], v[156:157], v[150:151]
	s_wait_loadcnt 0x4
	s_delay_alu instid0(VALU_DEP_1) | instskip(SKIP_1) | instid1(VALU_DEP_1)
	v_fmac_f64_e32 v[164:165], v[134:135], v[152:153]
	s_wait_dscnt 0x0
	v_fmac_f64_e32 v[164:165], v[136:137], v[158:159]
	ds_load_2addr_b64 v[134:137], v2 offset0:117 offset1:118
	ds_load_2addr_b64 v[150:153], v2 offset0:119 offset1:120
	s_wait_loadcnt 0x3
	v_fmac_f64_e32 v[164:165], v[142:143], v[160:161]
	s_wait_dscnt 0x1
	s_delay_alu instid0(VALU_DEP_1) | instskip(SKIP_1) | instid1(VALU_DEP_1)
	v_fmac_f64_e32 v[164:165], v[144:145], v[134:135]
	s_wait_loadcnt 0x2
	v_fmac_f64_e32 v[164:165], v[138:139], v[136:137]
	ds_load_2addr_b64 v[134:137], v2 offset0:121 offset1:122
	ds_load_b64 v[138:139], v2 offset:984
	s_wait_dscnt 0x2
	v_fmac_f64_e32 v[164:165], v[140:141], v[150:151]
	s_wait_loadcnt 0x1
	s_delay_alu instid0(VALU_DEP_1) | instskip(SKIP_1) | instid1(VALU_DEP_1)
	v_fmac_f64_e32 v[164:165], v[146:147], v[152:153]
	s_wait_dscnt 0x1
	v_fmac_f64_e32 v[164:165], v[148:149], v[134:135]
	s_wait_loadcnt 0x0
	s_delay_alu instid0(VALU_DEP_1) | instskip(SKIP_1) | instid1(VALU_DEP_1)
	v_fmac_f64_e32 v[164:165], v[130:131], v[136:137]
	s_wait_dscnt 0x0
	v_fmac_f64_e32 v[164:165], v[132:133], v[138:139]
	s_delay_alu instid0(VALU_DEP_1)
	v_add_f64_e64 v[128:129], v[128:129], -v[164:165]
	scratch_store_b64 off, v[128:129], off offset:80
	s_wait_xcnt 0x0
	v_cmpx_lt_u32_e32 9, v0
	s_cbranch_execz .LBB61_363
; %bb.362:
	scratch_load_b64 v[128:129], off, off offset:72
	v_mov_b64_e32 v[130:131], 0
	scratch_store_b64 off, v[130:131], off offset:72
	s_wait_loadcnt 0x0
	ds_store_b64 v1, v[128:129]
.LBB61_363:
	s_wait_xcnt 0x0
	s_or_b32 exec_lo, exec_lo, s0
	s_wait_storecnt_dscnt 0x0
	s_barrier_signal -1
	s_barrier_wait -1
	s_clause 0x5
	scratch_load_b128 v[128:131], off, off offset:72
	scratch_load_b128 v[132:135], off, off offset:88
	;; [unrolled: 1-line block ×6, first 2 shown]
	ds_load_b128 v[152:155], v2 offset:576
	ds_load_b128 v[156:159], v2 offset:592
	scratch_load_b128 v[160:163], off, off offset:168
	s_mov_b32 s0, exec_lo
	s_wait_loadcnt_dscnt 0x601
	v_fma_f64 v[164:165], v[130:131], v[152:153], 0
	s_wait_loadcnt 0x5
	s_delay_alu instid0(VALU_DEP_1) | instskip(SKIP_4) | instid1(VALU_DEP_1)
	v_fmac_f64_e32 v[164:165], v[132:133], v[154:155]
	scratch_load_b128 v[130:133], off, off offset:184
	s_wait_dscnt 0x0
	v_fmac_f64_e32 v[164:165], v[134:135], v[156:157]
	s_wait_loadcnt 0x5
	v_fmac_f64_e32 v[164:165], v[136:137], v[158:159]
	ds_load_b128 v[134:137], v2 offset:608
	ds_load_b128 v[152:155], v2 offset:624
	scratch_load_b128 v[156:159], off, off offset:200
	s_wait_dscnt 0x1
	v_fmac_f64_e32 v[164:165], v[138:139], v[134:135]
	s_wait_loadcnt 0x5
	s_delay_alu instid0(VALU_DEP_1) | instskip(SKIP_4) | instid1(VALU_DEP_1)
	v_fmac_f64_e32 v[164:165], v[140:141], v[136:137]
	scratch_load_b128 v[134:137], off, off offset:216
	s_wait_dscnt 0x0
	v_fmac_f64_e32 v[164:165], v[142:143], v[152:153]
	s_wait_loadcnt 0x5
	v_fmac_f64_e32 v[164:165], v[144:145], v[154:155]
	ds_load_b128 v[138:141], v2 offset:640
	ds_load_b128 v[142:145], v2 offset:656
	scratch_load_b128 v[152:155], off, off offset:232
	s_wait_dscnt 0x1
	v_fmac_f64_e32 v[164:165], v[146:147], v[138:139]
	s_wait_loadcnt 0x5
	s_delay_alu instid0(VALU_DEP_1) | instskip(SKIP_4) | instid1(VALU_DEP_1)
	v_fmac_f64_e32 v[164:165], v[148:149], v[140:141]
	scratch_load_b128 v[138:141], off, off offset:248
	s_wait_dscnt 0x0
	v_fmac_f64_e32 v[164:165], v[150:151], v[142:143]
	s_wait_loadcnt 0x5
	v_fmac_f64_e32 v[164:165], v[160:161], v[144:145]
	ds_load_b128 v[142:145], v2 offset:672
	ds_load_b128 v[146:149], v2 offset:688
	s_wait_dscnt 0x1
	v_fmac_f64_e32 v[164:165], v[162:163], v[142:143]
	scratch_load_b128 v[160:163], off, off offset:264
	s_wait_loadcnt 0x5
	v_fmac_f64_e32 v[164:165], v[130:131], v[144:145]
	s_wait_dscnt 0x0
	s_delay_alu instid0(VALU_DEP_1)
	v_fmac_f64_e32 v[164:165], v[132:133], v[146:147]
	scratch_load_b128 v[130:133], off, off offset:280
	s_wait_loadcnt 0x5
	v_fmac_f64_e32 v[164:165], v[156:157], v[148:149]
	ds_load_b128 v[142:145], v2 offset:704
	ds_load_b128 v[146:149], v2 offset:720
	s_wait_dscnt 0x1
	v_fmac_f64_e32 v[164:165], v[158:159], v[142:143]
	scratch_load_b128 v[156:159], off, off offset:296
	s_wait_loadcnt 0x5
	v_fmac_f64_e32 v[164:165], v[134:135], v[144:145]
	s_wait_dscnt 0x0
	s_delay_alu instid0(VALU_DEP_1)
	v_fmac_f64_e32 v[164:165], v[136:137], v[146:147]
	scratch_load_b128 v[134:137], off, off offset:312
	s_wait_loadcnt 0x5
	v_fmac_f64_e32 v[164:165], v[152:153], v[148:149]
	ds_load_b128 v[142:145], v2 offset:736
	ds_load_b128 v[146:149], v2 offset:752
	scratch_load_b128 v[150:153], off, off offset:328
	s_wait_dscnt 0x1
	v_fmac_f64_e32 v[164:165], v[154:155], v[142:143]
	s_wait_loadcnt 0x5
	s_delay_alu instid0(VALU_DEP_1) | instskip(SKIP_1) | instid1(VALU_DEP_1)
	v_fmac_f64_e32 v[164:165], v[138:139], v[144:145]
	s_wait_dscnt 0x0
	v_fmac_f64_e32 v[164:165], v[140:141], v[146:147]
	scratch_load_b128 v[138:141], off, off offset:344
	s_wait_loadcnt 0x5
	v_fmac_f64_e32 v[164:165], v[160:161], v[148:149]
	ds_load_b128 v[142:145], v2 offset:768
	ds_load_b128 v[146:149], v2 offset:784
	s_wait_dscnt 0x1
	v_fmac_f64_e32 v[164:165], v[162:163], v[142:143]
	scratch_load_b128 v[160:163], off, off offset:360
	s_wait_loadcnt 0x5
	v_fmac_f64_e32 v[164:165], v[130:131], v[144:145]
	s_wait_dscnt 0x0
	s_delay_alu instid0(VALU_DEP_1)
	v_fmac_f64_e32 v[164:165], v[132:133], v[146:147]
	scratch_load_b128 v[130:133], off, off offset:376
	s_wait_loadcnt 0x5
	v_fmac_f64_e32 v[164:165], v[156:157], v[148:149]
	ds_load_b128 v[142:145], v2 offset:800
	ds_load_b128 v[146:149], v2 offset:816
	scratch_load_b128 v[154:157], off, off offset:392
	s_wait_dscnt 0x1
	v_fmac_f64_e32 v[164:165], v[158:159], v[142:143]
	s_wait_loadcnt 0x5
	s_delay_alu instid0(VALU_DEP_1) | instskip(SKIP_1) | instid1(VALU_DEP_1)
	v_fmac_f64_e32 v[164:165], v[134:135], v[144:145]
	s_wait_dscnt 0x0
	v_fmac_f64_e32 v[164:165], v[136:137], v[146:147]
	scratch_load_b128 v[134:137], off, off offset:408
	s_wait_loadcnt 0x5
	v_fmac_f64_e32 v[164:165], v[150:151], v[148:149]
	ds_load_b128 v[142:145], v2 offset:832
	ds_load_b128 v[146:149], v2 offset:848
	s_wait_dscnt 0x1
	v_fmac_f64_e32 v[164:165], v[152:153], v[142:143]
	s_wait_loadcnt 0x4
	s_delay_alu instid0(VALU_DEP_1)
	v_fmac_f64_e32 v[164:165], v[138:139], v[144:145]
	scratch_load_b128 v[142:145], off, off offset:424
	s_wait_dscnt 0x0
	v_fmac_f64_e32 v[164:165], v[140:141], v[146:147]
	scratch_load_b128 v[138:141], off, off offset:440
	s_wait_loadcnt 0x5
	v_fmac_f64_e32 v[164:165], v[160:161], v[148:149]
	ds_load_b128 v[146:149], v2 offset:864
	ds_load_b128 v[150:153], v2 offset:880
	s_wait_dscnt 0x1
	v_fmac_f64_e32 v[164:165], v[162:163], v[146:147]
	s_wait_loadcnt 0x4
	s_delay_alu instid0(VALU_DEP_1)
	v_fmac_f64_e32 v[164:165], v[130:131], v[148:149]
	scratch_load_b128 v[146:149], off, off offset:456
	s_wait_dscnt 0x0
	v_fmac_f64_e32 v[164:165], v[132:133], v[150:151]
	scratch_load_b128 v[130:133], off, off offset:472
	s_wait_loadcnt 0x5
	v_fmac_f64_e32 v[164:165], v[154:155], v[152:153]
	ds_load_b128 v[150:153], v2 offset:896
	ds_load_b128 v[158:161], v2 offset:912
	scratch_load_b64 v[154:155], off, off offset:488
	s_wait_dscnt 0x1
	v_fmac_f64_e32 v[164:165], v[156:157], v[150:151]
	s_wait_loadcnt 0x5
	s_delay_alu instid0(VALU_DEP_1) | instskip(SKIP_1) | instid1(VALU_DEP_1)
	v_fmac_f64_e32 v[164:165], v[134:135], v[152:153]
	s_wait_dscnt 0x0
	v_fmac_f64_e32 v[164:165], v[136:137], v[158:159]
	ds_load_b128 v[134:137], v2 offset:928
	ds_load_b128 v[150:153], v2 offset:944
	s_wait_loadcnt 0x4
	v_fmac_f64_e32 v[164:165], v[142:143], v[160:161]
	s_wait_dscnt 0x1
	s_delay_alu instid0(VALU_DEP_1) | instskip(SKIP_1) | instid1(VALU_DEP_1)
	v_fmac_f64_e32 v[164:165], v[144:145], v[134:135]
	s_wait_loadcnt 0x3
	v_fmac_f64_e32 v[164:165], v[138:139], v[136:137]
	s_wait_dscnt 0x0
	s_delay_alu instid0(VALU_DEP_1)
	v_fmac_f64_e32 v[164:165], v[140:141], v[150:151]
	ds_load_b128 v[134:137], v2 offset:960
	ds_load_b128 v[138:141], v2 offset:976
	s_wait_loadcnt 0x2
	v_fmac_f64_e32 v[164:165], v[146:147], v[152:153]
	s_wait_dscnt 0x1
	s_delay_alu instid0(VALU_DEP_1) | instskip(SKIP_1) | instid1(VALU_DEP_1)
	v_fmac_f64_e32 v[164:165], v[148:149], v[134:135]
	s_wait_loadcnt 0x1
	v_fmac_f64_e32 v[164:165], v[130:131], v[136:137]
	s_wait_dscnt 0x0
	s_delay_alu instid0(VALU_DEP_1) | instskip(SKIP_1) | instid1(VALU_DEP_1)
	v_fmac_f64_e32 v[164:165], v[132:133], v[138:139]
	s_wait_loadcnt 0x0
	v_fmac_f64_e32 v[164:165], v[154:155], v[140:141]
	s_delay_alu instid0(VALU_DEP_1)
	v_add_f64_e64 v[2:3], v[128:129], -v[164:165]
	scratch_store_b64 off, v[2:3], off offset:72
	s_wait_xcnt 0x0
	v_cmpx_lt_u32_e32 8, v0
	s_cbranch_execz .LBB61_365
; %bb.364:
	scratch_load_b64 v[2:3], off, off offset:64
	v_mov_b64_e32 v[128:129], 0
	scratch_store_b64 off, v[128:129], off offset:64
	s_wait_loadcnt 0x0
	ds_store_b64 v1, v[2:3]
.LBB61_365:
	s_wait_xcnt 0x0
	s_or_b32 exec_lo, exec_lo, s0
	s_wait_storecnt_dscnt 0x0
	s_barrier_signal -1
	s_barrier_wait -1
	s_clause 0x5
	scratch_load_b128 v[128:131], off, off offset:64
	scratch_load_b128 v[132:135], off, off offset:80
	;; [unrolled: 1-line block ×6, first 2 shown]
	v_mov_b32_e32 v2, 0
	ds_load_2addr_b64 v[152:155], v2 offset0:71 offset1:72
	ds_load_2addr_b64 v[156:159], v2 offset0:73 offset1:74
	scratch_load_b128 v[160:163], off, off offset:160
	s_mov_b32 s0, exec_lo
	s_wait_loadcnt_dscnt 0x601
	v_fma_f64 v[164:165], v[130:131], v[152:153], 0
	s_wait_loadcnt 0x5
	s_delay_alu instid0(VALU_DEP_1) | instskip(SKIP_4) | instid1(VALU_DEP_1)
	v_fmac_f64_e32 v[164:165], v[132:133], v[154:155]
	scratch_load_b128 v[130:133], off, off offset:176
	s_wait_dscnt 0x0
	v_fmac_f64_e32 v[164:165], v[134:135], v[156:157]
	s_wait_loadcnt 0x5
	v_fmac_f64_e32 v[164:165], v[136:137], v[158:159]
	ds_load_2addr_b64 v[134:137], v2 offset0:75 offset1:76
	ds_load_2addr_b64 v[152:155], v2 offset0:77 offset1:78
	scratch_load_b128 v[156:159], off, off offset:192
	s_wait_dscnt 0x1
	v_fmac_f64_e32 v[164:165], v[138:139], v[134:135]
	s_wait_loadcnt 0x5
	s_delay_alu instid0(VALU_DEP_1) | instskip(SKIP_4) | instid1(VALU_DEP_1)
	v_fmac_f64_e32 v[164:165], v[140:141], v[136:137]
	scratch_load_b128 v[134:137], off, off offset:208
	s_wait_dscnt 0x0
	v_fmac_f64_e32 v[164:165], v[142:143], v[152:153]
	s_wait_loadcnt 0x5
	v_fmac_f64_e32 v[164:165], v[144:145], v[154:155]
	ds_load_2addr_b64 v[138:141], v2 offset0:79 offset1:80
	ds_load_2addr_b64 v[142:145], v2 offset0:81 offset1:82
	scratch_load_b128 v[152:155], off, off offset:224
	s_wait_dscnt 0x1
	v_fmac_f64_e32 v[164:165], v[146:147], v[138:139]
	s_wait_loadcnt 0x5
	s_delay_alu instid0(VALU_DEP_1) | instskip(SKIP_4) | instid1(VALU_DEP_1)
	v_fmac_f64_e32 v[164:165], v[148:149], v[140:141]
	scratch_load_b128 v[138:141], off, off offset:240
	s_wait_dscnt 0x0
	v_fmac_f64_e32 v[164:165], v[150:151], v[142:143]
	s_wait_loadcnt 0x5
	v_fmac_f64_e32 v[164:165], v[160:161], v[144:145]
	ds_load_2addr_b64 v[142:145], v2 offset0:83 offset1:84
	ds_load_2addr_b64 v[146:149], v2 offset0:85 offset1:86
	s_wait_dscnt 0x1
	v_fmac_f64_e32 v[164:165], v[162:163], v[142:143]
	scratch_load_b128 v[160:163], off, off offset:256
	s_wait_loadcnt 0x5
	v_fmac_f64_e32 v[164:165], v[130:131], v[144:145]
	s_wait_dscnt 0x0
	s_delay_alu instid0(VALU_DEP_1)
	v_fmac_f64_e32 v[164:165], v[132:133], v[146:147]
	scratch_load_b128 v[130:133], off, off offset:272
	s_wait_loadcnt 0x5
	v_fmac_f64_e32 v[164:165], v[156:157], v[148:149]
	ds_load_2addr_b64 v[142:145], v2 offset0:87 offset1:88
	ds_load_2addr_b64 v[146:149], v2 offset0:89 offset1:90
	s_wait_dscnt 0x1
	v_fmac_f64_e32 v[164:165], v[158:159], v[142:143]
	scratch_load_b128 v[156:159], off, off offset:288
	s_wait_loadcnt 0x5
	v_fmac_f64_e32 v[164:165], v[134:135], v[144:145]
	s_wait_dscnt 0x0
	s_delay_alu instid0(VALU_DEP_1)
	v_fmac_f64_e32 v[164:165], v[136:137], v[146:147]
	scratch_load_b128 v[134:137], off, off offset:304
	s_wait_loadcnt 0x5
	v_fmac_f64_e32 v[164:165], v[152:153], v[148:149]
	ds_load_2addr_b64 v[142:145], v2 offset0:91 offset1:92
	ds_load_2addr_b64 v[146:149], v2 offset0:93 offset1:94
	scratch_load_b128 v[150:153], off, off offset:320
	s_wait_dscnt 0x1
	v_fmac_f64_e32 v[164:165], v[154:155], v[142:143]
	s_wait_loadcnt 0x5
	s_delay_alu instid0(VALU_DEP_1) | instskip(SKIP_1) | instid1(VALU_DEP_1)
	v_fmac_f64_e32 v[164:165], v[138:139], v[144:145]
	s_wait_dscnt 0x0
	v_fmac_f64_e32 v[164:165], v[140:141], v[146:147]
	scratch_load_b128 v[138:141], off, off offset:336
	s_wait_loadcnt 0x5
	v_fmac_f64_e32 v[164:165], v[160:161], v[148:149]
	ds_load_2addr_b64 v[142:145], v2 offset0:95 offset1:96
	ds_load_2addr_b64 v[146:149], v2 offset0:97 offset1:98
	s_wait_dscnt 0x1
	v_fmac_f64_e32 v[164:165], v[162:163], v[142:143]
	scratch_load_b128 v[160:163], off, off offset:352
	s_wait_loadcnt 0x5
	v_fmac_f64_e32 v[164:165], v[130:131], v[144:145]
	s_wait_dscnt 0x0
	s_delay_alu instid0(VALU_DEP_1)
	v_fmac_f64_e32 v[164:165], v[132:133], v[146:147]
	scratch_load_b128 v[130:133], off, off offset:368
	s_wait_loadcnt 0x5
	v_fmac_f64_e32 v[164:165], v[156:157], v[148:149]
	ds_load_2addr_b64 v[142:145], v2 offset0:99 offset1:100
	ds_load_2addr_b64 v[146:149], v2 offset0:101 offset1:102
	scratch_load_b128 v[154:157], off, off offset:384
	s_wait_dscnt 0x1
	v_fmac_f64_e32 v[164:165], v[158:159], v[142:143]
	s_wait_loadcnt 0x5
	s_delay_alu instid0(VALU_DEP_1) | instskip(SKIP_1) | instid1(VALU_DEP_1)
	v_fmac_f64_e32 v[164:165], v[134:135], v[144:145]
	s_wait_dscnt 0x0
	v_fmac_f64_e32 v[164:165], v[136:137], v[146:147]
	scratch_load_b128 v[134:137], off, off offset:400
	s_wait_loadcnt 0x5
	v_fmac_f64_e32 v[164:165], v[150:151], v[148:149]
	ds_load_2addr_b64 v[142:145], v2 offset0:103 offset1:104
	ds_load_2addr_b64 v[146:149], v2 offset0:105 offset1:106
	s_wait_dscnt 0x1
	v_fmac_f64_e32 v[164:165], v[152:153], v[142:143]
	s_wait_loadcnt 0x4
	s_delay_alu instid0(VALU_DEP_1)
	v_fmac_f64_e32 v[164:165], v[138:139], v[144:145]
	scratch_load_b128 v[142:145], off, off offset:416
	s_wait_dscnt 0x0
	v_fmac_f64_e32 v[164:165], v[140:141], v[146:147]
	scratch_load_b128 v[138:141], off, off offset:432
	s_wait_loadcnt 0x5
	v_fmac_f64_e32 v[164:165], v[160:161], v[148:149]
	ds_load_2addr_b64 v[146:149], v2 offset0:107 offset1:108
	ds_load_2addr_b64 v[150:153], v2 offset0:109 offset1:110
	s_wait_dscnt 0x1
	v_fmac_f64_e32 v[164:165], v[162:163], v[146:147]
	s_wait_loadcnt 0x4
	s_delay_alu instid0(VALU_DEP_1)
	v_fmac_f64_e32 v[164:165], v[130:131], v[148:149]
	scratch_load_b128 v[146:149], off, off offset:448
	;; [unrolled: 13-line block ×3, first 2 shown]
	s_wait_dscnt 0x0
	v_fmac_f64_e32 v[164:165], v[136:137], v[158:159]
	ds_load_2addr_b64 v[134:137], v2 offset0:115 offset1:116
	ds_load_2addr_b64 v[154:157], v2 offset0:117 offset1:118
	s_wait_loadcnt 0x4
	v_fmac_f64_e32 v[164:165], v[142:143], v[160:161]
	s_wait_dscnt 0x1
	s_delay_alu instid0(VALU_DEP_1) | instskip(SKIP_1) | instid1(VALU_DEP_1)
	v_fmac_f64_e32 v[164:165], v[144:145], v[134:135]
	s_wait_loadcnt 0x3
	v_fmac_f64_e32 v[164:165], v[138:139], v[136:137]
	s_wait_dscnt 0x0
	s_delay_alu instid0(VALU_DEP_1)
	v_fmac_f64_e32 v[164:165], v[140:141], v[154:155]
	ds_load_2addr_b64 v[134:137], v2 offset0:119 offset1:120
	ds_load_2addr_b64 v[138:141], v2 offset0:121 offset1:122
	s_wait_loadcnt 0x2
	v_fmac_f64_e32 v[164:165], v[146:147], v[156:157]
	s_wait_dscnt 0x1
	s_delay_alu instid0(VALU_DEP_1) | instskip(SKIP_1) | instid1(VALU_DEP_1)
	v_fmac_f64_e32 v[164:165], v[148:149], v[134:135]
	s_wait_loadcnt 0x1
	v_fmac_f64_e32 v[164:165], v[130:131], v[136:137]
	ds_load_b64 v[130:131], v2 offset:984
	s_wait_dscnt 0x1
	v_fmac_f64_e32 v[164:165], v[132:133], v[138:139]
	s_wait_loadcnt 0x0
	s_delay_alu instid0(VALU_DEP_1) | instskip(SKIP_1) | instid1(VALU_DEP_1)
	v_fmac_f64_e32 v[164:165], v[150:151], v[140:141]
	s_wait_dscnt 0x0
	v_fmac_f64_e32 v[164:165], v[152:153], v[130:131]
	s_delay_alu instid0(VALU_DEP_1)
	v_add_f64_e64 v[128:129], v[128:129], -v[164:165]
	scratch_store_b64 off, v[128:129], off offset:64
	s_wait_xcnt 0x0
	v_cmpx_lt_u32_e32 7, v0
	s_cbranch_execz .LBB61_367
; %bb.366:
	scratch_load_b64 v[128:129], off, off offset:56
	v_mov_b64_e32 v[130:131], 0
	scratch_store_b64 off, v[130:131], off offset:56
	s_wait_loadcnt 0x0
	ds_store_b64 v1, v[128:129]
.LBB61_367:
	s_wait_xcnt 0x0
	s_or_b32 exec_lo, exec_lo, s0
	s_wait_storecnt_dscnt 0x0
	s_barrier_signal -1
	s_barrier_wait -1
	s_clause 0x5
	scratch_load_b128 v[128:131], off, off offset:56
	scratch_load_b128 v[132:135], off, off offset:72
	;; [unrolled: 1-line block ×6, first 2 shown]
	ds_load_b128 v[152:155], v2 offset:560
	ds_load_b128 v[156:159], v2 offset:576
	scratch_load_b128 v[160:163], off, off offset:152
	s_mov_b32 s0, exec_lo
	s_wait_loadcnt_dscnt 0x601
	v_fma_f64 v[164:165], v[130:131], v[152:153], 0
	s_wait_loadcnt 0x5
	s_delay_alu instid0(VALU_DEP_1) | instskip(SKIP_4) | instid1(VALU_DEP_1)
	v_fmac_f64_e32 v[164:165], v[132:133], v[154:155]
	scratch_load_b128 v[130:133], off, off offset:168
	s_wait_dscnt 0x0
	v_fmac_f64_e32 v[164:165], v[134:135], v[156:157]
	s_wait_loadcnt 0x5
	v_fmac_f64_e32 v[164:165], v[136:137], v[158:159]
	ds_load_b128 v[134:137], v2 offset:592
	ds_load_b128 v[152:155], v2 offset:608
	scratch_load_b128 v[156:159], off, off offset:184
	s_wait_dscnt 0x1
	v_fmac_f64_e32 v[164:165], v[138:139], v[134:135]
	s_wait_loadcnt 0x5
	s_delay_alu instid0(VALU_DEP_1) | instskip(SKIP_4) | instid1(VALU_DEP_1)
	v_fmac_f64_e32 v[164:165], v[140:141], v[136:137]
	scratch_load_b128 v[134:137], off, off offset:200
	s_wait_dscnt 0x0
	v_fmac_f64_e32 v[164:165], v[142:143], v[152:153]
	s_wait_loadcnt 0x5
	v_fmac_f64_e32 v[164:165], v[144:145], v[154:155]
	ds_load_b128 v[138:141], v2 offset:624
	ds_load_b128 v[142:145], v2 offset:640
	scratch_load_b128 v[152:155], off, off offset:216
	s_wait_dscnt 0x1
	v_fmac_f64_e32 v[164:165], v[146:147], v[138:139]
	s_wait_loadcnt 0x5
	s_delay_alu instid0(VALU_DEP_1) | instskip(SKIP_4) | instid1(VALU_DEP_1)
	v_fmac_f64_e32 v[164:165], v[148:149], v[140:141]
	scratch_load_b128 v[138:141], off, off offset:232
	s_wait_dscnt 0x0
	v_fmac_f64_e32 v[164:165], v[150:151], v[142:143]
	s_wait_loadcnt 0x5
	v_fmac_f64_e32 v[164:165], v[160:161], v[144:145]
	ds_load_b128 v[142:145], v2 offset:656
	ds_load_b128 v[146:149], v2 offset:672
	s_wait_dscnt 0x1
	v_fmac_f64_e32 v[164:165], v[162:163], v[142:143]
	scratch_load_b128 v[160:163], off, off offset:248
	s_wait_loadcnt 0x5
	v_fmac_f64_e32 v[164:165], v[130:131], v[144:145]
	s_wait_dscnt 0x0
	s_delay_alu instid0(VALU_DEP_1)
	v_fmac_f64_e32 v[164:165], v[132:133], v[146:147]
	scratch_load_b128 v[130:133], off, off offset:264
	s_wait_loadcnt 0x5
	v_fmac_f64_e32 v[164:165], v[156:157], v[148:149]
	ds_load_b128 v[142:145], v2 offset:688
	ds_load_b128 v[146:149], v2 offset:704
	s_wait_dscnt 0x1
	v_fmac_f64_e32 v[164:165], v[158:159], v[142:143]
	scratch_load_b128 v[156:159], off, off offset:280
	s_wait_loadcnt 0x5
	v_fmac_f64_e32 v[164:165], v[134:135], v[144:145]
	s_wait_dscnt 0x0
	s_delay_alu instid0(VALU_DEP_1)
	v_fmac_f64_e32 v[164:165], v[136:137], v[146:147]
	scratch_load_b128 v[134:137], off, off offset:296
	s_wait_loadcnt 0x5
	v_fmac_f64_e32 v[164:165], v[152:153], v[148:149]
	ds_load_b128 v[142:145], v2 offset:720
	ds_load_b128 v[146:149], v2 offset:736
	scratch_load_b128 v[150:153], off, off offset:312
	s_wait_dscnt 0x1
	v_fmac_f64_e32 v[164:165], v[154:155], v[142:143]
	s_wait_loadcnt 0x5
	s_delay_alu instid0(VALU_DEP_1) | instskip(SKIP_1) | instid1(VALU_DEP_1)
	v_fmac_f64_e32 v[164:165], v[138:139], v[144:145]
	s_wait_dscnt 0x0
	v_fmac_f64_e32 v[164:165], v[140:141], v[146:147]
	scratch_load_b128 v[138:141], off, off offset:328
	s_wait_loadcnt 0x5
	v_fmac_f64_e32 v[164:165], v[160:161], v[148:149]
	ds_load_b128 v[142:145], v2 offset:752
	ds_load_b128 v[146:149], v2 offset:768
	s_wait_dscnt 0x1
	v_fmac_f64_e32 v[164:165], v[162:163], v[142:143]
	scratch_load_b128 v[160:163], off, off offset:344
	s_wait_loadcnt 0x5
	v_fmac_f64_e32 v[164:165], v[130:131], v[144:145]
	s_wait_dscnt 0x0
	s_delay_alu instid0(VALU_DEP_1)
	v_fmac_f64_e32 v[164:165], v[132:133], v[146:147]
	scratch_load_b128 v[130:133], off, off offset:360
	s_wait_loadcnt 0x5
	v_fmac_f64_e32 v[164:165], v[156:157], v[148:149]
	ds_load_b128 v[142:145], v2 offset:784
	ds_load_b128 v[146:149], v2 offset:800
	scratch_load_b128 v[154:157], off, off offset:376
	s_wait_dscnt 0x1
	v_fmac_f64_e32 v[164:165], v[158:159], v[142:143]
	s_wait_loadcnt 0x5
	s_delay_alu instid0(VALU_DEP_1) | instskip(SKIP_1) | instid1(VALU_DEP_1)
	v_fmac_f64_e32 v[164:165], v[134:135], v[144:145]
	s_wait_dscnt 0x0
	v_fmac_f64_e32 v[164:165], v[136:137], v[146:147]
	scratch_load_b128 v[134:137], off, off offset:392
	s_wait_loadcnt 0x5
	v_fmac_f64_e32 v[164:165], v[150:151], v[148:149]
	ds_load_b128 v[142:145], v2 offset:816
	ds_load_b128 v[146:149], v2 offset:832
	s_wait_dscnt 0x1
	v_fmac_f64_e32 v[164:165], v[152:153], v[142:143]
	scratch_load_b128 v[150:153], off, off offset:408
	s_wait_loadcnt 0x5
	v_fmac_f64_e32 v[164:165], v[138:139], v[144:145]
	s_wait_dscnt 0x0
	s_delay_alu instid0(VALU_DEP_1)
	v_fmac_f64_e32 v[164:165], v[140:141], v[146:147]
	scratch_load_b128 v[138:141], off, off offset:424
	s_wait_loadcnt 0x5
	v_fmac_f64_e32 v[164:165], v[160:161], v[148:149]
	ds_load_b128 v[142:145], v2 offset:848
	ds_load_b128 v[146:149], v2 offset:864
	s_wait_dscnt 0x1
	v_fmac_f64_e32 v[164:165], v[162:163], v[142:143]
	s_wait_loadcnt 0x4
	s_delay_alu instid0(VALU_DEP_1)
	v_fmac_f64_e32 v[164:165], v[130:131], v[144:145]
	scratch_load_b128 v[142:145], off, off offset:440
	s_wait_dscnt 0x0
	v_fmac_f64_e32 v[164:165], v[132:133], v[146:147]
	scratch_load_b128 v[130:133], off, off offset:456
	s_wait_loadcnt 0x5
	v_fmac_f64_e32 v[164:165], v[154:155], v[148:149]
	ds_load_b128 v[146:149], v2 offset:880
	ds_load_b128 v[158:161], v2 offset:896
	s_wait_dscnt 0x1
	v_fmac_f64_e32 v[164:165], v[156:157], v[146:147]
	s_wait_loadcnt 0x4
	s_delay_alu instid0(VALU_DEP_1) | instskip(SKIP_4) | instid1(VALU_DEP_1)
	v_fmac_f64_e32 v[164:165], v[134:135], v[148:149]
	scratch_load_b128 v[146:149], off, off offset:472
	s_wait_dscnt 0x0
	v_fmac_f64_e32 v[164:165], v[136:137], v[158:159]
	s_wait_loadcnt 0x4
	v_fmac_f64_e32 v[164:165], v[150:151], v[160:161]
	scratch_load_b64 v[150:151], off, off offset:488
	ds_load_b128 v[134:137], v2 offset:912
	ds_load_b128 v[154:157], v2 offset:928
	s_wait_dscnt 0x1
	v_fmac_f64_e32 v[164:165], v[152:153], v[134:135]
	s_wait_loadcnt 0x4
	s_delay_alu instid0(VALU_DEP_1) | instskip(SKIP_1) | instid1(VALU_DEP_1)
	v_fmac_f64_e32 v[164:165], v[138:139], v[136:137]
	s_wait_dscnt 0x0
	v_fmac_f64_e32 v[164:165], v[140:141], v[154:155]
	ds_load_b128 v[134:137], v2 offset:944
	ds_load_b128 v[138:141], v2 offset:960
	s_wait_loadcnt 0x3
	v_fmac_f64_e32 v[164:165], v[142:143], v[156:157]
	s_wait_dscnt 0x1
	s_delay_alu instid0(VALU_DEP_1) | instskip(SKIP_1) | instid1(VALU_DEP_1)
	v_fmac_f64_e32 v[164:165], v[144:145], v[134:135]
	s_wait_loadcnt 0x2
	v_fmac_f64_e32 v[164:165], v[130:131], v[136:137]
	s_wait_dscnt 0x0
	s_delay_alu instid0(VALU_DEP_1) | instskip(SKIP_4) | instid1(VALU_DEP_1)
	v_fmac_f64_e32 v[164:165], v[132:133], v[138:139]
	ds_load_b128 v[130:133], v2 offset:976
	s_wait_loadcnt 0x1
	v_fmac_f64_e32 v[164:165], v[146:147], v[140:141]
	s_wait_dscnt 0x0
	v_fmac_f64_e32 v[164:165], v[148:149], v[130:131]
	s_wait_loadcnt 0x0
	s_delay_alu instid0(VALU_DEP_1) | instskip(NEXT) | instid1(VALU_DEP_1)
	v_fmac_f64_e32 v[164:165], v[150:151], v[132:133]
	v_add_f64_e64 v[2:3], v[128:129], -v[164:165]
	scratch_store_b64 off, v[2:3], off offset:56
	s_wait_xcnt 0x0
	v_cmpx_lt_u32_e32 6, v0
	s_cbranch_execz .LBB61_369
; %bb.368:
	scratch_load_b64 v[2:3], off, off offset:48
	v_mov_b64_e32 v[128:129], 0
	scratch_store_b64 off, v[128:129], off offset:48
	s_wait_loadcnt 0x0
	ds_store_b64 v1, v[2:3]
.LBB61_369:
	s_wait_xcnt 0x0
	s_or_b32 exec_lo, exec_lo, s0
	s_wait_storecnt_dscnt 0x0
	s_barrier_signal -1
	s_barrier_wait -1
	s_clause 0x5
	scratch_load_b128 v[128:131], off, off offset:48
	scratch_load_b128 v[132:135], off, off offset:64
	;; [unrolled: 1-line block ×6, first 2 shown]
	v_mov_b32_e32 v2, 0
	ds_load_2addr_b64 v[152:155], v2 offset0:69 offset1:70
	ds_load_2addr_b64 v[156:159], v2 offset0:71 offset1:72
	scratch_load_b128 v[160:163], off, off offset:144
	s_mov_b32 s0, exec_lo
	s_wait_loadcnt_dscnt 0x601
	v_fma_f64 v[164:165], v[130:131], v[152:153], 0
	s_wait_loadcnt 0x5
	s_delay_alu instid0(VALU_DEP_1) | instskip(SKIP_4) | instid1(VALU_DEP_1)
	v_fmac_f64_e32 v[164:165], v[132:133], v[154:155]
	scratch_load_b128 v[130:133], off, off offset:160
	s_wait_dscnt 0x0
	v_fmac_f64_e32 v[164:165], v[134:135], v[156:157]
	s_wait_loadcnt 0x5
	v_fmac_f64_e32 v[164:165], v[136:137], v[158:159]
	ds_load_2addr_b64 v[134:137], v2 offset0:73 offset1:74
	ds_load_2addr_b64 v[152:155], v2 offset0:75 offset1:76
	scratch_load_b128 v[156:159], off, off offset:176
	s_wait_dscnt 0x1
	v_fmac_f64_e32 v[164:165], v[138:139], v[134:135]
	s_wait_loadcnt 0x5
	s_delay_alu instid0(VALU_DEP_1) | instskip(SKIP_4) | instid1(VALU_DEP_1)
	v_fmac_f64_e32 v[164:165], v[140:141], v[136:137]
	scratch_load_b128 v[134:137], off, off offset:192
	s_wait_dscnt 0x0
	v_fmac_f64_e32 v[164:165], v[142:143], v[152:153]
	s_wait_loadcnt 0x5
	v_fmac_f64_e32 v[164:165], v[144:145], v[154:155]
	ds_load_2addr_b64 v[138:141], v2 offset0:77 offset1:78
	ds_load_2addr_b64 v[142:145], v2 offset0:79 offset1:80
	scratch_load_b128 v[152:155], off, off offset:208
	s_wait_dscnt 0x1
	v_fmac_f64_e32 v[164:165], v[146:147], v[138:139]
	s_wait_loadcnt 0x5
	s_delay_alu instid0(VALU_DEP_1) | instskip(SKIP_4) | instid1(VALU_DEP_1)
	v_fmac_f64_e32 v[164:165], v[148:149], v[140:141]
	scratch_load_b128 v[138:141], off, off offset:224
	s_wait_dscnt 0x0
	v_fmac_f64_e32 v[164:165], v[150:151], v[142:143]
	s_wait_loadcnt 0x5
	v_fmac_f64_e32 v[164:165], v[160:161], v[144:145]
	ds_load_2addr_b64 v[142:145], v2 offset0:81 offset1:82
	ds_load_2addr_b64 v[146:149], v2 offset0:83 offset1:84
	s_wait_dscnt 0x1
	v_fmac_f64_e32 v[164:165], v[162:163], v[142:143]
	scratch_load_b128 v[160:163], off, off offset:240
	s_wait_loadcnt 0x5
	v_fmac_f64_e32 v[164:165], v[130:131], v[144:145]
	s_wait_dscnt 0x0
	s_delay_alu instid0(VALU_DEP_1)
	v_fmac_f64_e32 v[164:165], v[132:133], v[146:147]
	scratch_load_b128 v[130:133], off, off offset:256
	s_wait_loadcnt 0x5
	v_fmac_f64_e32 v[164:165], v[156:157], v[148:149]
	ds_load_2addr_b64 v[142:145], v2 offset0:85 offset1:86
	ds_load_2addr_b64 v[146:149], v2 offset0:87 offset1:88
	s_wait_dscnt 0x1
	v_fmac_f64_e32 v[164:165], v[158:159], v[142:143]
	scratch_load_b128 v[156:159], off, off offset:272
	s_wait_loadcnt 0x5
	v_fmac_f64_e32 v[164:165], v[134:135], v[144:145]
	s_wait_dscnt 0x0
	s_delay_alu instid0(VALU_DEP_1)
	v_fmac_f64_e32 v[164:165], v[136:137], v[146:147]
	scratch_load_b128 v[134:137], off, off offset:288
	s_wait_loadcnt 0x5
	v_fmac_f64_e32 v[164:165], v[152:153], v[148:149]
	ds_load_2addr_b64 v[142:145], v2 offset0:89 offset1:90
	ds_load_2addr_b64 v[146:149], v2 offset0:91 offset1:92
	scratch_load_b128 v[150:153], off, off offset:304
	s_wait_dscnt 0x1
	v_fmac_f64_e32 v[164:165], v[154:155], v[142:143]
	s_wait_loadcnt 0x5
	s_delay_alu instid0(VALU_DEP_1) | instskip(SKIP_1) | instid1(VALU_DEP_1)
	v_fmac_f64_e32 v[164:165], v[138:139], v[144:145]
	s_wait_dscnt 0x0
	v_fmac_f64_e32 v[164:165], v[140:141], v[146:147]
	scratch_load_b128 v[138:141], off, off offset:320
	s_wait_loadcnt 0x5
	v_fmac_f64_e32 v[164:165], v[160:161], v[148:149]
	ds_load_2addr_b64 v[142:145], v2 offset0:93 offset1:94
	ds_load_2addr_b64 v[146:149], v2 offset0:95 offset1:96
	s_wait_dscnt 0x1
	v_fmac_f64_e32 v[164:165], v[162:163], v[142:143]
	scratch_load_b128 v[160:163], off, off offset:336
	s_wait_loadcnt 0x5
	v_fmac_f64_e32 v[164:165], v[130:131], v[144:145]
	s_wait_dscnt 0x0
	s_delay_alu instid0(VALU_DEP_1)
	v_fmac_f64_e32 v[164:165], v[132:133], v[146:147]
	scratch_load_b128 v[130:133], off, off offset:352
	s_wait_loadcnt 0x5
	v_fmac_f64_e32 v[164:165], v[156:157], v[148:149]
	ds_load_2addr_b64 v[142:145], v2 offset0:97 offset1:98
	ds_load_2addr_b64 v[146:149], v2 offset0:99 offset1:100
	scratch_load_b128 v[154:157], off, off offset:368
	s_wait_dscnt 0x1
	v_fmac_f64_e32 v[164:165], v[158:159], v[142:143]
	s_wait_loadcnt 0x5
	s_delay_alu instid0(VALU_DEP_1) | instskip(SKIP_1) | instid1(VALU_DEP_1)
	v_fmac_f64_e32 v[164:165], v[134:135], v[144:145]
	s_wait_dscnt 0x0
	v_fmac_f64_e32 v[164:165], v[136:137], v[146:147]
	scratch_load_b128 v[134:137], off, off offset:384
	s_wait_loadcnt 0x5
	v_fmac_f64_e32 v[164:165], v[150:151], v[148:149]
	ds_load_2addr_b64 v[142:145], v2 offset0:101 offset1:102
	ds_load_2addr_b64 v[146:149], v2 offset0:103 offset1:104
	s_wait_dscnt 0x1
	v_fmac_f64_e32 v[164:165], v[152:153], v[142:143]
	scratch_load_b128 v[150:153], off, off offset:400
	s_wait_loadcnt 0x5
	v_fmac_f64_e32 v[164:165], v[138:139], v[144:145]
	s_wait_dscnt 0x0
	s_delay_alu instid0(VALU_DEP_1)
	v_fmac_f64_e32 v[164:165], v[140:141], v[146:147]
	scratch_load_b128 v[138:141], off, off offset:416
	s_wait_loadcnt 0x5
	v_fmac_f64_e32 v[164:165], v[160:161], v[148:149]
	ds_load_2addr_b64 v[142:145], v2 offset0:105 offset1:106
	ds_load_2addr_b64 v[146:149], v2 offset0:107 offset1:108
	s_wait_dscnt 0x1
	v_fmac_f64_e32 v[164:165], v[162:163], v[142:143]
	s_wait_loadcnt 0x4
	s_delay_alu instid0(VALU_DEP_1)
	v_fmac_f64_e32 v[164:165], v[130:131], v[144:145]
	scratch_load_b128 v[142:145], off, off offset:432
	s_wait_dscnt 0x0
	v_fmac_f64_e32 v[164:165], v[132:133], v[146:147]
	scratch_load_b128 v[130:133], off, off offset:448
	s_wait_loadcnt 0x5
	v_fmac_f64_e32 v[164:165], v[154:155], v[148:149]
	ds_load_2addr_b64 v[146:149], v2 offset0:109 offset1:110
	ds_load_2addr_b64 v[158:161], v2 offset0:111 offset1:112
	s_wait_dscnt 0x1
	v_fmac_f64_e32 v[164:165], v[156:157], v[146:147]
	s_wait_loadcnt 0x4
	s_delay_alu instid0(VALU_DEP_1)
	v_fmac_f64_e32 v[164:165], v[134:135], v[148:149]
	scratch_load_b128 v[146:149], off, off offset:464
	s_wait_dscnt 0x0
	v_fmac_f64_e32 v[164:165], v[136:137], v[158:159]
	scratch_load_b128 v[134:137], off, off offset:480
	s_wait_loadcnt 0x5
	v_fmac_f64_e32 v[164:165], v[150:151], v[160:161]
	ds_load_2addr_b64 v[154:157], v2 offset0:113 offset1:114
	ds_load_2addr_b64 v[158:161], v2 offset0:115 offset1:116
	s_wait_dscnt 0x1
	v_fmac_f64_e32 v[164:165], v[152:153], v[154:155]
	s_wait_loadcnt 0x4
	s_delay_alu instid0(VALU_DEP_1) | instskip(SKIP_1) | instid1(VALU_DEP_1)
	v_fmac_f64_e32 v[164:165], v[138:139], v[156:157]
	s_wait_dscnt 0x0
	v_fmac_f64_e32 v[164:165], v[140:141], v[158:159]
	ds_load_2addr_b64 v[138:141], v2 offset0:117 offset1:118
	ds_load_2addr_b64 v[150:153], v2 offset0:119 offset1:120
	s_wait_loadcnt 0x3
	v_fmac_f64_e32 v[164:165], v[142:143], v[160:161]
	s_wait_dscnt 0x1
	s_delay_alu instid0(VALU_DEP_1) | instskip(SKIP_1) | instid1(VALU_DEP_1)
	v_fmac_f64_e32 v[164:165], v[144:145], v[138:139]
	s_wait_loadcnt 0x2
	v_fmac_f64_e32 v[164:165], v[130:131], v[140:141]
	s_wait_dscnt 0x0
	s_delay_alu instid0(VALU_DEP_1)
	v_fmac_f64_e32 v[164:165], v[132:133], v[150:151]
	ds_load_2addr_b64 v[130:133], v2 offset0:121 offset1:122
	ds_load_b64 v[138:139], v2 offset:984
	s_wait_loadcnt 0x1
	v_fmac_f64_e32 v[164:165], v[146:147], v[152:153]
	s_wait_dscnt 0x1
	s_delay_alu instid0(VALU_DEP_1) | instskip(SKIP_1) | instid1(VALU_DEP_1)
	v_fmac_f64_e32 v[164:165], v[148:149], v[130:131]
	s_wait_loadcnt 0x0
	v_fmac_f64_e32 v[164:165], v[134:135], v[132:133]
	s_wait_dscnt 0x0
	s_delay_alu instid0(VALU_DEP_1) | instskip(NEXT) | instid1(VALU_DEP_1)
	v_fmac_f64_e32 v[164:165], v[136:137], v[138:139]
	v_add_f64_e64 v[128:129], v[128:129], -v[164:165]
	scratch_store_b64 off, v[128:129], off offset:48
	s_wait_xcnt 0x0
	v_cmpx_lt_u32_e32 5, v0
	s_cbranch_execz .LBB61_371
; %bb.370:
	scratch_load_b64 v[128:129], off, off offset:40
	v_mov_b64_e32 v[130:131], 0
	scratch_store_b64 off, v[130:131], off offset:40
	s_wait_loadcnt 0x0
	ds_store_b64 v1, v[128:129]
.LBB61_371:
	s_wait_xcnt 0x0
	s_or_b32 exec_lo, exec_lo, s0
	s_wait_storecnt_dscnt 0x0
	s_barrier_signal -1
	s_barrier_wait -1
	s_clause 0x5
	scratch_load_b128 v[128:131], off, off offset:40
	scratch_load_b128 v[132:135], off, off offset:56
	;; [unrolled: 1-line block ×6, first 2 shown]
	ds_load_b128 v[152:155], v2 offset:544
	ds_load_b128 v[156:159], v2 offset:560
	scratch_load_b128 v[160:163], off, off offset:136
	s_mov_b32 s0, exec_lo
	s_wait_loadcnt_dscnt 0x601
	v_fma_f64 v[164:165], v[130:131], v[152:153], 0
	s_wait_loadcnt 0x5
	s_delay_alu instid0(VALU_DEP_1) | instskip(SKIP_4) | instid1(VALU_DEP_1)
	v_fmac_f64_e32 v[164:165], v[132:133], v[154:155]
	scratch_load_b128 v[130:133], off, off offset:152
	s_wait_dscnt 0x0
	v_fmac_f64_e32 v[164:165], v[134:135], v[156:157]
	s_wait_loadcnt 0x5
	v_fmac_f64_e32 v[164:165], v[136:137], v[158:159]
	ds_load_b128 v[134:137], v2 offset:576
	ds_load_b128 v[152:155], v2 offset:592
	scratch_load_b128 v[156:159], off, off offset:168
	s_wait_dscnt 0x1
	v_fmac_f64_e32 v[164:165], v[138:139], v[134:135]
	s_wait_loadcnt 0x5
	s_delay_alu instid0(VALU_DEP_1) | instskip(SKIP_4) | instid1(VALU_DEP_1)
	v_fmac_f64_e32 v[164:165], v[140:141], v[136:137]
	scratch_load_b128 v[134:137], off, off offset:184
	s_wait_dscnt 0x0
	v_fmac_f64_e32 v[164:165], v[142:143], v[152:153]
	s_wait_loadcnt 0x5
	v_fmac_f64_e32 v[164:165], v[144:145], v[154:155]
	ds_load_b128 v[138:141], v2 offset:608
	ds_load_b128 v[142:145], v2 offset:624
	scratch_load_b128 v[152:155], off, off offset:200
	s_wait_dscnt 0x1
	v_fmac_f64_e32 v[164:165], v[146:147], v[138:139]
	s_wait_loadcnt 0x5
	s_delay_alu instid0(VALU_DEP_1) | instskip(SKIP_4) | instid1(VALU_DEP_1)
	v_fmac_f64_e32 v[164:165], v[148:149], v[140:141]
	scratch_load_b128 v[138:141], off, off offset:216
	s_wait_dscnt 0x0
	v_fmac_f64_e32 v[164:165], v[150:151], v[142:143]
	s_wait_loadcnt 0x5
	v_fmac_f64_e32 v[164:165], v[160:161], v[144:145]
	ds_load_b128 v[142:145], v2 offset:640
	ds_load_b128 v[146:149], v2 offset:656
	s_wait_dscnt 0x1
	v_fmac_f64_e32 v[164:165], v[162:163], v[142:143]
	scratch_load_b128 v[160:163], off, off offset:232
	s_wait_loadcnt 0x5
	v_fmac_f64_e32 v[164:165], v[130:131], v[144:145]
	s_wait_dscnt 0x0
	s_delay_alu instid0(VALU_DEP_1)
	v_fmac_f64_e32 v[164:165], v[132:133], v[146:147]
	scratch_load_b128 v[130:133], off, off offset:248
	s_wait_loadcnt 0x5
	v_fmac_f64_e32 v[164:165], v[156:157], v[148:149]
	ds_load_b128 v[142:145], v2 offset:672
	ds_load_b128 v[146:149], v2 offset:688
	s_wait_dscnt 0x1
	v_fmac_f64_e32 v[164:165], v[158:159], v[142:143]
	scratch_load_b128 v[156:159], off, off offset:264
	s_wait_loadcnt 0x5
	v_fmac_f64_e32 v[164:165], v[134:135], v[144:145]
	s_wait_dscnt 0x0
	s_delay_alu instid0(VALU_DEP_1)
	v_fmac_f64_e32 v[164:165], v[136:137], v[146:147]
	scratch_load_b128 v[134:137], off, off offset:280
	s_wait_loadcnt 0x5
	v_fmac_f64_e32 v[164:165], v[152:153], v[148:149]
	ds_load_b128 v[142:145], v2 offset:704
	ds_load_b128 v[146:149], v2 offset:720
	scratch_load_b128 v[150:153], off, off offset:296
	s_wait_dscnt 0x1
	v_fmac_f64_e32 v[164:165], v[154:155], v[142:143]
	s_wait_loadcnt 0x5
	s_delay_alu instid0(VALU_DEP_1) | instskip(SKIP_1) | instid1(VALU_DEP_1)
	v_fmac_f64_e32 v[164:165], v[138:139], v[144:145]
	s_wait_dscnt 0x0
	v_fmac_f64_e32 v[164:165], v[140:141], v[146:147]
	scratch_load_b128 v[138:141], off, off offset:312
	s_wait_loadcnt 0x5
	v_fmac_f64_e32 v[164:165], v[160:161], v[148:149]
	ds_load_b128 v[142:145], v2 offset:736
	ds_load_b128 v[146:149], v2 offset:752
	s_wait_dscnt 0x1
	v_fmac_f64_e32 v[164:165], v[162:163], v[142:143]
	scratch_load_b128 v[160:163], off, off offset:328
	s_wait_loadcnt 0x5
	v_fmac_f64_e32 v[164:165], v[130:131], v[144:145]
	s_wait_dscnt 0x0
	s_delay_alu instid0(VALU_DEP_1)
	v_fmac_f64_e32 v[164:165], v[132:133], v[146:147]
	scratch_load_b128 v[130:133], off, off offset:344
	s_wait_loadcnt 0x5
	v_fmac_f64_e32 v[164:165], v[156:157], v[148:149]
	ds_load_b128 v[142:145], v2 offset:768
	ds_load_b128 v[146:149], v2 offset:784
	scratch_load_b128 v[154:157], off, off offset:360
	s_wait_dscnt 0x1
	v_fmac_f64_e32 v[164:165], v[158:159], v[142:143]
	s_wait_loadcnt 0x5
	s_delay_alu instid0(VALU_DEP_1) | instskip(SKIP_1) | instid1(VALU_DEP_1)
	v_fmac_f64_e32 v[164:165], v[134:135], v[144:145]
	s_wait_dscnt 0x0
	v_fmac_f64_e32 v[164:165], v[136:137], v[146:147]
	scratch_load_b128 v[134:137], off, off offset:376
	s_wait_loadcnt 0x5
	v_fmac_f64_e32 v[164:165], v[150:151], v[148:149]
	ds_load_b128 v[142:145], v2 offset:800
	ds_load_b128 v[146:149], v2 offset:816
	s_wait_dscnt 0x1
	v_fmac_f64_e32 v[164:165], v[152:153], v[142:143]
	scratch_load_b128 v[150:153], off, off offset:392
	s_wait_loadcnt 0x5
	v_fmac_f64_e32 v[164:165], v[138:139], v[144:145]
	s_wait_dscnt 0x0
	s_delay_alu instid0(VALU_DEP_1)
	v_fmac_f64_e32 v[164:165], v[140:141], v[146:147]
	scratch_load_b128 v[138:141], off, off offset:408
	s_wait_loadcnt 0x5
	v_fmac_f64_e32 v[164:165], v[160:161], v[148:149]
	ds_load_b128 v[142:145], v2 offset:832
	ds_load_b128 v[146:149], v2 offset:848
	s_wait_dscnt 0x1
	v_fmac_f64_e32 v[164:165], v[162:163], v[142:143]
	s_wait_loadcnt 0x4
	s_delay_alu instid0(VALU_DEP_1)
	v_fmac_f64_e32 v[164:165], v[130:131], v[144:145]
	scratch_load_b128 v[142:145], off, off offset:424
	s_wait_dscnt 0x0
	v_fmac_f64_e32 v[164:165], v[132:133], v[146:147]
	scratch_load_b128 v[130:133], off, off offset:440
	s_wait_loadcnt 0x5
	v_fmac_f64_e32 v[164:165], v[154:155], v[148:149]
	ds_load_b128 v[146:149], v2 offset:864
	ds_load_b128 v[158:161], v2 offset:880
	s_wait_dscnt 0x1
	v_fmac_f64_e32 v[164:165], v[156:157], v[146:147]
	s_wait_loadcnt 0x4
	s_delay_alu instid0(VALU_DEP_1)
	v_fmac_f64_e32 v[164:165], v[134:135], v[148:149]
	scratch_load_b128 v[146:149], off, off offset:456
	s_wait_dscnt 0x0
	v_fmac_f64_e32 v[164:165], v[136:137], v[158:159]
	scratch_load_b128 v[134:137], off, off offset:472
	s_wait_loadcnt 0x5
	v_fmac_f64_e32 v[164:165], v[150:151], v[160:161]
	ds_load_b128 v[154:157], v2 offset:896
	ds_load_b128 v[158:161], v2 offset:912
	s_wait_dscnt 0x1
	v_fmac_f64_e32 v[164:165], v[152:153], v[154:155]
	scratch_load_b64 v[154:155], off, off offset:488
	s_wait_loadcnt 0x5
	v_fmac_f64_e32 v[164:165], v[138:139], v[156:157]
	s_wait_dscnt 0x0
	s_delay_alu instid0(VALU_DEP_1)
	v_fmac_f64_e32 v[164:165], v[140:141], v[158:159]
	ds_load_b128 v[138:141], v2 offset:928
	ds_load_b128 v[150:153], v2 offset:944
	s_wait_loadcnt 0x4
	v_fmac_f64_e32 v[164:165], v[142:143], v[160:161]
	s_wait_dscnt 0x1
	s_delay_alu instid0(VALU_DEP_1) | instskip(SKIP_1) | instid1(VALU_DEP_1)
	v_fmac_f64_e32 v[164:165], v[144:145], v[138:139]
	s_wait_loadcnt 0x3
	v_fmac_f64_e32 v[164:165], v[130:131], v[140:141]
	s_wait_dscnt 0x0
	s_delay_alu instid0(VALU_DEP_1)
	v_fmac_f64_e32 v[164:165], v[132:133], v[150:151]
	ds_load_b128 v[130:133], v2 offset:960
	ds_load_b128 v[138:141], v2 offset:976
	s_wait_loadcnt 0x2
	v_fmac_f64_e32 v[164:165], v[146:147], v[152:153]
	s_wait_dscnt 0x1
	s_delay_alu instid0(VALU_DEP_1) | instskip(SKIP_1) | instid1(VALU_DEP_1)
	v_fmac_f64_e32 v[164:165], v[148:149], v[130:131]
	s_wait_loadcnt 0x1
	v_fmac_f64_e32 v[164:165], v[134:135], v[132:133]
	s_wait_dscnt 0x0
	s_delay_alu instid0(VALU_DEP_1) | instskip(SKIP_1) | instid1(VALU_DEP_1)
	v_fmac_f64_e32 v[164:165], v[136:137], v[138:139]
	s_wait_loadcnt 0x0
	v_fmac_f64_e32 v[164:165], v[154:155], v[140:141]
	s_delay_alu instid0(VALU_DEP_1)
	v_add_f64_e64 v[2:3], v[128:129], -v[164:165]
	scratch_store_b64 off, v[2:3], off offset:40
	s_wait_xcnt 0x0
	v_cmpx_lt_u32_e32 4, v0
	s_cbranch_execz .LBB61_373
; %bb.372:
	scratch_load_b64 v[2:3], off, off offset:32
	v_mov_b64_e32 v[128:129], 0
	scratch_store_b64 off, v[128:129], off offset:32
	s_wait_loadcnt 0x0
	ds_store_b64 v1, v[2:3]
.LBB61_373:
	s_wait_xcnt 0x0
	s_or_b32 exec_lo, exec_lo, s0
	s_wait_storecnt_dscnt 0x0
	s_barrier_signal -1
	s_barrier_wait -1
	s_clause 0x5
	scratch_load_b128 v[128:131], off, off offset:32
	scratch_load_b128 v[132:135], off, off offset:48
	;; [unrolled: 1-line block ×6, first 2 shown]
	v_mov_b32_e32 v2, 0
	ds_load_2addr_b64 v[152:155], v2 offset0:67 offset1:68
	ds_load_2addr_b64 v[156:159], v2 offset0:69 offset1:70
	scratch_load_b128 v[160:163], off, off offset:128
	s_mov_b32 s0, exec_lo
	s_wait_loadcnt_dscnt 0x601
	v_fma_f64 v[164:165], v[130:131], v[152:153], 0
	s_wait_loadcnt 0x5
	s_delay_alu instid0(VALU_DEP_1) | instskip(SKIP_4) | instid1(VALU_DEP_1)
	v_fmac_f64_e32 v[164:165], v[132:133], v[154:155]
	scratch_load_b128 v[130:133], off, off offset:144
	s_wait_dscnt 0x0
	v_fmac_f64_e32 v[164:165], v[134:135], v[156:157]
	s_wait_loadcnt 0x5
	v_fmac_f64_e32 v[164:165], v[136:137], v[158:159]
	ds_load_2addr_b64 v[134:137], v2 offset0:71 offset1:72
	ds_load_2addr_b64 v[152:155], v2 offset0:73 offset1:74
	scratch_load_b128 v[156:159], off, off offset:160
	s_wait_dscnt 0x1
	v_fmac_f64_e32 v[164:165], v[138:139], v[134:135]
	s_wait_loadcnt 0x5
	s_delay_alu instid0(VALU_DEP_1) | instskip(SKIP_4) | instid1(VALU_DEP_1)
	v_fmac_f64_e32 v[164:165], v[140:141], v[136:137]
	scratch_load_b128 v[134:137], off, off offset:176
	s_wait_dscnt 0x0
	v_fmac_f64_e32 v[164:165], v[142:143], v[152:153]
	s_wait_loadcnt 0x5
	v_fmac_f64_e32 v[164:165], v[144:145], v[154:155]
	ds_load_2addr_b64 v[138:141], v2 offset0:75 offset1:76
	ds_load_2addr_b64 v[142:145], v2 offset0:77 offset1:78
	scratch_load_b128 v[152:155], off, off offset:192
	s_wait_dscnt 0x1
	v_fmac_f64_e32 v[164:165], v[146:147], v[138:139]
	s_wait_loadcnt 0x5
	s_delay_alu instid0(VALU_DEP_1) | instskip(SKIP_4) | instid1(VALU_DEP_1)
	v_fmac_f64_e32 v[164:165], v[148:149], v[140:141]
	scratch_load_b128 v[138:141], off, off offset:208
	s_wait_dscnt 0x0
	v_fmac_f64_e32 v[164:165], v[150:151], v[142:143]
	s_wait_loadcnt 0x5
	v_fmac_f64_e32 v[164:165], v[160:161], v[144:145]
	ds_load_2addr_b64 v[142:145], v2 offset0:79 offset1:80
	ds_load_2addr_b64 v[146:149], v2 offset0:81 offset1:82
	s_wait_dscnt 0x1
	v_fmac_f64_e32 v[164:165], v[162:163], v[142:143]
	scratch_load_b128 v[160:163], off, off offset:224
	s_wait_loadcnt 0x5
	v_fmac_f64_e32 v[164:165], v[130:131], v[144:145]
	s_wait_dscnt 0x0
	s_delay_alu instid0(VALU_DEP_1)
	v_fmac_f64_e32 v[164:165], v[132:133], v[146:147]
	scratch_load_b128 v[130:133], off, off offset:240
	s_wait_loadcnt 0x5
	v_fmac_f64_e32 v[164:165], v[156:157], v[148:149]
	ds_load_2addr_b64 v[142:145], v2 offset0:83 offset1:84
	ds_load_2addr_b64 v[146:149], v2 offset0:85 offset1:86
	s_wait_dscnt 0x1
	v_fmac_f64_e32 v[164:165], v[158:159], v[142:143]
	scratch_load_b128 v[156:159], off, off offset:256
	s_wait_loadcnt 0x5
	v_fmac_f64_e32 v[164:165], v[134:135], v[144:145]
	s_wait_dscnt 0x0
	s_delay_alu instid0(VALU_DEP_1)
	v_fmac_f64_e32 v[164:165], v[136:137], v[146:147]
	scratch_load_b128 v[134:137], off, off offset:272
	s_wait_loadcnt 0x5
	v_fmac_f64_e32 v[164:165], v[152:153], v[148:149]
	ds_load_2addr_b64 v[142:145], v2 offset0:87 offset1:88
	ds_load_2addr_b64 v[146:149], v2 offset0:89 offset1:90
	scratch_load_b128 v[150:153], off, off offset:288
	s_wait_dscnt 0x1
	v_fmac_f64_e32 v[164:165], v[154:155], v[142:143]
	s_wait_loadcnt 0x5
	s_delay_alu instid0(VALU_DEP_1) | instskip(SKIP_1) | instid1(VALU_DEP_1)
	v_fmac_f64_e32 v[164:165], v[138:139], v[144:145]
	s_wait_dscnt 0x0
	v_fmac_f64_e32 v[164:165], v[140:141], v[146:147]
	scratch_load_b128 v[138:141], off, off offset:304
	s_wait_loadcnt 0x5
	v_fmac_f64_e32 v[164:165], v[160:161], v[148:149]
	ds_load_2addr_b64 v[142:145], v2 offset0:91 offset1:92
	ds_load_2addr_b64 v[146:149], v2 offset0:93 offset1:94
	s_wait_dscnt 0x1
	v_fmac_f64_e32 v[164:165], v[162:163], v[142:143]
	scratch_load_b128 v[160:163], off, off offset:320
	s_wait_loadcnt 0x5
	v_fmac_f64_e32 v[164:165], v[130:131], v[144:145]
	s_wait_dscnt 0x0
	s_delay_alu instid0(VALU_DEP_1)
	v_fmac_f64_e32 v[164:165], v[132:133], v[146:147]
	scratch_load_b128 v[130:133], off, off offset:336
	s_wait_loadcnt 0x5
	v_fmac_f64_e32 v[164:165], v[156:157], v[148:149]
	ds_load_2addr_b64 v[142:145], v2 offset0:95 offset1:96
	ds_load_2addr_b64 v[146:149], v2 offset0:97 offset1:98
	scratch_load_b128 v[154:157], off, off offset:352
	s_wait_dscnt 0x1
	v_fmac_f64_e32 v[164:165], v[158:159], v[142:143]
	s_wait_loadcnt 0x5
	s_delay_alu instid0(VALU_DEP_1) | instskip(SKIP_1) | instid1(VALU_DEP_1)
	v_fmac_f64_e32 v[164:165], v[134:135], v[144:145]
	s_wait_dscnt 0x0
	v_fmac_f64_e32 v[164:165], v[136:137], v[146:147]
	scratch_load_b128 v[134:137], off, off offset:368
	s_wait_loadcnt 0x5
	v_fmac_f64_e32 v[164:165], v[150:151], v[148:149]
	ds_load_2addr_b64 v[142:145], v2 offset0:99 offset1:100
	ds_load_2addr_b64 v[146:149], v2 offset0:101 offset1:102
	s_wait_dscnt 0x1
	v_fmac_f64_e32 v[164:165], v[152:153], v[142:143]
	scratch_load_b128 v[150:153], off, off offset:384
	s_wait_loadcnt 0x5
	v_fmac_f64_e32 v[164:165], v[138:139], v[144:145]
	s_wait_dscnt 0x0
	s_delay_alu instid0(VALU_DEP_1)
	v_fmac_f64_e32 v[164:165], v[140:141], v[146:147]
	scratch_load_b128 v[138:141], off, off offset:400
	s_wait_loadcnt 0x5
	v_fmac_f64_e32 v[164:165], v[160:161], v[148:149]
	ds_load_2addr_b64 v[142:145], v2 offset0:103 offset1:104
	ds_load_2addr_b64 v[146:149], v2 offset0:105 offset1:106
	s_wait_dscnt 0x1
	v_fmac_f64_e32 v[164:165], v[162:163], v[142:143]
	s_wait_loadcnt 0x4
	s_delay_alu instid0(VALU_DEP_1)
	v_fmac_f64_e32 v[164:165], v[130:131], v[144:145]
	scratch_load_b128 v[142:145], off, off offset:416
	s_wait_dscnt 0x0
	v_fmac_f64_e32 v[164:165], v[132:133], v[146:147]
	scratch_load_b128 v[130:133], off, off offset:432
	s_wait_loadcnt 0x5
	v_fmac_f64_e32 v[164:165], v[154:155], v[148:149]
	ds_load_2addr_b64 v[146:149], v2 offset0:107 offset1:108
	ds_load_2addr_b64 v[158:161], v2 offset0:109 offset1:110
	s_wait_dscnt 0x1
	v_fmac_f64_e32 v[164:165], v[156:157], v[146:147]
	s_wait_loadcnt 0x4
	s_delay_alu instid0(VALU_DEP_1)
	v_fmac_f64_e32 v[164:165], v[134:135], v[148:149]
	scratch_load_b128 v[146:149], off, off offset:448
	s_wait_dscnt 0x0
	v_fmac_f64_e32 v[164:165], v[136:137], v[158:159]
	scratch_load_b128 v[134:137], off, off offset:464
	s_wait_loadcnt 0x5
	v_fmac_f64_e32 v[164:165], v[150:151], v[160:161]
	ds_load_2addr_b64 v[154:157], v2 offset0:111 offset1:112
	ds_load_2addr_b64 v[158:161], v2 offset0:113 offset1:114
	s_wait_dscnt 0x1
	v_fmac_f64_e32 v[164:165], v[152:153], v[154:155]
	scratch_load_b128 v[150:153], off, off offset:480
	s_wait_loadcnt 0x5
	v_fmac_f64_e32 v[164:165], v[138:139], v[156:157]
	s_wait_dscnt 0x0
	s_delay_alu instid0(VALU_DEP_1)
	v_fmac_f64_e32 v[164:165], v[140:141], v[158:159]
	ds_load_2addr_b64 v[138:141], v2 offset0:115 offset1:116
	ds_load_2addr_b64 v[154:157], v2 offset0:117 offset1:118
	s_wait_loadcnt 0x4
	v_fmac_f64_e32 v[164:165], v[142:143], v[160:161]
	s_wait_dscnt 0x1
	s_delay_alu instid0(VALU_DEP_1) | instskip(SKIP_1) | instid1(VALU_DEP_1)
	v_fmac_f64_e32 v[164:165], v[144:145], v[138:139]
	s_wait_loadcnt 0x3
	v_fmac_f64_e32 v[164:165], v[130:131], v[140:141]
	s_wait_dscnt 0x0
	s_delay_alu instid0(VALU_DEP_1)
	v_fmac_f64_e32 v[164:165], v[132:133], v[154:155]
	ds_load_2addr_b64 v[130:133], v2 offset0:119 offset1:120
	ds_load_2addr_b64 v[138:141], v2 offset0:121 offset1:122
	s_wait_loadcnt 0x2
	v_fmac_f64_e32 v[164:165], v[146:147], v[156:157]
	s_wait_dscnt 0x1
	s_delay_alu instid0(VALU_DEP_1) | instskip(SKIP_4) | instid1(VALU_DEP_1)
	v_fmac_f64_e32 v[164:165], v[148:149], v[130:131]
	ds_load_b64 v[130:131], v2 offset:984
	s_wait_loadcnt 0x1
	v_fmac_f64_e32 v[164:165], v[134:135], v[132:133]
	s_wait_dscnt 0x1
	v_fmac_f64_e32 v[164:165], v[136:137], v[138:139]
	s_wait_loadcnt 0x0
	s_delay_alu instid0(VALU_DEP_1) | instskip(SKIP_1) | instid1(VALU_DEP_1)
	v_fmac_f64_e32 v[164:165], v[150:151], v[140:141]
	s_wait_dscnt 0x0
	v_fmac_f64_e32 v[164:165], v[152:153], v[130:131]
	s_delay_alu instid0(VALU_DEP_1)
	v_add_f64_e64 v[128:129], v[128:129], -v[164:165]
	scratch_store_b64 off, v[128:129], off offset:32
	s_wait_xcnt 0x0
	v_cmpx_lt_u32_e32 3, v0
	s_cbranch_execz .LBB61_375
; %bb.374:
	scratch_load_b64 v[128:129], off, off offset:24
	v_mov_b64_e32 v[130:131], 0
	scratch_store_b64 off, v[130:131], off offset:24
	s_wait_loadcnt 0x0
	ds_store_b64 v1, v[128:129]
.LBB61_375:
	s_wait_xcnt 0x0
	s_or_b32 exec_lo, exec_lo, s0
	s_wait_storecnt_dscnt 0x0
	s_barrier_signal -1
	s_barrier_wait -1
	s_clause 0x5
	scratch_load_b128 v[128:131], off, off offset:24
	scratch_load_b128 v[132:135], off, off offset:40
	;; [unrolled: 1-line block ×6, first 2 shown]
	ds_load_b128 v[152:155], v2 offset:528
	ds_load_b128 v[156:159], v2 offset:544
	scratch_load_b128 v[160:163], off, off offset:120
	s_mov_b32 s0, exec_lo
	s_wait_loadcnt_dscnt 0x601
	v_fma_f64 v[164:165], v[130:131], v[152:153], 0
	s_wait_loadcnt 0x5
	s_delay_alu instid0(VALU_DEP_1) | instskip(SKIP_4) | instid1(VALU_DEP_1)
	v_fmac_f64_e32 v[164:165], v[132:133], v[154:155]
	scratch_load_b128 v[130:133], off, off offset:136
	s_wait_dscnt 0x0
	v_fmac_f64_e32 v[164:165], v[134:135], v[156:157]
	s_wait_loadcnt 0x5
	v_fmac_f64_e32 v[164:165], v[136:137], v[158:159]
	ds_load_b128 v[134:137], v2 offset:560
	ds_load_b128 v[152:155], v2 offset:576
	scratch_load_b128 v[156:159], off, off offset:152
	s_wait_dscnt 0x1
	v_fmac_f64_e32 v[164:165], v[138:139], v[134:135]
	s_wait_loadcnt 0x5
	s_delay_alu instid0(VALU_DEP_1) | instskip(SKIP_4) | instid1(VALU_DEP_1)
	v_fmac_f64_e32 v[164:165], v[140:141], v[136:137]
	scratch_load_b128 v[134:137], off, off offset:168
	s_wait_dscnt 0x0
	v_fmac_f64_e32 v[164:165], v[142:143], v[152:153]
	s_wait_loadcnt 0x5
	v_fmac_f64_e32 v[164:165], v[144:145], v[154:155]
	ds_load_b128 v[138:141], v2 offset:592
	ds_load_b128 v[142:145], v2 offset:608
	scratch_load_b128 v[152:155], off, off offset:184
	s_wait_dscnt 0x1
	v_fmac_f64_e32 v[164:165], v[146:147], v[138:139]
	s_wait_loadcnt 0x5
	s_delay_alu instid0(VALU_DEP_1) | instskip(SKIP_4) | instid1(VALU_DEP_1)
	v_fmac_f64_e32 v[164:165], v[148:149], v[140:141]
	scratch_load_b128 v[138:141], off, off offset:200
	s_wait_dscnt 0x0
	v_fmac_f64_e32 v[164:165], v[150:151], v[142:143]
	s_wait_loadcnt 0x5
	v_fmac_f64_e32 v[164:165], v[160:161], v[144:145]
	ds_load_b128 v[142:145], v2 offset:624
	ds_load_b128 v[146:149], v2 offset:640
	s_wait_dscnt 0x1
	v_fmac_f64_e32 v[164:165], v[162:163], v[142:143]
	scratch_load_b128 v[160:163], off, off offset:216
	s_wait_loadcnt 0x5
	v_fmac_f64_e32 v[164:165], v[130:131], v[144:145]
	s_wait_dscnt 0x0
	s_delay_alu instid0(VALU_DEP_1)
	v_fmac_f64_e32 v[164:165], v[132:133], v[146:147]
	scratch_load_b128 v[130:133], off, off offset:232
	s_wait_loadcnt 0x5
	v_fmac_f64_e32 v[164:165], v[156:157], v[148:149]
	ds_load_b128 v[142:145], v2 offset:656
	ds_load_b128 v[146:149], v2 offset:672
	s_wait_dscnt 0x1
	v_fmac_f64_e32 v[164:165], v[158:159], v[142:143]
	scratch_load_b128 v[156:159], off, off offset:248
	s_wait_loadcnt 0x5
	v_fmac_f64_e32 v[164:165], v[134:135], v[144:145]
	s_wait_dscnt 0x0
	s_delay_alu instid0(VALU_DEP_1)
	v_fmac_f64_e32 v[164:165], v[136:137], v[146:147]
	scratch_load_b128 v[134:137], off, off offset:264
	s_wait_loadcnt 0x5
	v_fmac_f64_e32 v[164:165], v[152:153], v[148:149]
	ds_load_b128 v[142:145], v2 offset:688
	ds_load_b128 v[146:149], v2 offset:704
	scratch_load_b128 v[150:153], off, off offset:280
	s_wait_dscnt 0x1
	v_fmac_f64_e32 v[164:165], v[154:155], v[142:143]
	s_wait_loadcnt 0x5
	s_delay_alu instid0(VALU_DEP_1) | instskip(SKIP_1) | instid1(VALU_DEP_1)
	v_fmac_f64_e32 v[164:165], v[138:139], v[144:145]
	s_wait_dscnt 0x0
	v_fmac_f64_e32 v[164:165], v[140:141], v[146:147]
	scratch_load_b128 v[138:141], off, off offset:296
	s_wait_loadcnt 0x5
	v_fmac_f64_e32 v[164:165], v[160:161], v[148:149]
	ds_load_b128 v[142:145], v2 offset:720
	ds_load_b128 v[146:149], v2 offset:736
	s_wait_dscnt 0x1
	v_fmac_f64_e32 v[164:165], v[162:163], v[142:143]
	scratch_load_b128 v[160:163], off, off offset:312
	s_wait_loadcnt 0x5
	v_fmac_f64_e32 v[164:165], v[130:131], v[144:145]
	s_wait_dscnt 0x0
	s_delay_alu instid0(VALU_DEP_1)
	v_fmac_f64_e32 v[164:165], v[132:133], v[146:147]
	scratch_load_b128 v[130:133], off, off offset:328
	s_wait_loadcnt 0x5
	v_fmac_f64_e32 v[164:165], v[156:157], v[148:149]
	ds_load_b128 v[142:145], v2 offset:752
	ds_load_b128 v[146:149], v2 offset:768
	scratch_load_b128 v[154:157], off, off offset:344
	s_wait_dscnt 0x1
	v_fmac_f64_e32 v[164:165], v[158:159], v[142:143]
	s_wait_loadcnt 0x5
	s_delay_alu instid0(VALU_DEP_1) | instskip(SKIP_1) | instid1(VALU_DEP_1)
	v_fmac_f64_e32 v[164:165], v[134:135], v[144:145]
	s_wait_dscnt 0x0
	;; [unrolled: 26-line block ×3, first 2 shown]
	v_fmac_f64_e32 v[164:165], v[132:133], v[146:147]
	scratch_load_b128 v[130:133], off, off offset:424
	s_wait_loadcnt 0x5
	v_fmac_f64_e32 v[164:165], v[154:155], v[148:149]
	ds_load_b128 v[142:145], v2 offset:848
	ds_load_b128 v[146:149], v2 offset:864
	s_wait_dscnt 0x1
	v_fmac_f64_e32 v[164:165], v[156:157], v[142:143]
	s_wait_loadcnt 0x4
	s_delay_alu instid0(VALU_DEP_1)
	v_fmac_f64_e32 v[164:165], v[134:135], v[144:145]
	scratch_load_b128 v[142:145], off, off offset:440
	s_wait_dscnt 0x0
	v_fmac_f64_e32 v[164:165], v[136:137], v[146:147]
	scratch_load_b128 v[134:137], off, off offset:456
	s_wait_loadcnt 0x5
	v_fmac_f64_e32 v[164:165], v[150:151], v[148:149]
	ds_load_b128 v[146:149], v2 offset:880
	ds_load_b128 v[154:157], v2 offset:896
	s_wait_dscnt 0x1
	v_fmac_f64_e32 v[164:165], v[152:153], v[146:147]
	s_wait_loadcnt 0x4
	s_delay_alu instid0(VALU_DEP_1)
	v_fmac_f64_e32 v[164:165], v[138:139], v[148:149]
	scratch_load_b128 v[146:149], off, off offset:472
	s_wait_dscnt 0x0
	v_fmac_f64_e32 v[164:165], v[140:141], v[154:155]
	scratch_load_b64 v[154:155], off, off offset:488
	ds_load_b128 v[138:141], v2 offset:912
	ds_load_b128 v[150:153], v2 offset:928
	s_wait_loadcnt 0x5
	v_fmac_f64_e32 v[164:165], v[158:159], v[156:157]
	s_wait_dscnt 0x1
	s_delay_alu instid0(VALU_DEP_1) | instskip(SKIP_1) | instid1(VALU_DEP_1)
	v_fmac_f64_e32 v[164:165], v[160:161], v[138:139]
	s_wait_loadcnt 0x4
	v_fmac_f64_e32 v[164:165], v[130:131], v[140:141]
	s_wait_dscnt 0x0
	s_delay_alu instid0(VALU_DEP_1)
	v_fmac_f64_e32 v[164:165], v[132:133], v[150:151]
	ds_load_b128 v[130:133], v2 offset:944
	ds_load_b128 v[138:141], v2 offset:960
	s_wait_loadcnt 0x3
	v_fmac_f64_e32 v[164:165], v[142:143], v[152:153]
	s_wait_dscnt 0x1
	s_delay_alu instid0(VALU_DEP_1) | instskip(SKIP_1) | instid1(VALU_DEP_1)
	v_fmac_f64_e32 v[164:165], v[144:145], v[130:131]
	s_wait_loadcnt 0x2
	v_fmac_f64_e32 v[164:165], v[134:135], v[132:133]
	ds_load_b128 v[130:133], v2 offset:976
	s_wait_dscnt 0x1
	v_fmac_f64_e32 v[164:165], v[136:137], v[138:139]
	s_wait_loadcnt 0x1
	s_delay_alu instid0(VALU_DEP_1) | instskip(SKIP_1) | instid1(VALU_DEP_1)
	v_fmac_f64_e32 v[164:165], v[146:147], v[140:141]
	s_wait_dscnt 0x0
	v_fmac_f64_e32 v[164:165], v[148:149], v[130:131]
	s_wait_loadcnt 0x0
	s_delay_alu instid0(VALU_DEP_1) | instskip(NEXT) | instid1(VALU_DEP_1)
	v_fmac_f64_e32 v[164:165], v[154:155], v[132:133]
	v_add_f64_e64 v[2:3], v[128:129], -v[164:165]
	scratch_store_b64 off, v[2:3], off offset:24
	s_wait_xcnt 0x0
	v_cmpx_lt_u32_e32 2, v0
	s_cbranch_execz .LBB61_377
; %bb.376:
	scratch_load_b64 v[2:3], off, off offset:16
	v_mov_b64_e32 v[128:129], 0
	scratch_store_b64 off, v[128:129], off offset:16
	s_wait_loadcnt 0x0
	ds_store_b64 v1, v[2:3]
.LBB61_377:
	s_wait_xcnt 0x0
	s_or_b32 exec_lo, exec_lo, s0
	s_wait_storecnt_dscnt 0x0
	s_barrier_signal -1
	s_barrier_wait -1
	s_clause 0x5
	scratch_load_b128 v[128:131], off, off offset:16
	scratch_load_b128 v[132:135], off, off offset:32
	;; [unrolled: 1-line block ×6, first 2 shown]
	v_mov_b32_e32 v2, 0
	ds_load_2addr_b64 v[152:155], v2 offset0:65 offset1:66
	ds_load_2addr_b64 v[156:159], v2 offset0:67 offset1:68
	scratch_load_b128 v[160:163], off, off offset:112
	s_mov_b32 s0, exec_lo
	s_wait_loadcnt_dscnt 0x601
	v_fma_f64 v[164:165], v[130:131], v[152:153], 0
	s_wait_loadcnt 0x5
	s_delay_alu instid0(VALU_DEP_1) | instskip(SKIP_4) | instid1(VALU_DEP_1)
	v_fmac_f64_e32 v[164:165], v[132:133], v[154:155]
	scratch_load_b128 v[130:133], off, off offset:128
	s_wait_dscnt 0x0
	v_fmac_f64_e32 v[164:165], v[134:135], v[156:157]
	s_wait_loadcnt 0x5
	v_fmac_f64_e32 v[164:165], v[136:137], v[158:159]
	ds_load_2addr_b64 v[134:137], v2 offset0:69 offset1:70
	ds_load_2addr_b64 v[152:155], v2 offset0:71 offset1:72
	scratch_load_b128 v[156:159], off, off offset:144
	s_wait_dscnt 0x1
	v_fmac_f64_e32 v[164:165], v[138:139], v[134:135]
	s_wait_loadcnt 0x5
	s_delay_alu instid0(VALU_DEP_1) | instskip(SKIP_4) | instid1(VALU_DEP_1)
	v_fmac_f64_e32 v[164:165], v[140:141], v[136:137]
	scratch_load_b128 v[134:137], off, off offset:160
	s_wait_dscnt 0x0
	v_fmac_f64_e32 v[164:165], v[142:143], v[152:153]
	s_wait_loadcnt 0x5
	v_fmac_f64_e32 v[164:165], v[144:145], v[154:155]
	ds_load_2addr_b64 v[138:141], v2 offset0:73 offset1:74
	ds_load_2addr_b64 v[142:145], v2 offset0:75 offset1:76
	scratch_load_b128 v[152:155], off, off offset:176
	s_wait_dscnt 0x1
	v_fmac_f64_e32 v[164:165], v[146:147], v[138:139]
	s_wait_loadcnt 0x5
	s_delay_alu instid0(VALU_DEP_1) | instskip(SKIP_4) | instid1(VALU_DEP_1)
	v_fmac_f64_e32 v[164:165], v[148:149], v[140:141]
	scratch_load_b128 v[138:141], off, off offset:192
	s_wait_dscnt 0x0
	v_fmac_f64_e32 v[164:165], v[150:151], v[142:143]
	s_wait_loadcnt 0x5
	v_fmac_f64_e32 v[164:165], v[160:161], v[144:145]
	ds_load_2addr_b64 v[142:145], v2 offset0:77 offset1:78
	ds_load_2addr_b64 v[146:149], v2 offset0:79 offset1:80
	s_wait_dscnt 0x1
	v_fmac_f64_e32 v[164:165], v[162:163], v[142:143]
	scratch_load_b128 v[160:163], off, off offset:208
	s_wait_loadcnt 0x5
	v_fmac_f64_e32 v[164:165], v[130:131], v[144:145]
	s_wait_dscnt 0x0
	s_delay_alu instid0(VALU_DEP_1)
	v_fmac_f64_e32 v[164:165], v[132:133], v[146:147]
	scratch_load_b128 v[130:133], off, off offset:224
	s_wait_loadcnt 0x5
	v_fmac_f64_e32 v[164:165], v[156:157], v[148:149]
	ds_load_2addr_b64 v[142:145], v2 offset0:81 offset1:82
	ds_load_2addr_b64 v[146:149], v2 offset0:83 offset1:84
	s_wait_dscnt 0x1
	v_fmac_f64_e32 v[164:165], v[158:159], v[142:143]
	scratch_load_b128 v[156:159], off, off offset:240
	s_wait_loadcnt 0x5
	v_fmac_f64_e32 v[164:165], v[134:135], v[144:145]
	s_wait_dscnt 0x0
	s_delay_alu instid0(VALU_DEP_1)
	v_fmac_f64_e32 v[164:165], v[136:137], v[146:147]
	scratch_load_b128 v[134:137], off, off offset:256
	s_wait_loadcnt 0x5
	v_fmac_f64_e32 v[164:165], v[152:153], v[148:149]
	ds_load_2addr_b64 v[142:145], v2 offset0:85 offset1:86
	ds_load_2addr_b64 v[146:149], v2 offset0:87 offset1:88
	scratch_load_b128 v[150:153], off, off offset:272
	s_wait_dscnt 0x1
	v_fmac_f64_e32 v[164:165], v[154:155], v[142:143]
	s_wait_loadcnt 0x5
	s_delay_alu instid0(VALU_DEP_1) | instskip(SKIP_1) | instid1(VALU_DEP_1)
	v_fmac_f64_e32 v[164:165], v[138:139], v[144:145]
	s_wait_dscnt 0x0
	v_fmac_f64_e32 v[164:165], v[140:141], v[146:147]
	scratch_load_b128 v[138:141], off, off offset:288
	s_wait_loadcnt 0x5
	v_fmac_f64_e32 v[164:165], v[160:161], v[148:149]
	ds_load_2addr_b64 v[142:145], v2 offset0:89 offset1:90
	ds_load_2addr_b64 v[146:149], v2 offset0:91 offset1:92
	s_wait_dscnt 0x1
	v_fmac_f64_e32 v[164:165], v[162:163], v[142:143]
	scratch_load_b128 v[160:163], off, off offset:304
	s_wait_loadcnt 0x5
	v_fmac_f64_e32 v[164:165], v[130:131], v[144:145]
	s_wait_dscnt 0x0
	s_delay_alu instid0(VALU_DEP_1)
	v_fmac_f64_e32 v[164:165], v[132:133], v[146:147]
	scratch_load_b128 v[130:133], off, off offset:320
	s_wait_loadcnt 0x5
	v_fmac_f64_e32 v[164:165], v[156:157], v[148:149]
	ds_load_2addr_b64 v[142:145], v2 offset0:93 offset1:94
	ds_load_2addr_b64 v[146:149], v2 offset0:95 offset1:96
	scratch_load_b128 v[154:157], off, off offset:336
	s_wait_dscnt 0x1
	v_fmac_f64_e32 v[164:165], v[158:159], v[142:143]
	s_wait_loadcnt 0x5
	s_delay_alu instid0(VALU_DEP_1) | instskip(SKIP_1) | instid1(VALU_DEP_1)
	v_fmac_f64_e32 v[164:165], v[134:135], v[144:145]
	s_wait_dscnt 0x0
	;; [unrolled: 26-line block ×3, first 2 shown]
	v_fmac_f64_e32 v[164:165], v[132:133], v[146:147]
	scratch_load_b128 v[130:133], off, off offset:416
	s_wait_loadcnt 0x5
	v_fmac_f64_e32 v[164:165], v[154:155], v[148:149]
	ds_load_2addr_b64 v[142:145], v2 offset0:105 offset1:106
	ds_load_2addr_b64 v[146:149], v2 offset0:107 offset1:108
	s_wait_dscnt 0x1
	v_fmac_f64_e32 v[164:165], v[156:157], v[142:143]
	s_wait_loadcnt 0x4
	s_delay_alu instid0(VALU_DEP_1)
	v_fmac_f64_e32 v[164:165], v[134:135], v[144:145]
	scratch_load_b128 v[142:145], off, off offset:432
	s_wait_dscnt 0x0
	v_fmac_f64_e32 v[164:165], v[136:137], v[146:147]
	scratch_load_b128 v[134:137], off, off offset:448
	s_wait_loadcnt 0x5
	v_fmac_f64_e32 v[164:165], v[150:151], v[148:149]
	ds_load_2addr_b64 v[146:149], v2 offset0:109 offset1:110
	ds_load_2addr_b64 v[154:157], v2 offset0:111 offset1:112
	s_wait_dscnt 0x1
	v_fmac_f64_e32 v[164:165], v[152:153], v[146:147]
	s_wait_loadcnt 0x4
	s_delay_alu instid0(VALU_DEP_1)
	v_fmac_f64_e32 v[164:165], v[138:139], v[148:149]
	scratch_load_b128 v[146:149], off, off offset:464
	s_wait_dscnt 0x0
	v_fmac_f64_e32 v[164:165], v[140:141], v[154:155]
	scratch_load_b128 v[138:141], off, off offset:480
	s_wait_loadcnt 0x5
	v_fmac_f64_e32 v[164:165], v[158:159], v[156:157]
	ds_load_2addr_b64 v[150:153], v2 offset0:113 offset1:114
	ds_load_2addr_b64 v[154:157], v2 offset0:115 offset1:116
	s_wait_dscnt 0x1
	v_fmac_f64_e32 v[164:165], v[160:161], v[150:151]
	s_wait_loadcnt 0x4
	s_delay_alu instid0(VALU_DEP_1) | instskip(SKIP_1) | instid1(VALU_DEP_1)
	v_fmac_f64_e32 v[164:165], v[130:131], v[152:153]
	s_wait_dscnt 0x0
	v_fmac_f64_e32 v[164:165], v[132:133], v[154:155]
	ds_load_2addr_b64 v[130:133], v2 offset0:117 offset1:118
	ds_load_2addr_b64 v[150:153], v2 offset0:119 offset1:120
	s_wait_loadcnt 0x3
	v_fmac_f64_e32 v[164:165], v[142:143], v[156:157]
	s_wait_dscnt 0x1
	s_delay_alu instid0(VALU_DEP_1) | instskip(SKIP_1) | instid1(VALU_DEP_1)
	v_fmac_f64_e32 v[164:165], v[144:145], v[130:131]
	s_wait_loadcnt 0x2
	v_fmac_f64_e32 v[164:165], v[134:135], v[132:133]
	ds_load_2addr_b64 v[130:133], v2 offset0:121 offset1:122
	ds_load_b64 v[134:135], v2 offset:984
	s_wait_dscnt 0x2
	v_fmac_f64_e32 v[164:165], v[136:137], v[150:151]
	s_wait_loadcnt 0x1
	s_delay_alu instid0(VALU_DEP_1) | instskip(SKIP_1) | instid1(VALU_DEP_1)
	v_fmac_f64_e32 v[164:165], v[146:147], v[152:153]
	s_wait_dscnt 0x1
	v_fmac_f64_e32 v[164:165], v[148:149], v[130:131]
	s_wait_loadcnt 0x0
	s_delay_alu instid0(VALU_DEP_1) | instskip(SKIP_1) | instid1(VALU_DEP_1)
	v_fmac_f64_e32 v[164:165], v[138:139], v[132:133]
	s_wait_dscnt 0x0
	v_fmac_f64_e32 v[164:165], v[140:141], v[134:135]
	s_delay_alu instid0(VALU_DEP_1)
	v_add_f64_e64 v[128:129], v[128:129], -v[164:165]
	scratch_store_b64 off, v[128:129], off offset:16
	s_wait_xcnt 0x0
	v_cmpx_lt_u32_e32 1, v0
	s_cbranch_execz .LBB61_379
; %bb.378:
	scratch_load_b64 v[128:129], off, off offset:8
	v_mov_b64_e32 v[130:131], 0
	scratch_store_b64 off, v[130:131], off offset:8
	s_wait_loadcnt 0x0
	ds_store_b64 v1, v[128:129]
.LBB61_379:
	s_wait_xcnt 0x0
	s_or_b32 exec_lo, exec_lo, s0
	s_wait_storecnt_dscnt 0x0
	s_barrier_signal -1
	s_barrier_wait -1
	s_clause 0x5
	scratch_load_b128 v[128:131], off, off offset:8
	scratch_load_b128 v[132:135], off, off offset:24
	;; [unrolled: 1-line block ×6, first 2 shown]
	ds_load_b128 v[152:155], v2 offset:512
	ds_load_b128 v[156:159], v2 offset:528
	v_dual_ashrrev_i32 v9, 31, v8 :: v_dual_ashrrev_i32 v11, 31, v10
	v_dual_ashrrev_i32 v13, 31, v12 :: v_dual_ashrrev_i32 v15, 31, v14
	;; [unrolled: 1-line block ×29, first 2 shown]
	v_ashrrev_i32_e32 v125, 31, v124
	s_mov_b32 s0, exec_lo
	v_ashrrev_i32_e32 v75, 31, v74
	s_wait_loadcnt_dscnt 0x501
	v_fma_f64 v[160:161], v[130:131], v[152:153], 0
	s_wait_loadcnt 0x4
	s_delay_alu instid0(VALU_DEP_1) | instskip(SKIP_4) | instid1(VALU_DEP_1)
	v_fmac_f64_e32 v[160:161], v[132:133], v[154:155]
	scratch_load_b128 v[130:133], off, off offset:104
	s_wait_dscnt 0x0
	v_fmac_f64_e32 v[160:161], v[134:135], v[156:157]
	s_wait_loadcnt 0x4
	v_fmac_f64_e32 v[160:161], v[136:137], v[158:159]
	ds_load_b128 v[134:137], v2 offset:544
	ds_load_b128 v[152:155], v2 offset:560
	scratch_load_b128 v[156:159], off, off offset:120
	s_wait_dscnt 0x1
	v_fmac_f64_e32 v[160:161], v[138:139], v[134:135]
	s_wait_loadcnt 0x4
	s_delay_alu instid0(VALU_DEP_1) | instskip(SKIP_4) | instid1(VALU_DEP_1)
	v_fmac_f64_e32 v[160:161], v[140:141], v[136:137]
	scratch_load_b128 v[134:137], off, off offset:136
	s_wait_dscnt 0x0
	v_fmac_f64_e32 v[160:161], v[142:143], v[152:153]
	s_wait_loadcnt 0x4
	v_fmac_f64_e32 v[160:161], v[144:145], v[154:155]
	ds_load_b128 v[138:141], v2 offset:576
	ds_load_b128 v[142:145], v2 offset:592
	scratch_load_b128 v[152:155], off, off offset:152
	s_wait_dscnt 0x1
	v_fmac_f64_e32 v[160:161], v[146:147], v[138:139]
	s_wait_loadcnt 0x4
	s_delay_alu instid0(VALU_DEP_1) | instskip(SKIP_4) | instid1(VALU_DEP_1)
	v_fmac_f64_e32 v[160:161], v[148:149], v[140:141]
	scratch_load_b128 v[138:141], off, off offset:168
	s_wait_dscnt 0x0
	v_fmac_f64_e32 v[160:161], v[150:151], v[142:143]
	s_wait_loadcnt 0x4
	v_fmac_f64_e32 v[160:161], v[130:131], v[144:145]
	ds_load_b128 v[142:145], v2 offset:608
	ds_load_b128 v[146:149], v2 offset:624
	s_wait_dscnt 0x1
	v_fmac_f64_e32 v[160:161], v[132:133], v[142:143]
	scratch_load_b128 v[130:133], off, off offset:184
	s_wait_loadcnt 0x4
	v_fmac_f64_e32 v[160:161], v[156:157], v[144:145]
	scratch_load_b128 v[142:145], off, off offset:200
	s_wait_dscnt 0x0
	v_fmac_f64_e32 v[160:161], v[158:159], v[146:147]
	s_wait_loadcnt 0x4
	s_delay_alu instid0(VALU_DEP_1)
	v_fmac_f64_e32 v[160:161], v[134:135], v[148:149]
	ds_load_b128 v[146:149], v2 offset:640
	ds_load_b128 v[156:159], v2 offset:656
	s_wait_dscnt 0x1
	v_fmac_f64_e32 v[160:161], v[136:137], v[146:147]
	scratch_load_b128 v[134:137], off, off offset:216
	s_wait_loadcnt 0x4
	v_fmac_f64_e32 v[160:161], v[152:153], v[148:149]
	scratch_load_b128 v[146:149], off, off offset:232
	s_wait_dscnt 0x0
	v_fmac_f64_e32 v[160:161], v[154:155], v[156:157]
	ds_load_b128 v[150:153], v2 offset:672
	ds_load_b128 v[154:157], v2 offset:688
	s_wait_loadcnt 0x4
	v_fmac_f64_e32 v[160:161], v[138:139], v[158:159]
	s_wait_dscnt 0x1
	s_delay_alu instid0(VALU_DEP_1) | instskip(SKIP_4) | instid1(VALU_DEP_1)
	v_fmac_f64_e32 v[160:161], v[140:141], v[150:151]
	scratch_load_b128 v[138:141], off, off offset:248
	s_wait_loadcnt 0x4
	v_fmac_f64_e32 v[160:161], v[130:131], v[152:153]
	s_wait_dscnt 0x0
	v_fmac_f64_e32 v[160:161], v[132:133], v[154:155]
	scratch_load_b128 v[130:133], off, off offset:264
	s_wait_loadcnt 0x4
	v_fmac_f64_e32 v[160:161], v[142:143], v[156:157]
	ds_load_b128 v[150:153], v2 offset:704
	ds_load_b128 v[154:157], v2 offset:720
	s_wait_dscnt 0x1
	v_fmac_f64_e32 v[160:161], v[144:145], v[150:151]
	scratch_load_b128 v[142:145], off, off offset:280
	s_wait_loadcnt 0x4
	v_fmac_f64_e32 v[160:161], v[134:135], v[152:153]
	scratch_load_b128 v[150:153], off, off offset:296
	s_wait_dscnt 0x0
	v_fmac_f64_e32 v[160:161], v[136:137], v[154:155]
	s_wait_loadcnt 0x4
	s_delay_alu instid0(VALU_DEP_1)
	v_fmac_f64_e32 v[160:161], v[146:147], v[156:157]
	ds_load_b128 v[134:137], v2 offset:736
	ds_load_b128 v[154:157], v2 offset:752
	s_wait_dscnt 0x1
	v_fmac_f64_e32 v[160:161], v[148:149], v[134:135]
	scratch_load_b128 v[146:149], off, off offset:312
	s_wait_loadcnt 0x4
	v_fmac_f64_e32 v[160:161], v[138:139], v[136:137]
	scratch_load_b128 v[134:137], off, off offset:328
	s_wait_dscnt 0x0
	v_fmac_f64_e32 v[160:161], v[140:141], v[154:155]
	s_wait_loadcnt 0x4
	s_delay_alu instid0(VALU_DEP_1)
	v_fmac_f64_e32 v[160:161], v[130:131], v[156:157]
	ds_load_b128 v[138:141], v2 offset:768
	ds_load_b128 v[154:157], v2 offset:784
	s_wait_dscnt 0x1
	v_fmac_f64_e32 v[160:161], v[132:133], v[138:139]
	scratch_load_b128 v[130:133], off, off offset:344
	s_wait_loadcnt 0x4
	v_fmac_f64_e32 v[160:161], v[142:143], v[140:141]
	scratch_load_b128 v[138:141], off, off offset:360
	s_wait_dscnt 0x0
	v_fmac_f64_e32 v[160:161], v[144:145], v[154:155]
	s_wait_loadcnt 0x4
	s_delay_alu instid0(VALU_DEP_1)
	v_fmac_f64_e32 v[160:161], v[150:151], v[156:157]
	ds_load_b128 v[142:145], v2 offset:800
	ds_load_b128 v[154:157], v2 offset:816
	s_wait_dscnt 0x1
	v_fmac_f64_e32 v[160:161], v[152:153], v[142:143]
	scratch_load_b128 v[150:153], off, off offset:376
	s_wait_loadcnt 0x4
	v_fmac_f64_e32 v[160:161], v[146:147], v[144:145]
	scratch_load_b128 v[142:145], off, off offset:392
	s_wait_dscnt 0x0
	v_fmac_f64_e32 v[160:161], v[148:149], v[154:155]
	s_wait_loadcnt 0x4
	s_delay_alu instid0(VALU_DEP_1)
	v_fmac_f64_e32 v[160:161], v[134:135], v[156:157]
	ds_load_b128 v[146:149], v2 offset:832
	ds_load_b128 v[154:157], v2 offset:848
	s_wait_dscnt 0x1
	v_fmac_f64_e32 v[160:161], v[136:137], v[146:147]
	scratch_load_b128 v[134:137], off, off offset:408
	s_wait_loadcnt 0x4
	v_fmac_f64_e32 v[160:161], v[130:131], v[148:149]
	s_wait_dscnt 0x0
	s_delay_alu instid0(VALU_DEP_1)
	v_fmac_f64_e32 v[160:161], v[132:133], v[154:155]
	scratch_load_b128 v[130:133], off, off offset:424
	s_wait_loadcnt 0x4
	v_fmac_f64_e32 v[160:161], v[138:139], v[156:157]
	ds_load_b128 v[146:149], v2 offset:864
	ds_load_b128 v[154:157], v2 offset:880
	s_wait_dscnt 0x1
	v_fmac_f64_e32 v[160:161], v[140:141], v[146:147]
	scratch_load_b128 v[138:141], off, off offset:440
	s_wait_loadcnt 0x4
	v_fmac_f64_e32 v[160:161], v[150:151], v[148:149]
	scratch_load_b128 v[146:149], off, off offset:456
	s_wait_dscnt 0x0
	v_fmac_f64_e32 v[160:161], v[152:153], v[154:155]
	s_wait_loadcnt 0x4
	s_delay_alu instid0(VALU_DEP_1)
	v_fmac_f64_e32 v[160:161], v[142:143], v[156:157]
	ds_load_b128 v[150:153], v2 offset:896
	ds_load_b128 v[154:157], v2 offset:912
	scratch_load_b64 v[158:159], off, off offset:488
	s_wait_dscnt 0x1
	v_fmac_f64_e32 v[160:161], v[144:145], v[150:151]
	scratch_load_b128 v[142:145], off, off offset:472
	s_wait_loadcnt 0x5
	v_fmac_f64_e32 v[160:161], v[134:135], v[152:153]
	s_wait_dscnt 0x0
	s_delay_alu instid0(VALU_DEP_1)
	v_fmac_f64_e32 v[160:161], v[136:137], v[154:155]
	ds_load_b128 v[134:137], v2 offset:928
	ds_load_b128 v[150:153], v2 offset:944
	s_wait_loadcnt 0x4
	v_fmac_f64_e32 v[160:161], v[130:131], v[156:157]
	s_wait_dscnt 0x1
	s_delay_alu instid0(VALU_DEP_1) | instskip(SKIP_1) | instid1(VALU_DEP_1)
	v_fmac_f64_e32 v[160:161], v[132:133], v[134:135]
	s_wait_loadcnt 0x3
	v_fmac_f64_e32 v[160:161], v[138:139], v[136:137]
	ds_load_b128 v[130:133], v2 offset:960
	ds_load_b128 v[134:137], v2 offset:976
	s_wait_dscnt 0x2
	v_fmac_f64_e32 v[160:161], v[140:141], v[150:151]
	s_wait_loadcnt 0x2
	s_delay_alu instid0(VALU_DEP_1) | instskip(SKIP_1) | instid1(VALU_DEP_1)
	v_fmac_f64_e32 v[160:161], v[146:147], v[152:153]
	s_wait_dscnt 0x1
	v_fmac_f64_e32 v[160:161], v[148:149], v[130:131]
	s_wait_loadcnt 0x0
	s_delay_alu instid0(VALU_DEP_1) | instskip(SKIP_1) | instid1(VALU_DEP_1)
	v_fmac_f64_e32 v[160:161], v[142:143], v[132:133]
	s_wait_dscnt 0x0
	v_fmac_f64_e32 v[160:161], v[144:145], v[134:135]
	s_delay_alu instid0(VALU_DEP_1) | instskip(NEXT) | instid1(VALU_DEP_1)
	v_fmac_f64_e32 v[160:161], v[158:159], v[136:137]
	v_add_f64_e64 v[2:3], v[128:129], -v[160:161]
	scratch_store_b64 off, v[2:3], off offset:8
	s_wait_xcnt 0x0
	v_cmpx_ne_u32_e32 0, v0
	s_cbranch_execz .LBB61_381
; %bb.380:
	scratch_load_b64 v[2:3], off, off
	v_mov_b64_e32 v[128:129], 0
	scratch_store_b64 off, v[128:129], off
	s_wait_loadcnt 0x0
	ds_store_b64 v1, v[2:3]
.LBB61_381:
	s_wait_xcnt 0x0
	s_or_b32 exec_lo, exec_lo, s0
	s_wait_storecnt_dscnt 0x0
	s_barrier_signal -1
	s_barrier_wait -1
	s_clause 0x5
	scratch_load_b128 v[130:133], off, off
	scratch_load_b128 v[0:3], off, off offset:16
	scratch_load_b128 v[134:137], off, off offset:32
	;; [unrolled: 1-line block ×5, first 2 shown]
	v_mov_b32_e32 v128, 0
	scratch_load_b128 v[154:157], off, off offset:96
	s_and_b32 vcc_lo, exec_lo, s18
	ds_load_2addr_b64 v[150:153], v128 offset0:63 offset1:64
	s_wait_loadcnt_dscnt 0x600
	v_fma_f64 v[160:161], v[132:133], v[150:151], 0
	s_wait_loadcnt 0x5
	s_delay_alu instid0(VALU_DEP_1)
	v_fmac_f64_e32 v[160:161], v[0:1], v[152:153]
	ds_load_2addr_b64 v[150:153], v128 offset0:65 offset1:66
	s_wait_dscnt 0x0
	v_fmac_f64_e32 v[160:161], v[2:3], v[150:151]
	scratch_load_b128 v[0:3], off, off offset:112
	s_wait_loadcnt 0x5
	v_fmac_f64_e32 v[160:161], v[134:135], v[152:153]
	ds_load_2addr_b64 v[132:135], v128 offset0:67 offset1:68
	scratch_load_b128 v[150:153], off, off offset:128
	s_wait_dscnt 0x0
	v_fmac_f64_e32 v[160:161], v[136:137], v[132:133]
	s_wait_loadcnt 0x5
	s_delay_alu instid0(VALU_DEP_1)
	v_fmac_f64_e32 v[160:161], v[138:139], v[134:135]
	ds_load_2addr_b64 v[132:135], v128 offset0:69 offset1:70
	scratch_load_b128 v[136:139], off, off offset:144
	s_wait_dscnt 0x0
	v_fmac_f64_e32 v[160:161], v[140:141], v[132:133]
	s_wait_loadcnt 0x5
	s_delay_alu instid0(VALU_DEP_1)
	;; [unrolled: 7-line block ×4, first 2 shown]
	v_fmac_f64_e32 v[160:161], v[154:155], v[134:135]
	ds_load_2addr_b64 v[132:135], v128 offset0:75 offset1:76
	s_wait_dscnt 0x0
	v_fmac_f64_e32 v[160:161], v[156:157], v[132:133]
	scratch_load_b128 v[154:157], off, off offset:192
	s_wait_loadcnt 0x5
	v_fmac_f64_e32 v[160:161], v[0:1], v[134:135]
	ds_load_2addr_b64 v[132:135], v128 offset0:77 offset1:78
	s_wait_dscnt 0x0
	v_fmac_f64_e32 v[160:161], v[2:3], v[132:133]
	scratch_load_b128 v[0:3], off, off offset:208
	s_wait_loadcnt 0x5
	v_fmac_f64_e32 v[160:161], v[150:151], v[134:135]
	ds_load_2addr_b64 v[132:135], v128 offset0:79 offset1:80
	scratch_load_b128 v[148:151], off, off offset:224
	s_wait_dscnt 0x0
	v_fmac_f64_e32 v[160:161], v[152:153], v[132:133]
	s_wait_loadcnt 0x5
	s_delay_alu instid0(VALU_DEP_1)
	v_fmac_f64_e32 v[160:161], v[136:137], v[134:135]
	ds_load_2addr_b64 v[132:135], v128 offset0:81 offset1:82
	s_wait_dscnt 0x0
	v_fmac_f64_e32 v[160:161], v[138:139], v[132:133]
	scratch_load_b128 v[136:139], off, off offset:240
	s_wait_loadcnt 0x5
	v_fmac_f64_e32 v[160:161], v[140:141], v[134:135]
	ds_load_2addr_b64 v[132:135], v128 offset0:83 offset1:84
	s_wait_dscnt 0x0
	v_fmac_f64_e32 v[160:161], v[142:143], v[132:133]
	scratch_load_b128 v[140:143], off, off offset:256
	s_wait_loadcnt 0x5
	;; [unrolled: 6-line block ×3, first 2 shown]
	v_fmac_f64_e32 v[160:161], v[154:155], v[134:135]
	ds_load_2addr_b64 v[132:135], v128 offset0:87 offset1:88
	scratch_load_b128 v[152:155], off, off offset:288
	s_wait_dscnt 0x0
	v_fmac_f64_e32 v[160:161], v[156:157], v[132:133]
	scratch_load_b128 v[156:159], off, off offset:400
	s_wait_loadcnt 0x6
	v_fmac_f64_e32 v[160:161], v[0:1], v[134:135]
	ds_load_2addr_b64 v[132:135], v128 offset0:89 offset1:90
	s_wait_dscnt 0x0
	v_fmac_f64_e32 v[160:161], v[2:3], v[132:133]
	scratch_load_b128 v[0:3], off, off offset:304
	s_wait_loadcnt 0x6
	v_fmac_f64_e32 v[160:161], v[148:149], v[134:135]
	ds_load_2addr_b64 v[132:135], v128 offset0:91 offset1:92
	;; [unrolled: 6-line block ×7, first 2 shown]
	s_wait_dscnt 0x0
	v_fmac_f64_e32 v[160:161], v[2:3], v[132:133]
	ds_load_2addr_b64 v[0:3], v128 offset0:103 offset1:104
	s_wait_loadcnt 0x4
	v_fmac_f64_e32 v[160:161], v[148:149], v[134:135]
	scratch_load_b128 v[132:135], off, off offset:416
	s_wait_dscnt 0x0
	v_fmac_f64_e32 v[160:161], v[150:151], v[0:1]
	ds_load_2addr_b64 v[148:151], v128 offset0:111 offset1:112
	s_wait_loadcnt 0x4
	v_fmac_f64_e32 v[160:161], v[136:137], v[2:3]
	ds_load_2addr_b64 v[0:3], v128 offset0:105 offset1:106
	s_wait_dscnt 0x0
	v_fmac_f64_e32 v[160:161], v[138:139], v[0:1]
	scratch_load_b128 v[136:139], off, off offset:432
	s_wait_loadcnt 0x4
	v_fmac_f64_e32 v[160:161], v[140:141], v[2:3]
	ds_load_2addr_b64 v[0:3], v128 offset0:107 offset1:108
	s_wait_dscnt 0x0
	v_fmac_f64_e32 v[160:161], v[142:143], v[0:1]
	scratch_load_b128 v[140:143], off, off offset:448
	;; [unrolled: 6-line block ×3, first 2 shown]
	s_wait_loadcnt 0x4
	v_fmac_f64_e32 v[160:161], v[152:153], v[2:3]
	scratch_load_b128 v[0:3], off, off offset:480
	v_fmac_f64_e32 v[160:161], v[154:155], v[148:149]
	s_delay_alu instid0(VALU_DEP_1) | instskip(SKIP_4) | instid1(VALU_DEP_1)
	v_fmac_f64_e32 v[160:161], v[156:157], v[150:151]
	ds_load_2addr_b64 v[148:151], v128 offset0:113 offset1:114
	s_wait_dscnt 0x0
	v_fmac_f64_e32 v[160:161], v[158:159], v[148:149]
	s_wait_loadcnt 0x4
	v_fmac_f64_e32 v[160:161], v[132:133], v[150:151]
	ds_load_2addr_b64 v[148:151], v128 offset0:115 offset1:116
	s_wait_dscnt 0x0
	v_fmac_f64_e32 v[160:161], v[134:135], v[148:149]
	ds_load_2addr_b64 v[132:135], v128 offset0:117 offset1:118
	s_wait_loadcnt 0x3
	v_fmac_f64_e32 v[160:161], v[136:137], v[150:151]
	s_wait_dscnt 0x0
	s_delay_alu instid0(VALU_DEP_1) | instskip(SKIP_1) | instid1(VALU_DEP_1)
	v_fmac_f64_e32 v[160:161], v[138:139], v[132:133]
	s_wait_loadcnt 0x2
	v_fmac_f64_e32 v[160:161], v[140:141], v[134:135]
	ds_load_2addr_b64 v[132:135], v128 offset0:119 offset1:120
	s_wait_dscnt 0x0
	v_fmac_f64_e32 v[160:161], v[142:143], v[132:133]
	s_wait_loadcnt 0x1
	s_delay_alu instid0(VALU_DEP_1)
	v_fmac_f64_e32 v[160:161], v[144:145], v[134:135]
	ds_load_2addr_b64 v[132:135], v128 offset0:121 offset1:122
	s_wait_dscnt 0x0
	v_fmac_f64_e32 v[160:161], v[146:147], v[132:133]
	ds_load_b64 v[132:133], v128 offset:984
	s_wait_loadcnt 0x0
	v_fmac_f64_e32 v[160:161], v[0:1], v[134:135]
	s_wait_dscnt 0x0
	s_delay_alu instid0(VALU_DEP_1) | instskip(NEXT) | instid1(VALU_DEP_1)
	v_fmac_f64_e32 v[160:161], v[2:3], v[132:133]
	v_add_f64_e64 v[166:167], v[130:131], -v[160:161]
	scratch_store_b64 off, v[166:167], off
	s_cbranch_vccz .LBB61_504
; %bb.382:
	global_load_b32 v2, v128, s[2:3] offset:240
	s_wait_loadcnt 0x0
	v_cmp_ne_u32_e32 vcc_lo, 61, v2
	s_cbranch_vccz .LBB61_384
; %bb.383:
	v_lshlrev_b32_e32 v2, 3, v2
	s_wait_xcnt 0x0
	s_delay_alu instid0(VALU_DEP_1)
	v_mov_b32_e32 v128, v2
	scratch_load_b64 v[2:3], v128, off offset:-8
	s_wait_loadcnt 0x0
	scratch_store_b64 off, v[2:3], off offset:480
	scratch_store_b64 v128, v[0:1], off offset:-8
.LBB61_384:
	s_wait_xcnt 0x0
	v_mov_b32_e32 v0, 0
	global_load_b32 v1, v0, s[2:3] offset:236
	s_wait_loadcnt 0x0
	v_cmp_eq_u32_e32 vcc_lo, 60, v1
	s_cbranch_vccnz .LBB61_386
; %bb.385:
	v_lshlrev_b32_e32 v1, 3, v1
	scratch_load_b64 v[2:3], v1, off offset:-8
	scratch_load_b64 v[128:129], off, off offset:472
	s_wait_loadcnt 0x1
	scratch_store_b64 off, v[2:3], off offset:472
	s_wait_loadcnt 0x0
	scratch_store_b64 v1, v[128:129], off offset:-8
.LBB61_386:
	global_load_b32 v0, v0, s[2:3] offset:232
	s_wait_loadcnt 0x0
	v_cmp_eq_u32_e32 vcc_lo, 59, v0
	s_cbranch_vccnz .LBB61_388
; %bb.387:
	s_wait_xcnt 0x0
	v_lshlrev_b32_e32 v0, 3, v0
	s_delay_alu instid0(VALU_DEP_1)
	v_mov_b32_e32 v128, v0
	scratch_load_b64 v[0:1], v128, off offset:-8
	scratch_load_b64 v[2:3], off, off offset:464
	s_wait_loadcnt 0x1
	scratch_store_b64 off, v[0:1], off offset:464
	s_wait_loadcnt 0x0
	scratch_store_b64 v128, v[2:3], off offset:-8
.LBB61_388:
	s_wait_xcnt 0x0
	v_mov_b32_e32 v0, 0
	global_load_b32 v1, v0, s[2:3] offset:228
	s_wait_loadcnt 0x0
	v_cmp_eq_u32_e32 vcc_lo, 58, v1
	s_cbranch_vccnz .LBB61_390
; %bb.389:
	v_lshlrev_b32_e32 v1, 3, v1
	scratch_load_b64 v[2:3], v1, off offset:-8
	scratch_load_b64 v[128:129], off, off offset:456
	s_wait_loadcnt 0x1
	scratch_store_b64 off, v[2:3], off offset:456
	s_wait_loadcnt 0x0
	scratch_store_b64 v1, v[128:129], off offset:-8
.LBB61_390:
	global_load_b32 v0, v0, s[2:3] offset:224
	s_wait_loadcnt 0x0
	v_cmp_eq_u32_e32 vcc_lo, 57, v0
	s_cbranch_vccnz .LBB61_392
; %bb.391:
	s_wait_xcnt 0x0
	v_lshlrev_b32_e32 v0, 3, v0
	s_delay_alu instid0(VALU_DEP_1)
	v_mov_b32_e32 v128, v0
	scratch_load_b64 v[0:1], v128, off offset:-8
	scratch_load_b64 v[2:3], off, off offset:448
	s_wait_loadcnt 0x1
	scratch_store_b64 off, v[0:1], off offset:448
	s_wait_loadcnt 0x0
	scratch_store_b64 v128, v[2:3], off offset:-8
.LBB61_392:
	;; [unrolled: 31-line block ×29, first 2 shown]
	s_wait_xcnt 0x0
	v_mov_b32_e32 v0, 0
	global_load_b32 v1, v0, s[2:3] offset:4
	s_wait_loadcnt 0x0
	v_cmp_eq_u32_e32 vcc_lo, 2, v1
	s_cbranch_vccnz .LBB61_502
; %bb.501:
	v_lshlrev_b32_e32 v1, 3, v1
	scratch_load_b64 v[2:3], v1, off offset:-8
	scratch_load_b64 v[128:129], off, off offset:8
	s_wait_loadcnt 0x1
	scratch_store_b64 off, v[2:3], off offset:8
	s_wait_loadcnt 0x0
	scratch_store_b64 v1, v[128:129], off offset:-8
.LBB61_502:
	global_load_b32 v0, v0, s[2:3]
	scratch_load_b64 v[166:167], off, off
	s_wait_loadcnt 0x1
	v_cmp_eq_u32_e32 vcc_lo, 1, v0
	s_cbranch_vccnz .LBB61_504
; %bb.503:
	s_wait_xcnt 0x1
	v_lshlrev_b32_e32 v0, 3, v0
	s_delay_alu instid0(VALU_DEP_1)
	v_mov_b32_e32 v2, v0
	scratch_load_b64 v[0:1], v2, off offset:-8
	s_wait_loadcnt 0x0
	scratch_store_b64 off, v[0:1], off
	scratch_store_b64 v2, v[166:167], off offset:-8
	scratch_load_b64 v[166:167], off, off
.LBB61_504:
	v_lshl_add_u64 v[170:171], v[8:9], 3, s[4:5]
	v_lshl_add_u64 v[168:169], v[10:11], 3, s[4:5]
	;; [unrolled: 1-line block ×12, first 2 shown]
	s_wait_xcnt 0x1
	v_lshl_add_u64 v[0:1], v[50:51], 3, s[4:5]
	v_lshl_add_u64 v[2:3], v[52:53], 3, s[4:5]
	;; [unrolled: 1-line block ×21, first 2 shown]
	s_clause 0x6
	scratch_load_b128 v[82:85], off, off offset:8
	scratch_load_b128 v[86:89], off, off offset:24
	;; [unrolled: 1-line block ×7, first 2 shown]
	v_lshl_add_u64 v[158:159], v[18:19], 3, s[4:5]
	v_lshl_add_u64 v[156:157], v[20:21], 3, s[4:5]
	;; [unrolled: 1-line block ×12, first 2 shown]
	s_wait_loadcnt 0x7
	global_store_b64 v[6:7], v[166:167], off
	scratch_load_b128 v[110:113], off, off offset:120
	v_lshl_add_u64 v[150:151], v[26:27], 3, s[4:5]
	v_lshl_add_u64 v[148:149], v[28:29], 3, s[4:5]
	;; [unrolled: 1-line block ×15, first 2 shown]
	s_clause 0x2
	scratch_load_b128 v[114:117], off, off offset:168
	scratch_load_b128 v[118:121], off, off offset:200
	;; [unrolled: 1-line block ×3, first 2 shown]
	s_wait_loadcnt 0xa
	global_store_b64 v[4:5], v[82:83], off
	scratch_load_b128 v[4:7], off, off offset:136
	global_store_b64 v[170:171], v[84:85], off
	scratch_load_b128 v[82:85], off, off offset:152
	s_wait_loadcnt 0xb
	s_clause 0x1
	global_store_b64 v[168:169], v[86:87], off
	global_store_b64 v[164:165], v[88:89], off
	s_wait_loadcnt 0xa
	s_clause 0x1
	global_store_b64 v[162:163], v[90:91], off
	global_store_b64 v[160:161], v[92:93], off
	;; [unrolled: 4-line block ×6, first 2 shown]
	s_clause 0x3
	scratch_load_b128 v[86:89], off, off offset:184
	scratch_load_b128 v[90:93], off, off offset:216
	;; [unrolled: 1-line block ×4, first 2 shown]
	s_wait_loadcnt 0x9
	s_clause 0x1
	global_store_b64 v[142:143], v[110:111], off
	global_store_b64 v[140:141], v[112:113], off
	s_clause 0x6
	scratch_load_b128 v[98:101], off, off offset:280
	scratch_load_b128 v[150:153], off, off offset:296
	;; [unrolled: 1-line block ×7, first 2 shown]
	s_wait_loadcnt 0xc
	s_clause 0x1
	global_store_b64 v[138:139], v[4:5], off
	global_store_b64 v[136:137], v[6:7], off
	s_wait_loadcnt 0xb
	s_clause 0x3
	global_store_b64 v[134:135], v[82:83], off
	global_store_b64 v[132:133], v[84:85], off
	;; [unrolled: 1-line block ×4, first 2 shown]
	s_clause 0x6
	scratch_load_b128 v[138:141], off, off offset:392
	scratch_load_b128 v[4:7], off, off offset:408
	;; [unrolled: 1-line block ×6, first 2 shown]
	scratch_load_b64 v[126:127], off, off offset:488
	s_wait_loadcnt 0x11
	s_clause 0x3
	global_store_b64 v[0:1], v[86:87], off
	global_store_b64 v[2:3], v[88:89], off
	global_store_b64 v[8:9], v[118:119], off
	global_store_b64 v[10:11], v[120:121], off
	s_wait_loadcnt 0x10
	s_clause 0x3
	global_store_b64 v[12:13], v[90:91], off
	global_store_b64 v[14:15], v[92:93], off
	;; [unrolled: 1-line block ×4, first 2 shown]
	s_wait_loadcnt 0xf
	s_clause 0x1
	global_store_b64 v[20:21], v[94:95], off
	global_store_b64 v[22:23], v[96:97], off
	s_wait_loadcnt 0xe
	s_clause 0x1
	global_store_b64 v[24:25], v[154:155], off
	global_store_b64 v[26:27], v[156:157], off
	;; [unrolled: 4-line block ×15, first 2 shown]
	s_wait_loadcnt 0x0
	global_store_b64 v[80:81], v[126:127], off
	s_sendmsg sendmsg(MSG_DEALLOC_VGPRS)
	s_endpgm
	.section	.rodata,"a",@progbits
	.p2align	6, 0x0
	.amdhsa_kernel _ZN9rocsolver6v33100L18getri_kernel_smallILi62EdPdEEvT1_iilPiilS4_bb
		.amdhsa_group_segment_fixed_size 1000
		.amdhsa_private_segment_fixed_size 512
		.amdhsa_kernarg_size 60
		.amdhsa_user_sgpr_count 2
		.amdhsa_user_sgpr_dispatch_ptr 0
		.amdhsa_user_sgpr_queue_ptr 0
		.amdhsa_user_sgpr_kernarg_segment_ptr 1
		.amdhsa_user_sgpr_dispatch_id 0
		.amdhsa_user_sgpr_kernarg_preload_length 0
		.amdhsa_user_sgpr_kernarg_preload_offset 0
		.amdhsa_user_sgpr_private_segment_size 0
		.amdhsa_wavefront_size32 1
		.amdhsa_uses_dynamic_stack 0
		.amdhsa_enable_private_segment 1
		.amdhsa_system_sgpr_workgroup_id_x 1
		.amdhsa_system_sgpr_workgroup_id_y 0
		.amdhsa_system_sgpr_workgroup_id_z 0
		.amdhsa_system_sgpr_workgroup_info 0
		.amdhsa_system_vgpr_workitem_id 0
		.amdhsa_next_free_vgpr 184
		.amdhsa_next_free_sgpr 19
		.amdhsa_named_barrier_count 0
		.amdhsa_reserve_vcc 1
		.amdhsa_float_round_mode_32 0
		.amdhsa_float_round_mode_16_64 0
		.amdhsa_float_denorm_mode_32 3
		.amdhsa_float_denorm_mode_16_64 3
		.amdhsa_fp16_overflow 0
		.amdhsa_memory_ordered 1
		.amdhsa_forward_progress 1
		.amdhsa_inst_pref_size 255
		.amdhsa_round_robin_scheduling 0
		.amdhsa_exception_fp_ieee_invalid_op 0
		.amdhsa_exception_fp_denorm_src 0
		.amdhsa_exception_fp_ieee_div_zero 0
		.amdhsa_exception_fp_ieee_overflow 0
		.amdhsa_exception_fp_ieee_underflow 0
		.amdhsa_exception_fp_ieee_inexact 0
		.amdhsa_exception_int_div_zero 0
	.end_amdhsa_kernel
	.section	.text._ZN9rocsolver6v33100L18getri_kernel_smallILi62EdPdEEvT1_iilPiilS4_bb,"axG",@progbits,_ZN9rocsolver6v33100L18getri_kernel_smallILi62EdPdEEvT1_iilPiilS4_bb,comdat
.Lfunc_end61:
	.size	_ZN9rocsolver6v33100L18getri_kernel_smallILi62EdPdEEvT1_iilPiilS4_bb, .Lfunc_end61-_ZN9rocsolver6v33100L18getri_kernel_smallILi62EdPdEEvT1_iilPiilS4_bb
                                        ; -- End function
	.set _ZN9rocsolver6v33100L18getri_kernel_smallILi62EdPdEEvT1_iilPiilS4_bb.num_vgpr, 184
	.set _ZN9rocsolver6v33100L18getri_kernel_smallILi62EdPdEEvT1_iilPiilS4_bb.num_agpr, 0
	.set _ZN9rocsolver6v33100L18getri_kernel_smallILi62EdPdEEvT1_iilPiilS4_bb.numbered_sgpr, 19
	.set _ZN9rocsolver6v33100L18getri_kernel_smallILi62EdPdEEvT1_iilPiilS4_bb.num_named_barrier, 0
	.set _ZN9rocsolver6v33100L18getri_kernel_smallILi62EdPdEEvT1_iilPiilS4_bb.private_seg_size, 512
	.set _ZN9rocsolver6v33100L18getri_kernel_smallILi62EdPdEEvT1_iilPiilS4_bb.uses_vcc, 1
	.set _ZN9rocsolver6v33100L18getri_kernel_smallILi62EdPdEEvT1_iilPiilS4_bb.uses_flat_scratch, 1
	.set _ZN9rocsolver6v33100L18getri_kernel_smallILi62EdPdEEvT1_iilPiilS4_bb.has_dyn_sized_stack, 0
	.set _ZN9rocsolver6v33100L18getri_kernel_smallILi62EdPdEEvT1_iilPiilS4_bb.has_recursion, 0
	.set _ZN9rocsolver6v33100L18getri_kernel_smallILi62EdPdEEvT1_iilPiilS4_bb.has_indirect_call, 0
	.section	.AMDGPU.csdata,"",@progbits
; Kernel info:
; codeLenInByte = 66020
; TotalNumSgprs: 21
; NumVgprs: 184
; ScratchSize: 512
; MemoryBound: 0
; FloatMode: 240
; IeeeMode: 1
; LDSByteSize: 1000 bytes/workgroup (compile time only)
; SGPRBlocks: 0
; VGPRBlocks: 11
; NumSGPRsForWavesPerEU: 21
; NumVGPRsForWavesPerEU: 184
; NamedBarCnt: 0
; Occupancy: 5
; WaveLimiterHint : 1
; COMPUTE_PGM_RSRC2:SCRATCH_EN: 1
; COMPUTE_PGM_RSRC2:USER_SGPR: 2
; COMPUTE_PGM_RSRC2:TRAP_HANDLER: 0
; COMPUTE_PGM_RSRC2:TGID_X_EN: 1
; COMPUTE_PGM_RSRC2:TGID_Y_EN: 0
; COMPUTE_PGM_RSRC2:TGID_Z_EN: 0
; COMPUTE_PGM_RSRC2:TIDIG_COMP_CNT: 0
	.section	.text._ZN9rocsolver6v33100L18getri_kernel_smallILi63EdPdEEvT1_iilPiilS4_bb,"axG",@progbits,_ZN9rocsolver6v33100L18getri_kernel_smallILi63EdPdEEvT1_iilPiilS4_bb,comdat
	.globl	_ZN9rocsolver6v33100L18getri_kernel_smallILi63EdPdEEvT1_iilPiilS4_bb ; -- Begin function _ZN9rocsolver6v33100L18getri_kernel_smallILi63EdPdEEvT1_iilPiilS4_bb
	.p2align	8
	.type	_ZN9rocsolver6v33100L18getri_kernel_smallILi63EdPdEEvT1_iilPiilS4_bb,@function
_ZN9rocsolver6v33100L18getri_kernel_smallILi63EdPdEEvT1_iilPiilS4_bb: ; @_ZN9rocsolver6v33100L18getri_kernel_smallILi63EdPdEEvT1_iilPiilS4_bb
; %bb.0:
	s_mov_b32 s2, exec_lo
	v_cmpx_gt_u32_e32 63, v0
	s_cbranch_execz .LBB62_262
; %bb.1:
	s_clause 0x2
	s_load_b32 s2, s[0:1], 0x38
	s_load_b128 s[12:15], s[0:1], 0x10
	s_load_b128 s[4:7], s[0:1], 0x28
	s_getreg_b32 s9, hwreg(HW_REG_IB_STS2, 6, 4)
	s_wait_kmcnt 0x0
	s_bitcmp1_b32 s2, 8
	s_cselect_b32 s18, -1, 0
	s_bfe_u32 s3, ttmp6, 0x4000c
	s_and_b32 s8, ttmp6, 15
	s_add_co_i32 s3, s3, 1
	s_delay_alu instid0(SALU_CYCLE_1) | instskip(NEXT) | instid1(SALU_CYCLE_1)
	s_mul_i32 s3, ttmp9, s3
	s_add_co_i32 s8, s8, s3
	s_cmp_eq_u32 s9, 0
	s_cselect_b32 s16, ttmp9, s8
	s_bfe_u32 s2, s2, 0x10008
	s_ashr_i32 s17, s16, 31
	s_cmp_eq_u32 s2, 0
                                        ; implicit-def: $sgpr2_sgpr3
	s_cbranch_scc1 .LBB62_3
; %bb.2:
	s_load_b32 s2, s[0:1], 0x20
	s_mul_u64 s[4:5], s[4:5], s[16:17]
	s_delay_alu instid0(SALU_CYCLE_1) | instskip(NEXT) | instid1(SALU_CYCLE_1)
	s_lshl_b64 s[4:5], s[4:5], 2
	s_add_nc_u64 s[4:5], s[14:15], s[4:5]
	s_wait_kmcnt 0x0
	s_ashr_i32 s3, s2, 31
	s_delay_alu instid0(SALU_CYCLE_1) | instskip(NEXT) | instid1(SALU_CYCLE_1)
	s_lshl_b64 s[2:3], s[2:3], 2
	s_add_nc_u64 s[2:3], s[4:5], s[2:3]
.LBB62_3:
	s_clause 0x1
	s_load_b128 s[8:11], s[0:1], 0x0
	s_load_b32 s14, s[0:1], 0x38
	s_wait_xcnt 0x0
	s_mul_u64 s[0:1], s[12:13], s[16:17]
	v_lshlrev_b32_e32 v2, 3, v0
	s_lshl_b64 s[0:1], s[0:1], 3
	v_mov_b32_e32 v3, 0
	s_wait_kmcnt 0x0
	v_add3_u32 v8, s11, s11, v0
	s_ashr_i32 s5, s10, 31
	s_mov_b32 s4, s10
	s_add_nc_u64 s[0:1], s[8:9], s[0:1]
	s_lshl_b64 s[4:5], s[4:5], 3
	v_add_nc_u32_e32 v10, s11, v8
	s_add_nc_u64 s[4:5], s[0:1], s[4:5]
	s_ashr_i32 s1, s11, 31
	s_mov_b32 s0, s11
	s_bitcmp0_b32 s14, 0
	v_add_nc_u32_e32 v12, s11, v10
	v_add_nc_u64_e32 v[4:5], s[4:5], v[2:3]
	s_delay_alu instid0(VALU_DEP_2) | instskip(NEXT) | instid1(VALU_DEP_2)
	v_add_nc_u32_e32 v14, s11, v12
	v_lshl_add_u64 v[6:7], s[0:1], 3, v[4:5]
	s_mov_b32 s1, -1
	s_delay_alu instid0(VALU_DEP_2) | instskip(SKIP_4) | instid1(VALU_DEP_1)
	v_add_nc_u32_e32 v16, s11, v14
	s_clause 0x1
	global_load_b64 v[92:93], v0, s[4:5] scale_offset
	global_load_b64 v[94:95], v[6:7], off
	v_add_nc_u32_e32 v18, s11, v16
	v_add_nc_u32_e32 v20, s11, v18
	s_clause 0x3
	global_load_b64 v[96:97], v8, s[4:5] scale_offset
	global_load_b64 v[98:99], v10, s[4:5] scale_offset
	;; [unrolled: 1-line block ×4, first 2 shown]
	v_add_nc_u32_e32 v22, s11, v20
	s_delay_alu instid0(VALU_DEP_1) | instskip(NEXT) | instid1(VALU_DEP_1)
	v_add_nc_u32_e32 v24, s11, v22
	v_add_nc_u32_e32 v26, s11, v24
	s_delay_alu instid0(VALU_DEP_1)
	v_add_nc_u32_e32 v28, s11, v26
	s_clause 0x3
	global_load_b64 v[104:105], v16, s[4:5] scale_offset
	global_load_b64 v[106:107], v18, s[4:5] scale_offset
	;; [unrolled: 1-line block ×4, first 2 shown]
	v_add_nc_u32_e32 v30, s11, v28
	s_delay_alu instid0(VALU_DEP_1) | instskip(NEXT) | instid1(VALU_DEP_1)
	v_add_nc_u32_e32 v32, s11, v30
	v_add_nc_u32_e32 v34, s11, v32
	s_delay_alu instid0(VALU_DEP_1)
	v_add_nc_u32_e32 v36, s11, v34
	s_clause 0x3
	global_load_b64 v[112:113], v24, s[4:5] scale_offset
	global_load_b64 v[114:115], v26, s[4:5] scale_offset
	;; [unrolled: 1-line block ×4, first 2 shown]
	v_add_nc_u32_e32 v38, s11, v36
	s_delay_alu instid0(VALU_DEP_1)
	v_add_nc_u32_e32 v40, s11, v38
	s_clause 0x3
	global_load_b64 v[120:121], v32, s[4:5] scale_offset
	global_load_b64 v[122:123], v34, s[4:5] scale_offset
	global_load_b64 v[124:125], v36, s[4:5] scale_offset
	global_load_b64 v[126:127], v38, s[4:5] scale_offset
	v_add_nc_u32_e32 v42, s11, v40
	s_delay_alu instid0(VALU_DEP_1) | instskip(NEXT) | instid1(VALU_DEP_1)
	v_add_nc_u32_e32 v44, s11, v42
	v_add_nc_u32_e32 v46, s11, v44
	s_delay_alu instid0(VALU_DEP_1) | instskip(SKIP_4) | instid1(VALU_DEP_1)
	v_add_nc_u32_e32 v48, s11, v46
	s_clause 0x1
	global_load_b64 v[128:129], v40, s[4:5] scale_offset
	global_load_b64 v[130:131], v42, s[4:5] scale_offset
	v_add_nc_u32_e32 v50, s11, v48
	v_add_nc_u32_e32 v52, s11, v50
	s_clause 0x3
	global_load_b64 v[132:133], v44, s[4:5] scale_offset
	global_load_b64 v[134:135], v46, s[4:5] scale_offset
	global_load_b64 v[136:137], v48, s[4:5] scale_offset
	global_load_b64 v[138:139], v50, s[4:5] scale_offset
	v_add_nc_u32_e32 v54, s11, v52
	s_delay_alu instid0(VALU_DEP_1) | instskip(NEXT) | instid1(VALU_DEP_1)
	v_add_nc_u32_e32 v56, s11, v54
	v_add_nc_u32_e32 v58, s11, v56
	s_delay_alu instid0(VALU_DEP_1) | instskip(SKIP_4) | instid1(VALU_DEP_1)
	v_add_nc_u32_e32 v60, s11, v58
	s_clause 0x1
	global_load_b64 v[140:141], v52, s[4:5] scale_offset
	global_load_b64 v[142:143], v54, s[4:5] scale_offset
	v_add_nc_u32_e32 v62, s11, v60
	;; [unrolled: 16-line block ×3, first 2 shown]
	v_add_nc_u32_e32 v76, s11, v74
	s_delay_alu instid0(VALU_DEP_1) | instskip(NEXT) | instid1(VALU_DEP_1)
	v_add_nc_u32_e32 v78, s11, v76
	v_add_nc_u32_e32 v80, s11, v78
	s_delay_alu instid0(VALU_DEP_1) | instskip(NEXT) | instid1(VALU_DEP_1)
	v_add_nc_u32_e32 v82, s11, v80
	;; [unrolled: 3-line block ×3, first 2 shown]
	v_add_nc_u32_e32 v88, s11, v86
	s_delay_alu instid0(VALU_DEP_1) | instskip(SKIP_4) | instid1(VALU_DEP_1)
	v_add_nc_u32_e32 v90, s11, v88
	s_wait_loadcnt 0x1e
	scratch_store_b128 off, v[92:95], off
	s_wait_xcnt 0x0
	v_add_nc_u32_e32 v92, s11, v90
	v_add_nc_u32_e32 v94, s11, v92
	s_wait_loadcnt 0x1c
	scratch_store_b128 off, v[96:99], off offset:16
	s_clause 0x1
	global_load_b64 v[156:157], v68, s[4:5] scale_offset
	global_load_b64 v[158:159], v70, s[4:5] scale_offset
	s_wait_loadcnt 0x1c
	scratch_store_b128 off, v[100:103], off offset:32
	s_wait_loadcnt 0x1a
	scratch_store_b128 off, v[104:107], off offset:48
	;; [unrolled: 2-line block ×3, first 2 shown]
	s_clause 0x3
	global_load_b64 v[160:161], v72, s[4:5] scale_offset
	global_load_b64 v[162:163], v74, s[4:5] scale_offset
	;; [unrolled: 1-line block ×4, first 2 shown]
	s_wait_loadcnt 0x1a
	scratch_store_b128 off, v[112:115], off offset:80
	s_wait_loadcnt 0x18
	scratch_store_b128 off, v[116:119], off offset:96
	s_wait_xcnt 0xb
	v_add_nc_u32_e32 v96, s11, v94
	s_clause 0x3
	global_load_b64 v[168:169], v80, s[4:5] scale_offset
	global_load_b64 v[170:171], v82, s[4:5] scale_offset
	;; [unrolled: 1-line block ×4, first 2 shown]
	v_add_nc_u32_e32 v98, s11, v96
	s_wait_loadcnt 0x1a
	scratch_store_b128 off, v[120:123], off offset:112
	s_wait_loadcnt 0x18
	scratch_store_b128 off, v[124:127], off offset:128
	s_wait_xcnt 0xe
	v_add_nc_u32_e32 v100, s11, v98
	s_clause 0x1
	global_load_b64 v[176:177], v88, s[4:5] scale_offset
	global_load_b64 v[178:179], v90, s[4:5] scale_offset
	v_add_nc_u32_e32 v102, s11, v100
	s_wait_xcnt 0xf
	s_delay_alu instid0(VALU_DEP_1) | instskip(NEXT) | instid1(VALU_DEP_1)
	v_add_nc_u32_e32 v104, s11, v102
	v_add_nc_u32_e32 v106, s11, v104
	s_wait_loadcnt 0x18
	scratch_store_b128 off, v[128:131], off offset:144
	s_clause 0x1
	global_load_b64 v[128:129], v92, s[4:5] scale_offset
	global_load_b64 v[130:131], v94, s[4:5] scale_offset
	v_add_nc_u32_e32 v108, s11, v106
	s_delay_alu instid0(VALU_DEP_1)
	v_add_nc_u32_e32 v110, s11, v108
	s_wait_loadcnt 0x18
	scratch_store_b128 off, v[132:135], off offset:160
	s_clause 0x1
	global_load_b64 v[132:133], v96, s[4:5] scale_offset
	global_load_b64 v[134:135], v98, s[4:5] scale_offset
	s_wait_loadcnt 0x18
	scratch_store_b128 off, v[136:139], off offset:176
	s_clause 0x1
	global_load_b64 v[136:137], v100, s[4:5] scale_offset
	global_load_b64 v[138:139], v102, s[4:5] scale_offset
	v_add_nc_u32_e32 v112, s11, v110
	s_delay_alu instid0(VALU_DEP_1) | instskip(NEXT) | instid1(VALU_DEP_1)
	v_add_nc_u32_e32 v114, s11, v112
	v_add_nc_u32_e32 v116, s11, v114
	s_delay_alu instid0(VALU_DEP_1) | instskip(SKIP_3) | instid1(VALU_DEP_1)
	v_add_nc_u32_e32 v118, s11, v116
	s_wait_loadcnt 0x18
	scratch_store_b128 off, v[140:143], off offset:192
	v_add_nc_u32_e32 v120, s11, v118
	v_add_nc_u32_e32 v122, s11, v120
	s_wait_loadcnt 0x16
	scratch_store_b128 off, v[144:147], off offset:208
	s_wait_loadcnt 0x14
	scratch_store_b128 off, v[148:151], off offset:224
	v_add_nc_u32_e32 v124, s11, v122
	s_delay_alu instid0(VALU_DEP_1)
	v_add_nc_u32_e32 v126, s11, v124
	s_wait_loadcnt 0x12
	scratch_store_b128 off, v[152:155], off offset:240
	s_wait_loadcnt 0x10
	scratch_store_b128 off, v[156:159], off offset:256
	;; [unrolled: 2-line block ×5, first 2 shown]
	s_clause 0x3
	global_load_b64 v[140:141], v104, s[4:5] scale_offset
	global_load_b64 v[142:143], v106, s[4:5] scale_offset
	;; [unrolled: 1-line block ×4, first 2 shown]
	s_wait_loadcnt 0xc
	scratch_store_b128 off, v[172:175], off offset:320
	s_wait_loadcnt 0xa
	scratch_store_b128 off, v[176:179], off offset:336
	s_clause 0x3
	global_load_b64 v[148:149], v112, s[4:5] scale_offset
	global_load_b64 v[150:151], v114, s[4:5] scale_offset
	global_load_b64 v[152:153], v116, s[4:5] scale_offset
	global_load_b64 v[154:155], v118, s[4:5] scale_offset
	s_wait_loadcnt 0xc
	scratch_store_b128 off, v[128:131], off offset:352
	s_wait_xcnt 0x0
	v_add_nc_u32_e32 v128, s11, v126
	s_wait_loadcnt 0xa
	scratch_store_b128 off, v[132:135], off offset:368
	s_clause 0x1
	global_load_b64 v[130:131], v120, s[4:5] scale_offset
	global_load_b64 v[132:133], v122, s[4:5] scale_offset
	s_wait_loadcnt 0xa
	scratch_store_b128 off, v[136:139], off offset:384
	s_clause 0x2
	global_load_b64 v[134:135], v124, s[4:5] scale_offset
	global_load_b64 v[136:137], v126, s[4:5] scale_offset
	;; [unrolled: 1-line block ×3, first 2 shown]
	s_wait_loadcnt 0xb
	scratch_store_b128 off, v[140:143], off offset:400
	s_wait_loadcnt 0x9
	scratch_store_b128 off, v[144:147], off offset:416
	;; [unrolled: 2-line block ×6, first 2 shown]
	s_wait_loadcnt 0x0
	scratch_store_b64 off, v[138:139], off offset:496
	s_cbranch_scc1 .LBB62_260
; %bb.4:
	v_cmp_eq_u32_e64 s0, 0, v0
	s_wait_xcnt 0x0
	s_and_saveexec_b32 s1, s0
; %bb.5:
	v_mov_b32_e32 v1, 0
	ds_store_b32 v1, v1 offset:504
; %bb.6:
	s_or_b32 exec_lo, exec_lo, s1
	s_wait_storecnt_dscnt 0x0
	s_barrier_signal -1
	s_barrier_wait -1
	scratch_load_b64 v[130:131], v0, off scale_offset
	s_mov_b32 s8, exec_lo
	s_wait_loadcnt 0x0
	v_cmpx_eq_f64_e32 0, v[130:131]
	s_cbranch_execz .LBB62_10
; %bb.7:
	v_mov_b32_e32 v1, 0
	s_mov_b32 s9, 0
	ds_load_b32 v3, v1 offset:504
	s_wait_dscnt 0x0
	v_readfirstlane_b32 s1, v3
	v_add_nc_u32_e32 v3, 1, v0
	s_cmp_eq_u32 s1, 0
	s_delay_alu instid0(VALU_DEP_1) | instskip(SKIP_1) | instid1(SALU_CYCLE_1)
	v_cmp_gt_i32_e32 vcc_lo, s1, v3
	s_cselect_b32 s10, -1, 0
	s_or_b32 s10, s10, vcc_lo
	s_delay_alu instid0(SALU_CYCLE_1)
	s_and_b32 exec_lo, exec_lo, s10
	s_cbranch_execz .LBB62_10
; %bb.8:
	v_mov_b32_e32 v9, s1
.LBB62_9:                               ; =>This Inner Loop Header: Depth=1
	ds_cmpstore_rtn_b32 v9, v1, v3, v9 offset:504
	s_wait_dscnt 0x0
	v_cmp_ne_u32_e32 vcc_lo, 0, v9
	v_cmp_le_i32_e64 s1, v9, v3
	s_and_b32 s1, vcc_lo, s1
	s_delay_alu instid0(SALU_CYCLE_1) | instskip(NEXT) | instid1(SALU_CYCLE_1)
	s_and_b32 s1, exec_lo, s1
	s_or_b32 s9, s1, s9
	s_delay_alu instid0(SALU_CYCLE_1)
	s_and_not1_b32 exec_lo, exec_lo, s9
	s_cbranch_execnz .LBB62_9
.LBB62_10:
	s_or_b32 exec_lo, exec_lo, s8
	v_mov_b32_e32 v1, 0
	s_barrier_signal -1
	s_barrier_wait -1
	ds_load_b32 v3, v1 offset:504
	s_and_saveexec_b32 s1, s0
	s_cbranch_execz .LBB62_12
; %bb.11:
	s_lshl_b64 s[8:9], s[16:17], 2
	s_delay_alu instid0(SALU_CYCLE_1)
	s_add_nc_u64 s[8:9], s[6:7], s[8:9]
	s_wait_dscnt 0x0
	global_store_b32 v1, v3, s[8:9]
.LBB62_12:
	s_wait_xcnt 0x0
	s_or_b32 exec_lo, exec_lo, s1
	s_wait_dscnt 0x0
	v_cmp_ne_u32_e32 vcc_lo, 0, v3
	s_mov_b32 s1, 0
	s_cbranch_vccnz .LBB62_260
; %bb.13:
	v_lshl_add_u32 v3, v0, 3, 0
	v_or_b32_e32 v1, 0x200, v2
	scratch_load_b64 v[130:131], v3, off
	s_wait_loadcnt 0x0
	v_div_scale_f64 v[132:133], null, v[130:131], v[130:131], 1.0
	v_div_scale_f64 v[138:139], vcc_lo, 1.0, v[130:131], 1.0
	s_delay_alu instid0(VALU_DEP_2) | instskip(SKIP_1) | instid1(TRANS32_DEP_1)
	v_rcp_f64_e32 v[134:135], v[132:133]
	v_nop
	v_fma_f64 v[136:137], -v[132:133], v[134:135], 1.0
	s_delay_alu instid0(VALU_DEP_1) | instskip(NEXT) | instid1(VALU_DEP_1)
	v_fmac_f64_e32 v[134:135], v[134:135], v[136:137]
	v_fma_f64 v[136:137], -v[132:133], v[134:135], 1.0
	s_delay_alu instid0(VALU_DEP_1) | instskip(NEXT) | instid1(VALU_DEP_1)
	v_fmac_f64_e32 v[134:135], v[134:135], v[136:137]
	v_mul_f64_e32 v[136:137], v[138:139], v[134:135]
	s_delay_alu instid0(VALU_DEP_1) | instskip(NEXT) | instid1(VALU_DEP_1)
	v_fma_f64 v[132:133], -v[132:133], v[136:137], v[138:139]
	v_div_fmas_f64 v[132:133], v[132:133], v[134:135], v[136:137]
	s_delay_alu instid0(VALU_DEP_1)
	v_div_fixup_f64 v[130:131], v[132:133], v[130:131], 1.0
	scratch_store_b64 v3, v[130:131], off
	scratch_load_b64 v[132:133], off, off offset:8
	s_wait_xcnt 0x1
	v_xor_b32_e32 v131, 0x80000000, v131
	s_wait_loadcnt 0x0
	ds_store_2addr_stride64_b64 v2, v[130:131], v[132:133] offset1:1
	s_wait_storecnt_dscnt 0x0
	s_barrier_signal -1
	s_barrier_wait -1
	s_wait_xcnt 0x0
	s_and_saveexec_b32 s1, s0
	s_cbranch_execz .LBB62_15
; %bb.14:
	scratch_load_b64 v[130:131], v3, off
	ds_load_b64 v[132:133], v1
	s_wait_loadcnt_dscnt 0x0
	v_fma_f64 v[130:131], v[130:131], v[132:133], 0
	v_mov_b32_e32 v9, 0
	ds_load_b64 v[134:135], v9 offset:8
	s_wait_dscnt 0x0
	v_mul_f64_e32 v[130:131], v[130:131], v[134:135]
	scratch_store_b64 off, v[130:131], off offset:8
.LBB62_15:
	s_wait_xcnt 0x0
	s_or_b32 exec_lo, exec_lo, s1
	s_wait_storecnt 0x0
	s_barrier_signal -1
	s_barrier_wait -1
	scratch_load_b64 v[130:131], off, off offset:16
	s_mov_b32 s1, exec_lo
	s_wait_loadcnt 0x0
	ds_store_b64 v1, v[130:131]
	s_wait_dscnt 0x0
	s_barrier_signal -1
	s_barrier_wait -1
	v_cmpx_gt_u32_e32 2, v0
	s_cbranch_execz .LBB62_19
; %bb.16:
	scratch_load_b64 v[130:131], v3, off
	ds_load_b64 v[132:133], v1
	s_wait_loadcnt_dscnt 0x0
	v_fma_f64 v[130:131], v[130:131], v[132:133], 0
	s_and_saveexec_b32 s8, s0
	s_cbranch_execz .LBB62_18
; %bb.17:
	scratch_load_b64 v[132:133], off, off offset:8
	v_mov_b32_e32 v3, 0
	ds_load_b64 v[134:135], v3 offset:520
	s_wait_loadcnt_dscnt 0x0
	v_fmac_f64_e32 v[130:131], v[132:133], v[134:135]
.LBB62_18:
	s_or_b32 exec_lo, exec_lo, s8
	v_mov_b32_e32 v3, 0
	ds_load_b64 v[132:133], v3 offset:16
	s_wait_dscnt 0x0
	v_mul_f64_e32 v[130:131], v[130:131], v[132:133]
	scratch_store_b64 off, v[130:131], off offset:16
.LBB62_19:
	s_wait_xcnt 0x0
	s_or_b32 exec_lo, exec_lo, s1
	s_wait_storecnt 0x0
	s_barrier_signal -1
	s_barrier_wait -1
	scratch_load_b64 v[130:131], off, off offset:24
	v_add_nc_u32_e32 v3, -1, v0
	s_mov_b32 s0, exec_lo
	s_wait_loadcnt 0x0
	ds_store_b64 v1, v[130:131]
	s_wait_dscnt 0x0
	s_barrier_signal -1
	s_barrier_wait -1
	v_cmpx_gt_u32_e32 3, v0
	s_cbranch_execz .LBB62_23
; %bb.20:
	v_mov_b64_e32 v[130:131], 0
	v_dual_add_nc_u32 v9, -1, v0 :: v_dual_mov_b32 v13, v2
	v_or_b32_e32 v11, 0x200, v2
	s_mov_b32 s1, 0
.LBB62_21:                              ; =>This Inner Loop Header: Depth=1
	scratch_load_b64 v[132:133], v13, off
	ds_load_b64 v[134:135], v11
	v_dual_add_nc_u32 v9, 1, v9 :: v_dual_add_nc_u32 v11, 8, v11
	s_wait_xcnt 0x0
	v_add_nc_u32_e32 v13, 8, v13
	s_delay_alu instid0(VALU_DEP_2)
	v_cmp_lt_u32_e32 vcc_lo, 1, v9
	s_or_b32 s1, vcc_lo, s1
	s_wait_loadcnt_dscnt 0x0
	v_fmac_f64_e32 v[130:131], v[132:133], v[134:135]
	s_and_not1_b32 exec_lo, exec_lo, s1
	s_cbranch_execnz .LBB62_21
; %bb.22:
	s_or_b32 exec_lo, exec_lo, s1
	v_mov_b32_e32 v9, 0
	ds_load_b64 v[132:133], v9 offset:24
	s_wait_dscnt 0x0
	v_mul_f64_e32 v[130:131], v[130:131], v[132:133]
	scratch_store_b64 off, v[130:131], off offset:24
.LBB62_23:
	s_wait_xcnt 0x0
	s_or_b32 exec_lo, exec_lo, s0
	s_wait_storecnt 0x0
	s_barrier_signal -1
	s_barrier_wait -1
	scratch_load_b64 v[130:131], off, off offset:32
	s_mov_b32 s0, exec_lo
	s_wait_loadcnt 0x0
	ds_store_b64 v1, v[130:131]
	s_wait_dscnt 0x0
	s_barrier_signal -1
	s_barrier_wait -1
	v_cmpx_gt_u32_e32 4, v0
	s_cbranch_execz .LBB62_27
; %bb.24:
	v_mov_b64_e32 v[130:131], 0
	v_dual_add_nc_u32 v9, -1, v0 :: v_dual_mov_b32 v13, v2
	v_or_b32_e32 v11, 0x200, v2
	s_mov_b32 s1, 0
.LBB62_25:                              ; =>This Inner Loop Header: Depth=1
	scratch_load_b64 v[132:133], v13, off
	ds_load_b64 v[134:135], v11
	v_dual_add_nc_u32 v9, 1, v9 :: v_dual_add_nc_u32 v11, 8, v11
	s_wait_xcnt 0x0
	v_add_nc_u32_e32 v13, 8, v13
	s_delay_alu instid0(VALU_DEP_2)
	v_cmp_lt_u32_e32 vcc_lo, 2, v9
	s_or_b32 s1, vcc_lo, s1
	s_wait_loadcnt_dscnt 0x0
	v_fmac_f64_e32 v[130:131], v[132:133], v[134:135]
	s_and_not1_b32 exec_lo, exec_lo, s1
	s_cbranch_execnz .LBB62_25
; %bb.26:
	s_or_b32 exec_lo, exec_lo, s1
	v_mov_b32_e32 v9, 0
	ds_load_b64 v[132:133], v9 offset:32
	s_wait_dscnt 0x0
	v_mul_f64_e32 v[130:131], v[130:131], v[132:133]
	scratch_store_b64 off, v[130:131], off offset:32
.LBB62_27:
	s_wait_xcnt 0x0
	s_or_b32 exec_lo, exec_lo, s0
	s_wait_storecnt 0x0
	s_barrier_signal -1
	s_barrier_wait -1
	scratch_load_b64 v[130:131], off, off offset:40
	;; [unrolled: 40-line block ×20, first 2 shown]
	s_mov_b32 s0, exec_lo
	s_wait_loadcnt 0x0
	ds_store_b64 v1, v[130:131]
	s_wait_dscnt 0x0
	s_barrier_signal -1
	s_barrier_wait -1
	v_cmpx_gt_u32_e32 23, v0
	s_cbranch_execz .LBB62_103
; %bb.100:
	v_mov_b64_e32 v[130:131], 0
	v_dual_add_nc_u32 v9, -1, v0 :: v_dual_mov_b32 v13, v2
	v_or_b32_e32 v11, 0x200, v2
	s_mov_b32 s1, 0
.LBB62_101:                             ; =>This Inner Loop Header: Depth=1
	scratch_load_b64 v[132:133], v13, off
	ds_load_b64 v[134:135], v11
	v_dual_add_nc_u32 v9, 1, v9 :: v_dual_add_nc_u32 v11, 8, v11
	s_wait_xcnt 0x0
	v_add_nc_u32_e32 v13, 8, v13
	s_delay_alu instid0(VALU_DEP_2)
	v_cmp_lt_u32_e32 vcc_lo, 21, v9
	s_or_b32 s1, vcc_lo, s1
	s_wait_loadcnt_dscnt 0x0
	v_fmac_f64_e32 v[130:131], v[132:133], v[134:135]
	s_and_not1_b32 exec_lo, exec_lo, s1
	s_cbranch_execnz .LBB62_101
; %bb.102:
	s_or_b32 exec_lo, exec_lo, s1
	v_mov_b32_e32 v9, 0
	ds_load_b64 v[132:133], v9 offset:184
	s_wait_dscnt 0x0
	v_mul_f64_e32 v[130:131], v[130:131], v[132:133]
	scratch_store_b64 off, v[130:131], off offset:184
.LBB62_103:
	s_wait_xcnt 0x0
	s_or_b32 exec_lo, exec_lo, s0
	s_wait_storecnt 0x0
	s_barrier_signal -1
	s_barrier_wait -1
	scratch_load_b64 v[130:131], off, off offset:192
	s_mov_b32 s0, exec_lo
	s_wait_loadcnt 0x0
	ds_store_b64 v1, v[130:131]
	s_wait_dscnt 0x0
	s_barrier_signal -1
	s_barrier_wait -1
	v_cmpx_gt_u32_e32 24, v0
	s_cbranch_execz .LBB62_107
; %bb.104:
	v_mov_b64_e32 v[130:131], 0
	v_dual_add_nc_u32 v9, -1, v0 :: v_dual_mov_b32 v13, v2
	v_or_b32_e32 v11, 0x200, v2
	s_mov_b32 s1, 0
.LBB62_105:                             ; =>This Inner Loop Header: Depth=1
	scratch_load_b64 v[132:133], v13, off
	ds_load_b64 v[134:135], v11
	v_dual_add_nc_u32 v9, 1, v9 :: v_dual_add_nc_u32 v11, 8, v11
	s_wait_xcnt 0x0
	v_add_nc_u32_e32 v13, 8, v13
	s_delay_alu instid0(VALU_DEP_2)
	v_cmp_lt_u32_e32 vcc_lo, 22, v9
	s_or_b32 s1, vcc_lo, s1
	s_wait_loadcnt_dscnt 0x0
	v_fmac_f64_e32 v[130:131], v[132:133], v[134:135]
	s_and_not1_b32 exec_lo, exec_lo, s1
	s_cbranch_execnz .LBB62_105
; %bb.106:
	s_or_b32 exec_lo, exec_lo, s1
	v_mov_b32_e32 v9, 0
	ds_load_b64 v[132:133], v9 offset:192
	s_wait_dscnt 0x0
	v_mul_f64_e32 v[130:131], v[130:131], v[132:133]
	scratch_store_b64 off, v[130:131], off offset:192
.LBB62_107:
	s_wait_xcnt 0x0
	s_or_b32 exec_lo, exec_lo, s0
	s_wait_storecnt 0x0
	s_barrier_signal -1
	s_barrier_wait -1
	scratch_load_b64 v[130:131], off, off offset:200
	;; [unrolled: 40-line block ×39, first 2 shown]
	s_mov_b32 s0, exec_lo
	s_wait_loadcnt 0x0
	ds_store_b64 v1, v[130:131]
	s_wait_dscnt 0x0
	s_barrier_signal -1
	s_barrier_wait -1
	v_cmpx_ne_u32_e32 62, v0
	s_cbranch_execz .LBB62_259
; %bb.256:
	v_mov_b64_e32 v[130:131], 0
	s_mov_b32 s1, 0
.LBB62_257:                             ; =>This Inner Loop Header: Depth=1
	scratch_load_b64 v[132:133], v2, off
	ds_load_b64 v[134:135], v1
	v_dual_add_nc_u32 v3, 1, v3 :: v_dual_add_nc_u32 v1, 8, v1
	s_wait_xcnt 0x0
	v_add_nc_u32_e32 v2, 8, v2
	s_delay_alu instid0(VALU_DEP_2)
	v_cmp_lt_u32_e32 vcc_lo, 60, v3
	s_or_b32 s1, vcc_lo, s1
	s_wait_loadcnt_dscnt 0x0
	v_fmac_f64_e32 v[130:131], v[132:133], v[134:135]
	s_and_not1_b32 exec_lo, exec_lo, s1
	s_cbranch_execnz .LBB62_257
; %bb.258:
	s_or_b32 exec_lo, exec_lo, s1
	v_mov_b32_e32 v1, 0
	ds_load_b64 v[2:3], v1 offset:496
	s_wait_dscnt 0x0
	v_mul_f64_e32 v[2:3], v[130:131], v[2:3]
	scratch_store_b64 off, v[2:3], off offset:496
.LBB62_259:
	s_wait_xcnt 0x0
	s_or_b32 exec_lo, exec_lo, s0
	s_mov_b32 s1, -1
	s_wait_storecnt 0x0
	s_barrier_signal -1
	s_barrier_wait -1
.LBB62_260:
	s_and_b32 vcc_lo, exec_lo, s1
	s_cbranch_vccz .LBB62_262
; %bb.261:
	v_mov_b32_e32 v1, 0
	s_lshl_b64 s[0:1], s[16:17], 2
	s_delay_alu instid0(SALU_CYCLE_1)
	s_add_nc_u64 s[0:1], s[6:7], s[0:1]
	global_load_b32 v1, v1, s[0:1]
	s_wait_loadcnt 0x0
	v_cmp_ne_u32_e32 vcc_lo, 0, v1
	s_cbranch_vccz .LBB62_263
.LBB62_262:
	s_sendmsg sendmsg(MSG_DEALLOC_VGPRS)
	s_endpgm
.LBB62_263:
	s_wait_xcnt 0x0
	v_lshl_or_b32 v1, v0, 3, 0x200
	s_mov_b32 s0, exec_lo
	v_cmpx_eq_u32_e32 62, v0
	s_cbranch_execz .LBB62_265
; %bb.264:
	scratch_load_b64 v[2:3], off, off offset:488
	v_mov_b64_e32 v[130:131], 0
	scratch_store_b64 off, v[130:131], off offset:488
	s_wait_loadcnt 0x0
	ds_store_b64 v1, v[2:3]
.LBB62_265:
	s_wait_xcnt 0x0
	s_or_b32 exec_lo, exec_lo, s0
	s_wait_storecnt_dscnt 0x0
	s_barrier_signal -1
	s_barrier_wait -1
	scratch_load_b128 v[130:133], off, off offset:488
	v_mov_b32_e32 v2, 0
	s_mov_b32 s0, exec_lo
	ds_load_b64 v[134:135], v2 offset:1008
	s_wait_loadcnt_dscnt 0x0
	v_fma_f64 v[132:133], v[132:133], v[134:135], 0
	s_delay_alu instid0(VALU_DEP_1)
	v_add_f64_e64 v[130:131], v[130:131], -v[132:133]
	scratch_store_b64 off, v[130:131], off offset:488
	s_wait_xcnt 0x0
	v_cmpx_lt_u32_e32 60, v0
	s_cbranch_execz .LBB62_267
; %bb.266:
	scratch_load_b64 v[130:131], off, off offset:480
	v_mov_b64_e32 v[132:133], 0
	scratch_store_b64 off, v[132:133], off offset:480
	s_wait_loadcnt 0x0
	ds_store_b64 v1, v[130:131]
.LBB62_267:
	s_wait_xcnt 0x0
	s_or_b32 exec_lo, exec_lo, s0
	s_wait_storecnt_dscnt 0x0
	s_barrier_signal -1
	s_barrier_wait -1
	s_clause 0x1
	scratch_load_b128 v[130:133], off, off offset:480
	scratch_load_b64 v[138:139], off, off offset:496
	ds_load_2addr_b64 v[134:137], v2 offset0:125 offset1:126
	s_mov_b32 s0, exec_lo
	s_wait_loadcnt_dscnt 0x100
	v_fma_f64 v[2:3], v[132:133], v[134:135], 0
	s_wait_loadcnt 0x0
	s_delay_alu instid0(VALU_DEP_1) | instskip(NEXT) | instid1(VALU_DEP_1)
	v_fmac_f64_e32 v[2:3], v[138:139], v[136:137]
	v_add_f64_e64 v[2:3], v[130:131], -v[2:3]
	scratch_store_b64 off, v[2:3], off offset:480
	s_wait_xcnt 0x0
	v_cmpx_lt_u32_e32 59, v0
	s_cbranch_execz .LBB62_269
; %bb.268:
	scratch_load_b64 v[2:3], off, off offset:472
	v_mov_b64_e32 v[130:131], 0
	scratch_store_b64 off, v[130:131], off offset:472
	s_wait_loadcnt 0x0
	ds_store_b64 v1, v[2:3]
.LBB62_269:
	s_wait_xcnt 0x0
	s_or_b32 exec_lo, exec_lo, s0
	s_wait_storecnt_dscnt 0x0
	s_barrier_signal -1
	s_barrier_wait -1
	s_clause 0x1
	scratch_load_b128 v[130:133], off, off offset:472
	scratch_load_b128 v[134:137], off, off offset:488
	v_mov_b32_e32 v2, 0
	ds_load_b128 v[138:141], v2 offset:992
	ds_load_b64 v[142:143], v2 offset:1008
	s_mov_b32 s0, exec_lo
	s_wait_loadcnt_dscnt 0x101
	v_fma_f64 v[132:133], v[132:133], v[138:139], 0
	s_wait_loadcnt 0x0
	s_delay_alu instid0(VALU_DEP_1) | instskip(SKIP_1) | instid1(VALU_DEP_1)
	v_fmac_f64_e32 v[132:133], v[134:135], v[140:141]
	s_wait_dscnt 0x0
	v_fmac_f64_e32 v[132:133], v[136:137], v[142:143]
	s_delay_alu instid0(VALU_DEP_1)
	v_add_f64_e64 v[130:131], v[130:131], -v[132:133]
	scratch_store_b64 off, v[130:131], off offset:472
	s_wait_xcnt 0x0
	v_cmpx_lt_u32_e32 58, v0
	s_cbranch_execz .LBB62_271
; %bb.270:
	scratch_load_b64 v[130:131], off, off offset:464
	v_mov_b64_e32 v[132:133], 0
	scratch_store_b64 off, v[132:133], off offset:464
	s_wait_loadcnt 0x0
	ds_store_b64 v1, v[130:131]
.LBB62_271:
	s_wait_xcnt 0x0
	s_or_b32 exec_lo, exec_lo, s0
	s_wait_storecnt_dscnt 0x0
	s_barrier_signal -1
	s_barrier_wait -1
	s_clause 0x2
	scratch_load_b128 v[130:133], off, off offset:464
	scratch_load_b128 v[134:137], off, off offset:480
	scratch_load_b64 v[146:147], off, off offset:496
	ds_load_2addr_b64 v[138:141], v2 offset0:123 offset1:124
	ds_load_2addr_b64 v[142:145], v2 offset0:125 offset1:126
	s_mov_b32 s0, exec_lo
	s_wait_loadcnt_dscnt 0x201
	v_fma_f64 v[2:3], v[132:133], v[138:139], 0
	s_wait_loadcnt 0x1
	s_delay_alu instid0(VALU_DEP_1) | instskip(SKIP_1) | instid1(VALU_DEP_1)
	v_fmac_f64_e32 v[2:3], v[134:135], v[140:141]
	s_wait_dscnt 0x0
	v_fmac_f64_e32 v[2:3], v[136:137], v[142:143]
	s_wait_loadcnt 0x0
	s_delay_alu instid0(VALU_DEP_1) | instskip(NEXT) | instid1(VALU_DEP_1)
	v_fmac_f64_e32 v[2:3], v[146:147], v[144:145]
	v_add_f64_e64 v[2:3], v[130:131], -v[2:3]
	scratch_store_b64 off, v[2:3], off offset:464
	s_wait_xcnt 0x0
	v_cmpx_lt_u32_e32 57, v0
	s_cbranch_execz .LBB62_273
; %bb.272:
	scratch_load_b64 v[2:3], off, off offset:456
	v_mov_b64_e32 v[130:131], 0
	scratch_store_b64 off, v[130:131], off offset:456
	s_wait_loadcnt 0x0
	ds_store_b64 v1, v[2:3]
.LBB62_273:
	s_wait_xcnt 0x0
	s_or_b32 exec_lo, exec_lo, s0
	s_wait_storecnt_dscnt 0x0
	s_barrier_signal -1
	s_barrier_wait -1
	s_clause 0x2
	scratch_load_b128 v[130:133], off, off offset:456
	scratch_load_b128 v[134:137], off, off offset:472
	;; [unrolled: 1-line block ×3, first 2 shown]
	v_mov_b32_e32 v2, 0
	ds_load_b128 v[142:145], v2 offset:976
	ds_load_b128 v[146:149], v2 offset:992
	s_mov_b32 s0, exec_lo
	s_wait_loadcnt_dscnt 0x201
	v_fma_f64 v[132:133], v[132:133], v[142:143], 0
	s_wait_loadcnt 0x1
	s_delay_alu instid0(VALU_DEP_1) | instskip(SKIP_4) | instid1(VALU_DEP_1)
	v_fmac_f64_e32 v[132:133], v[134:135], v[144:145]
	ds_load_b64 v[134:135], v2 offset:1008
	s_wait_dscnt 0x1
	v_fmac_f64_e32 v[132:133], v[136:137], v[146:147]
	s_wait_loadcnt 0x0
	v_fmac_f64_e32 v[132:133], v[138:139], v[148:149]
	s_wait_dscnt 0x0
	s_delay_alu instid0(VALU_DEP_1) | instskip(NEXT) | instid1(VALU_DEP_1)
	v_fmac_f64_e32 v[132:133], v[140:141], v[134:135]
	v_add_f64_e64 v[130:131], v[130:131], -v[132:133]
	scratch_store_b64 off, v[130:131], off offset:456
	s_wait_xcnt 0x0
	v_cmpx_lt_u32_e32 56, v0
	s_cbranch_execz .LBB62_275
; %bb.274:
	scratch_load_b64 v[130:131], off, off offset:448
	v_mov_b64_e32 v[132:133], 0
	scratch_store_b64 off, v[132:133], off offset:448
	s_wait_loadcnt 0x0
	ds_store_b64 v1, v[130:131]
.LBB62_275:
	s_wait_xcnt 0x0
	s_or_b32 exec_lo, exec_lo, s0
	s_wait_storecnt_dscnt 0x0
	s_barrier_signal -1
	s_barrier_wait -1
	s_clause 0x3
	scratch_load_b128 v[130:133], off, off offset:448
	scratch_load_b128 v[134:137], off, off offset:464
	;; [unrolled: 1-line block ×3, first 2 shown]
	scratch_load_b64 v[150:151], off, off offset:496
	ds_load_2addr_b64 v[142:145], v2 offset0:121 offset1:122
	ds_load_2addr_b64 v[146:149], v2 offset0:123 offset1:124
	s_mov_b32 s0, exec_lo
	s_wait_loadcnt_dscnt 0x301
	v_fma_f64 v[142:143], v[132:133], v[142:143], 0
	s_wait_loadcnt 0x2
	s_delay_alu instid0(VALU_DEP_1) | instskip(SKIP_4) | instid1(VALU_DEP_1)
	v_fmac_f64_e32 v[142:143], v[134:135], v[144:145]
	ds_load_2addr_b64 v[132:135], v2 offset0:125 offset1:126
	s_wait_dscnt 0x1
	v_fmac_f64_e32 v[142:143], v[136:137], v[146:147]
	s_wait_loadcnt 0x1
	v_fmac_f64_e32 v[142:143], v[138:139], v[148:149]
	s_wait_dscnt 0x0
	s_delay_alu instid0(VALU_DEP_1) | instskip(SKIP_1) | instid1(VALU_DEP_1)
	v_fmac_f64_e32 v[142:143], v[140:141], v[132:133]
	s_wait_loadcnt 0x0
	v_fmac_f64_e32 v[142:143], v[150:151], v[134:135]
	s_delay_alu instid0(VALU_DEP_1)
	v_add_f64_e64 v[2:3], v[130:131], -v[142:143]
	scratch_store_b64 off, v[2:3], off offset:448
	s_wait_xcnt 0x0
	v_cmpx_lt_u32_e32 55, v0
	s_cbranch_execz .LBB62_277
; %bb.276:
	scratch_load_b64 v[2:3], off, off offset:440
	v_mov_b64_e32 v[130:131], 0
	scratch_store_b64 off, v[130:131], off offset:440
	s_wait_loadcnt 0x0
	ds_store_b64 v1, v[2:3]
.LBB62_277:
	s_wait_xcnt 0x0
	s_or_b32 exec_lo, exec_lo, s0
	s_wait_storecnt_dscnt 0x0
	s_barrier_signal -1
	s_barrier_wait -1
	s_clause 0x3
	scratch_load_b128 v[130:133], off, off offset:440
	scratch_load_b128 v[134:137], off, off offset:456
	;; [unrolled: 1-line block ×4, first 2 shown]
	v_mov_b32_e32 v2, 0
	ds_load_b128 v[146:149], v2 offset:960
	ds_load_b128 v[150:153], v2 offset:976
	s_mov_b32 s0, exec_lo
	s_wait_loadcnt_dscnt 0x301
	v_fma_f64 v[146:147], v[132:133], v[146:147], 0
	s_wait_loadcnt 0x2
	s_delay_alu instid0(VALU_DEP_1) | instskip(SKIP_1) | instid1(VALU_DEP_1)
	v_fmac_f64_e32 v[146:147], v[134:135], v[148:149]
	s_wait_dscnt 0x0
	v_fmac_f64_e32 v[146:147], v[136:137], v[150:151]
	ds_load_b128 v[132:135], v2 offset:992
	ds_load_b64 v[136:137], v2 offset:1008
	s_wait_loadcnt 0x1
	v_fmac_f64_e32 v[146:147], v[138:139], v[152:153]
	s_wait_dscnt 0x1
	s_delay_alu instid0(VALU_DEP_1) | instskip(SKIP_1) | instid1(VALU_DEP_1)
	v_fmac_f64_e32 v[146:147], v[140:141], v[132:133]
	s_wait_loadcnt 0x0
	v_fmac_f64_e32 v[146:147], v[142:143], v[134:135]
	s_wait_dscnt 0x0
	s_delay_alu instid0(VALU_DEP_1) | instskip(NEXT) | instid1(VALU_DEP_1)
	v_fmac_f64_e32 v[146:147], v[144:145], v[136:137]
	v_add_f64_e64 v[130:131], v[130:131], -v[146:147]
	scratch_store_b64 off, v[130:131], off offset:440
	s_wait_xcnt 0x0
	v_cmpx_lt_u32_e32 54, v0
	s_cbranch_execz .LBB62_279
; %bb.278:
	scratch_load_b64 v[130:131], off, off offset:432
	v_mov_b64_e32 v[132:133], 0
	scratch_store_b64 off, v[132:133], off offset:432
	s_wait_loadcnt 0x0
	ds_store_b64 v1, v[130:131]
.LBB62_279:
	s_wait_xcnt 0x0
	s_or_b32 exec_lo, exec_lo, s0
	s_wait_storecnt_dscnt 0x0
	s_barrier_signal -1
	s_barrier_wait -1
	s_clause 0x4
	scratch_load_b128 v[130:133], off, off offset:432
	scratch_load_b128 v[134:137], off, off offset:448
	;; [unrolled: 1-line block ×4, first 2 shown]
	scratch_load_b64 v[154:155], off, off offset:496
	ds_load_2addr_b64 v[146:149], v2 offset0:119 offset1:120
	ds_load_2addr_b64 v[150:153], v2 offset0:121 offset1:122
	s_mov_b32 s0, exec_lo
	s_wait_loadcnt_dscnt 0x401
	v_fma_f64 v[146:147], v[132:133], v[146:147], 0
	s_wait_loadcnt 0x3
	s_delay_alu instid0(VALU_DEP_1) | instskip(SKIP_1) | instid1(VALU_DEP_1)
	v_fmac_f64_e32 v[146:147], v[134:135], v[148:149]
	s_wait_dscnt 0x0
	v_fmac_f64_e32 v[146:147], v[136:137], v[150:151]
	s_wait_loadcnt 0x2
	s_delay_alu instid0(VALU_DEP_1)
	v_fmac_f64_e32 v[146:147], v[138:139], v[152:153]
	ds_load_2addr_b64 v[132:135], v2 offset0:123 offset1:124
	ds_load_2addr_b64 v[136:139], v2 offset0:125 offset1:126
	s_wait_dscnt 0x1
	v_fmac_f64_e32 v[146:147], v[140:141], v[132:133]
	s_wait_loadcnt 0x1
	s_delay_alu instid0(VALU_DEP_1) | instskip(SKIP_1) | instid1(VALU_DEP_1)
	v_fmac_f64_e32 v[146:147], v[142:143], v[134:135]
	s_wait_dscnt 0x0
	v_fmac_f64_e32 v[146:147], v[144:145], v[136:137]
	s_wait_loadcnt 0x0
	s_delay_alu instid0(VALU_DEP_1) | instskip(NEXT) | instid1(VALU_DEP_1)
	v_fmac_f64_e32 v[146:147], v[154:155], v[138:139]
	v_add_f64_e64 v[2:3], v[130:131], -v[146:147]
	scratch_store_b64 off, v[2:3], off offset:432
	s_wait_xcnt 0x0
	v_cmpx_lt_u32_e32 53, v0
	s_cbranch_execz .LBB62_281
; %bb.280:
	scratch_load_b64 v[2:3], off, off offset:424
	v_mov_b64_e32 v[130:131], 0
	scratch_store_b64 off, v[130:131], off offset:424
	s_wait_loadcnt 0x0
	ds_store_b64 v1, v[2:3]
.LBB62_281:
	s_wait_xcnt 0x0
	s_or_b32 exec_lo, exec_lo, s0
	s_wait_storecnt_dscnt 0x0
	s_barrier_signal -1
	s_barrier_wait -1
	s_clause 0x4
	scratch_load_b128 v[130:133], off, off offset:424
	scratch_load_b128 v[134:137], off, off offset:440
	;; [unrolled: 1-line block ×5, first 2 shown]
	v_mov_b32_e32 v2, 0
	ds_load_b128 v[150:153], v2 offset:944
	ds_load_b128 v[154:157], v2 offset:960
	s_mov_b32 s0, exec_lo
	s_wait_loadcnt_dscnt 0x401
	v_fma_f64 v[150:151], v[132:133], v[150:151], 0
	s_wait_loadcnt 0x3
	s_delay_alu instid0(VALU_DEP_1) | instskip(SKIP_1) | instid1(VALU_DEP_1)
	v_fmac_f64_e32 v[150:151], v[134:135], v[152:153]
	s_wait_dscnt 0x0
	v_fmac_f64_e32 v[150:151], v[136:137], v[154:155]
	s_wait_loadcnt 0x2
	s_delay_alu instid0(VALU_DEP_1)
	v_fmac_f64_e32 v[150:151], v[138:139], v[156:157]
	ds_load_b128 v[132:135], v2 offset:976
	ds_load_b128 v[136:139], v2 offset:992
	s_wait_dscnt 0x1
	v_fmac_f64_e32 v[150:151], v[140:141], v[132:133]
	ds_load_b64 v[132:133], v2 offset:1008
	s_wait_loadcnt 0x1
	v_fmac_f64_e32 v[150:151], v[142:143], v[134:135]
	s_wait_dscnt 0x1
	s_delay_alu instid0(VALU_DEP_1) | instskip(SKIP_1) | instid1(VALU_DEP_1)
	v_fmac_f64_e32 v[150:151], v[144:145], v[136:137]
	s_wait_loadcnt 0x0
	v_fmac_f64_e32 v[150:151], v[146:147], v[138:139]
	s_wait_dscnt 0x0
	s_delay_alu instid0(VALU_DEP_1) | instskip(NEXT) | instid1(VALU_DEP_1)
	v_fmac_f64_e32 v[150:151], v[148:149], v[132:133]
	v_add_f64_e64 v[130:131], v[130:131], -v[150:151]
	scratch_store_b64 off, v[130:131], off offset:424
	s_wait_xcnt 0x0
	v_cmpx_lt_u32_e32 52, v0
	s_cbranch_execz .LBB62_283
; %bb.282:
	scratch_load_b64 v[130:131], off, off offset:416
	v_mov_b64_e32 v[132:133], 0
	scratch_store_b64 off, v[132:133], off offset:416
	s_wait_loadcnt 0x0
	ds_store_b64 v1, v[130:131]
.LBB62_283:
	s_wait_xcnt 0x0
	s_or_b32 exec_lo, exec_lo, s0
	s_wait_storecnt_dscnt 0x0
	s_barrier_signal -1
	s_barrier_wait -1
	s_clause 0x5
	scratch_load_b128 v[130:133], off, off offset:416
	scratch_load_b128 v[134:137], off, off offset:432
	;; [unrolled: 1-line block ×5, first 2 shown]
	scratch_load_b64 v[158:159], off, off offset:496
	ds_load_2addr_b64 v[150:153], v2 offset0:117 offset1:118
	ds_load_2addr_b64 v[154:157], v2 offset0:119 offset1:120
	s_mov_b32 s0, exec_lo
	s_wait_loadcnt_dscnt 0x501
	v_fma_f64 v[150:151], v[132:133], v[150:151], 0
	s_wait_loadcnt 0x4
	s_delay_alu instid0(VALU_DEP_1) | instskip(SKIP_1) | instid1(VALU_DEP_1)
	v_fmac_f64_e32 v[150:151], v[134:135], v[152:153]
	s_wait_dscnt 0x0
	v_fmac_f64_e32 v[150:151], v[136:137], v[154:155]
	s_wait_loadcnt 0x3
	s_delay_alu instid0(VALU_DEP_1)
	v_fmac_f64_e32 v[150:151], v[138:139], v[156:157]
	ds_load_2addr_b64 v[132:135], v2 offset0:121 offset1:122
	ds_load_2addr_b64 v[136:139], v2 offset0:123 offset1:124
	s_wait_dscnt 0x1
	v_fmac_f64_e32 v[150:151], v[140:141], v[132:133]
	s_wait_loadcnt 0x2
	s_delay_alu instid0(VALU_DEP_1) | instskip(SKIP_4) | instid1(VALU_DEP_1)
	v_fmac_f64_e32 v[150:151], v[142:143], v[134:135]
	ds_load_2addr_b64 v[132:135], v2 offset0:125 offset1:126
	s_wait_dscnt 0x1
	v_fmac_f64_e32 v[150:151], v[144:145], v[136:137]
	s_wait_loadcnt 0x1
	v_fmac_f64_e32 v[150:151], v[146:147], v[138:139]
	s_wait_dscnt 0x0
	s_delay_alu instid0(VALU_DEP_1) | instskip(SKIP_1) | instid1(VALU_DEP_1)
	v_fmac_f64_e32 v[150:151], v[148:149], v[132:133]
	s_wait_loadcnt 0x0
	v_fmac_f64_e32 v[150:151], v[158:159], v[134:135]
	s_delay_alu instid0(VALU_DEP_1)
	v_add_f64_e64 v[2:3], v[130:131], -v[150:151]
	scratch_store_b64 off, v[2:3], off offset:416
	s_wait_xcnt 0x0
	v_cmpx_lt_u32_e32 51, v0
	s_cbranch_execz .LBB62_285
; %bb.284:
	scratch_load_b64 v[2:3], off, off offset:408
	v_mov_b64_e32 v[130:131], 0
	scratch_store_b64 off, v[130:131], off offset:408
	s_wait_loadcnt 0x0
	ds_store_b64 v1, v[2:3]
.LBB62_285:
	s_wait_xcnt 0x0
	s_or_b32 exec_lo, exec_lo, s0
	s_wait_storecnt_dscnt 0x0
	s_barrier_signal -1
	s_barrier_wait -1
	s_clause 0x5
	scratch_load_b128 v[130:133], off, off offset:408
	scratch_load_b128 v[134:137], off, off offset:424
	;; [unrolled: 1-line block ×6, first 2 shown]
	v_mov_b32_e32 v2, 0
	ds_load_b128 v[154:157], v2 offset:928
	ds_load_b128 v[158:161], v2 offset:944
	s_mov_b32 s0, exec_lo
	s_wait_loadcnt_dscnt 0x501
	v_fma_f64 v[154:155], v[132:133], v[154:155], 0
	s_wait_loadcnt 0x4
	s_delay_alu instid0(VALU_DEP_1) | instskip(SKIP_1) | instid1(VALU_DEP_1)
	v_fmac_f64_e32 v[154:155], v[134:135], v[156:157]
	s_wait_dscnt 0x0
	v_fmac_f64_e32 v[154:155], v[136:137], v[158:159]
	s_wait_loadcnt 0x3
	s_delay_alu instid0(VALU_DEP_1)
	v_fmac_f64_e32 v[154:155], v[138:139], v[160:161]
	ds_load_b128 v[132:135], v2 offset:960
	ds_load_b128 v[136:139], v2 offset:976
	s_wait_dscnt 0x1
	v_fmac_f64_e32 v[154:155], v[140:141], v[132:133]
	s_wait_loadcnt 0x2
	s_delay_alu instid0(VALU_DEP_1) | instskip(SKIP_1) | instid1(VALU_DEP_1)
	v_fmac_f64_e32 v[154:155], v[142:143], v[134:135]
	s_wait_dscnt 0x0
	v_fmac_f64_e32 v[154:155], v[144:145], v[136:137]
	ds_load_b128 v[132:135], v2 offset:992
	ds_load_b64 v[136:137], v2 offset:1008
	s_wait_loadcnt 0x1
	v_fmac_f64_e32 v[154:155], v[146:147], v[138:139]
	s_wait_dscnt 0x1
	s_delay_alu instid0(VALU_DEP_1) | instskip(SKIP_1) | instid1(VALU_DEP_1)
	v_fmac_f64_e32 v[154:155], v[148:149], v[132:133]
	s_wait_loadcnt 0x0
	v_fmac_f64_e32 v[154:155], v[150:151], v[134:135]
	s_wait_dscnt 0x0
	s_delay_alu instid0(VALU_DEP_1) | instskip(NEXT) | instid1(VALU_DEP_1)
	v_fmac_f64_e32 v[154:155], v[152:153], v[136:137]
	v_add_f64_e64 v[130:131], v[130:131], -v[154:155]
	scratch_store_b64 off, v[130:131], off offset:408
	s_wait_xcnt 0x0
	v_cmpx_lt_u32_e32 50, v0
	s_cbranch_execz .LBB62_287
; %bb.286:
	scratch_load_b64 v[130:131], off, off offset:400
	v_mov_b64_e32 v[132:133], 0
	scratch_store_b64 off, v[132:133], off offset:400
	s_wait_loadcnt 0x0
	ds_store_b64 v1, v[130:131]
.LBB62_287:
	s_wait_xcnt 0x0
	s_or_b32 exec_lo, exec_lo, s0
	s_wait_storecnt_dscnt 0x0
	s_barrier_signal -1
	s_barrier_wait -1
	s_clause 0x5
	scratch_load_b128 v[130:133], off, off offset:400
	scratch_load_b128 v[134:137], off, off offset:416
	;; [unrolled: 1-line block ×6, first 2 shown]
	ds_load_2addr_b64 v[154:157], v2 offset0:115 offset1:116
	ds_load_2addr_b64 v[158:161], v2 offset0:117 offset1:118
	s_mov_b32 s0, exec_lo
	s_wait_loadcnt_dscnt 0x501
	v_fma_f64 v[154:155], v[132:133], v[154:155], 0
	s_wait_loadcnt 0x4
	s_delay_alu instid0(VALU_DEP_1) | instskip(SKIP_4) | instid1(VALU_DEP_1)
	v_fmac_f64_e32 v[154:155], v[134:135], v[156:157]
	scratch_load_b64 v[156:157], off, off offset:496
	s_wait_dscnt 0x0
	v_fmac_f64_e32 v[154:155], v[136:137], v[158:159]
	s_wait_loadcnt 0x4
	v_fmac_f64_e32 v[154:155], v[138:139], v[160:161]
	ds_load_2addr_b64 v[132:135], v2 offset0:119 offset1:120
	ds_load_2addr_b64 v[136:139], v2 offset0:121 offset1:122
	s_wait_dscnt 0x1
	v_fmac_f64_e32 v[154:155], v[140:141], v[132:133]
	s_wait_loadcnt 0x3
	s_delay_alu instid0(VALU_DEP_1) | instskip(SKIP_1) | instid1(VALU_DEP_1)
	v_fmac_f64_e32 v[154:155], v[142:143], v[134:135]
	s_wait_dscnt 0x0
	v_fmac_f64_e32 v[154:155], v[144:145], v[136:137]
	s_wait_loadcnt 0x2
	s_delay_alu instid0(VALU_DEP_1)
	v_fmac_f64_e32 v[154:155], v[146:147], v[138:139]
	ds_load_2addr_b64 v[132:135], v2 offset0:123 offset1:124
	ds_load_2addr_b64 v[136:139], v2 offset0:125 offset1:126
	s_wait_dscnt 0x1
	v_fmac_f64_e32 v[154:155], v[148:149], v[132:133]
	s_wait_loadcnt 0x1
	s_delay_alu instid0(VALU_DEP_1) | instskip(SKIP_1) | instid1(VALU_DEP_1)
	v_fmac_f64_e32 v[154:155], v[150:151], v[134:135]
	s_wait_dscnt 0x0
	v_fmac_f64_e32 v[154:155], v[152:153], v[136:137]
	s_wait_loadcnt 0x0
	s_delay_alu instid0(VALU_DEP_1) | instskip(NEXT) | instid1(VALU_DEP_1)
	v_fmac_f64_e32 v[154:155], v[156:157], v[138:139]
	v_add_f64_e64 v[2:3], v[130:131], -v[154:155]
	scratch_store_b64 off, v[2:3], off offset:400
	s_wait_xcnt 0x0
	v_cmpx_lt_u32_e32 49, v0
	s_cbranch_execz .LBB62_289
; %bb.288:
	scratch_load_b64 v[2:3], off, off offset:392
	v_mov_b64_e32 v[130:131], 0
	scratch_store_b64 off, v[130:131], off offset:392
	s_wait_loadcnt 0x0
	ds_store_b64 v1, v[2:3]
.LBB62_289:
	s_wait_xcnt 0x0
	s_or_b32 exec_lo, exec_lo, s0
	s_wait_storecnt_dscnt 0x0
	s_barrier_signal -1
	s_barrier_wait -1
	s_clause 0x5
	scratch_load_b128 v[130:133], off, off offset:392
	scratch_load_b128 v[134:137], off, off offset:408
	;; [unrolled: 1-line block ×6, first 2 shown]
	v_mov_b32_e32 v2, 0
	ds_load_b128 v[154:157], v2 offset:912
	ds_load_b128 v[158:161], v2 offset:928
	s_mov_b32 s0, exec_lo
	s_wait_loadcnt_dscnt 0x501
	v_fma_f64 v[162:163], v[132:133], v[154:155], 0
	s_wait_loadcnt 0x4
	s_delay_alu instid0(VALU_DEP_1) | instskip(SKIP_4) | instid1(VALU_DEP_1)
	v_fmac_f64_e32 v[162:163], v[134:135], v[156:157]
	scratch_load_b128 v[132:135], off, off offset:488
	s_wait_dscnt 0x0
	v_fmac_f64_e32 v[162:163], v[136:137], v[158:159]
	s_wait_loadcnt 0x4
	v_fmac_f64_e32 v[162:163], v[138:139], v[160:161]
	ds_load_b128 v[136:139], v2 offset:944
	ds_load_b128 v[154:157], v2 offset:960
	s_wait_dscnt 0x1
	v_fmac_f64_e32 v[162:163], v[140:141], v[136:137]
	s_wait_loadcnt 0x3
	s_delay_alu instid0(VALU_DEP_1)
	v_fmac_f64_e32 v[162:163], v[142:143], v[138:139]
	ds_load_b128 v[136:139], v2 offset:976
	ds_load_b128 v[140:143], v2 offset:992
	s_wait_dscnt 0x2
	v_fmac_f64_e32 v[162:163], v[144:145], v[154:155]
	s_wait_loadcnt 0x2
	s_delay_alu instid0(VALU_DEP_1) | instskip(SKIP_1) | instid1(VALU_DEP_1)
	v_fmac_f64_e32 v[162:163], v[146:147], v[156:157]
	s_wait_dscnt 0x1
	v_fmac_f64_e32 v[162:163], v[148:149], v[136:137]
	s_wait_loadcnt 0x1
	s_delay_alu instid0(VALU_DEP_1) | instskip(SKIP_1) | instid1(VALU_DEP_1)
	v_fmac_f64_e32 v[162:163], v[150:151], v[138:139]
	s_wait_dscnt 0x0
	v_fmac_f64_e32 v[162:163], v[152:153], v[140:141]
	s_wait_loadcnt 0x0
	s_delay_alu instid0(VALU_DEP_1) | instskip(SKIP_3) | instid1(VALU_DEP_1)
	v_fmac_f64_e32 v[162:163], v[132:133], v[142:143]
	ds_load_b64 v[132:133], v2 offset:1008
	s_wait_dscnt 0x0
	v_fmac_f64_e32 v[162:163], v[134:135], v[132:133]
	v_add_f64_e64 v[130:131], v[130:131], -v[162:163]
	scratch_store_b64 off, v[130:131], off offset:392
	s_wait_xcnt 0x0
	v_cmpx_lt_u32_e32 48, v0
	s_cbranch_execz .LBB62_291
; %bb.290:
	scratch_load_b64 v[130:131], off, off offset:384
	v_mov_b64_e32 v[132:133], 0
	scratch_store_b64 off, v[132:133], off offset:384
	s_wait_loadcnt 0x0
	ds_store_b64 v1, v[130:131]
.LBB62_291:
	s_wait_xcnt 0x0
	s_or_b32 exec_lo, exec_lo, s0
	s_wait_storecnt_dscnt 0x0
	s_barrier_signal -1
	s_barrier_wait -1
	s_clause 0x5
	scratch_load_b128 v[130:133], off, off offset:384
	scratch_load_b128 v[134:137], off, off offset:400
	;; [unrolled: 1-line block ×6, first 2 shown]
	ds_load_2addr_b64 v[154:157], v2 offset0:113 offset1:114
	ds_load_2addr_b64 v[158:161], v2 offset0:115 offset1:116
	s_mov_b32 s0, exec_lo
	s_wait_loadcnt_dscnt 0x501
	v_fma_f64 v[162:163], v[132:133], v[154:155], 0
	s_wait_loadcnt 0x4
	s_delay_alu instid0(VALU_DEP_1)
	v_fmac_f64_e32 v[162:163], v[134:135], v[156:157]
	scratch_load_b128 v[132:135], off, off offset:480
	s_wait_dscnt 0x0
	v_fmac_f64_e32 v[162:163], v[136:137], v[158:159]
	scratch_load_b64 v[158:159], off, off offset:496
	s_wait_loadcnt 0x5
	v_fmac_f64_e32 v[162:163], v[138:139], v[160:161]
	ds_load_2addr_b64 v[136:139], v2 offset0:117 offset1:118
	ds_load_2addr_b64 v[154:157], v2 offset0:119 offset1:120
	s_wait_dscnt 0x1
	v_fmac_f64_e32 v[162:163], v[140:141], v[136:137]
	s_wait_loadcnt 0x4
	s_delay_alu instid0(VALU_DEP_1)
	v_fmac_f64_e32 v[162:163], v[142:143], v[138:139]
	ds_load_2addr_b64 v[136:139], v2 offset0:121 offset1:122
	ds_load_2addr_b64 v[140:143], v2 offset0:123 offset1:124
	s_wait_dscnt 0x2
	v_fmac_f64_e32 v[162:163], v[144:145], v[154:155]
	s_wait_loadcnt 0x3
	s_delay_alu instid0(VALU_DEP_1) | instskip(SKIP_1) | instid1(VALU_DEP_1)
	v_fmac_f64_e32 v[162:163], v[146:147], v[156:157]
	s_wait_dscnt 0x1
	v_fmac_f64_e32 v[162:163], v[148:149], v[136:137]
	s_wait_loadcnt 0x2
	s_delay_alu instid0(VALU_DEP_1) | instskip(SKIP_4) | instid1(VALU_DEP_1)
	v_fmac_f64_e32 v[162:163], v[150:151], v[138:139]
	ds_load_2addr_b64 v[136:139], v2 offset0:125 offset1:126
	s_wait_dscnt 0x1
	v_fmac_f64_e32 v[162:163], v[152:153], v[140:141]
	s_wait_loadcnt 0x1
	v_fmac_f64_e32 v[162:163], v[132:133], v[142:143]
	s_wait_dscnt 0x0
	s_delay_alu instid0(VALU_DEP_1) | instskip(SKIP_1) | instid1(VALU_DEP_1)
	v_fmac_f64_e32 v[162:163], v[134:135], v[136:137]
	s_wait_loadcnt 0x0
	v_fmac_f64_e32 v[162:163], v[158:159], v[138:139]
	s_delay_alu instid0(VALU_DEP_1)
	v_add_f64_e64 v[2:3], v[130:131], -v[162:163]
	scratch_store_b64 off, v[2:3], off offset:384
	s_wait_xcnt 0x0
	v_cmpx_lt_u32_e32 47, v0
	s_cbranch_execz .LBB62_293
; %bb.292:
	scratch_load_b64 v[2:3], off, off offset:376
	v_mov_b64_e32 v[130:131], 0
	scratch_store_b64 off, v[130:131], off offset:376
	s_wait_loadcnt 0x0
	ds_store_b64 v1, v[2:3]
.LBB62_293:
	s_wait_xcnt 0x0
	s_or_b32 exec_lo, exec_lo, s0
	s_wait_storecnt_dscnt 0x0
	s_barrier_signal -1
	s_barrier_wait -1
	s_clause 0x5
	scratch_load_b128 v[130:133], off, off offset:376
	scratch_load_b128 v[134:137], off, off offset:392
	;; [unrolled: 1-line block ×6, first 2 shown]
	v_mov_b32_e32 v2, 0
	ds_load_b128 v[154:157], v2 offset:896
	ds_load_b128 v[158:161], v2 offset:912
	s_mov_b32 s0, exec_lo
	s_wait_loadcnt_dscnt 0x501
	v_fma_f64 v[162:163], v[132:133], v[154:155], 0
	s_wait_loadcnt 0x4
	s_delay_alu instid0(VALU_DEP_1) | instskip(SKIP_4) | instid1(VALU_DEP_1)
	v_fmac_f64_e32 v[162:163], v[134:135], v[156:157]
	scratch_load_b128 v[132:135], off, off offset:472
	s_wait_dscnt 0x0
	v_fmac_f64_e32 v[162:163], v[136:137], v[158:159]
	s_wait_loadcnt 0x4
	v_fmac_f64_e32 v[162:163], v[138:139], v[160:161]
	scratch_load_b128 v[136:139], off, off offset:488
	ds_load_b128 v[154:157], v2 offset:928
	ds_load_b128 v[158:161], v2 offset:944
	s_wait_dscnt 0x1
	v_fmac_f64_e32 v[162:163], v[140:141], v[154:155]
	s_wait_loadcnt 0x4
	s_delay_alu instid0(VALU_DEP_1) | instskip(SKIP_1) | instid1(VALU_DEP_1)
	v_fmac_f64_e32 v[162:163], v[142:143], v[156:157]
	s_wait_dscnt 0x0
	v_fmac_f64_e32 v[162:163], v[144:145], v[158:159]
	s_wait_loadcnt 0x3
	s_delay_alu instid0(VALU_DEP_1)
	v_fmac_f64_e32 v[162:163], v[146:147], v[160:161]
	ds_load_b128 v[140:143], v2 offset:960
	ds_load_b128 v[144:147], v2 offset:976
	s_wait_dscnt 0x1
	v_fmac_f64_e32 v[162:163], v[148:149], v[140:141]
	s_wait_loadcnt 0x2
	s_delay_alu instid0(VALU_DEP_1) | instskip(SKIP_1) | instid1(VALU_DEP_1)
	v_fmac_f64_e32 v[162:163], v[150:151], v[142:143]
	s_wait_dscnt 0x0
	v_fmac_f64_e32 v[162:163], v[152:153], v[144:145]
	s_wait_loadcnt 0x1
	s_delay_alu instid0(VALU_DEP_1)
	v_fmac_f64_e32 v[162:163], v[132:133], v[146:147]
	ds_load_b128 v[140:143], v2 offset:992
	ds_load_b64 v[132:133], v2 offset:1008
	s_wait_dscnt 0x1
	v_fmac_f64_e32 v[162:163], v[134:135], v[140:141]
	s_wait_loadcnt 0x0
	s_delay_alu instid0(VALU_DEP_1) | instskip(SKIP_1) | instid1(VALU_DEP_1)
	v_fmac_f64_e32 v[162:163], v[136:137], v[142:143]
	s_wait_dscnt 0x0
	v_fmac_f64_e32 v[162:163], v[138:139], v[132:133]
	s_delay_alu instid0(VALU_DEP_1)
	v_add_f64_e64 v[130:131], v[130:131], -v[162:163]
	scratch_store_b64 off, v[130:131], off offset:376
	s_wait_xcnt 0x0
	v_cmpx_lt_u32_e32 46, v0
	s_cbranch_execz .LBB62_295
; %bb.294:
	scratch_load_b64 v[130:131], off, off offset:368
	v_mov_b64_e32 v[132:133], 0
	scratch_store_b64 off, v[132:133], off offset:368
	s_wait_loadcnt 0x0
	ds_store_b64 v1, v[130:131]
.LBB62_295:
	s_wait_xcnt 0x0
	s_or_b32 exec_lo, exec_lo, s0
	s_wait_storecnt_dscnt 0x0
	s_barrier_signal -1
	s_barrier_wait -1
	s_clause 0x5
	scratch_load_b128 v[130:133], off, off offset:368
	scratch_load_b128 v[134:137], off, off offset:384
	;; [unrolled: 1-line block ×6, first 2 shown]
	ds_load_2addr_b64 v[154:157], v2 offset0:111 offset1:112
	ds_load_2addr_b64 v[158:161], v2 offset0:113 offset1:114
	s_mov_b32 s0, exec_lo
	s_wait_loadcnt_dscnt 0x501
	v_fma_f64 v[162:163], v[132:133], v[154:155], 0
	s_wait_loadcnt 0x4
	s_delay_alu instid0(VALU_DEP_1) | instskip(SKIP_4) | instid1(VALU_DEP_1)
	v_fmac_f64_e32 v[162:163], v[134:135], v[156:157]
	scratch_load_b128 v[132:135], off, off offset:464
	s_wait_dscnt 0x0
	v_fmac_f64_e32 v[162:163], v[136:137], v[158:159]
	s_wait_loadcnt 0x4
	v_fmac_f64_e32 v[162:163], v[138:139], v[160:161]
	scratch_load_b128 v[136:139], off, off offset:480
	ds_load_2addr_b64 v[154:157], v2 offset0:115 offset1:116
	ds_load_2addr_b64 v[158:161], v2 offset0:117 offset1:118
	s_wait_dscnt 0x1
	v_fmac_f64_e32 v[162:163], v[140:141], v[154:155]
	scratch_load_b64 v[154:155], off, off offset:496
	s_wait_loadcnt 0x5
	v_fmac_f64_e32 v[162:163], v[142:143], v[156:157]
	s_wait_dscnt 0x0
	s_delay_alu instid0(VALU_DEP_1) | instskip(SKIP_1) | instid1(VALU_DEP_1)
	v_fmac_f64_e32 v[162:163], v[144:145], v[158:159]
	s_wait_loadcnt 0x4
	v_fmac_f64_e32 v[162:163], v[146:147], v[160:161]
	ds_load_2addr_b64 v[140:143], v2 offset0:119 offset1:120
	ds_load_2addr_b64 v[144:147], v2 offset0:121 offset1:122
	s_wait_dscnt 0x1
	v_fmac_f64_e32 v[162:163], v[148:149], v[140:141]
	s_wait_loadcnt 0x3
	s_delay_alu instid0(VALU_DEP_1) | instskip(SKIP_1) | instid1(VALU_DEP_1)
	v_fmac_f64_e32 v[162:163], v[150:151], v[142:143]
	s_wait_dscnt 0x0
	v_fmac_f64_e32 v[162:163], v[152:153], v[144:145]
	s_wait_loadcnt 0x2
	s_delay_alu instid0(VALU_DEP_1)
	v_fmac_f64_e32 v[162:163], v[132:133], v[146:147]
	ds_load_2addr_b64 v[140:143], v2 offset0:123 offset1:124
	ds_load_2addr_b64 v[144:147], v2 offset0:125 offset1:126
	s_wait_dscnt 0x1
	v_fmac_f64_e32 v[162:163], v[134:135], v[140:141]
	s_wait_loadcnt 0x1
	s_delay_alu instid0(VALU_DEP_1) | instskip(SKIP_1) | instid1(VALU_DEP_1)
	v_fmac_f64_e32 v[162:163], v[136:137], v[142:143]
	s_wait_dscnt 0x0
	v_fmac_f64_e32 v[162:163], v[138:139], v[144:145]
	s_wait_loadcnt 0x0
	s_delay_alu instid0(VALU_DEP_1) | instskip(NEXT) | instid1(VALU_DEP_1)
	v_fmac_f64_e32 v[162:163], v[154:155], v[146:147]
	v_add_f64_e64 v[2:3], v[130:131], -v[162:163]
	scratch_store_b64 off, v[2:3], off offset:368
	s_wait_xcnt 0x0
	v_cmpx_lt_u32_e32 45, v0
	s_cbranch_execz .LBB62_297
; %bb.296:
	scratch_load_b64 v[2:3], off, off offset:360
	v_mov_b64_e32 v[130:131], 0
	scratch_store_b64 off, v[130:131], off offset:360
	s_wait_loadcnt 0x0
	ds_store_b64 v1, v[2:3]
.LBB62_297:
	s_wait_xcnt 0x0
	s_or_b32 exec_lo, exec_lo, s0
	s_wait_storecnt_dscnt 0x0
	s_barrier_signal -1
	s_barrier_wait -1
	s_clause 0x5
	scratch_load_b128 v[130:133], off, off offset:360
	scratch_load_b128 v[134:137], off, off offset:376
	;; [unrolled: 1-line block ×6, first 2 shown]
	v_mov_b32_e32 v2, 0
	ds_load_b128 v[154:157], v2 offset:880
	ds_load_b128 v[158:161], v2 offset:896
	s_mov_b32 s0, exec_lo
	s_wait_loadcnt_dscnt 0x501
	v_fma_f64 v[162:163], v[132:133], v[154:155], 0
	s_wait_loadcnt 0x4
	s_delay_alu instid0(VALU_DEP_1) | instskip(SKIP_4) | instid1(VALU_DEP_1)
	v_fmac_f64_e32 v[162:163], v[134:135], v[156:157]
	scratch_load_b128 v[132:135], off, off offset:456
	s_wait_dscnt 0x0
	v_fmac_f64_e32 v[162:163], v[136:137], v[158:159]
	s_wait_loadcnt 0x4
	v_fmac_f64_e32 v[162:163], v[138:139], v[160:161]
	scratch_load_b128 v[136:139], off, off offset:472
	ds_load_b128 v[154:157], v2 offset:912
	ds_load_b128 v[158:161], v2 offset:928
	s_wait_dscnt 0x1
	v_fmac_f64_e32 v[162:163], v[140:141], v[154:155]
	s_wait_loadcnt 0x4
	s_delay_alu instid0(VALU_DEP_1) | instskip(SKIP_4) | instid1(VALU_DEP_1)
	v_fmac_f64_e32 v[162:163], v[142:143], v[156:157]
	scratch_load_b128 v[140:143], off, off offset:488
	s_wait_dscnt 0x0
	v_fmac_f64_e32 v[162:163], v[144:145], v[158:159]
	s_wait_loadcnt 0x4
	v_fmac_f64_e32 v[162:163], v[146:147], v[160:161]
	ds_load_b128 v[144:147], v2 offset:944
	ds_load_b128 v[154:157], v2 offset:960
	s_wait_dscnt 0x1
	v_fmac_f64_e32 v[162:163], v[148:149], v[144:145]
	s_wait_loadcnt 0x3
	s_delay_alu instid0(VALU_DEP_1)
	v_fmac_f64_e32 v[162:163], v[150:151], v[146:147]
	ds_load_b128 v[144:147], v2 offset:976
	ds_load_b128 v[148:151], v2 offset:992
	s_wait_dscnt 0x2
	v_fmac_f64_e32 v[162:163], v[152:153], v[154:155]
	s_wait_loadcnt 0x2
	s_delay_alu instid0(VALU_DEP_1) | instskip(SKIP_4) | instid1(VALU_DEP_1)
	v_fmac_f64_e32 v[162:163], v[132:133], v[156:157]
	ds_load_b64 v[132:133], v2 offset:1008
	s_wait_dscnt 0x2
	v_fmac_f64_e32 v[162:163], v[134:135], v[144:145]
	s_wait_loadcnt 0x1
	v_fmac_f64_e32 v[162:163], v[136:137], v[146:147]
	s_wait_dscnt 0x1
	s_delay_alu instid0(VALU_DEP_1) | instskip(SKIP_1) | instid1(VALU_DEP_1)
	v_fmac_f64_e32 v[162:163], v[138:139], v[148:149]
	s_wait_loadcnt 0x0
	v_fmac_f64_e32 v[162:163], v[140:141], v[150:151]
	s_wait_dscnt 0x0
	s_delay_alu instid0(VALU_DEP_1) | instskip(NEXT) | instid1(VALU_DEP_1)
	v_fmac_f64_e32 v[162:163], v[142:143], v[132:133]
	v_add_f64_e64 v[130:131], v[130:131], -v[162:163]
	scratch_store_b64 off, v[130:131], off offset:360
	s_wait_xcnt 0x0
	v_cmpx_lt_u32_e32 44, v0
	s_cbranch_execz .LBB62_299
; %bb.298:
	scratch_load_b64 v[130:131], off, off offset:352
	v_mov_b64_e32 v[132:133], 0
	scratch_store_b64 off, v[132:133], off offset:352
	s_wait_loadcnt 0x0
	ds_store_b64 v1, v[130:131]
.LBB62_299:
	s_wait_xcnt 0x0
	s_or_b32 exec_lo, exec_lo, s0
	s_wait_storecnt_dscnt 0x0
	s_barrier_signal -1
	s_barrier_wait -1
	s_clause 0x5
	scratch_load_b128 v[130:133], off, off offset:352
	scratch_load_b128 v[134:137], off, off offset:368
	;; [unrolled: 1-line block ×6, first 2 shown]
	ds_load_2addr_b64 v[154:157], v2 offset0:109 offset1:110
	ds_load_2addr_b64 v[158:161], v2 offset0:111 offset1:112
	s_mov_b32 s0, exec_lo
	s_wait_loadcnt_dscnt 0x501
	v_fma_f64 v[162:163], v[132:133], v[154:155], 0
	s_wait_loadcnt 0x4
	s_delay_alu instid0(VALU_DEP_1) | instskip(SKIP_4) | instid1(VALU_DEP_1)
	v_fmac_f64_e32 v[162:163], v[134:135], v[156:157]
	scratch_load_b128 v[132:135], off, off offset:448
	s_wait_dscnt 0x0
	v_fmac_f64_e32 v[162:163], v[136:137], v[158:159]
	s_wait_loadcnt 0x4
	v_fmac_f64_e32 v[162:163], v[138:139], v[160:161]
	scratch_load_b128 v[136:139], off, off offset:464
	ds_load_2addr_b64 v[154:157], v2 offset0:113 offset1:114
	ds_load_2addr_b64 v[158:161], v2 offset0:115 offset1:116
	s_wait_dscnt 0x1
	v_fmac_f64_e32 v[162:163], v[140:141], v[154:155]
	s_wait_loadcnt 0x4
	s_delay_alu instid0(VALU_DEP_1)
	v_fmac_f64_e32 v[162:163], v[142:143], v[156:157]
	scratch_load_b128 v[140:143], off, off offset:480
	s_wait_dscnt 0x0
	v_fmac_f64_e32 v[162:163], v[144:145], v[158:159]
	scratch_load_b64 v[158:159], off, off offset:496
	s_wait_loadcnt 0x5
	v_fmac_f64_e32 v[162:163], v[146:147], v[160:161]
	ds_load_2addr_b64 v[144:147], v2 offset0:117 offset1:118
	ds_load_2addr_b64 v[154:157], v2 offset0:119 offset1:120
	s_wait_dscnt 0x1
	v_fmac_f64_e32 v[162:163], v[148:149], v[144:145]
	s_wait_loadcnt 0x4
	s_delay_alu instid0(VALU_DEP_1)
	v_fmac_f64_e32 v[162:163], v[150:151], v[146:147]
	ds_load_2addr_b64 v[144:147], v2 offset0:121 offset1:122
	ds_load_2addr_b64 v[148:151], v2 offset0:123 offset1:124
	s_wait_dscnt 0x2
	v_fmac_f64_e32 v[162:163], v[152:153], v[154:155]
	s_wait_loadcnt 0x3
	s_delay_alu instid0(VALU_DEP_1) | instskip(SKIP_1) | instid1(VALU_DEP_1)
	v_fmac_f64_e32 v[162:163], v[132:133], v[156:157]
	s_wait_dscnt 0x1
	v_fmac_f64_e32 v[162:163], v[134:135], v[144:145]
	ds_load_2addr_b64 v[132:135], v2 offset0:125 offset1:126
	s_wait_loadcnt 0x2
	v_fmac_f64_e32 v[162:163], v[136:137], v[146:147]
	s_wait_dscnt 0x1
	s_delay_alu instid0(VALU_DEP_1) | instskip(SKIP_1) | instid1(VALU_DEP_1)
	v_fmac_f64_e32 v[162:163], v[138:139], v[148:149]
	s_wait_loadcnt 0x1
	v_fmac_f64_e32 v[162:163], v[140:141], v[150:151]
	s_wait_dscnt 0x0
	s_delay_alu instid0(VALU_DEP_1) | instskip(SKIP_1) | instid1(VALU_DEP_1)
	v_fmac_f64_e32 v[162:163], v[142:143], v[132:133]
	s_wait_loadcnt 0x0
	v_fmac_f64_e32 v[162:163], v[158:159], v[134:135]
	s_delay_alu instid0(VALU_DEP_1)
	v_add_f64_e64 v[2:3], v[130:131], -v[162:163]
	scratch_store_b64 off, v[2:3], off offset:352
	s_wait_xcnt 0x0
	v_cmpx_lt_u32_e32 43, v0
	s_cbranch_execz .LBB62_301
; %bb.300:
	scratch_load_b64 v[2:3], off, off offset:344
	v_mov_b64_e32 v[130:131], 0
	scratch_store_b64 off, v[130:131], off offset:344
	s_wait_loadcnt 0x0
	ds_store_b64 v1, v[2:3]
.LBB62_301:
	s_wait_xcnt 0x0
	s_or_b32 exec_lo, exec_lo, s0
	s_wait_storecnt_dscnt 0x0
	s_barrier_signal -1
	s_barrier_wait -1
	s_clause 0x5
	scratch_load_b128 v[130:133], off, off offset:344
	scratch_load_b128 v[134:137], off, off offset:360
	;; [unrolled: 1-line block ×6, first 2 shown]
	v_mov_b32_e32 v2, 0
	ds_load_b128 v[154:157], v2 offset:864
	ds_load_b128 v[158:161], v2 offset:880
	s_mov_b32 s0, exec_lo
	s_wait_loadcnt_dscnt 0x501
	v_fma_f64 v[162:163], v[132:133], v[154:155], 0
	s_wait_loadcnt 0x4
	s_delay_alu instid0(VALU_DEP_1) | instskip(SKIP_4) | instid1(VALU_DEP_1)
	v_fmac_f64_e32 v[162:163], v[134:135], v[156:157]
	scratch_load_b128 v[132:135], off, off offset:440
	s_wait_dscnt 0x0
	v_fmac_f64_e32 v[162:163], v[136:137], v[158:159]
	s_wait_loadcnt 0x4
	v_fmac_f64_e32 v[162:163], v[138:139], v[160:161]
	scratch_load_b128 v[136:139], off, off offset:456
	ds_load_b128 v[154:157], v2 offset:896
	ds_load_b128 v[158:161], v2 offset:912
	s_wait_dscnt 0x1
	v_fmac_f64_e32 v[162:163], v[140:141], v[154:155]
	s_wait_loadcnt 0x4
	s_delay_alu instid0(VALU_DEP_1) | instskip(SKIP_4) | instid1(VALU_DEP_1)
	v_fmac_f64_e32 v[162:163], v[142:143], v[156:157]
	scratch_load_b128 v[140:143], off, off offset:472
	s_wait_dscnt 0x0
	v_fmac_f64_e32 v[162:163], v[144:145], v[158:159]
	s_wait_loadcnt 0x4
	v_fmac_f64_e32 v[162:163], v[146:147], v[160:161]
	scratch_load_b128 v[144:147], off, off offset:488
	ds_load_b128 v[154:157], v2 offset:928
	ds_load_b128 v[158:161], v2 offset:944
	s_wait_dscnt 0x1
	v_fmac_f64_e32 v[162:163], v[148:149], v[154:155]
	s_wait_loadcnt 0x4
	s_delay_alu instid0(VALU_DEP_1) | instskip(SKIP_1) | instid1(VALU_DEP_1)
	v_fmac_f64_e32 v[162:163], v[150:151], v[156:157]
	s_wait_dscnt 0x0
	v_fmac_f64_e32 v[162:163], v[152:153], v[158:159]
	ds_load_b128 v[148:151], v2 offset:960
	ds_load_b128 v[152:155], v2 offset:976
	s_wait_loadcnt 0x3
	v_fmac_f64_e32 v[162:163], v[132:133], v[160:161]
	s_wait_dscnt 0x1
	s_delay_alu instid0(VALU_DEP_1) | instskip(SKIP_1) | instid1(VALU_DEP_1)
	v_fmac_f64_e32 v[162:163], v[134:135], v[148:149]
	s_wait_loadcnt 0x2
	v_fmac_f64_e32 v[162:163], v[136:137], v[150:151]
	ds_load_b128 v[132:135], v2 offset:992
	ds_load_b64 v[136:137], v2 offset:1008
	s_wait_dscnt 0x2
	v_fmac_f64_e32 v[162:163], v[138:139], v[152:153]
	s_wait_loadcnt 0x1
	s_delay_alu instid0(VALU_DEP_1) | instskip(SKIP_1) | instid1(VALU_DEP_1)
	v_fmac_f64_e32 v[162:163], v[140:141], v[154:155]
	s_wait_dscnt 0x1
	v_fmac_f64_e32 v[162:163], v[142:143], v[132:133]
	s_wait_loadcnt 0x0
	s_delay_alu instid0(VALU_DEP_1) | instskip(SKIP_1) | instid1(VALU_DEP_1)
	v_fmac_f64_e32 v[162:163], v[144:145], v[134:135]
	s_wait_dscnt 0x0
	v_fmac_f64_e32 v[162:163], v[146:147], v[136:137]
	s_delay_alu instid0(VALU_DEP_1)
	v_add_f64_e64 v[130:131], v[130:131], -v[162:163]
	scratch_store_b64 off, v[130:131], off offset:344
	s_wait_xcnt 0x0
	v_cmpx_lt_u32_e32 42, v0
	s_cbranch_execz .LBB62_303
; %bb.302:
	scratch_load_b64 v[130:131], off, off offset:336
	v_mov_b64_e32 v[132:133], 0
	scratch_store_b64 off, v[132:133], off offset:336
	s_wait_loadcnt 0x0
	ds_store_b64 v1, v[130:131]
.LBB62_303:
	s_wait_xcnt 0x0
	s_or_b32 exec_lo, exec_lo, s0
	s_wait_storecnt_dscnt 0x0
	s_barrier_signal -1
	s_barrier_wait -1
	s_clause 0x5
	scratch_load_b128 v[130:133], off, off offset:336
	scratch_load_b128 v[134:137], off, off offset:352
	;; [unrolled: 1-line block ×6, first 2 shown]
	ds_load_2addr_b64 v[154:157], v2 offset0:107 offset1:108
	ds_load_2addr_b64 v[158:161], v2 offset0:109 offset1:110
	s_mov_b32 s0, exec_lo
	s_wait_loadcnt_dscnt 0x501
	v_fma_f64 v[162:163], v[132:133], v[154:155], 0
	s_wait_loadcnt 0x4
	s_delay_alu instid0(VALU_DEP_1) | instskip(SKIP_4) | instid1(VALU_DEP_1)
	v_fmac_f64_e32 v[162:163], v[134:135], v[156:157]
	scratch_load_b128 v[132:135], off, off offset:432
	s_wait_dscnt 0x0
	v_fmac_f64_e32 v[162:163], v[136:137], v[158:159]
	s_wait_loadcnt 0x4
	v_fmac_f64_e32 v[162:163], v[138:139], v[160:161]
	scratch_load_b128 v[136:139], off, off offset:448
	ds_load_2addr_b64 v[154:157], v2 offset0:111 offset1:112
	ds_load_2addr_b64 v[158:161], v2 offset0:113 offset1:114
	s_wait_dscnt 0x1
	v_fmac_f64_e32 v[162:163], v[140:141], v[154:155]
	s_wait_loadcnt 0x4
	s_delay_alu instid0(VALU_DEP_1) | instskip(SKIP_4) | instid1(VALU_DEP_1)
	v_fmac_f64_e32 v[162:163], v[142:143], v[156:157]
	scratch_load_b128 v[140:143], off, off offset:464
	s_wait_dscnt 0x0
	v_fmac_f64_e32 v[162:163], v[144:145], v[158:159]
	s_wait_loadcnt 0x4
	v_fmac_f64_e32 v[162:163], v[146:147], v[160:161]
	scratch_load_b128 v[144:147], off, off offset:480
	ds_load_2addr_b64 v[154:157], v2 offset0:115 offset1:116
	ds_load_2addr_b64 v[158:161], v2 offset0:117 offset1:118
	s_wait_dscnt 0x1
	v_fmac_f64_e32 v[162:163], v[148:149], v[154:155]
	s_wait_loadcnt 0x4
	s_delay_alu instid0(VALU_DEP_1)
	v_fmac_f64_e32 v[162:163], v[150:151], v[156:157]
	scratch_load_b64 v[156:157], off, off offset:496
	s_wait_dscnt 0x0
	v_fmac_f64_e32 v[162:163], v[152:153], v[158:159]
	ds_load_2addr_b64 v[148:151], v2 offset0:119 offset1:120
	ds_load_2addr_b64 v[152:155], v2 offset0:121 offset1:122
	s_wait_loadcnt 0x4
	v_fmac_f64_e32 v[162:163], v[132:133], v[160:161]
	s_wait_dscnt 0x1
	s_delay_alu instid0(VALU_DEP_1) | instskip(SKIP_1) | instid1(VALU_DEP_1)
	v_fmac_f64_e32 v[162:163], v[134:135], v[148:149]
	s_wait_loadcnt 0x3
	v_fmac_f64_e32 v[162:163], v[136:137], v[150:151]
	s_wait_dscnt 0x0
	s_delay_alu instid0(VALU_DEP_1)
	v_fmac_f64_e32 v[162:163], v[138:139], v[152:153]
	ds_load_2addr_b64 v[132:135], v2 offset0:123 offset1:124
	ds_load_2addr_b64 v[136:139], v2 offset0:125 offset1:126
	s_wait_loadcnt 0x2
	v_fmac_f64_e32 v[162:163], v[140:141], v[154:155]
	s_wait_dscnt 0x1
	s_delay_alu instid0(VALU_DEP_1) | instskip(SKIP_1) | instid1(VALU_DEP_1)
	v_fmac_f64_e32 v[162:163], v[142:143], v[132:133]
	s_wait_loadcnt 0x1
	v_fmac_f64_e32 v[162:163], v[144:145], v[134:135]
	s_wait_dscnt 0x0
	s_delay_alu instid0(VALU_DEP_1) | instskip(SKIP_1) | instid1(VALU_DEP_1)
	v_fmac_f64_e32 v[162:163], v[146:147], v[136:137]
	s_wait_loadcnt 0x0
	v_fmac_f64_e32 v[162:163], v[156:157], v[138:139]
	s_delay_alu instid0(VALU_DEP_1)
	v_add_f64_e64 v[2:3], v[130:131], -v[162:163]
	scratch_store_b64 off, v[2:3], off offset:336
	s_wait_xcnt 0x0
	v_cmpx_lt_u32_e32 41, v0
	s_cbranch_execz .LBB62_305
; %bb.304:
	scratch_load_b64 v[2:3], off, off offset:328
	v_mov_b64_e32 v[130:131], 0
	scratch_store_b64 off, v[130:131], off offset:328
	s_wait_loadcnt 0x0
	ds_store_b64 v1, v[2:3]
.LBB62_305:
	s_wait_xcnt 0x0
	s_or_b32 exec_lo, exec_lo, s0
	s_wait_storecnt_dscnt 0x0
	s_barrier_signal -1
	s_barrier_wait -1
	s_clause 0x5
	scratch_load_b128 v[130:133], off, off offset:328
	scratch_load_b128 v[134:137], off, off offset:344
	;; [unrolled: 1-line block ×6, first 2 shown]
	v_mov_b32_e32 v2, 0
	ds_load_b128 v[154:157], v2 offset:848
	ds_load_b128 v[158:161], v2 offset:864
	s_mov_b32 s0, exec_lo
	s_wait_loadcnt_dscnt 0x501
	v_fma_f64 v[162:163], v[132:133], v[154:155], 0
	s_wait_loadcnt 0x4
	s_delay_alu instid0(VALU_DEP_1) | instskip(SKIP_4) | instid1(VALU_DEP_1)
	v_fmac_f64_e32 v[162:163], v[134:135], v[156:157]
	scratch_load_b128 v[132:135], off, off offset:424
	s_wait_dscnt 0x0
	v_fmac_f64_e32 v[162:163], v[136:137], v[158:159]
	s_wait_loadcnt 0x4
	v_fmac_f64_e32 v[162:163], v[138:139], v[160:161]
	scratch_load_b128 v[136:139], off, off offset:440
	ds_load_b128 v[154:157], v2 offset:880
	ds_load_b128 v[158:161], v2 offset:896
	s_wait_dscnt 0x1
	v_fmac_f64_e32 v[162:163], v[140:141], v[154:155]
	s_wait_loadcnt 0x4
	s_delay_alu instid0(VALU_DEP_1) | instskip(SKIP_4) | instid1(VALU_DEP_1)
	v_fmac_f64_e32 v[162:163], v[142:143], v[156:157]
	scratch_load_b128 v[140:143], off, off offset:456
	s_wait_dscnt 0x0
	v_fmac_f64_e32 v[162:163], v[144:145], v[158:159]
	s_wait_loadcnt 0x4
	v_fmac_f64_e32 v[162:163], v[146:147], v[160:161]
	scratch_load_b128 v[144:147], off, off offset:472
	ds_load_b128 v[154:157], v2 offset:912
	ds_load_b128 v[158:161], v2 offset:928
	s_wait_dscnt 0x1
	v_fmac_f64_e32 v[162:163], v[148:149], v[154:155]
	s_wait_loadcnt 0x4
	s_delay_alu instid0(VALU_DEP_1)
	v_fmac_f64_e32 v[162:163], v[150:151], v[156:157]
	scratch_load_b128 v[148:151], off, off offset:488
	s_wait_dscnt 0x0
	v_fmac_f64_e32 v[162:163], v[152:153], v[158:159]
	ds_load_b128 v[152:155], v2 offset:944
	ds_load_b128 v[156:159], v2 offset:960
	s_wait_loadcnt 0x4
	v_fmac_f64_e32 v[162:163], v[132:133], v[160:161]
	s_wait_dscnt 0x1
	s_delay_alu instid0(VALU_DEP_1) | instskip(SKIP_1) | instid1(VALU_DEP_1)
	v_fmac_f64_e32 v[162:163], v[134:135], v[152:153]
	s_wait_loadcnt 0x3
	v_fmac_f64_e32 v[162:163], v[136:137], v[154:155]
	s_wait_dscnt 0x0
	s_delay_alu instid0(VALU_DEP_1)
	v_fmac_f64_e32 v[162:163], v[138:139], v[156:157]
	ds_load_b128 v[132:135], v2 offset:976
	ds_load_b128 v[136:139], v2 offset:992
	s_wait_loadcnt 0x2
	v_fmac_f64_e32 v[162:163], v[140:141], v[158:159]
	s_wait_dscnt 0x1
	s_delay_alu instid0(VALU_DEP_1) | instskip(SKIP_4) | instid1(VALU_DEP_1)
	v_fmac_f64_e32 v[162:163], v[142:143], v[132:133]
	ds_load_b64 v[132:133], v2 offset:1008
	s_wait_loadcnt 0x1
	v_fmac_f64_e32 v[162:163], v[144:145], v[134:135]
	s_wait_dscnt 0x1
	v_fmac_f64_e32 v[162:163], v[146:147], v[136:137]
	s_wait_loadcnt 0x0
	s_delay_alu instid0(VALU_DEP_1) | instskip(SKIP_1) | instid1(VALU_DEP_1)
	v_fmac_f64_e32 v[162:163], v[148:149], v[138:139]
	s_wait_dscnt 0x0
	v_fmac_f64_e32 v[162:163], v[150:151], v[132:133]
	s_delay_alu instid0(VALU_DEP_1)
	v_add_f64_e64 v[130:131], v[130:131], -v[162:163]
	scratch_store_b64 off, v[130:131], off offset:328
	s_wait_xcnt 0x0
	v_cmpx_lt_u32_e32 40, v0
	s_cbranch_execz .LBB62_307
; %bb.306:
	scratch_load_b64 v[130:131], off, off offset:320
	v_mov_b64_e32 v[132:133], 0
	scratch_store_b64 off, v[132:133], off offset:320
	s_wait_loadcnt 0x0
	ds_store_b64 v1, v[130:131]
.LBB62_307:
	s_wait_xcnt 0x0
	s_or_b32 exec_lo, exec_lo, s0
	s_wait_storecnt_dscnt 0x0
	s_barrier_signal -1
	s_barrier_wait -1
	s_clause 0x5
	scratch_load_b128 v[130:133], off, off offset:320
	scratch_load_b128 v[134:137], off, off offset:336
	;; [unrolled: 1-line block ×6, first 2 shown]
	ds_load_2addr_b64 v[154:157], v2 offset0:105 offset1:106
	ds_load_2addr_b64 v[158:161], v2 offset0:107 offset1:108
	scratch_load_b128 v[162:165], off, off offset:416
	s_mov_b32 s0, exec_lo
	s_wait_loadcnt_dscnt 0x601
	v_fma_f64 v[166:167], v[132:133], v[154:155], 0
	s_wait_loadcnt 0x5
	s_delay_alu instid0(VALU_DEP_1) | instskip(SKIP_4) | instid1(VALU_DEP_1)
	v_fmac_f64_e32 v[166:167], v[134:135], v[156:157]
	scratch_load_b128 v[132:135], off, off offset:432
	s_wait_dscnt 0x0
	v_fmac_f64_e32 v[166:167], v[136:137], v[158:159]
	s_wait_loadcnt 0x5
	v_fmac_f64_e32 v[166:167], v[138:139], v[160:161]
	ds_load_2addr_b64 v[136:139], v2 offset0:109 offset1:110
	ds_load_2addr_b64 v[154:157], v2 offset0:111 offset1:112
	s_wait_dscnt 0x1
	v_fmac_f64_e32 v[166:167], v[140:141], v[136:137]
	s_wait_loadcnt 0x4
	s_delay_alu instid0(VALU_DEP_1)
	v_fmac_f64_e32 v[166:167], v[142:143], v[138:139]
	s_clause 0x1
	scratch_load_b128 v[136:139], off, off offset:448
	scratch_load_b128 v[140:143], off, off offset:464
	s_wait_dscnt 0x0
	v_fmac_f64_e32 v[166:167], v[144:145], v[154:155]
	s_wait_loadcnt 0x5
	s_delay_alu instid0(VALU_DEP_1)
	v_fmac_f64_e32 v[166:167], v[146:147], v[156:157]
	ds_load_2addr_b64 v[144:147], v2 offset0:113 offset1:114
	ds_load_2addr_b64 v[154:157], v2 offset0:115 offset1:116
	s_wait_dscnt 0x1
	v_fmac_f64_e32 v[166:167], v[148:149], v[144:145]
	s_wait_loadcnt 0x4
	s_delay_alu instid0(VALU_DEP_1) | instskip(SKIP_4) | instid1(VALU_DEP_1)
	v_fmac_f64_e32 v[166:167], v[150:151], v[146:147]
	scratch_load_b128 v[144:147], off, off offset:480
	s_wait_dscnt 0x0
	v_fmac_f64_e32 v[166:167], v[152:153], v[154:155]
	s_wait_loadcnt 0x4
	v_fmac_f64_e32 v[166:167], v[162:163], v[156:157]
	scratch_load_b64 v[156:157], off, off offset:496
	ds_load_2addr_b64 v[148:151], v2 offset0:117 offset1:118
	ds_load_2addr_b64 v[152:155], v2 offset0:119 offset1:120
	s_wait_dscnt 0x1
	v_fmac_f64_e32 v[166:167], v[164:165], v[148:149]
	s_wait_loadcnt 0x4
	s_delay_alu instid0(VALU_DEP_1) | instskip(SKIP_1) | instid1(VALU_DEP_1)
	v_fmac_f64_e32 v[166:167], v[132:133], v[150:151]
	s_wait_dscnt 0x0
	v_fmac_f64_e32 v[166:167], v[134:135], v[152:153]
	ds_load_2addr_b64 v[132:135], v2 offset0:121 offset1:122
	ds_load_2addr_b64 v[148:151], v2 offset0:123 offset1:124
	s_wait_loadcnt 0x3
	v_fmac_f64_e32 v[166:167], v[136:137], v[154:155]
	s_wait_dscnt 0x1
	s_delay_alu instid0(VALU_DEP_1) | instskip(SKIP_1) | instid1(VALU_DEP_1)
	v_fmac_f64_e32 v[166:167], v[138:139], v[132:133]
	s_wait_loadcnt 0x2
	v_fmac_f64_e32 v[166:167], v[140:141], v[134:135]
	ds_load_2addr_b64 v[132:135], v2 offset0:125 offset1:126
	s_wait_dscnt 0x1
	v_fmac_f64_e32 v[166:167], v[142:143], v[148:149]
	s_wait_loadcnt 0x1
	s_delay_alu instid0(VALU_DEP_1) | instskip(SKIP_1) | instid1(VALU_DEP_1)
	v_fmac_f64_e32 v[166:167], v[144:145], v[150:151]
	s_wait_dscnt 0x0
	v_fmac_f64_e32 v[166:167], v[146:147], v[132:133]
	s_wait_loadcnt 0x0
	s_delay_alu instid0(VALU_DEP_1) | instskip(NEXT) | instid1(VALU_DEP_1)
	v_fmac_f64_e32 v[166:167], v[156:157], v[134:135]
	v_add_f64_e64 v[2:3], v[130:131], -v[166:167]
	scratch_store_b64 off, v[2:3], off offset:320
	s_wait_xcnt 0x0
	v_cmpx_lt_u32_e32 39, v0
	s_cbranch_execz .LBB62_309
; %bb.308:
	scratch_load_b64 v[2:3], off, off offset:312
	v_mov_b64_e32 v[130:131], 0
	scratch_store_b64 off, v[130:131], off offset:312
	s_wait_loadcnt 0x0
	ds_store_b64 v1, v[2:3]
.LBB62_309:
	s_wait_xcnt 0x0
	s_or_b32 exec_lo, exec_lo, s0
	s_wait_storecnt_dscnt 0x0
	s_barrier_signal -1
	s_barrier_wait -1
	s_clause 0x5
	scratch_load_b128 v[130:133], off, off offset:312
	scratch_load_b128 v[134:137], off, off offset:328
	;; [unrolled: 1-line block ×6, first 2 shown]
	v_mov_b32_e32 v2, 0
	ds_load_b128 v[154:157], v2 offset:832
	ds_load_b128 v[158:161], v2 offset:848
	scratch_load_b128 v[162:165], off, off offset:408
	s_mov_b32 s0, exec_lo
	s_wait_loadcnt_dscnt 0x601
	v_fma_f64 v[166:167], v[132:133], v[154:155], 0
	s_wait_loadcnt 0x5
	s_delay_alu instid0(VALU_DEP_1) | instskip(SKIP_4) | instid1(VALU_DEP_1)
	v_fmac_f64_e32 v[166:167], v[134:135], v[156:157]
	scratch_load_b128 v[132:135], off, off offset:424
	s_wait_dscnt 0x0
	v_fmac_f64_e32 v[166:167], v[136:137], v[158:159]
	s_wait_loadcnt 0x5
	v_fmac_f64_e32 v[166:167], v[138:139], v[160:161]
	ds_load_b128 v[136:139], v2 offset:864
	ds_load_b128 v[154:157], v2 offset:880
	s_wait_dscnt 0x1
	v_fmac_f64_e32 v[166:167], v[140:141], v[136:137]
	s_wait_loadcnt 0x4
	s_delay_alu instid0(VALU_DEP_1)
	v_fmac_f64_e32 v[166:167], v[142:143], v[138:139]
	s_clause 0x1
	scratch_load_b128 v[136:139], off, off offset:440
	scratch_load_b128 v[140:143], off, off offset:456
	s_wait_dscnt 0x0
	v_fmac_f64_e32 v[166:167], v[144:145], v[154:155]
	s_wait_loadcnt 0x5
	s_delay_alu instid0(VALU_DEP_1)
	v_fmac_f64_e32 v[166:167], v[146:147], v[156:157]
	ds_load_b128 v[144:147], v2 offset:896
	ds_load_b128 v[154:157], v2 offset:912
	s_wait_dscnt 0x1
	v_fmac_f64_e32 v[166:167], v[148:149], v[144:145]
	s_wait_loadcnt 0x4
	s_delay_alu instid0(VALU_DEP_1)
	v_fmac_f64_e32 v[166:167], v[150:151], v[146:147]
	s_clause 0x1
	scratch_load_b128 v[144:147], off, off offset:472
	scratch_load_b128 v[148:151], off, off offset:488
	s_wait_dscnt 0x0
	v_fmac_f64_e32 v[166:167], v[152:153], v[154:155]
	s_wait_loadcnt 0x5
	s_delay_alu instid0(VALU_DEP_1)
	v_fmac_f64_e32 v[166:167], v[162:163], v[156:157]
	ds_load_b128 v[152:155], v2 offset:928
	ds_load_b128 v[156:159], v2 offset:944
	s_wait_dscnt 0x1
	v_fmac_f64_e32 v[166:167], v[164:165], v[152:153]
	s_wait_loadcnt 0x4
	s_delay_alu instid0(VALU_DEP_1) | instskip(SKIP_1) | instid1(VALU_DEP_1)
	v_fmac_f64_e32 v[166:167], v[132:133], v[154:155]
	s_wait_dscnt 0x0
	v_fmac_f64_e32 v[166:167], v[134:135], v[156:157]
	ds_load_b128 v[132:135], v2 offset:960
	ds_load_b128 v[152:155], v2 offset:976
	s_wait_loadcnt 0x3
	v_fmac_f64_e32 v[166:167], v[136:137], v[158:159]
	s_wait_dscnt 0x1
	s_delay_alu instid0(VALU_DEP_1) | instskip(SKIP_1) | instid1(VALU_DEP_1)
	v_fmac_f64_e32 v[166:167], v[138:139], v[132:133]
	s_wait_loadcnt 0x2
	v_fmac_f64_e32 v[166:167], v[140:141], v[134:135]
	ds_load_b128 v[132:135], v2 offset:992
	ds_load_b64 v[136:137], v2 offset:1008
	s_wait_dscnt 0x2
	v_fmac_f64_e32 v[166:167], v[142:143], v[152:153]
	s_wait_loadcnt 0x1
	s_delay_alu instid0(VALU_DEP_1) | instskip(SKIP_1) | instid1(VALU_DEP_1)
	v_fmac_f64_e32 v[166:167], v[144:145], v[154:155]
	s_wait_dscnt 0x1
	v_fmac_f64_e32 v[166:167], v[146:147], v[132:133]
	s_wait_loadcnt 0x0
	s_delay_alu instid0(VALU_DEP_1) | instskip(SKIP_1) | instid1(VALU_DEP_1)
	v_fmac_f64_e32 v[166:167], v[148:149], v[134:135]
	s_wait_dscnt 0x0
	v_fmac_f64_e32 v[166:167], v[150:151], v[136:137]
	s_delay_alu instid0(VALU_DEP_1)
	v_add_f64_e64 v[130:131], v[130:131], -v[166:167]
	scratch_store_b64 off, v[130:131], off offset:312
	s_wait_xcnt 0x0
	v_cmpx_lt_u32_e32 38, v0
	s_cbranch_execz .LBB62_311
; %bb.310:
	scratch_load_b64 v[130:131], off, off offset:304
	v_mov_b64_e32 v[132:133], 0
	scratch_store_b64 off, v[132:133], off offset:304
	s_wait_loadcnt 0x0
	ds_store_b64 v1, v[130:131]
.LBB62_311:
	s_wait_xcnt 0x0
	s_or_b32 exec_lo, exec_lo, s0
	s_wait_storecnt_dscnt 0x0
	s_barrier_signal -1
	s_barrier_wait -1
	s_clause 0x5
	scratch_load_b128 v[130:133], off, off offset:304
	scratch_load_b128 v[134:137], off, off offset:320
	;; [unrolled: 1-line block ×6, first 2 shown]
	ds_load_2addr_b64 v[154:157], v2 offset0:103 offset1:104
	ds_load_2addr_b64 v[158:161], v2 offset0:105 offset1:106
	scratch_load_b128 v[162:165], off, off offset:400
	s_mov_b32 s0, exec_lo
	s_wait_loadcnt_dscnt 0x601
	v_fma_f64 v[166:167], v[132:133], v[154:155], 0
	s_wait_loadcnt 0x5
	s_delay_alu instid0(VALU_DEP_1) | instskip(SKIP_4) | instid1(VALU_DEP_1)
	v_fmac_f64_e32 v[166:167], v[134:135], v[156:157]
	scratch_load_b128 v[132:135], off, off offset:416
	s_wait_dscnt 0x0
	v_fmac_f64_e32 v[166:167], v[136:137], v[158:159]
	s_wait_loadcnt 0x5
	v_fmac_f64_e32 v[166:167], v[138:139], v[160:161]
	ds_load_2addr_b64 v[136:139], v2 offset0:107 offset1:108
	ds_load_2addr_b64 v[154:157], v2 offset0:109 offset1:110
	s_wait_dscnt 0x1
	v_fmac_f64_e32 v[166:167], v[140:141], v[136:137]
	s_wait_loadcnt 0x4
	s_delay_alu instid0(VALU_DEP_1)
	v_fmac_f64_e32 v[166:167], v[142:143], v[138:139]
	s_clause 0x1
	scratch_load_b128 v[136:139], off, off offset:432
	scratch_load_b128 v[140:143], off, off offset:448
	s_wait_dscnt 0x0
	v_fmac_f64_e32 v[166:167], v[144:145], v[154:155]
	s_wait_loadcnt 0x5
	s_delay_alu instid0(VALU_DEP_1)
	v_fmac_f64_e32 v[166:167], v[146:147], v[156:157]
	ds_load_2addr_b64 v[144:147], v2 offset0:111 offset1:112
	ds_load_2addr_b64 v[154:157], v2 offset0:113 offset1:114
	s_wait_dscnt 0x1
	v_fmac_f64_e32 v[166:167], v[148:149], v[144:145]
	s_wait_loadcnt 0x4
	s_delay_alu instid0(VALU_DEP_1)
	v_fmac_f64_e32 v[166:167], v[150:151], v[146:147]
	s_clause 0x1
	scratch_load_b128 v[144:147], off, off offset:464
	scratch_load_b128 v[148:151], off, off offset:480
	s_wait_dscnt 0x0
	v_fmac_f64_e32 v[166:167], v[152:153], v[154:155]
	s_wait_loadcnt 0x5
	s_delay_alu instid0(VALU_DEP_1)
	v_fmac_f64_e32 v[166:167], v[162:163], v[156:157]
	ds_load_2addr_b64 v[152:155], v2 offset0:115 offset1:116
	ds_load_2addr_b64 v[156:159], v2 offset0:117 offset1:118
	scratch_load_b64 v[160:161], off, off offset:496
	s_wait_dscnt 0x1
	v_fmac_f64_e32 v[166:167], v[164:165], v[152:153]
	s_wait_loadcnt 0x5
	s_delay_alu instid0(VALU_DEP_1) | instskip(SKIP_1) | instid1(VALU_DEP_1)
	v_fmac_f64_e32 v[166:167], v[132:133], v[154:155]
	s_wait_dscnt 0x0
	v_fmac_f64_e32 v[166:167], v[134:135], v[156:157]
	ds_load_2addr_b64 v[132:135], v2 offset0:119 offset1:120
	ds_load_2addr_b64 v[152:155], v2 offset0:121 offset1:122
	s_wait_loadcnt 0x4
	v_fmac_f64_e32 v[166:167], v[136:137], v[158:159]
	s_wait_dscnt 0x1
	s_delay_alu instid0(VALU_DEP_1) | instskip(SKIP_1) | instid1(VALU_DEP_1)
	v_fmac_f64_e32 v[166:167], v[138:139], v[132:133]
	s_wait_loadcnt 0x3
	v_fmac_f64_e32 v[166:167], v[140:141], v[134:135]
	ds_load_2addr_b64 v[132:135], v2 offset0:123 offset1:124
	ds_load_2addr_b64 v[136:139], v2 offset0:125 offset1:126
	s_wait_dscnt 0x2
	v_fmac_f64_e32 v[166:167], v[142:143], v[152:153]
	s_wait_loadcnt 0x2
	s_delay_alu instid0(VALU_DEP_1) | instskip(SKIP_1) | instid1(VALU_DEP_1)
	v_fmac_f64_e32 v[166:167], v[144:145], v[154:155]
	s_wait_dscnt 0x1
	v_fmac_f64_e32 v[166:167], v[146:147], v[132:133]
	s_wait_loadcnt 0x1
	s_delay_alu instid0(VALU_DEP_1) | instskip(SKIP_1) | instid1(VALU_DEP_1)
	v_fmac_f64_e32 v[166:167], v[148:149], v[134:135]
	s_wait_dscnt 0x0
	v_fmac_f64_e32 v[166:167], v[150:151], v[136:137]
	s_wait_loadcnt 0x0
	s_delay_alu instid0(VALU_DEP_1) | instskip(NEXT) | instid1(VALU_DEP_1)
	v_fmac_f64_e32 v[166:167], v[160:161], v[138:139]
	v_add_f64_e64 v[2:3], v[130:131], -v[166:167]
	scratch_store_b64 off, v[2:3], off offset:304
	s_wait_xcnt 0x0
	v_cmpx_lt_u32_e32 37, v0
	s_cbranch_execz .LBB62_313
; %bb.312:
	scratch_load_b64 v[2:3], off, off offset:296
	v_mov_b64_e32 v[130:131], 0
	scratch_store_b64 off, v[130:131], off offset:296
	s_wait_loadcnt 0x0
	ds_store_b64 v1, v[2:3]
.LBB62_313:
	s_wait_xcnt 0x0
	s_or_b32 exec_lo, exec_lo, s0
	s_wait_storecnt_dscnt 0x0
	s_barrier_signal -1
	s_barrier_wait -1
	s_clause 0x5
	scratch_load_b128 v[130:133], off, off offset:296
	scratch_load_b128 v[134:137], off, off offset:312
	;; [unrolled: 1-line block ×6, first 2 shown]
	v_mov_b32_e32 v2, 0
	ds_load_b128 v[154:157], v2 offset:816
	ds_load_b128 v[158:161], v2 offset:832
	scratch_load_b128 v[162:165], off, off offset:392
	s_mov_b32 s0, exec_lo
	s_wait_loadcnt_dscnt 0x601
	v_fma_f64 v[166:167], v[132:133], v[154:155], 0
	s_wait_loadcnt 0x5
	s_delay_alu instid0(VALU_DEP_1) | instskip(SKIP_4) | instid1(VALU_DEP_1)
	v_fmac_f64_e32 v[166:167], v[134:135], v[156:157]
	scratch_load_b128 v[132:135], off, off offset:408
	s_wait_dscnt 0x0
	v_fmac_f64_e32 v[166:167], v[136:137], v[158:159]
	s_wait_loadcnt 0x5
	v_fmac_f64_e32 v[166:167], v[138:139], v[160:161]
	ds_load_b128 v[136:139], v2 offset:848
	ds_load_b128 v[154:157], v2 offset:864
	s_wait_dscnt 0x1
	v_fmac_f64_e32 v[166:167], v[140:141], v[136:137]
	s_wait_loadcnt 0x4
	s_delay_alu instid0(VALU_DEP_1)
	v_fmac_f64_e32 v[166:167], v[142:143], v[138:139]
	s_clause 0x1
	scratch_load_b128 v[136:139], off, off offset:424
	scratch_load_b128 v[140:143], off, off offset:440
	s_wait_dscnt 0x0
	v_fmac_f64_e32 v[166:167], v[144:145], v[154:155]
	s_wait_loadcnt 0x5
	s_delay_alu instid0(VALU_DEP_1)
	v_fmac_f64_e32 v[166:167], v[146:147], v[156:157]
	ds_load_b128 v[144:147], v2 offset:880
	ds_load_b128 v[154:157], v2 offset:896
	s_wait_dscnt 0x1
	v_fmac_f64_e32 v[166:167], v[148:149], v[144:145]
	s_wait_loadcnt 0x4
	s_delay_alu instid0(VALU_DEP_1)
	v_fmac_f64_e32 v[166:167], v[150:151], v[146:147]
	s_clause 0x1
	scratch_load_b128 v[144:147], off, off offset:456
	scratch_load_b128 v[148:151], off, off offset:472
	s_wait_dscnt 0x0
	v_fmac_f64_e32 v[166:167], v[152:153], v[154:155]
	s_wait_loadcnt 0x5
	s_delay_alu instid0(VALU_DEP_1)
	v_fmac_f64_e32 v[166:167], v[162:163], v[156:157]
	ds_load_b128 v[152:155], v2 offset:912
	ds_load_b128 v[156:159], v2 offset:928
	s_wait_dscnt 0x1
	v_fmac_f64_e32 v[166:167], v[164:165], v[152:153]
	s_wait_loadcnt 0x4
	s_delay_alu instid0(VALU_DEP_1) | instskip(SKIP_4) | instid1(VALU_DEP_1)
	v_fmac_f64_e32 v[166:167], v[132:133], v[154:155]
	scratch_load_b128 v[152:155], off, off offset:488
	s_wait_dscnt 0x0
	v_fmac_f64_e32 v[166:167], v[134:135], v[156:157]
	s_wait_loadcnt 0x4
	v_fmac_f64_e32 v[166:167], v[136:137], v[158:159]
	ds_load_b128 v[132:135], v2 offset:944
	ds_load_b128 v[156:159], v2 offset:960
	s_wait_dscnt 0x1
	v_fmac_f64_e32 v[166:167], v[138:139], v[132:133]
	s_wait_loadcnt 0x3
	s_delay_alu instid0(VALU_DEP_1)
	v_fmac_f64_e32 v[166:167], v[140:141], v[134:135]
	ds_load_b128 v[132:135], v2 offset:976
	ds_load_b128 v[136:139], v2 offset:992
	s_wait_dscnt 0x2
	v_fmac_f64_e32 v[166:167], v[142:143], v[156:157]
	s_wait_loadcnt 0x2
	s_delay_alu instid0(VALU_DEP_1) | instskip(SKIP_1) | instid1(VALU_DEP_1)
	v_fmac_f64_e32 v[166:167], v[144:145], v[158:159]
	s_wait_dscnt 0x1
	v_fmac_f64_e32 v[166:167], v[146:147], v[132:133]
	ds_load_b64 v[132:133], v2 offset:1008
	s_wait_loadcnt 0x1
	v_fmac_f64_e32 v[166:167], v[148:149], v[134:135]
	s_wait_dscnt 0x1
	s_delay_alu instid0(VALU_DEP_1) | instskip(SKIP_1) | instid1(VALU_DEP_1)
	v_fmac_f64_e32 v[166:167], v[150:151], v[136:137]
	s_wait_loadcnt 0x0
	v_fmac_f64_e32 v[166:167], v[152:153], v[138:139]
	s_wait_dscnt 0x0
	s_delay_alu instid0(VALU_DEP_1) | instskip(NEXT) | instid1(VALU_DEP_1)
	v_fmac_f64_e32 v[166:167], v[154:155], v[132:133]
	v_add_f64_e64 v[130:131], v[130:131], -v[166:167]
	scratch_store_b64 off, v[130:131], off offset:296
	s_wait_xcnt 0x0
	v_cmpx_lt_u32_e32 36, v0
	s_cbranch_execz .LBB62_315
; %bb.314:
	scratch_load_b64 v[130:131], off, off offset:288
	v_mov_b64_e32 v[132:133], 0
	scratch_store_b64 off, v[132:133], off offset:288
	s_wait_loadcnt 0x0
	ds_store_b64 v1, v[130:131]
.LBB62_315:
	s_wait_xcnt 0x0
	s_or_b32 exec_lo, exec_lo, s0
	s_wait_storecnt_dscnt 0x0
	s_barrier_signal -1
	s_barrier_wait -1
	s_clause 0x5
	scratch_load_b128 v[130:133], off, off offset:288
	scratch_load_b128 v[134:137], off, off offset:304
	;; [unrolled: 1-line block ×6, first 2 shown]
	ds_load_2addr_b64 v[154:157], v2 offset0:101 offset1:102
	ds_load_2addr_b64 v[158:161], v2 offset0:103 offset1:104
	scratch_load_b128 v[162:165], off, off offset:384
	s_mov_b32 s0, exec_lo
	s_wait_loadcnt_dscnt 0x601
	v_fma_f64 v[166:167], v[132:133], v[154:155], 0
	s_wait_loadcnt 0x5
	s_delay_alu instid0(VALU_DEP_1) | instskip(SKIP_4) | instid1(VALU_DEP_1)
	v_fmac_f64_e32 v[166:167], v[134:135], v[156:157]
	scratch_load_b128 v[132:135], off, off offset:400
	s_wait_dscnt 0x0
	v_fmac_f64_e32 v[166:167], v[136:137], v[158:159]
	s_wait_loadcnt 0x5
	v_fmac_f64_e32 v[166:167], v[138:139], v[160:161]
	ds_load_2addr_b64 v[136:139], v2 offset0:105 offset1:106
	ds_load_2addr_b64 v[154:157], v2 offset0:107 offset1:108
	scratch_load_b128 v[158:161], off, off offset:416
	s_wait_dscnt 0x1
	v_fmac_f64_e32 v[166:167], v[140:141], v[136:137]
	s_wait_loadcnt 0x5
	s_delay_alu instid0(VALU_DEP_1) | instskip(SKIP_4) | instid1(VALU_DEP_1)
	v_fmac_f64_e32 v[166:167], v[142:143], v[138:139]
	scratch_load_b128 v[136:139], off, off offset:432
	s_wait_dscnt 0x0
	v_fmac_f64_e32 v[166:167], v[144:145], v[154:155]
	s_wait_loadcnt 0x5
	v_fmac_f64_e32 v[166:167], v[146:147], v[156:157]
	ds_load_2addr_b64 v[140:143], v2 offset0:109 offset1:110
	ds_load_2addr_b64 v[144:147], v2 offset0:111 offset1:112
	s_wait_dscnt 0x1
	v_fmac_f64_e32 v[166:167], v[148:149], v[140:141]
	s_wait_loadcnt 0x4
	s_delay_alu instid0(VALU_DEP_1) | instskip(SKIP_4) | instid1(VALU_DEP_1)
	v_fmac_f64_e32 v[166:167], v[150:151], v[142:143]
	scratch_load_b128 v[140:143], off, off offset:448
	s_wait_dscnt 0x0
	v_fmac_f64_e32 v[166:167], v[152:153], v[144:145]
	s_wait_loadcnt 0x4
	v_fmac_f64_e32 v[166:167], v[162:163], v[146:147]
	scratch_load_b128 v[144:147], off, off offset:464
	ds_load_2addr_b64 v[148:151], v2 offset0:113 offset1:114
	ds_load_2addr_b64 v[152:155], v2 offset0:115 offset1:116
	scratch_load_b64 v[156:157], off, off offset:496
	s_wait_dscnt 0x1
	v_fmac_f64_e32 v[166:167], v[164:165], v[148:149]
	s_wait_loadcnt 0x5
	s_delay_alu instid0(VALU_DEP_1) | instskip(SKIP_4) | instid1(VALU_DEP_1)
	v_fmac_f64_e32 v[166:167], v[132:133], v[150:151]
	scratch_load_b128 v[148:151], off, off offset:480
	s_wait_dscnt 0x0
	v_fmac_f64_e32 v[166:167], v[134:135], v[152:153]
	s_wait_loadcnt 0x5
	v_fmac_f64_e32 v[166:167], v[158:159], v[154:155]
	ds_load_2addr_b64 v[132:135], v2 offset0:117 offset1:118
	ds_load_2addr_b64 v[152:155], v2 offset0:119 offset1:120
	s_wait_dscnt 0x1
	v_fmac_f64_e32 v[166:167], v[160:161], v[132:133]
	s_wait_loadcnt 0x4
	s_delay_alu instid0(VALU_DEP_1) | instskip(SKIP_1) | instid1(VALU_DEP_1)
	v_fmac_f64_e32 v[166:167], v[136:137], v[134:135]
	s_wait_dscnt 0x0
	v_fmac_f64_e32 v[166:167], v[138:139], v[152:153]
	ds_load_2addr_b64 v[132:135], v2 offset0:121 offset1:122
	ds_load_2addr_b64 v[136:139], v2 offset0:123 offset1:124
	s_wait_loadcnt 0x3
	v_fmac_f64_e32 v[166:167], v[140:141], v[154:155]
	s_wait_dscnt 0x1
	s_delay_alu instid0(VALU_DEP_1) | instskip(SKIP_1) | instid1(VALU_DEP_1)
	v_fmac_f64_e32 v[166:167], v[142:143], v[132:133]
	s_wait_loadcnt 0x2
	v_fmac_f64_e32 v[166:167], v[144:145], v[134:135]
	ds_load_2addr_b64 v[132:135], v2 offset0:125 offset1:126
	s_wait_dscnt 0x1
	v_fmac_f64_e32 v[166:167], v[146:147], v[136:137]
	s_wait_loadcnt 0x0
	s_delay_alu instid0(VALU_DEP_1) | instskip(SKIP_1) | instid1(VALU_DEP_1)
	v_fmac_f64_e32 v[166:167], v[148:149], v[138:139]
	s_wait_dscnt 0x0
	v_fmac_f64_e32 v[166:167], v[150:151], v[132:133]
	s_delay_alu instid0(VALU_DEP_1) | instskip(NEXT) | instid1(VALU_DEP_1)
	v_fmac_f64_e32 v[166:167], v[156:157], v[134:135]
	v_add_f64_e64 v[2:3], v[130:131], -v[166:167]
	scratch_store_b64 off, v[2:3], off offset:288
	s_wait_xcnt 0x0
	v_cmpx_lt_u32_e32 35, v0
	s_cbranch_execz .LBB62_317
; %bb.316:
	scratch_load_b64 v[2:3], off, off offset:280
	v_mov_b64_e32 v[130:131], 0
	scratch_store_b64 off, v[130:131], off offset:280
	s_wait_loadcnt 0x0
	ds_store_b64 v1, v[2:3]
.LBB62_317:
	s_wait_xcnt 0x0
	s_or_b32 exec_lo, exec_lo, s0
	s_wait_storecnt_dscnt 0x0
	s_barrier_signal -1
	s_barrier_wait -1
	s_clause 0x5
	scratch_load_b128 v[130:133], off, off offset:280
	scratch_load_b128 v[134:137], off, off offset:296
	;; [unrolled: 1-line block ×6, first 2 shown]
	v_mov_b32_e32 v2, 0
	ds_load_b128 v[154:157], v2 offset:800
	ds_load_b128 v[158:161], v2 offset:816
	scratch_load_b128 v[162:165], off, off offset:376
	s_mov_b32 s0, exec_lo
	s_wait_loadcnt_dscnt 0x601
	v_fma_f64 v[166:167], v[132:133], v[154:155], 0
	s_wait_loadcnt 0x5
	s_delay_alu instid0(VALU_DEP_1) | instskip(SKIP_4) | instid1(VALU_DEP_1)
	v_fmac_f64_e32 v[166:167], v[134:135], v[156:157]
	scratch_load_b128 v[132:135], off, off offset:392
	s_wait_dscnt 0x0
	v_fmac_f64_e32 v[166:167], v[136:137], v[158:159]
	s_wait_loadcnt 0x5
	v_fmac_f64_e32 v[166:167], v[138:139], v[160:161]
	ds_load_b128 v[136:139], v2 offset:832
	ds_load_b128 v[154:157], v2 offset:848
	scratch_load_b128 v[158:161], off, off offset:408
	s_wait_dscnt 0x1
	v_fmac_f64_e32 v[166:167], v[140:141], v[136:137]
	s_wait_loadcnt 0x5
	s_delay_alu instid0(VALU_DEP_1) | instskip(SKIP_4) | instid1(VALU_DEP_1)
	v_fmac_f64_e32 v[166:167], v[142:143], v[138:139]
	scratch_load_b128 v[136:139], off, off offset:424
	s_wait_dscnt 0x0
	v_fmac_f64_e32 v[166:167], v[144:145], v[154:155]
	s_wait_loadcnt 0x5
	v_fmac_f64_e32 v[166:167], v[146:147], v[156:157]
	ds_load_b128 v[140:143], v2 offset:864
	ds_load_b128 v[144:147], v2 offset:880
	s_wait_dscnt 0x1
	v_fmac_f64_e32 v[166:167], v[148:149], v[140:141]
	s_wait_loadcnt 0x4
	s_delay_alu instid0(VALU_DEP_1) | instskip(SKIP_4) | instid1(VALU_DEP_1)
	v_fmac_f64_e32 v[166:167], v[150:151], v[142:143]
	scratch_load_b128 v[140:143], off, off offset:440
	s_wait_dscnt 0x0
	v_fmac_f64_e32 v[166:167], v[152:153], v[144:145]
	s_wait_loadcnt 0x4
	v_fmac_f64_e32 v[166:167], v[162:163], v[146:147]
	scratch_load_b128 v[144:147], off, off offset:456
	ds_load_b128 v[148:151], v2 offset:896
	ds_load_b128 v[152:155], v2 offset:912
	s_wait_dscnt 0x1
	v_fmac_f64_e32 v[166:167], v[164:165], v[148:149]
	s_wait_loadcnt 0x4
	s_delay_alu instid0(VALU_DEP_1)
	v_fmac_f64_e32 v[166:167], v[132:133], v[150:151]
	scratch_load_b128 v[148:151], off, off offset:472
	s_wait_dscnt 0x0
	v_fmac_f64_e32 v[166:167], v[134:135], v[152:153]
	scratch_load_b128 v[132:135], off, off offset:488
	s_wait_loadcnt 0x5
	v_fmac_f64_e32 v[166:167], v[158:159], v[154:155]
	ds_load_b128 v[152:155], v2 offset:928
	ds_load_b128 v[156:159], v2 offset:944
	s_wait_dscnt 0x1
	v_fmac_f64_e32 v[166:167], v[160:161], v[152:153]
	s_wait_loadcnt 0x4
	s_delay_alu instid0(VALU_DEP_1) | instskip(SKIP_1) | instid1(VALU_DEP_1)
	v_fmac_f64_e32 v[166:167], v[136:137], v[154:155]
	s_wait_dscnt 0x0
	v_fmac_f64_e32 v[166:167], v[138:139], v[156:157]
	ds_load_b128 v[136:139], v2 offset:960
	ds_load_b128 v[152:155], v2 offset:976
	s_wait_loadcnt 0x3
	v_fmac_f64_e32 v[166:167], v[140:141], v[158:159]
	s_wait_dscnt 0x1
	s_delay_alu instid0(VALU_DEP_1) | instskip(SKIP_1) | instid1(VALU_DEP_1)
	v_fmac_f64_e32 v[166:167], v[142:143], v[136:137]
	s_wait_loadcnt 0x2
	v_fmac_f64_e32 v[166:167], v[144:145], v[138:139]
	ds_load_b128 v[136:139], v2 offset:992
	ds_load_b64 v[140:141], v2 offset:1008
	s_wait_dscnt 0x2
	v_fmac_f64_e32 v[166:167], v[146:147], v[152:153]
	s_wait_loadcnt 0x1
	s_delay_alu instid0(VALU_DEP_1) | instskip(SKIP_1) | instid1(VALU_DEP_1)
	v_fmac_f64_e32 v[166:167], v[148:149], v[154:155]
	s_wait_dscnt 0x1
	v_fmac_f64_e32 v[166:167], v[150:151], v[136:137]
	s_wait_loadcnt 0x0
	s_delay_alu instid0(VALU_DEP_1) | instskip(SKIP_1) | instid1(VALU_DEP_1)
	v_fmac_f64_e32 v[166:167], v[132:133], v[138:139]
	s_wait_dscnt 0x0
	v_fmac_f64_e32 v[166:167], v[134:135], v[140:141]
	s_delay_alu instid0(VALU_DEP_1)
	v_add_f64_e64 v[130:131], v[130:131], -v[166:167]
	scratch_store_b64 off, v[130:131], off offset:280
	s_wait_xcnt 0x0
	v_cmpx_lt_u32_e32 34, v0
	s_cbranch_execz .LBB62_319
; %bb.318:
	scratch_load_b64 v[130:131], off, off offset:272
	v_mov_b64_e32 v[132:133], 0
	scratch_store_b64 off, v[132:133], off offset:272
	s_wait_loadcnt 0x0
	ds_store_b64 v1, v[130:131]
.LBB62_319:
	s_wait_xcnt 0x0
	s_or_b32 exec_lo, exec_lo, s0
	s_wait_storecnt_dscnt 0x0
	s_barrier_signal -1
	s_barrier_wait -1
	s_clause 0x5
	scratch_load_b128 v[130:133], off, off offset:272
	scratch_load_b128 v[134:137], off, off offset:288
	;; [unrolled: 1-line block ×6, first 2 shown]
	ds_load_2addr_b64 v[154:157], v2 offset0:99 offset1:100
	ds_load_2addr_b64 v[158:161], v2 offset0:101 offset1:102
	scratch_load_b128 v[162:165], off, off offset:368
	s_mov_b32 s0, exec_lo
	s_wait_loadcnt_dscnt 0x601
	v_fma_f64 v[166:167], v[132:133], v[154:155], 0
	s_wait_loadcnt 0x5
	s_delay_alu instid0(VALU_DEP_1) | instskip(SKIP_4) | instid1(VALU_DEP_1)
	v_fmac_f64_e32 v[166:167], v[134:135], v[156:157]
	scratch_load_b128 v[132:135], off, off offset:384
	s_wait_dscnt 0x0
	v_fmac_f64_e32 v[166:167], v[136:137], v[158:159]
	s_wait_loadcnt 0x5
	v_fmac_f64_e32 v[166:167], v[138:139], v[160:161]
	ds_load_2addr_b64 v[136:139], v2 offset0:103 offset1:104
	ds_load_2addr_b64 v[154:157], v2 offset0:105 offset1:106
	scratch_load_b128 v[158:161], off, off offset:400
	s_wait_dscnt 0x1
	v_fmac_f64_e32 v[166:167], v[140:141], v[136:137]
	s_wait_loadcnt 0x5
	s_delay_alu instid0(VALU_DEP_1) | instskip(SKIP_4) | instid1(VALU_DEP_1)
	v_fmac_f64_e32 v[166:167], v[142:143], v[138:139]
	scratch_load_b128 v[136:139], off, off offset:416
	s_wait_dscnt 0x0
	v_fmac_f64_e32 v[166:167], v[144:145], v[154:155]
	s_wait_loadcnt 0x5
	v_fmac_f64_e32 v[166:167], v[146:147], v[156:157]
	ds_load_2addr_b64 v[140:143], v2 offset0:107 offset1:108
	ds_load_2addr_b64 v[144:147], v2 offset0:109 offset1:110
	s_wait_dscnt 0x1
	v_fmac_f64_e32 v[166:167], v[148:149], v[140:141]
	s_wait_loadcnt 0x4
	s_delay_alu instid0(VALU_DEP_1) | instskip(SKIP_4) | instid1(VALU_DEP_1)
	v_fmac_f64_e32 v[166:167], v[150:151], v[142:143]
	scratch_load_b128 v[140:143], off, off offset:432
	s_wait_dscnt 0x0
	v_fmac_f64_e32 v[166:167], v[152:153], v[144:145]
	s_wait_loadcnt 0x4
	v_fmac_f64_e32 v[166:167], v[162:163], v[146:147]
	scratch_load_b128 v[144:147], off, off offset:448
	ds_load_2addr_b64 v[148:151], v2 offset0:111 offset1:112
	ds_load_2addr_b64 v[152:155], v2 offset0:113 offset1:114
	s_wait_dscnt 0x1
	v_fmac_f64_e32 v[166:167], v[164:165], v[148:149]
	s_wait_loadcnt 0x4
	s_delay_alu instid0(VALU_DEP_1)
	v_fmac_f64_e32 v[166:167], v[132:133], v[150:151]
	scratch_load_b128 v[148:151], off, off offset:464
	s_wait_dscnt 0x0
	v_fmac_f64_e32 v[166:167], v[134:135], v[152:153]
	scratch_load_b128 v[132:135], off, off offset:480
	s_wait_loadcnt 0x5
	v_fmac_f64_e32 v[166:167], v[158:159], v[154:155]
	ds_load_2addr_b64 v[152:155], v2 offset0:115 offset1:116
	ds_load_2addr_b64 v[156:159], v2 offset0:117 offset1:118
	s_wait_dscnt 0x1
	v_fmac_f64_e32 v[166:167], v[160:161], v[152:153]
	scratch_load_b64 v[160:161], off, off offset:496
	s_wait_loadcnt 0x5
	v_fmac_f64_e32 v[166:167], v[136:137], v[154:155]
	s_wait_dscnt 0x0
	s_delay_alu instid0(VALU_DEP_1)
	v_fmac_f64_e32 v[166:167], v[138:139], v[156:157]
	ds_load_2addr_b64 v[136:139], v2 offset0:119 offset1:120
	ds_load_2addr_b64 v[152:155], v2 offset0:121 offset1:122
	s_wait_loadcnt 0x4
	v_fmac_f64_e32 v[166:167], v[140:141], v[158:159]
	s_wait_dscnt 0x1
	s_delay_alu instid0(VALU_DEP_1) | instskip(SKIP_1) | instid1(VALU_DEP_1)
	v_fmac_f64_e32 v[166:167], v[142:143], v[136:137]
	s_wait_loadcnt 0x3
	v_fmac_f64_e32 v[166:167], v[144:145], v[138:139]
	ds_load_2addr_b64 v[136:139], v2 offset0:123 offset1:124
	ds_load_2addr_b64 v[140:143], v2 offset0:125 offset1:126
	s_wait_dscnt 0x2
	v_fmac_f64_e32 v[166:167], v[146:147], v[152:153]
	s_wait_loadcnt 0x2
	s_delay_alu instid0(VALU_DEP_1) | instskip(SKIP_1) | instid1(VALU_DEP_1)
	v_fmac_f64_e32 v[166:167], v[148:149], v[154:155]
	s_wait_dscnt 0x1
	v_fmac_f64_e32 v[166:167], v[150:151], v[136:137]
	s_wait_loadcnt 0x1
	s_delay_alu instid0(VALU_DEP_1) | instskip(SKIP_1) | instid1(VALU_DEP_1)
	v_fmac_f64_e32 v[166:167], v[132:133], v[138:139]
	s_wait_dscnt 0x0
	v_fmac_f64_e32 v[166:167], v[134:135], v[140:141]
	s_wait_loadcnt 0x0
	s_delay_alu instid0(VALU_DEP_1) | instskip(NEXT) | instid1(VALU_DEP_1)
	v_fmac_f64_e32 v[166:167], v[160:161], v[142:143]
	v_add_f64_e64 v[2:3], v[130:131], -v[166:167]
	scratch_store_b64 off, v[2:3], off offset:272
	s_wait_xcnt 0x0
	v_cmpx_lt_u32_e32 33, v0
	s_cbranch_execz .LBB62_321
; %bb.320:
	scratch_load_b64 v[2:3], off, off offset:264
	v_mov_b64_e32 v[130:131], 0
	scratch_store_b64 off, v[130:131], off offset:264
	s_wait_loadcnt 0x0
	ds_store_b64 v1, v[2:3]
.LBB62_321:
	s_wait_xcnt 0x0
	s_or_b32 exec_lo, exec_lo, s0
	s_wait_storecnt_dscnt 0x0
	s_barrier_signal -1
	s_barrier_wait -1
	s_clause 0x5
	scratch_load_b128 v[130:133], off, off offset:264
	scratch_load_b128 v[134:137], off, off offset:280
	;; [unrolled: 1-line block ×6, first 2 shown]
	v_mov_b32_e32 v2, 0
	ds_load_b128 v[154:157], v2 offset:784
	ds_load_b128 v[158:161], v2 offset:800
	scratch_load_b128 v[162:165], off, off offset:360
	s_mov_b32 s0, exec_lo
	s_wait_loadcnt_dscnt 0x601
	v_fma_f64 v[166:167], v[132:133], v[154:155], 0
	s_wait_loadcnt 0x5
	s_delay_alu instid0(VALU_DEP_1) | instskip(SKIP_4) | instid1(VALU_DEP_1)
	v_fmac_f64_e32 v[166:167], v[134:135], v[156:157]
	scratch_load_b128 v[132:135], off, off offset:376
	s_wait_dscnt 0x0
	v_fmac_f64_e32 v[166:167], v[136:137], v[158:159]
	s_wait_loadcnt 0x5
	v_fmac_f64_e32 v[166:167], v[138:139], v[160:161]
	ds_load_b128 v[136:139], v2 offset:816
	ds_load_b128 v[154:157], v2 offset:832
	scratch_load_b128 v[158:161], off, off offset:392
	s_wait_dscnt 0x1
	v_fmac_f64_e32 v[166:167], v[140:141], v[136:137]
	s_wait_loadcnt 0x5
	s_delay_alu instid0(VALU_DEP_1) | instskip(SKIP_4) | instid1(VALU_DEP_1)
	v_fmac_f64_e32 v[166:167], v[142:143], v[138:139]
	scratch_load_b128 v[136:139], off, off offset:408
	s_wait_dscnt 0x0
	v_fmac_f64_e32 v[166:167], v[144:145], v[154:155]
	s_wait_loadcnt 0x5
	v_fmac_f64_e32 v[166:167], v[146:147], v[156:157]
	ds_load_b128 v[140:143], v2 offset:848
	ds_load_b128 v[144:147], v2 offset:864
	s_wait_dscnt 0x1
	v_fmac_f64_e32 v[166:167], v[148:149], v[140:141]
	s_wait_loadcnt 0x4
	s_delay_alu instid0(VALU_DEP_1) | instskip(SKIP_4) | instid1(VALU_DEP_1)
	v_fmac_f64_e32 v[166:167], v[150:151], v[142:143]
	scratch_load_b128 v[140:143], off, off offset:424
	s_wait_dscnt 0x0
	v_fmac_f64_e32 v[166:167], v[152:153], v[144:145]
	s_wait_loadcnt 0x4
	v_fmac_f64_e32 v[166:167], v[162:163], v[146:147]
	scratch_load_b128 v[144:147], off, off offset:440
	ds_load_b128 v[148:151], v2 offset:880
	ds_load_b128 v[152:155], v2 offset:896
	s_wait_dscnt 0x1
	v_fmac_f64_e32 v[166:167], v[164:165], v[148:149]
	s_wait_loadcnt 0x4
	s_delay_alu instid0(VALU_DEP_1)
	v_fmac_f64_e32 v[166:167], v[132:133], v[150:151]
	scratch_load_b128 v[148:151], off, off offset:456
	s_wait_dscnt 0x0
	v_fmac_f64_e32 v[166:167], v[134:135], v[152:153]
	scratch_load_b128 v[132:135], off, off offset:472
	s_wait_loadcnt 0x5
	v_fmac_f64_e32 v[166:167], v[158:159], v[154:155]
	ds_load_b128 v[152:155], v2 offset:912
	ds_load_b128 v[156:159], v2 offset:928
	s_wait_dscnt 0x1
	v_fmac_f64_e32 v[166:167], v[160:161], v[152:153]
	s_wait_loadcnt 0x4
	s_delay_alu instid0(VALU_DEP_1) | instskip(SKIP_4) | instid1(VALU_DEP_1)
	v_fmac_f64_e32 v[166:167], v[136:137], v[154:155]
	scratch_load_b128 v[152:155], off, off offset:488
	s_wait_dscnt 0x0
	v_fmac_f64_e32 v[166:167], v[138:139], v[156:157]
	s_wait_loadcnt 0x4
	v_fmac_f64_e32 v[166:167], v[140:141], v[158:159]
	ds_load_b128 v[136:139], v2 offset:944
	ds_load_b128 v[156:159], v2 offset:960
	s_wait_dscnt 0x1
	v_fmac_f64_e32 v[166:167], v[142:143], v[136:137]
	s_wait_loadcnt 0x3
	s_delay_alu instid0(VALU_DEP_1)
	v_fmac_f64_e32 v[166:167], v[144:145], v[138:139]
	ds_load_b128 v[136:139], v2 offset:976
	ds_load_b128 v[140:143], v2 offset:992
	s_wait_dscnt 0x2
	v_fmac_f64_e32 v[166:167], v[146:147], v[156:157]
	s_wait_loadcnt 0x2
	s_delay_alu instid0(VALU_DEP_1) | instskip(SKIP_1) | instid1(VALU_DEP_1)
	v_fmac_f64_e32 v[166:167], v[148:149], v[158:159]
	s_wait_dscnt 0x1
	v_fmac_f64_e32 v[166:167], v[150:151], v[136:137]
	s_wait_loadcnt 0x1
	s_delay_alu instid0(VALU_DEP_1) | instskip(SKIP_4) | instid1(VALU_DEP_1)
	v_fmac_f64_e32 v[166:167], v[132:133], v[138:139]
	ds_load_b64 v[132:133], v2 offset:1008
	s_wait_dscnt 0x1
	v_fmac_f64_e32 v[166:167], v[134:135], v[140:141]
	s_wait_loadcnt 0x0
	v_fmac_f64_e32 v[166:167], v[152:153], v[142:143]
	s_wait_dscnt 0x0
	s_delay_alu instid0(VALU_DEP_1) | instskip(NEXT) | instid1(VALU_DEP_1)
	v_fmac_f64_e32 v[166:167], v[154:155], v[132:133]
	v_add_f64_e64 v[130:131], v[130:131], -v[166:167]
	scratch_store_b64 off, v[130:131], off offset:264
	s_wait_xcnt 0x0
	v_cmpx_lt_u32_e32 32, v0
	s_cbranch_execz .LBB62_323
; %bb.322:
	scratch_load_b64 v[130:131], off, off offset:256
	v_mov_b64_e32 v[132:133], 0
	scratch_store_b64 off, v[132:133], off offset:256
	s_wait_loadcnt 0x0
	ds_store_b64 v1, v[130:131]
.LBB62_323:
	s_wait_xcnt 0x0
	s_or_b32 exec_lo, exec_lo, s0
	s_wait_storecnt_dscnt 0x0
	s_barrier_signal -1
	s_barrier_wait -1
	s_clause 0x5
	scratch_load_b128 v[130:133], off, off offset:256
	scratch_load_b128 v[134:137], off, off offset:272
	;; [unrolled: 1-line block ×6, first 2 shown]
	ds_load_2addr_b64 v[154:157], v2 offset0:97 offset1:98
	ds_load_2addr_b64 v[158:161], v2 offset0:99 offset1:100
	scratch_load_b128 v[162:165], off, off offset:352
	s_mov_b32 s0, exec_lo
	s_wait_loadcnt_dscnt 0x601
	v_fma_f64 v[166:167], v[132:133], v[154:155], 0
	s_wait_loadcnt 0x5
	s_delay_alu instid0(VALU_DEP_1) | instskip(SKIP_4) | instid1(VALU_DEP_1)
	v_fmac_f64_e32 v[166:167], v[134:135], v[156:157]
	scratch_load_b128 v[132:135], off, off offset:368
	s_wait_dscnt 0x0
	v_fmac_f64_e32 v[166:167], v[136:137], v[158:159]
	s_wait_loadcnt 0x5
	v_fmac_f64_e32 v[166:167], v[138:139], v[160:161]
	ds_load_2addr_b64 v[136:139], v2 offset0:101 offset1:102
	ds_load_2addr_b64 v[154:157], v2 offset0:103 offset1:104
	scratch_load_b128 v[158:161], off, off offset:384
	s_wait_dscnt 0x1
	v_fmac_f64_e32 v[166:167], v[140:141], v[136:137]
	s_wait_loadcnt 0x5
	s_delay_alu instid0(VALU_DEP_1) | instskip(SKIP_4) | instid1(VALU_DEP_1)
	v_fmac_f64_e32 v[166:167], v[142:143], v[138:139]
	scratch_load_b128 v[136:139], off, off offset:400
	s_wait_dscnt 0x0
	v_fmac_f64_e32 v[166:167], v[144:145], v[154:155]
	s_wait_loadcnt 0x5
	v_fmac_f64_e32 v[166:167], v[146:147], v[156:157]
	ds_load_2addr_b64 v[140:143], v2 offset0:105 offset1:106
	ds_load_2addr_b64 v[144:147], v2 offset0:107 offset1:108
	scratch_load_b128 v[154:157], off, off offset:416
	s_wait_dscnt 0x1
	v_fmac_f64_e32 v[166:167], v[148:149], v[140:141]
	s_wait_loadcnt 0x5
	s_delay_alu instid0(VALU_DEP_1) | instskip(SKIP_4) | instid1(VALU_DEP_1)
	v_fmac_f64_e32 v[166:167], v[150:151], v[142:143]
	scratch_load_b128 v[140:143], off, off offset:432
	s_wait_dscnt 0x0
	v_fmac_f64_e32 v[166:167], v[152:153], v[144:145]
	s_wait_loadcnt 0x5
	v_fmac_f64_e32 v[166:167], v[162:163], v[146:147]
	ds_load_2addr_b64 v[144:147], v2 offset0:109 offset1:110
	ds_load_2addr_b64 v[148:151], v2 offset0:111 offset1:112
	s_wait_dscnt 0x1
	v_fmac_f64_e32 v[166:167], v[164:165], v[144:145]
	s_wait_loadcnt 0x4
	s_delay_alu instid0(VALU_DEP_1)
	v_fmac_f64_e32 v[166:167], v[132:133], v[146:147]
	scratch_load_b128 v[144:147], off, off offset:448
	s_wait_dscnt 0x0
	v_fmac_f64_e32 v[166:167], v[134:135], v[148:149]
	scratch_load_b128 v[132:135], off, off offset:464
	s_wait_loadcnt 0x5
	v_fmac_f64_e32 v[166:167], v[158:159], v[150:151]
	ds_load_2addr_b64 v[148:151], v2 offset0:113 offset1:114
	ds_load_2addr_b64 v[162:165], v2 offset0:115 offset1:116
	scratch_load_b64 v[158:159], off, off offset:496
	s_wait_dscnt 0x1
	v_fmac_f64_e32 v[166:167], v[160:161], v[148:149]
	s_wait_loadcnt 0x5
	s_delay_alu instid0(VALU_DEP_1) | instskip(SKIP_4) | instid1(VALU_DEP_1)
	v_fmac_f64_e32 v[166:167], v[136:137], v[150:151]
	scratch_load_b128 v[148:151], off, off offset:480
	s_wait_dscnt 0x0
	v_fmac_f64_e32 v[166:167], v[138:139], v[162:163]
	s_wait_loadcnt 0x5
	v_fmac_f64_e32 v[166:167], v[154:155], v[164:165]
	ds_load_2addr_b64 v[136:139], v2 offset0:117 offset1:118
	ds_load_2addr_b64 v[152:155], v2 offset0:119 offset1:120
	s_wait_dscnt 0x1
	v_fmac_f64_e32 v[166:167], v[156:157], v[136:137]
	s_wait_loadcnt 0x4
	s_delay_alu instid0(VALU_DEP_1) | instskip(SKIP_1) | instid1(VALU_DEP_1)
	v_fmac_f64_e32 v[166:167], v[140:141], v[138:139]
	s_wait_dscnt 0x0
	v_fmac_f64_e32 v[166:167], v[142:143], v[152:153]
	ds_load_2addr_b64 v[136:139], v2 offset0:121 offset1:122
	ds_load_2addr_b64 v[140:143], v2 offset0:123 offset1:124
	s_wait_loadcnt 0x3
	v_fmac_f64_e32 v[166:167], v[144:145], v[154:155]
	s_wait_dscnt 0x1
	s_delay_alu instid0(VALU_DEP_1) | instskip(SKIP_1) | instid1(VALU_DEP_1)
	v_fmac_f64_e32 v[166:167], v[146:147], v[136:137]
	s_wait_loadcnt 0x2
	v_fmac_f64_e32 v[166:167], v[132:133], v[138:139]
	s_wait_dscnt 0x0
	s_delay_alu instid0(VALU_DEP_1) | instskip(SKIP_4) | instid1(VALU_DEP_1)
	v_fmac_f64_e32 v[166:167], v[134:135], v[140:141]
	ds_load_2addr_b64 v[132:135], v2 offset0:125 offset1:126
	s_wait_loadcnt 0x0
	v_fmac_f64_e32 v[166:167], v[148:149], v[142:143]
	s_wait_dscnt 0x0
	v_fmac_f64_e32 v[166:167], v[150:151], v[132:133]
	s_delay_alu instid0(VALU_DEP_1) | instskip(NEXT) | instid1(VALU_DEP_1)
	v_fmac_f64_e32 v[166:167], v[158:159], v[134:135]
	v_add_f64_e64 v[2:3], v[130:131], -v[166:167]
	scratch_store_b64 off, v[2:3], off offset:256
	s_wait_xcnt 0x0
	v_cmpx_lt_u32_e32 31, v0
	s_cbranch_execz .LBB62_325
; %bb.324:
	scratch_load_b64 v[2:3], off, off offset:248
	v_mov_b64_e32 v[130:131], 0
	scratch_store_b64 off, v[130:131], off offset:248
	s_wait_loadcnt 0x0
	ds_store_b64 v1, v[2:3]
.LBB62_325:
	s_wait_xcnt 0x0
	s_or_b32 exec_lo, exec_lo, s0
	s_wait_storecnt_dscnt 0x0
	s_barrier_signal -1
	s_barrier_wait -1
	s_clause 0x5
	scratch_load_b128 v[130:133], off, off offset:248
	scratch_load_b128 v[134:137], off, off offset:264
	;; [unrolled: 1-line block ×6, first 2 shown]
	v_mov_b32_e32 v2, 0
	ds_load_b128 v[154:157], v2 offset:768
	ds_load_b128 v[158:161], v2 offset:784
	scratch_load_b128 v[162:165], off, off offset:344
	s_mov_b32 s0, exec_lo
	s_wait_loadcnt_dscnt 0x601
	v_fma_f64 v[166:167], v[132:133], v[154:155], 0
	s_wait_loadcnt 0x5
	s_delay_alu instid0(VALU_DEP_1) | instskip(SKIP_4) | instid1(VALU_DEP_1)
	v_fmac_f64_e32 v[166:167], v[134:135], v[156:157]
	scratch_load_b128 v[132:135], off, off offset:360
	s_wait_dscnt 0x0
	v_fmac_f64_e32 v[166:167], v[136:137], v[158:159]
	s_wait_loadcnt 0x5
	v_fmac_f64_e32 v[166:167], v[138:139], v[160:161]
	ds_load_b128 v[136:139], v2 offset:800
	ds_load_b128 v[154:157], v2 offset:816
	scratch_load_b128 v[158:161], off, off offset:376
	s_wait_dscnt 0x1
	v_fmac_f64_e32 v[166:167], v[140:141], v[136:137]
	s_wait_loadcnt 0x5
	s_delay_alu instid0(VALU_DEP_1) | instskip(SKIP_4) | instid1(VALU_DEP_1)
	v_fmac_f64_e32 v[166:167], v[142:143], v[138:139]
	scratch_load_b128 v[136:139], off, off offset:392
	s_wait_dscnt 0x0
	v_fmac_f64_e32 v[166:167], v[144:145], v[154:155]
	s_wait_loadcnt 0x5
	v_fmac_f64_e32 v[166:167], v[146:147], v[156:157]
	ds_load_b128 v[140:143], v2 offset:832
	ds_load_b128 v[144:147], v2 offset:848
	scratch_load_b128 v[154:157], off, off offset:408
	s_wait_dscnt 0x1
	v_fmac_f64_e32 v[166:167], v[148:149], v[140:141]
	s_wait_loadcnt 0x5
	s_delay_alu instid0(VALU_DEP_1) | instskip(SKIP_4) | instid1(VALU_DEP_1)
	v_fmac_f64_e32 v[166:167], v[150:151], v[142:143]
	scratch_load_b128 v[140:143], off, off offset:424
	s_wait_dscnt 0x0
	v_fmac_f64_e32 v[166:167], v[152:153], v[144:145]
	s_wait_loadcnt 0x5
	v_fmac_f64_e32 v[166:167], v[162:163], v[146:147]
	ds_load_b128 v[144:147], v2 offset:864
	ds_load_b128 v[148:151], v2 offset:880
	s_wait_dscnt 0x1
	v_fmac_f64_e32 v[166:167], v[164:165], v[144:145]
	s_wait_loadcnt 0x4
	s_delay_alu instid0(VALU_DEP_1)
	v_fmac_f64_e32 v[166:167], v[132:133], v[146:147]
	scratch_load_b128 v[144:147], off, off offset:440
	s_wait_dscnt 0x0
	v_fmac_f64_e32 v[166:167], v[134:135], v[148:149]
	scratch_load_b128 v[132:135], off, off offset:456
	s_wait_loadcnt 0x5
	v_fmac_f64_e32 v[166:167], v[158:159], v[150:151]
	ds_load_b128 v[148:151], v2 offset:896
	ds_load_b128 v[162:165], v2 offset:912
	s_wait_dscnt 0x1
	v_fmac_f64_e32 v[166:167], v[160:161], v[148:149]
	s_wait_loadcnt 0x4
	s_delay_alu instid0(VALU_DEP_1)
	v_fmac_f64_e32 v[166:167], v[136:137], v[150:151]
	scratch_load_b128 v[148:151], off, off offset:472
	s_wait_dscnt 0x0
	v_fmac_f64_e32 v[166:167], v[138:139], v[162:163]
	scratch_load_b128 v[136:139], off, off offset:488
	s_wait_loadcnt 0x5
	v_fmac_f64_e32 v[166:167], v[154:155], v[164:165]
	ds_load_b128 v[152:155], v2 offset:928
	ds_load_b128 v[158:161], v2 offset:944
	s_wait_dscnt 0x1
	v_fmac_f64_e32 v[166:167], v[156:157], v[152:153]
	s_wait_loadcnt 0x4
	s_delay_alu instid0(VALU_DEP_1) | instskip(SKIP_1) | instid1(VALU_DEP_1)
	v_fmac_f64_e32 v[166:167], v[140:141], v[154:155]
	s_wait_dscnt 0x0
	v_fmac_f64_e32 v[166:167], v[142:143], v[158:159]
	ds_load_b128 v[140:143], v2 offset:960
	ds_load_b128 v[152:155], v2 offset:976
	s_wait_loadcnt 0x3
	v_fmac_f64_e32 v[166:167], v[144:145], v[160:161]
	s_wait_dscnt 0x1
	s_delay_alu instid0(VALU_DEP_1) | instskip(SKIP_1) | instid1(VALU_DEP_1)
	v_fmac_f64_e32 v[166:167], v[146:147], v[140:141]
	s_wait_loadcnt 0x2
	v_fmac_f64_e32 v[166:167], v[132:133], v[142:143]
	s_wait_dscnt 0x0
	s_delay_alu instid0(VALU_DEP_1)
	v_fmac_f64_e32 v[166:167], v[134:135], v[152:153]
	ds_load_b128 v[132:135], v2 offset:992
	ds_load_b64 v[140:141], v2 offset:1008
	s_wait_loadcnt 0x1
	v_fmac_f64_e32 v[166:167], v[148:149], v[154:155]
	s_wait_dscnt 0x1
	s_delay_alu instid0(VALU_DEP_1) | instskip(SKIP_1) | instid1(VALU_DEP_1)
	v_fmac_f64_e32 v[166:167], v[150:151], v[132:133]
	s_wait_loadcnt 0x0
	v_fmac_f64_e32 v[166:167], v[136:137], v[134:135]
	s_wait_dscnt 0x0
	s_delay_alu instid0(VALU_DEP_1) | instskip(NEXT) | instid1(VALU_DEP_1)
	v_fmac_f64_e32 v[166:167], v[138:139], v[140:141]
	v_add_f64_e64 v[130:131], v[130:131], -v[166:167]
	scratch_store_b64 off, v[130:131], off offset:248
	s_wait_xcnt 0x0
	v_cmpx_lt_u32_e32 30, v0
	s_cbranch_execz .LBB62_327
; %bb.326:
	scratch_load_b64 v[130:131], off, off offset:240
	v_mov_b64_e32 v[132:133], 0
	scratch_store_b64 off, v[132:133], off offset:240
	s_wait_loadcnt 0x0
	ds_store_b64 v1, v[130:131]
.LBB62_327:
	s_wait_xcnt 0x0
	s_or_b32 exec_lo, exec_lo, s0
	s_wait_storecnt_dscnt 0x0
	s_barrier_signal -1
	s_barrier_wait -1
	s_clause 0x5
	scratch_load_b128 v[130:133], off, off offset:240
	scratch_load_b128 v[134:137], off, off offset:256
	;; [unrolled: 1-line block ×6, first 2 shown]
	ds_load_2addr_b64 v[154:157], v2 offset0:95 offset1:96
	ds_load_2addr_b64 v[158:161], v2 offset0:97 offset1:98
	scratch_load_b128 v[162:165], off, off offset:336
	s_mov_b32 s0, exec_lo
	s_wait_loadcnt_dscnt 0x601
	v_fma_f64 v[166:167], v[132:133], v[154:155], 0
	s_wait_loadcnt 0x5
	s_delay_alu instid0(VALU_DEP_1) | instskip(SKIP_4) | instid1(VALU_DEP_1)
	v_fmac_f64_e32 v[166:167], v[134:135], v[156:157]
	scratch_load_b128 v[132:135], off, off offset:352
	s_wait_dscnt 0x0
	v_fmac_f64_e32 v[166:167], v[136:137], v[158:159]
	s_wait_loadcnt 0x5
	v_fmac_f64_e32 v[166:167], v[138:139], v[160:161]
	ds_load_2addr_b64 v[136:139], v2 offset0:99 offset1:100
	ds_load_2addr_b64 v[154:157], v2 offset0:101 offset1:102
	scratch_load_b128 v[158:161], off, off offset:368
	s_wait_dscnt 0x1
	v_fmac_f64_e32 v[166:167], v[140:141], v[136:137]
	s_wait_loadcnt 0x5
	s_delay_alu instid0(VALU_DEP_1) | instskip(SKIP_4) | instid1(VALU_DEP_1)
	v_fmac_f64_e32 v[166:167], v[142:143], v[138:139]
	scratch_load_b128 v[136:139], off, off offset:384
	s_wait_dscnt 0x0
	v_fmac_f64_e32 v[166:167], v[144:145], v[154:155]
	s_wait_loadcnt 0x5
	v_fmac_f64_e32 v[166:167], v[146:147], v[156:157]
	ds_load_2addr_b64 v[140:143], v2 offset0:103 offset1:104
	ds_load_2addr_b64 v[144:147], v2 offset0:105 offset1:106
	scratch_load_b128 v[154:157], off, off offset:400
	s_wait_dscnt 0x1
	v_fmac_f64_e32 v[166:167], v[148:149], v[140:141]
	s_wait_loadcnt 0x5
	s_delay_alu instid0(VALU_DEP_1) | instskip(SKIP_4) | instid1(VALU_DEP_1)
	v_fmac_f64_e32 v[166:167], v[150:151], v[142:143]
	scratch_load_b128 v[140:143], off, off offset:416
	s_wait_dscnt 0x0
	v_fmac_f64_e32 v[166:167], v[152:153], v[144:145]
	s_wait_loadcnt 0x5
	v_fmac_f64_e32 v[166:167], v[162:163], v[146:147]
	ds_load_2addr_b64 v[144:147], v2 offset0:107 offset1:108
	ds_load_2addr_b64 v[148:151], v2 offset0:109 offset1:110
	s_wait_dscnt 0x1
	v_fmac_f64_e32 v[166:167], v[164:165], v[144:145]
	s_wait_loadcnt 0x4
	s_delay_alu instid0(VALU_DEP_1)
	v_fmac_f64_e32 v[166:167], v[132:133], v[146:147]
	scratch_load_b128 v[144:147], off, off offset:432
	s_wait_dscnt 0x0
	v_fmac_f64_e32 v[166:167], v[134:135], v[148:149]
	scratch_load_b128 v[132:135], off, off offset:448
	s_wait_loadcnt 0x5
	v_fmac_f64_e32 v[166:167], v[158:159], v[150:151]
	ds_load_2addr_b64 v[148:151], v2 offset0:111 offset1:112
	ds_load_2addr_b64 v[162:165], v2 offset0:113 offset1:114
	s_wait_dscnt 0x1
	v_fmac_f64_e32 v[166:167], v[160:161], v[148:149]
	s_wait_loadcnt 0x4
	s_delay_alu instid0(VALU_DEP_1)
	v_fmac_f64_e32 v[166:167], v[136:137], v[150:151]
	scratch_load_b128 v[148:151], off, off offset:464
	s_wait_dscnt 0x0
	v_fmac_f64_e32 v[166:167], v[138:139], v[162:163]
	scratch_load_b128 v[136:139], off, off offset:480
	s_wait_loadcnt 0x5
	v_fmac_f64_e32 v[166:167], v[154:155], v[164:165]
	ds_load_2addr_b64 v[152:155], v2 offset0:115 offset1:116
	ds_load_2addr_b64 v[158:161], v2 offset0:117 offset1:118
	s_wait_dscnt 0x1
	v_fmac_f64_e32 v[166:167], v[156:157], v[152:153]
	scratch_load_b64 v[156:157], off, off offset:496
	s_wait_loadcnt 0x5
	v_fmac_f64_e32 v[166:167], v[140:141], v[154:155]
	s_wait_dscnt 0x0
	s_delay_alu instid0(VALU_DEP_1)
	v_fmac_f64_e32 v[166:167], v[142:143], v[158:159]
	ds_load_2addr_b64 v[140:143], v2 offset0:119 offset1:120
	ds_load_2addr_b64 v[152:155], v2 offset0:121 offset1:122
	s_wait_loadcnt 0x4
	v_fmac_f64_e32 v[166:167], v[144:145], v[160:161]
	s_wait_dscnt 0x1
	s_delay_alu instid0(VALU_DEP_1) | instskip(SKIP_1) | instid1(VALU_DEP_1)
	v_fmac_f64_e32 v[166:167], v[146:147], v[140:141]
	s_wait_loadcnt 0x3
	v_fmac_f64_e32 v[166:167], v[132:133], v[142:143]
	s_wait_dscnt 0x0
	s_delay_alu instid0(VALU_DEP_1)
	v_fmac_f64_e32 v[166:167], v[134:135], v[152:153]
	ds_load_2addr_b64 v[132:135], v2 offset0:123 offset1:124
	ds_load_2addr_b64 v[140:143], v2 offset0:125 offset1:126
	s_wait_loadcnt 0x2
	v_fmac_f64_e32 v[166:167], v[148:149], v[154:155]
	s_wait_dscnt 0x1
	s_delay_alu instid0(VALU_DEP_1) | instskip(SKIP_1) | instid1(VALU_DEP_1)
	v_fmac_f64_e32 v[166:167], v[150:151], v[132:133]
	s_wait_loadcnt 0x1
	v_fmac_f64_e32 v[166:167], v[136:137], v[134:135]
	s_wait_dscnt 0x0
	s_delay_alu instid0(VALU_DEP_1) | instskip(SKIP_1) | instid1(VALU_DEP_1)
	v_fmac_f64_e32 v[166:167], v[138:139], v[140:141]
	s_wait_loadcnt 0x0
	v_fmac_f64_e32 v[166:167], v[156:157], v[142:143]
	s_delay_alu instid0(VALU_DEP_1)
	v_add_f64_e64 v[2:3], v[130:131], -v[166:167]
	scratch_store_b64 off, v[2:3], off offset:240
	s_wait_xcnt 0x0
	v_cmpx_lt_u32_e32 29, v0
	s_cbranch_execz .LBB62_329
; %bb.328:
	scratch_load_b64 v[2:3], off, off offset:232
	v_mov_b64_e32 v[130:131], 0
	scratch_store_b64 off, v[130:131], off offset:232
	s_wait_loadcnt 0x0
	ds_store_b64 v1, v[2:3]
.LBB62_329:
	s_wait_xcnt 0x0
	s_or_b32 exec_lo, exec_lo, s0
	s_wait_storecnt_dscnt 0x0
	s_barrier_signal -1
	s_barrier_wait -1
	s_clause 0x5
	scratch_load_b128 v[130:133], off, off offset:232
	scratch_load_b128 v[134:137], off, off offset:248
	;; [unrolled: 1-line block ×6, first 2 shown]
	v_mov_b32_e32 v2, 0
	ds_load_b128 v[154:157], v2 offset:752
	ds_load_b128 v[158:161], v2 offset:768
	scratch_load_b128 v[162:165], off, off offset:328
	s_mov_b32 s0, exec_lo
	s_wait_loadcnt_dscnt 0x601
	v_fma_f64 v[166:167], v[132:133], v[154:155], 0
	s_wait_loadcnt 0x5
	s_delay_alu instid0(VALU_DEP_1) | instskip(SKIP_4) | instid1(VALU_DEP_1)
	v_fmac_f64_e32 v[166:167], v[134:135], v[156:157]
	scratch_load_b128 v[132:135], off, off offset:344
	s_wait_dscnt 0x0
	v_fmac_f64_e32 v[166:167], v[136:137], v[158:159]
	s_wait_loadcnt 0x5
	v_fmac_f64_e32 v[166:167], v[138:139], v[160:161]
	ds_load_b128 v[136:139], v2 offset:784
	ds_load_b128 v[154:157], v2 offset:800
	scratch_load_b128 v[158:161], off, off offset:360
	s_wait_dscnt 0x1
	v_fmac_f64_e32 v[166:167], v[140:141], v[136:137]
	s_wait_loadcnt 0x5
	s_delay_alu instid0(VALU_DEP_1) | instskip(SKIP_4) | instid1(VALU_DEP_1)
	v_fmac_f64_e32 v[166:167], v[142:143], v[138:139]
	scratch_load_b128 v[136:139], off, off offset:376
	s_wait_dscnt 0x0
	v_fmac_f64_e32 v[166:167], v[144:145], v[154:155]
	s_wait_loadcnt 0x5
	v_fmac_f64_e32 v[166:167], v[146:147], v[156:157]
	ds_load_b128 v[140:143], v2 offset:816
	ds_load_b128 v[144:147], v2 offset:832
	scratch_load_b128 v[154:157], off, off offset:392
	s_wait_dscnt 0x1
	v_fmac_f64_e32 v[166:167], v[148:149], v[140:141]
	s_wait_loadcnt 0x5
	s_delay_alu instid0(VALU_DEP_1) | instskip(SKIP_4) | instid1(VALU_DEP_1)
	v_fmac_f64_e32 v[166:167], v[150:151], v[142:143]
	scratch_load_b128 v[140:143], off, off offset:408
	s_wait_dscnt 0x0
	v_fmac_f64_e32 v[166:167], v[152:153], v[144:145]
	s_wait_loadcnt 0x5
	v_fmac_f64_e32 v[166:167], v[162:163], v[146:147]
	ds_load_b128 v[144:147], v2 offset:848
	ds_load_b128 v[148:151], v2 offset:864
	s_wait_dscnt 0x1
	v_fmac_f64_e32 v[166:167], v[164:165], v[144:145]
	s_wait_loadcnt 0x4
	s_delay_alu instid0(VALU_DEP_1)
	v_fmac_f64_e32 v[166:167], v[132:133], v[146:147]
	scratch_load_b128 v[144:147], off, off offset:424
	s_wait_dscnt 0x0
	v_fmac_f64_e32 v[166:167], v[134:135], v[148:149]
	scratch_load_b128 v[132:135], off, off offset:440
	s_wait_loadcnt 0x5
	v_fmac_f64_e32 v[166:167], v[158:159], v[150:151]
	ds_load_b128 v[148:151], v2 offset:880
	ds_load_b128 v[162:165], v2 offset:896
	s_wait_dscnt 0x1
	v_fmac_f64_e32 v[166:167], v[160:161], v[148:149]
	s_wait_loadcnt 0x4
	s_delay_alu instid0(VALU_DEP_1)
	v_fmac_f64_e32 v[166:167], v[136:137], v[150:151]
	scratch_load_b128 v[148:151], off, off offset:456
	s_wait_dscnt 0x0
	v_fmac_f64_e32 v[166:167], v[138:139], v[162:163]
	scratch_load_b128 v[136:139], off, off offset:472
	s_wait_loadcnt 0x5
	v_fmac_f64_e32 v[166:167], v[154:155], v[164:165]
	ds_load_b128 v[152:155], v2 offset:912
	ds_load_b128 v[158:161], v2 offset:928
	s_wait_dscnt 0x1
	v_fmac_f64_e32 v[166:167], v[156:157], v[152:153]
	s_wait_loadcnt 0x4
	s_delay_alu instid0(VALU_DEP_1)
	v_fmac_f64_e32 v[166:167], v[140:141], v[154:155]
	scratch_load_b128 v[152:155], off, off offset:488
	s_wait_dscnt 0x0
	v_fmac_f64_e32 v[166:167], v[142:143], v[158:159]
	ds_load_b128 v[140:143], v2 offset:944
	ds_load_b128 v[156:159], v2 offset:960
	s_wait_loadcnt 0x4
	v_fmac_f64_e32 v[166:167], v[144:145], v[160:161]
	s_wait_dscnt 0x1
	s_delay_alu instid0(VALU_DEP_1) | instskip(SKIP_1) | instid1(VALU_DEP_1)
	v_fmac_f64_e32 v[166:167], v[146:147], v[140:141]
	s_wait_loadcnt 0x3
	v_fmac_f64_e32 v[166:167], v[132:133], v[142:143]
	s_wait_dscnt 0x0
	s_delay_alu instid0(VALU_DEP_1)
	v_fmac_f64_e32 v[166:167], v[134:135], v[156:157]
	ds_load_b128 v[132:135], v2 offset:976
	ds_load_b128 v[140:143], v2 offset:992
	s_wait_loadcnt 0x2
	v_fmac_f64_e32 v[166:167], v[148:149], v[158:159]
	s_wait_dscnt 0x1
	s_delay_alu instid0(VALU_DEP_1) | instskip(SKIP_4) | instid1(VALU_DEP_1)
	v_fmac_f64_e32 v[166:167], v[150:151], v[132:133]
	ds_load_b64 v[132:133], v2 offset:1008
	s_wait_loadcnt 0x1
	v_fmac_f64_e32 v[166:167], v[136:137], v[134:135]
	s_wait_dscnt 0x1
	v_fmac_f64_e32 v[166:167], v[138:139], v[140:141]
	s_wait_loadcnt 0x0
	s_delay_alu instid0(VALU_DEP_1) | instskip(SKIP_1) | instid1(VALU_DEP_1)
	v_fmac_f64_e32 v[166:167], v[152:153], v[142:143]
	s_wait_dscnt 0x0
	v_fmac_f64_e32 v[166:167], v[154:155], v[132:133]
	s_delay_alu instid0(VALU_DEP_1)
	v_add_f64_e64 v[130:131], v[130:131], -v[166:167]
	scratch_store_b64 off, v[130:131], off offset:232
	s_wait_xcnt 0x0
	v_cmpx_lt_u32_e32 28, v0
	s_cbranch_execz .LBB62_331
; %bb.330:
	scratch_load_b64 v[130:131], off, off offset:224
	v_mov_b64_e32 v[132:133], 0
	scratch_store_b64 off, v[132:133], off offset:224
	s_wait_loadcnt 0x0
	ds_store_b64 v1, v[130:131]
.LBB62_331:
	s_wait_xcnt 0x0
	s_or_b32 exec_lo, exec_lo, s0
	s_wait_storecnt_dscnt 0x0
	s_barrier_signal -1
	s_barrier_wait -1
	s_clause 0x5
	scratch_load_b128 v[130:133], off, off offset:224
	scratch_load_b128 v[134:137], off, off offset:240
	;; [unrolled: 1-line block ×6, first 2 shown]
	ds_load_2addr_b64 v[154:157], v2 offset0:93 offset1:94
	ds_load_2addr_b64 v[158:161], v2 offset0:95 offset1:96
	scratch_load_b128 v[162:165], off, off offset:320
	s_mov_b32 s0, exec_lo
	s_wait_loadcnt_dscnt 0x601
	v_fma_f64 v[166:167], v[132:133], v[154:155], 0
	s_wait_loadcnt 0x5
	s_delay_alu instid0(VALU_DEP_1) | instskip(SKIP_4) | instid1(VALU_DEP_1)
	v_fmac_f64_e32 v[166:167], v[134:135], v[156:157]
	scratch_load_b128 v[132:135], off, off offset:336
	s_wait_dscnt 0x0
	v_fmac_f64_e32 v[166:167], v[136:137], v[158:159]
	s_wait_loadcnt 0x5
	v_fmac_f64_e32 v[166:167], v[138:139], v[160:161]
	ds_load_2addr_b64 v[136:139], v2 offset0:97 offset1:98
	ds_load_2addr_b64 v[154:157], v2 offset0:99 offset1:100
	scratch_load_b128 v[158:161], off, off offset:352
	s_wait_dscnt 0x1
	v_fmac_f64_e32 v[166:167], v[140:141], v[136:137]
	s_wait_loadcnt 0x5
	s_delay_alu instid0(VALU_DEP_1) | instskip(SKIP_4) | instid1(VALU_DEP_1)
	v_fmac_f64_e32 v[166:167], v[142:143], v[138:139]
	scratch_load_b128 v[136:139], off, off offset:368
	s_wait_dscnt 0x0
	v_fmac_f64_e32 v[166:167], v[144:145], v[154:155]
	s_wait_loadcnt 0x5
	v_fmac_f64_e32 v[166:167], v[146:147], v[156:157]
	ds_load_2addr_b64 v[140:143], v2 offset0:101 offset1:102
	ds_load_2addr_b64 v[144:147], v2 offset0:103 offset1:104
	scratch_load_b128 v[154:157], off, off offset:384
	s_wait_dscnt 0x1
	v_fmac_f64_e32 v[166:167], v[148:149], v[140:141]
	s_wait_loadcnt 0x5
	s_delay_alu instid0(VALU_DEP_1) | instskip(SKIP_4) | instid1(VALU_DEP_1)
	v_fmac_f64_e32 v[166:167], v[150:151], v[142:143]
	scratch_load_b128 v[140:143], off, off offset:400
	s_wait_dscnt 0x0
	v_fmac_f64_e32 v[166:167], v[152:153], v[144:145]
	s_wait_loadcnt 0x5
	v_fmac_f64_e32 v[166:167], v[162:163], v[146:147]
	ds_load_2addr_b64 v[144:147], v2 offset0:105 offset1:106
	ds_load_2addr_b64 v[148:151], v2 offset0:107 offset1:108
	s_wait_dscnt 0x1
	v_fmac_f64_e32 v[166:167], v[164:165], v[144:145]
	scratch_load_b128 v[162:165], off, off offset:416
	s_wait_loadcnt 0x5
	v_fmac_f64_e32 v[166:167], v[132:133], v[146:147]
	s_wait_dscnt 0x0
	s_delay_alu instid0(VALU_DEP_1)
	v_fmac_f64_e32 v[166:167], v[134:135], v[148:149]
	scratch_load_b128 v[132:135], off, off offset:432
	s_wait_loadcnt 0x5
	v_fmac_f64_e32 v[166:167], v[158:159], v[150:151]
	ds_load_2addr_b64 v[144:147], v2 offset0:109 offset1:110
	ds_load_2addr_b64 v[148:151], v2 offset0:111 offset1:112
	s_wait_dscnt 0x1
	v_fmac_f64_e32 v[166:167], v[160:161], v[144:145]
	s_wait_loadcnt 0x4
	s_delay_alu instid0(VALU_DEP_1)
	v_fmac_f64_e32 v[166:167], v[136:137], v[146:147]
	scratch_load_b128 v[144:147], off, off offset:448
	s_wait_dscnt 0x0
	v_fmac_f64_e32 v[166:167], v[138:139], v[148:149]
	scratch_load_b128 v[136:139], off, off offset:464
	s_wait_loadcnt 0x5
	v_fmac_f64_e32 v[166:167], v[154:155], v[150:151]
	ds_load_2addr_b64 v[148:151], v2 offset0:113 offset1:114
	ds_load_2addr_b64 v[152:155], v2 offset0:115 offset1:116
	s_wait_dscnt 0x1
	v_fmac_f64_e32 v[166:167], v[156:157], v[148:149]
	scratch_load_b64 v[156:157], off, off offset:496
	s_wait_loadcnt 0x5
	v_fmac_f64_e32 v[166:167], v[140:141], v[150:151]
	scratch_load_b128 v[148:151], off, off offset:480
	s_wait_dscnt 0x0
	v_fmac_f64_e32 v[166:167], v[142:143], v[152:153]
	s_wait_loadcnt 0x5
	s_delay_alu instid0(VALU_DEP_1)
	v_fmac_f64_e32 v[166:167], v[162:163], v[154:155]
	ds_load_2addr_b64 v[140:143], v2 offset0:117 offset1:118
	ds_load_2addr_b64 v[152:155], v2 offset0:119 offset1:120
	s_wait_dscnt 0x1
	v_fmac_f64_e32 v[166:167], v[164:165], v[140:141]
	s_wait_loadcnt 0x4
	s_delay_alu instid0(VALU_DEP_1) | instskip(SKIP_1) | instid1(VALU_DEP_1)
	v_fmac_f64_e32 v[166:167], v[132:133], v[142:143]
	s_wait_dscnt 0x0
	v_fmac_f64_e32 v[166:167], v[134:135], v[152:153]
	ds_load_2addr_b64 v[132:135], v2 offset0:121 offset1:122
	ds_load_2addr_b64 v[140:143], v2 offset0:123 offset1:124
	s_wait_loadcnt 0x3
	v_fmac_f64_e32 v[166:167], v[144:145], v[154:155]
	s_wait_dscnt 0x1
	s_delay_alu instid0(VALU_DEP_1) | instskip(SKIP_1) | instid1(VALU_DEP_1)
	v_fmac_f64_e32 v[166:167], v[146:147], v[132:133]
	s_wait_loadcnt 0x2
	v_fmac_f64_e32 v[166:167], v[136:137], v[134:135]
	ds_load_2addr_b64 v[132:135], v2 offset0:125 offset1:126
	s_wait_dscnt 0x1
	v_fmac_f64_e32 v[166:167], v[138:139], v[140:141]
	s_wait_loadcnt 0x0
	s_delay_alu instid0(VALU_DEP_1) | instskip(SKIP_1) | instid1(VALU_DEP_1)
	v_fmac_f64_e32 v[166:167], v[148:149], v[142:143]
	s_wait_dscnt 0x0
	v_fmac_f64_e32 v[166:167], v[150:151], v[132:133]
	s_delay_alu instid0(VALU_DEP_1) | instskip(NEXT) | instid1(VALU_DEP_1)
	v_fmac_f64_e32 v[166:167], v[156:157], v[134:135]
	v_add_f64_e64 v[2:3], v[130:131], -v[166:167]
	scratch_store_b64 off, v[2:3], off offset:224
	s_wait_xcnt 0x0
	v_cmpx_lt_u32_e32 27, v0
	s_cbranch_execz .LBB62_333
; %bb.332:
	scratch_load_b64 v[2:3], off, off offset:216
	v_mov_b64_e32 v[130:131], 0
	scratch_store_b64 off, v[130:131], off offset:216
	s_wait_loadcnt 0x0
	ds_store_b64 v1, v[2:3]
.LBB62_333:
	s_wait_xcnt 0x0
	s_or_b32 exec_lo, exec_lo, s0
	s_wait_storecnt_dscnt 0x0
	s_barrier_signal -1
	s_barrier_wait -1
	s_clause 0x5
	scratch_load_b128 v[130:133], off, off offset:216
	scratch_load_b128 v[134:137], off, off offset:232
	;; [unrolled: 1-line block ×6, first 2 shown]
	v_mov_b32_e32 v2, 0
	ds_load_b128 v[154:157], v2 offset:736
	ds_load_b128 v[158:161], v2 offset:752
	scratch_load_b128 v[162:165], off, off offset:312
	s_mov_b32 s0, exec_lo
	s_wait_loadcnt_dscnt 0x601
	v_fma_f64 v[166:167], v[132:133], v[154:155], 0
	s_wait_loadcnt 0x5
	s_delay_alu instid0(VALU_DEP_1) | instskip(SKIP_4) | instid1(VALU_DEP_1)
	v_fmac_f64_e32 v[166:167], v[134:135], v[156:157]
	scratch_load_b128 v[132:135], off, off offset:328
	s_wait_dscnt 0x0
	v_fmac_f64_e32 v[166:167], v[136:137], v[158:159]
	s_wait_loadcnt 0x5
	v_fmac_f64_e32 v[166:167], v[138:139], v[160:161]
	ds_load_b128 v[136:139], v2 offset:768
	ds_load_b128 v[154:157], v2 offset:784
	scratch_load_b128 v[158:161], off, off offset:344
	s_wait_dscnt 0x1
	v_fmac_f64_e32 v[166:167], v[140:141], v[136:137]
	s_wait_loadcnt 0x5
	s_delay_alu instid0(VALU_DEP_1) | instskip(SKIP_4) | instid1(VALU_DEP_1)
	v_fmac_f64_e32 v[166:167], v[142:143], v[138:139]
	scratch_load_b128 v[136:139], off, off offset:360
	s_wait_dscnt 0x0
	v_fmac_f64_e32 v[166:167], v[144:145], v[154:155]
	s_wait_loadcnt 0x5
	v_fmac_f64_e32 v[166:167], v[146:147], v[156:157]
	ds_load_b128 v[140:143], v2 offset:800
	ds_load_b128 v[144:147], v2 offset:816
	scratch_load_b128 v[154:157], off, off offset:376
	s_wait_dscnt 0x1
	v_fmac_f64_e32 v[166:167], v[148:149], v[140:141]
	s_wait_loadcnt 0x5
	s_delay_alu instid0(VALU_DEP_1) | instskip(SKIP_4) | instid1(VALU_DEP_1)
	v_fmac_f64_e32 v[166:167], v[150:151], v[142:143]
	scratch_load_b128 v[140:143], off, off offset:392
	s_wait_dscnt 0x0
	v_fmac_f64_e32 v[166:167], v[152:153], v[144:145]
	s_wait_loadcnt 0x5
	v_fmac_f64_e32 v[166:167], v[162:163], v[146:147]
	ds_load_b128 v[144:147], v2 offset:832
	ds_load_b128 v[148:151], v2 offset:848
	s_wait_dscnt 0x1
	v_fmac_f64_e32 v[166:167], v[164:165], v[144:145]
	scratch_load_b128 v[162:165], off, off offset:408
	s_wait_loadcnt 0x5
	v_fmac_f64_e32 v[166:167], v[132:133], v[146:147]
	s_wait_dscnt 0x0
	s_delay_alu instid0(VALU_DEP_1)
	v_fmac_f64_e32 v[166:167], v[134:135], v[148:149]
	scratch_load_b128 v[132:135], off, off offset:424
	s_wait_loadcnt 0x5
	v_fmac_f64_e32 v[166:167], v[158:159], v[150:151]
	ds_load_b128 v[144:147], v2 offset:864
	ds_load_b128 v[148:151], v2 offset:880
	s_wait_dscnt 0x1
	v_fmac_f64_e32 v[166:167], v[160:161], v[144:145]
	s_wait_loadcnt 0x4
	s_delay_alu instid0(VALU_DEP_1)
	v_fmac_f64_e32 v[166:167], v[136:137], v[146:147]
	scratch_load_b128 v[144:147], off, off offset:440
	s_wait_dscnt 0x0
	v_fmac_f64_e32 v[166:167], v[138:139], v[148:149]
	scratch_load_b128 v[136:139], off, off offset:456
	s_wait_loadcnt 0x5
	v_fmac_f64_e32 v[166:167], v[154:155], v[150:151]
	ds_load_b128 v[148:151], v2 offset:896
	ds_load_b128 v[152:155], v2 offset:912
	s_wait_dscnt 0x1
	v_fmac_f64_e32 v[166:167], v[156:157], v[148:149]
	s_wait_loadcnt 0x4
	s_delay_alu instid0(VALU_DEP_1)
	v_fmac_f64_e32 v[166:167], v[140:141], v[150:151]
	scratch_load_b128 v[148:151], off, off offset:472
	s_wait_dscnt 0x0
	v_fmac_f64_e32 v[166:167], v[142:143], v[152:153]
	scratch_load_b128 v[140:143], off, off offset:488
	s_wait_loadcnt 0x5
	v_fmac_f64_e32 v[166:167], v[162:163], v[154:155]
	ds_load_b128 v[152:155], v2 offset:928
	ds_load_b128 v[156:159], v2 offset:944
	s_wait_dscnt 0x1
	v_fmac_f64_e32 v[166:167], v[164:165], v[152:153]
	s_wait_loadcnt 0x4
	s_delay_alu instid0(VALU_DEP_1) | instskip(SKIP_1) | instid1(VALU_DEP_1)
	v_fmac_f64_e32 v[166:167], v[132:133], v[154:155]
	s_wait_dscnt 0x0
	v_fmac_f64_e32 v[166:167], v[134:135], v[156:157]
	ds_load_b128 v[132:135], v2 offset:960
	ds_load_b128 v[152:155], v2 offset:976
	s_wait_loadcnt 0x3
	v_fmac_f64_e32 v[166:167], v[144:145], v[158:159]
	s_wait_dscnt 0x1
	s_delay_alu instid0(VALU_DEP_1) | instskip(SKIP_1) | instid1(VALU_DEP_1)
	v_fmac_f64_e32 v[166:167], v[146:147], v[132:133]
	s_wait_loadcnt 0x2
	v_fmac_f64_e32 v[166:167], v[136:137], v[134:135]
	ds_load_b128 v[132:135], v2 offset:992
	ds_load_b64 v[136:137], v2 offset:1008
	s_wait_dscnt 0x2
	v_fmac_f64_e32 v[166:167], v[138:139], v[152:153]
	s_wait_loadcnt 0x1
	s_delay_alu instid0(VALU_DEP_1) | instskip(SKIP_1) | instid1(VALU_DEP_1)
	v_fmac_f64_e32 v[166:167], v[148:149], v[154:155]
	s_wait_dscnt 0x1
	v_fmac_f64_e32 v[166:167], v[150:151], v[132:133]
	s_wait_loadcnt 0x0
	s_delay_alu instid0(VALU_DEP_1) | instskip(SKIP_1) | instid1(VALU_DEP_1)
	v_fmac_f64_e32 v[166:167], v[140:141], v[134:135]
	s_wait_dscnt 0x0
	v_fmac_f64_e32 v[166:167], v[142:143], v[136:137]
	s_delay_alu instid0(VALU_DEP_1)
	v_add_f64_e64 v[130:131], v[130:131], -v[166:167]
	scratch_store_b64 off, v[130:131], off offset:216
	s_wait_xcnt 0x0
	v_cmpx_lt_u32_e32 26, v0
	s_cbranch_execz .LBB62_335
; %bb.334:
	scratch_load_b64 v[130:131], off, off offset:208
	v_mov_b64_e32 v[132:133], 0
	scratch_store_b64 off, v[132:133], off offset:208
	s_wait_loadcnt 0x0
	ds_store_b64 v1, v[130:131]
.LBB62_335:
	s_wait_xcnt 0x0
	s_or_b32 exec_lo, exec_lo, s0
	s_wait_storecnt_dscnt 0x0
	s_barrier_signal -1
	s_barrier_wait -1
	s_clause 0x5
	scratch_load_b128 v[130:133], off, off offset:208
	scratch_load_b128 v[134:137], off, off offset:224
	;; [unrolled: 1-line block ×6, first 2 shown]
	ds_load_2addr_b64 v[154:157], v2 offset0:91 offset1:92
	ds_load_2addr_b64 v[158:161], v2 offset0:93 offset1:94
	scratch_load_b128 v[162:165], off, off offset:304
	s_mov_b32 s0, exec_lo
	s_wait_loadcnt_dscnt 0x601
	v_fma_f64 v[166:167], v[132:133], v[154:155], 0
	s_wait_loadcnt 0x5
	s_delay_alu instid0(VALU_DEP_1) | instskip(SKIP_4) | instid1(VALU_DEP_1)
	v_fmac_f64_e32 v[166:167], v[134:135], v[156:157]
	scratch_load_b128 v[132:135], off, off offset:320
	s_wait_dscnt 0x0
	v_fmac_f64_e32 v[166:167], v[136:137], v[158:159]
	s_wait_loadcnt 0x5
	v_fmac_f64_e32 v[166:167], v[138:139], v[160:161]
	ds_load_2addr_b64 v[136:139], v2 offset0:95 offset1:96
	ds_load_2addr_b64 v[154:157], v2 offset0:97 offset1:98
	scratch_load_b128 v[158:161], off, off offset:336
	s_wait_dscnt 0x1
	v_fmac_f64_e32 v[166:167], v[140:141], v[136:137]
	s_wait_loadcnt 0x5
	s_delay_alu instid0(VALU_DEP_1) | instskip(SKIP_4) | instid1(VALU_DEP_1)
	v_fmac_f64_e32 v[166:167], v[142:143], v[138:139]
	scratch_load_b128 v[136:139], off, off offset:352
	s_wait_dscnt 0x0
	v_fmac_f64_e32 v[166:167], v[144:145], v[154:155]
	s_wait_loadcnt 0x5
	v_fmac_f64_e32 v[166:167], v[146:147], v[156:157]
	ds_load_2addr_b64 v[140:143], v2 offset0:99 offset1:100
	ds_load_2addr_b64 v[144:147], v2 offset0:101 offset1:102
	scratch_load_b128 v[154:157], off, off offset:368
	s_wait_dscnt 0x1
	v_fmac_f64_e32 v[166:167], v[148:149], v[140:141]
	s_wait_loadcnt 0x5
	s_delay_alu instid0(VALU_DEP_1) | instskip(SKIP_4) | instid1(VALU_DEP_1)
	v_fmac_f64_e32 v[166:167], v[150:151], v[142:143]
	scratch_load_b128 v[140:143], off, off offset:384
	s_wait_dscnt 0x0
	v_fmac_f64_e32 v[166:167], v[152:153], v[144:145]
	s_wait_loadcnt 0x5
	v_fmac_f64_e32 v[166:167], v[162:163], v[146:147]
	ds_load_2addr_b64 v[144:147], v2 offset0:103 offset1:104
	ds_load_2addr_b64 v[148:151], v2 offset0:105 offset1:106
	s_wait_dscnt 0x1
	v_fmac_f64_e32 v[166:167], v[164:165], v[144:145]
	scratch_load_b128 v[162:165], off, off offset:400
	s_wait_loadcnt 0x5
	v_fmac_f64_e32 v[166:167], v[132:133], v[146:147]
	s_wait_dscnt 0x0
	s_delay_alu instid0(VALU_DEP_1)
	v_fmac_f64_e32 v[166:167], v[134:135], v[148:149]
	scratch_load_b128 v[132:135], off, off offset:416
	s_wait_loadcnt 0x5
	v_fmac_f64_e32 v[166:167], v[158:159], v[150:151]
	ds_load_2addr_b64 v[144:147], v2 offset0:107 offset1:108
	ds_load_2addr_b64 v[148:151], v2 offset0:109 offset1:110
	s_wait_dscnt 0x1
	v_fmac_f64_e32 v[166:167], v[160:161], v[144:145]
	s_wait_loadcnt 0x4
	s_delay_alu instid0(VALU_DEP_1)
	v_fmac_f64_e32 v[166:167], v[136:137], v[146:147]
	scratch_load_b128 v[144:147], off, off offset:432
	s_wait_dscnt 0x0
	v_fmac_f64_e32 v[166:167], v[138:139], v[148:149]
	scratch_load_b128 v[136:139], off, off offset:448
	s_wait_loadcnt 0x5
	v_fmac_f64_e32 v[166:167], v[154:155], v[150:151]
	ds_load_2addr_b64 v[148:151], v2 offset0:111 offset1:112
	ds_load_2addr_b64 v[152:155], v2 offset0:113 offset1:114
	s_wait_dscnt 0x1
	v_fmac_f64_e32 v[166:167], v[156:157], v[148:149]
	s_wait_loadcnt 0x4
	s_delay_alu instid0(VALU_DEP_1)
	v_fmac_f64_e32 v[166:167], v[140:141], v[150:151]
	scratch_load_b128 v[148:151], off, off offset:464
	s_wait_dscnt 0x0
	v_fmac_f64_e32 v[166:167], v[142:143], v[152:153]
	scratch_load_b128 v[140:143], off, off offset:480
	s_wait_loadcnt 0x5
	v_fmac_f64_e32 v[166:167], v[162:163], v[154:155]
	ds_load_2addr_b64 v[152:155], v2 offset0:115 offset1:116
	ds_load_2addr_b64 v[156:159], v2 offset0:117 offset1:118
	scratch_load_b64 v[160:161], off, off offset:496
	s_wait_dscnt 0x1
	v_fmac_f64_e32 v[166:167], v[164:165], v[152:153]
	s_wait_loadcnt 0x5
	s_delay_alu instid0(VALU_DEP_1) | instskip(SKIP_1) | instid1(VALU_DEP_1)
	v_fmac_f64_e32 v[166:167], v[132:133], v[154:155]
	s_wait_dscnt 0x0
	v_fmac_f64_e32 v[166:167], v[134:135], v[156:157]
	ds_load_2addr_b64 v[132:135], v2 offset0:119 offset1:120
	ds_load_2addr_b64 v[152:155], v2 offset0:121 offset1:122
	s_wait_loadcnt 0x4
	v_fmac_f64_e32 v[166:167], v[144:145], v[158:159]
	s_wait_dscnt 0x1
	s_delay_alu instid0(VALU_DEP_1) | instskip(SKIP_1) | instid1(VALU_DEP_1)
	v_fmac_f64_e32 v[166:167], v[146:147], v[132:133]
	s_wait_loadcnt 0x3
	v_fmac_f64_e32 v[166:167], v[136:137], v[134:135]
	s_wait_dscnt 0x0
	s_delay_alu instid0(VALU_DEP_1)
	v_fmac_f64_e32 v[166:167], v[138:139], v[152:153]
	ds_load_2addr_b64 v[132:135], v2 offset0:123 offset1:124
	ds_load_2addr_b64 v[136:139], v2 offset0:125 offset1:126
	s_wait_loadcnt 0x2
	v_fmac_f64_e32 v[166:167], v[148:149], v[154:155]
	s_wait_dscnt 0x1
	s_delay_alu instid0(VALU_DEP_1) | instskip(SKIP_1) | instid1(VALU_DEP_1)
	v_fmac_f64_e32 v[166:167], v[150:151], v[132:133]
	s_wait_loadcnt 0x1
	v_fmac_f64_e32 v[166:167], v[140:141], v[134:135]
	s_wait_dscnt 0x0
	s_delay_alu instid0(VALU_DEP_1) | instskip(SKIP_1) | instid1(VALU_DEP_1)
	v_fmac_f64_e32 v[166:167], v[142:143], v[136:137]
	s_wait_loadcnt 0x0
	v_fmac_f64_e32 v[166:167], v[160:161], v[138:139]
	s_delay_alu instid0(VALU_DEP_1)
	v_add_f64_e64 v[2:3], v[130:131], -v[166:167]
	scratch_store_b64 off, v[2:3], off offset:208
	s_wait_xcnt 0x0
	v_cmpx_lt_u32_e32 25, v0
	s_cbranch_execz .LBB62_337
; %bb.336:
	scratch_load_b64 v[2:3], off, off offset:200
	v_mov_b64_e32 v[130:131], 0
	scratch_store_b64 off, v[130:131], off offset:200
	s_wait_loadcnt 0x0
	ds_store_b64 v1, v[2:3]
.LBB62_337:
	s_wait_xcnt 0x0
	s_or_b32 exec_lo, exec_lo, s0
	s_wait_storecnt_dscnt 0x0
	s_barrier_signal -1
	s_barrier_wait -1
	s_clause 0x5
	scratch_load_b128 v[130:133], off, off offset:200
	scratch_load_b128 v[134:137], off, off offset:216
	;; [unrolled: 1-line block ×6, first 2 shown]
	v_mov_b32_e32 v2, 0
	ds_load_b128 v[154:157], v2 offset:720
	ds_load_b128 v[158:161], v2 offset:736
	scratch_load_b128 v[162:165], off, off offset:296
	s_mov_b32 s0, exec_lo
	s_wait_loadcnt_dscnt 0x601
	v_fma_f64 v[166:167], v[132:133], v[154:155], 0
	s_wait_loadcnt 0x5
	s_delay_alu instid0(VALU_DEP_1) | instskip(SKIP_4) | instid1(VALU_DEP_1)
	v_fmac_f64_e32 v[166:167], v[134:135], v[156:157]
	scratch_load_b128 v[132:135], off, off offset:312
	s_wait_dscnt 0x0
	v_fmac_f64_e32 v[166:167], v[136:137], v[158:159]
	s_wait_loadcnt 0x5
	v_fmac_f64_e32 v[166:167], v[138:139], v[160:161]
	ds_load_b128 v[136:139], v2 offset:752
	ds_load_b128 v[154:157], v2 offset:768
	scratch_load_b128 v[158:161], off, off offset:328
	s_wait_dscnt 0x1
	v_fmac_f64_e32 v[166:167], v[140:141], v[136:137]
	s_wait_loadcnt 0x5
	s_delay_alu instid0(VALU_DEP_1) | instskip(SKIP_4) | instid1(VALU_DEP_1)
	v_fmac_f64_e32 v[166:167], v[142:143], v[138:139]
	scratch_load_b128 v[136:139], off, off offset:344
	s_wait_dscnt 0x0
	v_fmac_f64_e32 v[166:167], v[144:145], v[154:155]
	s_wait_loadcnt 0x5
	v_fmac_f64_e32 v[166:167], v[146:147], v[156:157]
	ds_load_b128 v[140:143], v2 offset:784
	ds_load_b128 v[144:147], v2 offset:800
	scratch_load_b128 v[154:157], off, off offset:360
	s_wait_dscnt 0x1
	v_fmac_f64_e32 v[166:167], v[148:149], v[140:141]
	s_wait_loadcnt 0x5
	s_delay_alu instid0(VALU_DEP_1) | instskip(SKIP_4) | instid1(VALU_DEP_1)
	v_fmac_f64_e32 v[166:167], v[150:151], v[142:143]
	scratch_load_b128 v[140:143], off, off offset:376
	s_wait_dscnt 0x0
	v_fmac_f64_e32 v[166:167], v[152:153], v[144:145]
	s_wait_loadcnt 0x5
	v_fmac_f64_e32 v[166:167], v[162:163], v[146:147]
	ds_load_b128 v[144:147], v2 offset:816
	ds_load_b128 v[148:151], v2 offset:832
	s_wait_dscnt 0x1
	v_fmac_f64_e32 v[166:167], v[164:165], v[144:145]
	scratch_load_b128 v[162:165], off, off offset:392
	s_wait_loadcnt 0x5
	v_fmac_f64_e32 v[166:167], v[132:133], v[146:147]
	s_wait_dscnt 0x0
	s_delay_alu instid0(VALU_DEP_1)
	v_fmac_f64_e32 v[166:167], v[134:135], v[148:149]
	scratch_load_b128 v[132:135], off, off offset:408
	s_wait_loadcnt 0x5
	v_fmac_f64_e32 v[166:167], v[158:159], v[150:151]
	ds_load_b128 v[144:147], v2 offset:848
	ds_load_b128 v[148:151], v2 offset:864
	s_wait_dscnt 0x1
	v_fmac_f64_e32 v[166:167], v[160:161], v[144:145]
	s_wait_loadcnt 0x4
	s_delay_alu instid0(VALU_DEP_1)
	v_fmac_f64_e32 v[166:167], v[136:137], v[146:147]
	scratch_load_b128 v[144:147], off, off offset:424
	s_wait_dscnt 0x0
	v_fmac_f64_e32 v[166:167], v[138:139], v[148:149]
	scratch_load_b128 v[136:139], off, off offset:440
	s_wait_loadcnt 0x5
	v_fmac_f64_e32 v[166:167], v[154:155], v[150:151]
	ds_load_b128 v[148:151], v2 offset:880
	ds_load_b128 v[152:155], v2 offset:896
	s_wait_dscnt 0x1
	v_fmac_f64_e32 v[166:167], v[156:157], v[148:149]
	s_wait_loadcnt 0x4
	s_delay_alu instid0(VALU_DEP_1)
	v_fmac_f64_e32 v[166:167], v[140:141], v[150:151]
	scratch_load_b128 v[148:151], off, off offset:456
	s_wait_dscnt 0x0
	v_fmac_f64_e32 v[166:167], v[142:143], v[152:153]
	scratch_load_b128 v[140:143], off, off offset:472
	s_wait_loadcnt 0x5
	v_fmac_f64_e32 v[166:167], v[162:163], v[154:155]
	ds_load_b128 v[152:155], v2 offset:912
	ds_load_b128 v[156:159], v2 offset:928
	s_wait_dscnt 0x1
	v_fmac_f64_e32 v[166:167], v[164:165], v[152:153]
	s_wait_loadcnt 0x4
	s_delay_alu instid0(VALU_DEP_1) | instskip(SKIP_4) | instid1(VALU_DEP_1)
	v_fmac_f64_e32 v[166:167], v[132:133], v[154:155]
	scratch_load_b128 v[152:155], off, off offset:488
	s_wait_dscnt 0x0
	v_fmac_f64_e32 v[166:167], v[134:135], v[156:157]
	s_wait_loadcnt 0x4
	v_fmac_f64_e32 v[166:167], v[144:145], v[158:159]
	ds_load_b128 v[132:135], v2 offset:944
	ds_load_b128 v[156:159], v2 offset:960
	s_wait_dscnt 0x1
	v_fmac_f64_e32 v[166:167], v[146:147], v[132:133]
	s_wait_loadcnt 0x3
	s_delay_alu instid0(VALU_DEP_1) | instskip(SKIP_1) | instid1(VALU_DEP_1)
	v_fmac_f64_e32 v[166:167], v[136:137], v[134:135]
	s_wait_dscnt 0x0
	v_fmac_f64_e32 v[166:167], v[138:139], v[156:157]
	ds_load_b128 v[132:135], v2 offset:976
	ds_load_b128 v[136:139], v2 offset:992
	s_wait_loadcnt 0x2
	v_fmac_f64_e32 v[166:167], v[148:149], v[158:159]
	s_wait_dscnt 0x1
	s_delay_alu instid0(VALU_DEP_1) | instskip(SKIP_4) | instid1(VALU_DEP_1)
	v_fmac_f64_e32 v[166:167], v[150:151], v[132:133]
	ds_load_b64 v[132:133], v2 offset:1008
	s_wait_loadcnt 0x1
	v_fmac_f64_e32 v[166:167], v[140:141], v[134:135]
	s_wait_dscnt 0x1
	v_fmac_f64_e32 v[166:167], v[142:143], v[136:137]
	s_wait_loadcnt 0x0
	s_delay_alu instid0(VALU_DEP_1) | instskip(SKIP_1) | instid1(VALU_DEP_1)
	v_fmac_f64_e32 v[166:167], v[152:153], v[138:139]
	s_wait_dscnt 0x0
	v_fmac_f64_e32 v[166:167], v[154:155], v[132:133]
	s_delay_alu instid0(VALU_DEP_1)
	v_add_f64_e64 v[130:131], v[130:131], -v[166:167]
	scratch_store_b64 off, v[130:131], off offset:200
	s_wait_xcnt 0x0
	v_cmpx_lt_u32_e32 24, v0
	s_cbranch_execz .LBB62_339
; %bb.338:
	scratch_load_b64 v[130:131], off, off offset:192
	v_mov_b64_e32 v[132:133], 0
	scratch_store_b64 off, v[132:133], off offset:192
	s_wait_loadcnt 0x0
	ds_store_b64 v1, v[130:131]
.LBB62_339:
	s_wait_xcnt 0x0
	s_or_b32 exec_lo, exec_lo, s0
	s_wait_storecnt_dscnt 0x0
	s_barrier_signal -1
	s_barrier_wait -1
	s_clause 0x5
	scratch_load_b128 v[130:133], off, off offset:192
	scratch_load_b128 v[134:137], off, off offset:208
	;; [unrolled: 1-line block ×6, first 2 shown]
	ds_load_2addr_b64 v[154:157], v2 offset0:89 offset1:90
	ds_load_2addr_b64 v[158:161], v2 offset0:91 offset1:92
	scratch_load_b128 v[162:165], off, off offset:288
	s_mov_b32 s0, exec_lo
	s_wait_loadcnt_dscnt 0x601
	v_fma_f64 v[166:167], v[132:133], v[154:155], 0
	s_wait_loadcnt 0x5
	s_delay_alu instid0(VALU_DEP_1) | instskip(SKIP_4) | instid1(VALU_DEP_1)
	v_fmac_f64_e32 v[166:167], v[134:135], v[156:157]
	scratch_load_b128 v[132:135], off, off offset:304
	s_wait_dscnt 0x0
	v_fmac_f64_e32 v[166:167], v[136:137], v[158:159]
	s_wait_loadcnt 0x5
	v_fmac_f64_e32 v[166:167], v[138:139], v[160:161]
	ds_load_2addr_b64 v[136:139], v2 offset0:93 offset1:94
	ds_load_2addr_b64 v[154:157], v2 offset0:95 offset1:96
	scratch_load_b128 v[158:161], off, off offset:320
	s_wait_dscnt 0x1
	v_fmac_f64_e32 v[166:167], v[140:141], v[136:137]
	s_wait_loadcnt 0x5
	s_delay_alu instid0(VALU_DEP_1) | instskip(SKIP_4) | instid1(VALU_DEP_1)
	v_fmac_f64_e32 v[166:167], v[142:143], v[138:139]
	scratch_load_b128 v[136:139], off, off offset:336
	s_wait_dscnt 0x0
	v_fmac_f64_e32 v[166:167], v[144:145], v[154:155]
	s_wait_loadcnt 0x5
	v_fmac_f64_e32 v[166:167], v[146:147], v[156:157]
	ds_load_2addr_b64 v[140:143], v2 offset0:97 offset1:98
	ds_load_2addr_b64 v[144:147], v2 offset0:99 offset1:100
	scratch_load_b128 v[154:157], off, off offset:352
	s_wait_dscnt 0x1
	v_fmac_f64_e32 v[166:167], v[148:149], v[140:141]
	s_wait_loadcnt 0x5
	s_delay_alu instid0(VALU_DEP_1) | instskip(SKIP_4) | instid1(VALU_DEP_1)
	v_fmac_f64_e32 v[166:167], v[150:151], v[142:143]
	scratch_load_b128 v[140:143], off, off offset:368
	s_wait_dscnt 0x0
	v_fmac_f64_e32 v[166:167], v[152:153], v[144:145]
	s_wait_loadcnt 0x5
	v_fmac_f64_e32 v[166:167], v[162:163], v[146:147]
	ds_load_2addr_b64 v[144:147], v2 offset0:101 offset1:102
	ds_load_2addr_b64 v[148:151], v2 offset0:103 offset1:104
	s_wait_dscnt 0x1
	v_fmac_f64_e32 v[166:167], v[164:165], v[144:145]
	scratch_load_b128 v[162:165], off, off offset:384
	s_wait_loadcnt 0x5
	v_fmac_f64_e32 v[166:167], v[132:133], v[146:147]
	s_wait_dscnt 0x0
	s_delay_alu instid0(VALU_DEP_1)
	v_fmac_f64_e32 v[166:167], v[134:135], v[148:149]
	scratch_load_b128 v[132:135], off, off offset:400
	s_wait_loadcnt 0x5
	v_fmac_f64_e32 v[166:167], v[158:159], v[150:151]
	ds_load_2addr_b64 v[144:147], v2 offset0:105 offset1:106
	ds_load_2addr_b64 v[148:151], v2 offset0:107 offset1:108
	s_wait_dscnt 0x1
	v_fmac_f64_e32 v[166:167], v[160:161], v[144:145]
	scratch_load_b128 v[158:161], off, off offset:416
	s_wait_loadcnt 0x5
	v_fmac_f64_e32 v[166:167], v[136:137], v[146:147]
	s_wait_dscnt 0x0
	s_delay_alu instid0(VALU_DEP_1)
	v_fmac_f64_e32 v[166:167], v[138:139], v[148:149]
	scratch_load_b128 v[136:139], off, off offset:432
	s_wait_loadcnt 0x5
	v_fmac_f64_e32 v[166:167], v[154:155], v[150:151]
	ds_load_2addr_b64 v[144:147], v2 offset0:109 offset1:110
	ds_load_2addr_b64 v[148:151], v2 offset0:111 offset1:112
	s_wait_dscnt 0x1
	v_fmac_f64_e32 v[166:167], v[156:157], v[144:145]
	s_wait_loadcnt 0x4
	s_delay_alu instid0(VALU_DEP_1)
	v_fmac_f64_e32 v[166:167], v[140:141], v[146:147]
	scratch_load_b128 v[144:147], off, off offset:448
	s_wait_dscnt 0x0
	v_fmac_f64_e32 v[166:167], v[142:143], v[148:149]
	scratch_load_b128 v[140:143], off, off offset:464
	s_wait_loadcnt 0x5
	v_fmac_f64_e32 v[166:167], v[162:163], v[150:151]
	ds_load_2addr_b64 v[148:151], v2 offset0:113 offset1:114
	ds_load_2addr_b64 v[152:155], v2 offset0:115 offset1:116
	scratch_load_b64 v[156:157], off, off offset:496
	s_wait_dscnt 0x1
	v_fmac_f64_e32 v[166:167], v[164:165], v[148:149]
	s_wait_loadcnt 0x5
	s_delay_alu instid0(VALU_DEP_1) | instskip(SKIP_4) | instid1(VALU_DEP_1)
	v_fmac_f64_e32 v[166:167], v[132:133], v[150:151]
	scratch_load_b128 v[148:151], off, off offset:480
	s_wait_dscnt 0x0
	v_fmac_f64_e32 v[166:167], v[134:135], v[152:153]
	s_wait_loadcnt 0x5
	v_fmac_f64_e32 v[166:167], v[158:159], v[154:155]
	ds_load_2addr_b64 v[132:135], v2 offset0:117 offset1:118
	ds_load_2addr_b64 v[152:155], v2 offset0:119 offset1:120
	s_wait_dscnt 0x1
	v_fmac_f64_e32 v[166:167], v[160:161], v[132:133]
	s_wait_loadcnt 0x4
	s_delay_alu instid0(VALU_DEP_1) | instskip(SKIP_1) | instid1(VALU_DEP_1)
	v_fmac_f64_e32 v[166:167], v[136:137], v[134:135]
	s_wait_dscnt 0x0
	v_fmac_f64_e32 v[166:167], v[138:139], v[152:153]
	ds_load_2addr_b64 v[132:135], v2 offset0:121 offset1:122
	ds_load_2addr_b64 v[136:139], v2 offset0:123 offset1:124
	s_wait_loadcnt 0x3
	v_fmac_f64_e32 v[166:167], v[144:145], v[154:155]
	s_wait_dscnt 0x1
	s_delay_alu instid0(VALU_DEP_1) | instskip(SKIP_1) | instid1(VALU_DEP_1)
	v_fmac_f64_e32 v[166:167], v[146:147], v[132:133]
	s_wait_loadcnt 0x2
	v_fmac_f64_e32 v[166:167], v[140:141], v[134:135]
	ds_load_2addr_b64 v[132:135], v2 offset0:125 offset1:126
	s_wait_dscnt 0x1
	v_fmac_f64_e32 v[166:167], v[142:143], v[136:137]
	s_wait_loadcnt 0x0
	s_delay_alu instid0(VALU_DEP_1) | instskip(SKIP_1) | instid1(VALU_DEP_1)
	v_fmac_f64_e32 v[166:167], v[148:149], v[138:139]
	s_wait_dscnt 0x0
	v_fmac_f64_e32 v[166:167], v[150:151], v[132:133]
	s_delay_alu instid0(VALU_DEP_1) | instskip(NEXT) | instid1(VALU_DEP_1)
	v_fmac_f64_e32 v[166:167], v[156:157], v[134:135]
	v_add_f64_e64 v[2:3], v[130:131], -v[166:167]
	scratch_store_b64 off, v[2:3], off offset:192
	s_wait_xcnt 0x0
	v_cmpx_lt_u32_e32 23, v0
	s_cbranch_execz .LBB62_341
; %bb.340:
	scratch_load_b64 v[2:3], off, off offset:184
	v_mov_b64_e32 v[130:131], 0
	scratch_store_b64 off, v[130:131], off offset:184
	s_wait_loadcnt 0x0
	ds_store_b64 v1, v[2:3]
.LBB62_341:
	s_wait_xcnt 0x0
	s_or_b32 exec_lo, exec_lo, s0
	s_wait_storecnt_dscnt 0x0
	s_barrier_signal -1
	s_barrier_wait -1
	s_clause 0x5
	scratch_load_b128 v[130:133], off, off offset:184
	scratch_load_b128 v[134:137], off, off offset:200
	;; [unrolled: 1-line block ×6, first 2 shown]
	v_mov_b32_e32 v2, 0
	ds_load_b128 v[154:157], v2 offset:704
	ds_load_b128 v[158:161], v2 offset:720
	scratch_load_b128 v[162:165], off, off offset:280
	s_mov_b32 s0, exec_lo
	s_wait_loadcnt_dscnt 0x601
	v_fma_f64 v[166:167], v[132:133], v[154:155], 0
	s_wait_loadcnt 0x5
	s_delay_alu instid0(VALU_DEP_1) | instskip(SKIP_4) | instid1(VALU_DEP_1)
	v_fmac_f64_e32 v[166:167], v[134:135], v[156:157]
	scratch_load_b128 v[132:135], off, off offset:296
	s_wait_dscnt 0x0
	v_fmac_f64_e32 v[166:167], v[136:137], v[158:159]
	s_wait_loadcnt 0x5
	v_fmac_f64_e32 v[166:167], v[138:139], v[160:161]
	ds_load_b128 v[136:139], v2 offset:736
	ds_load_b128 v[154:157], v2 offset:752
	scratch_load_b128 v[158:161], off, off offset:312
	s_wait_dscnt 0x1
	v_fmac_f64_e32 v[166:167], v[140:141], v[136:137]
	s_wait_loadcnt 0x5
	s_delay_alu instid0(VALU_DEP_1) | instskip(SKIP_4) | instid1(VALU_DEP_1)
	v_fmac_f64_e32 v[166:167], v[142:143], v[138:139]
	scratch_load_b128 v[136:139], off, off offset:328
	s_wait_dscnt 0x0
	v_fmac_f64_e32 v[166:167], v[144:145], v[154:155]
	s_wait_loadcnt 0x5
	v_fmac_f64_e32 v[166:167], v[146:147], v[156:157]
	ds_load_b128 v[140:143], v2 offset:768
	ds_load_b128 v[144:147], v2 offset:784
	scratch_load_b128 v[154:157], off, off offset:344
	s_wait_dscnt 0x1
	v_fmac_f64_e32 v[166:167], v[148:149], v[140:141]
	s_wait_loadcnt 0x5
	s_delay_alu instid0(VALU_DEP_1) | instskip(SKIP_4) | instid1(VALU_DEP_1)
	v_fmac_f64_e32 v[166:167], v[150:151], v[142:143]
	scratch_load_b128 v[140:143], off, off offset:360
	s_wait_dscnt 0x0
	v_fmac_f64_e32 v[166:167], v[152:153], v[144:145]
	s_wait_loadcnt 0x5
	v_fmac_f64_e32 v[166:167], v[162:163], v[146:147]
	ds_load_b128 v[144:147], v2 offset:800
	ds_load_b128 v[148:151], v2 offset:816
	s_wait_dscnt 0x1
	v_fmac_f64_e32 v[166:167], v[164:165], v[144:145]
	scratch_load_b128 v[162:165], off, off offset:376
	s_wait_loadcnt 0x5
	v_fmac_f64_e32 v[166:167], v[132:133], v[146:147]
	s_wait_dscnt 0x0
	s_delay_alu instid0(VALU_DEP_1)
	v_fmac_f64_e32 v[166:167], v[134:135], v[148:149]
	scratch_load_b128 v[132:135], off, off offset:392
	s_wait_loadcnt 0x5
	v_fmac_f64_e32 v[166:167], v[158:159], v[150:151]
	ds_load_b128 v[144:147], v2 offset:832
	ds_load_b128 v[148:151], v2 offset:848
	s_wait_dscnt 0x1
	v_fmac_f64_e32 v[166:167], v[160:161], v[144:145]
	scratch_load_b128 v[158:161], off, off offset:408
	s_wait_loadcnt 0x5
	v_fmac_f64_e32 v[166:167], v[136:137], v[146:147]
	s_wait_dscnt 0x0
	s_delay_alu instid0(VALU_DEP_1)
	v_fmac_f64_e32 v[166:167], v[138:139], v[148:149]
	scratch_load_b128 v[136:139], off, off offset:424
	s_wait_loadcnt 0x5
	v_fmac_f64_e32 v[166:167], v[154:155], v[150:151]
	ds_load_b128 v[144:147], v2 offset:864
	ds_load_b128 v[148:151], v2 offset:880
	s_wait_dscnt 0x1
	v_fmac_f64_e32 v[166:167], v[156:157], v[144:145]
	s_wait_loadcnt 0x4
	s_delay_alu instid0(VALU_DEP_1)
	v_fmac_f64_e32 v[166:167], v[140:141], v[146:147]
	scratch_load_b128 v[144:147], off, off offset:440
	s_wait_dscnt 0x0
	v_fmac_f64_e32 v[166:167], v[142:143], v[148:149]
	scratch_load_b128 v[140:143], off, off offset:456
	s_wait_loadcnt 0x5
	v_fmac_f64_e32 v[166:167], v[162:163], v[150:151]
	ds_load_b128 v[148:151], v2 offset:896
	ds_load_b128 v[152:155], v2 offset:912
	s_wait_dscnt 0x1
	v_fmac_f64_e32 v[166:167], v[164:165], v[148:149]
	s_wait_loadcnt 0x4
	s_delay_alu instid0(VALU_DEP_1)
	v_fmac_f64_e32 v[166:167], v[132:133], v[150:151]
	scratch_load_b128 v[148:151], off, off offset:472
	s_wait_dscnt 0x0
	v_fmac_f64_e32 v[166:167], v[134:135], v[152:153]
	scratch_load_b128 v[132:135], off, off offset:488
	s_wait_loadcnt 0x5
	v_fmac_f64_e32 v[166:167], v[158:159], v[154:155]
	ds_load_b128 v[152:155], v2 offset:928
	ds_load_b128 v[156:159], v2 offset:944
	s_wait_dscnt 0x1
	v_fmac_f64_e32 v[166:167], v[160:161], v[152:153]
	s_wait_loadcnt 0x4
	s_delay_alu instid0(VALU_DEP_1) | instskip(SKIP_1) | instid1(VALU_DEP_1)
	v_fmac_f64_e32 v[166:167], v[136:137], v[154:155]
	s_wait_dscnt 0x0
	v_fmac_f64_e32 v[166:167], v[138:139], v[156:157]
	ds_load_b128 v[136:139], v2 offset:960
	ds_load_b128 v[152:155], v2 offset:976
	s_wait_loadcnt 0x3
	v_fmac_f64_e32 v[166:167], v[144:145], v[158:159]
	s_wait_dscnt 0x1
	s_delay_alu instid0(VALU_DEP_1) | instskip(SKIP_1) | instid1(VALU_DEP_1)
	v_fmac_f64_e32 v[166:167], v[146:147], v[136:137]
	s_wait_loadcnt 0x2
	v_fmac_f64_e32 v[166:167], v[140:141], v[138:139]
	ds_load_b128 v[136:139], v2 offset:992
	ds_load_b64 v[140:141], v2 offset:1008
	s_wait_dscnt 0x2
	v_fmac_f64_e32 v[166:167], v[142:143], v[152:153]
	s_wait_loadcnt 0x1
	s_delay_alu instid0(VALU_DEP_1) | instskip(SKIP_1) | instid1(VALU_DEP_1)
	v_fmac_f64_e32 v[166:167], v[148:149], v[154:155]
	s_wait_dscnt 0x1
	v_fmac_f64_e32 v[166:167], v[150:151], v[136:137]
	s_wait_loadcnt 0x0
	s_delay_alu instid0(VALU_DEP_1) | instskip(SKIP_1) | instid1(VALU_DEP_1)
	v_fmac_f64_e32 v[166:167], v[132:133], v[138:139]
	s_wait_dscnt 0x0
	v_fmac_f64_e32 v[166:167], v[134:135], v[140:141]
	s_delay_alu instid0(VALU_DEP_1)
	v_add_f64_e64 v[130:131], v[130:131], -v[166:167]
	scratch_store_b64 off, v[130:131], off offset:184
	s_wait_xcnt 0x0
	v_cmpx_lt_u32_e32 22, v0
	s_cbranch_execz .LBB62_343
; %bb.342:
	scratch_load_b64 v[130:131], off, off offset:176
	v_mov_b64_e32 v[132:133], 0
	scratch_store_b64 off, v[132:133], off offset:176
	s_wait_loadcnt 0x0
	ds_store_b64 v1, v[130:131]
.LBB62_343:
	s_wait_xcnt 0x0
	s_or_b32 exec_lo, exec_lo, s0
	s_wait_storecnt_dscnt 0x0
	s_barrier_signal -1
	s_barrier_wait -1
	s_clause 0x5
	scratch_load_b128 v[130:133], off, off offset:176
	scratch_load_b128 v[134:137], off, off offset:192
	;; [unrolled: 1-line block ×6, first 2 shown]
	ds_load_2addr_b64 v[154:157], v2 offset0:87 offset1:88
	ds_load_2addr_b64 v[158:161], v2 offset0:89 offset1:90
	scratch_load_b128 v[162:165], off, off offset:272
	s_mov_b32 s0, exec_lo
	s_wait_loadcnt_dscnt 0x601
	v_fma_f64 v[166:167], v[132:133], v[154:155], 0
	s_wait_loadcnt 0x5
	s_delay_alu instid0(VALU_DEP_1) | instskip(SKIP_4) | instid1(VALU_DEP_1)
	v_fmac_f64_e32 v[166:167], v[134:135], v[156:157]
	scratch_load_b128 v[132:135], off, off offset:288
	s_wait_dscnt 0x0
	v_fmac_f64_e32 v[166:167], v[136:137], v[158:159]
	s_wait_loadcnt 0x5
	v_fmac_f64_e32 v[166:167], v[138:139], v[160:161]
	ds_load_2addr_b64 v[136:139], v2 offset0:91 offset1:92
	ds_load_2addr_b64 v[154:157], v2 offset0:93 offset1:94
	scratch_load_b128 v[158:161], off, off offset:304
	s_wait_dscnt 0x1
	v_fmac_f64_e32 v[166:167], v[140:141], v[136:137]
	s_wait_loadcnt 0x5
	s_delay_alu instid0(VALU_DEP_1) | instskip(SKIP_4) | instid1(VALU_DEP_1)
	v_fmac_f64_e32 v[166:167], v[142:143], v[138:139]
	scratch_load_b128 v[136:139], off, off offset:320
	s_wait_dscnt 0x0
	v_fmac_f64_e32 v[166:167], v[144:145], v[154:155]
	s_wait_loadcnt 0x5
	v_fmac_f64_e32 v[166:167], v[146:147], v[156:157]
	ds_load_2addr_b64 v[140:143], v2 offset0:95 offset1:96
	ds_load_2addr_b64 v[144:147], v2 offset0:97 offset1:98
	scratch_load_b128 v[154:157], off, off offset:336
	s_wait_dscnt 0x1
	v_fmac_f64_e32 v[166:167], v[148:149], v[140:141]
	s_wait_loadcnt 0x5
	s_delay_alu instid0(VALU_DEP_1) | instskip(SKIP_4) | instid1(VALU_DEP_1)
	v_fmac_f64_e32 v[166:167], v[150:151], v[142:143]
	scratch_load_b128 v[140:143], off, off offset:352
	s_wait_dscnt 0x0
	v_fmac_f64_e32 v[166:167], v[152:153], v[144:145]
	s_wait_loadcnt 0x5
	v_fmac_f64_e32 v[166:167], v[162:163], v[146:147]
	ds_load_2addr_b64 v[144:147], v2 offset0:99 offset1:100
	ds_load_2addr_b64 v[148:151], v2 offset0:101 offset1:102
	s_wait_dscnt 0x1
	v_fmac_f64_e32 v[166:167], v[164:165], v[144:145]
	scratch_load_b128 v[162:165], off, off offset:368
	s_wait_loadcnt 0x5
	v_fmac_f64_e32 v[166:167], v[132:133], v[146:147]
	s_wait_dscnt 0x0
	s_delay_alu instid0(VALU_DEP_1)
	v_fmac_f64_e32 v[166:167], v[134:135], v[148:149]
	scratch_load_b128 v[132:135], off, off offset:384
	s_wait_loadcnt 0x5
	v_fmac_f64_e32 v[166:167], v[158:159], v[150:151]
	ds_load_2addr_b64 v[144:147], v2 offset0:103 offset1:104
	ds_load_2addr_b64 v[148:151], v2 offset0:105 offset1:106
	s_wait_dscnt 0x1
	v_fmac_f64_e32 v[166:167], v[160:161], v[144:145]
	scratch_load_b128 v[158:161], off, off offset:400
	s_wait_loadcnt 0x5
	v_fmac_f64_e32 v[166:167], v[136:137], v[146:147]
	s_wait_dscnt 0x0
	s_delay_alu instid0(VALU_DEP_1)
	v_fmac_f64_e32 v[166:167], v[138:139], v[148:149]
	scratch_load_b128 v[136:139], off, off offset:416
	s_wait_loadcnt 0x5
	v_fmac_f64_e32 v[166:167], v[154:155], v[150:151]
	ds_load_2addr_b64 v[144:147], v2 offset0:107 offset1:108
	ds_load_2addr_b64 v[148:151], v2 offset0:109 offset1:110
	s_wait_dscnt 0x1
	v_fmac_f64_e32 v[166:167], v[156:157], v[144:145]
	s_wait_loadcnt 0x4
	s_delay_alu instid0(VALU_DEP_1)
	v_fmac_f64_e32 v[166:167], v[140:141], v[146:147]
	scratch_load_b128 v[144:147], off, off offset:432
	s_wait_dscnt 0x0
	v_fmac_f64_e32 v[166:167], v[142:143], v[148:149]
	scratch_load_b128 v[140:143], off, off offset:448
	s_wait_loadcnt 0x5
	v_fmac_f64_e32 v[166:167], v[162:163], v[150:151]
	ds_load_2addr_b64 v[148:151], v2 offset0:111 offset1:112
	ds_load_2addr_b64 v[152:155], v2 offset0:113 offset1:114
	s_wait_dscnt 0x1
	v_fmac_f64_e32 v[166:167], v[164:165], v[148:149]
	s_wait_loadcnt 0x4
	s_delay_alu instid0(VALU_DEP_1)
	v_fmac_f64_e32 v[166:167], v[132:133], v[150:151]
	scratch_load_b128 v[148:151], off, off offset:464
	s_wait_dscnt 0x0
	v_fmac_f64_e32 v[166:167], v[134:135], v[152:153]
	scratch_load_b128 v[132:135], off, off offset:480
	s_wait_loadcnt 0x5
	v_fmac_f64_e32 v[166:167], v[158:159], v[154:155]
	ds_load_2addr_b64 v[152:155], v2 offset0:115 offset1:116
	ds_load_2addr_b64 v[156:159], v2 offset0:117 offset1:118
	s_wait_dscnt 0x1
	v_fmac_f64_e32 v[166:167], v[160:161], v[152:153]
	scratch_load_b64 v[160:161], off, off offset:496
	s_wait_loadcnt 0x5
	v_fmac_f64_e32 v[166:167], v[136:137], v[154:155]
	s_wait_dscnt 0x0
	s_delay_alu instid0(VALU_DEP_1)
	v_fmac_f64_e32 v[166:167], v[138:139], v[156:157]
	ds_load_2addr_b64 v[136:139], v2 offset0:119 offset1:120
	ds_load_2addr_b64 v[152:155], v2 offset0:121 offset1:122
	s_wait_loadcnt 0x4
	v_fmac_f64_e32 v[166:167], v[144:145], v[158:159]
	s_wait_dscnt 0x1
	s_delay_alu instid0(VALU_DEP_1) | instskip(SKIP_1) | instid1(VALU_DEP_1)
	v_fmac_f64_e32 v[166:167], v[146:147], v[136:137]
	s_wait_loadcnt 0x3
	v_fmac_f64_e32 v[166:167], v[140:141], v[138:139]
	s_wait_dscnt 0x0
	s_delay_alu instid0(VALU_DEP_1)
	v_fmac_f64_e32 v[166:167], v[142:143], v[152:153]
	ds_load_2addr_b64 v[136:139], v2 offset0:123 offset1:124
	ds_load_2addr_b64 v[140:143], v2 offset0:125 offset1:126
	s_wait_loadcnt 0x2
	v_fmac_f64_e32 v[166:167], v[148:149], v[154:155]
	s_wait_dscnt 0x1
	s_delay_alu instid0(VALU_DEP_1) | instskip(SKIP_1) | instid1(VALU_DEP_1)
	v_fmac_f64_e32 v[166:167], v[150:151], v[136:137]
	s_wait_loadcnt 0x1
	v_fmac_f64_e32 v[166:167], v[132:133], v[138:139]
	s_wait_dscnt 0x0
	s_delay_alu instid0(VALU_DEP_1) | instskip(SKIP_1) | instid1(VALU_DEP_1)
	v_fmac_f64_e32 v[166:167], v[134:135], v[140:141]
	s_wait_loadcnt 0x0
	v_fmac_f64_e32 v[166:167], v[160:161], v[142:143]
	s_delay_alu instid0(VALU_DEP_1)
	v_add_f64_e64 v[2:3], v[130:131], -v[166:167]
	scratch_store_b64 off, v[2:3], off offset:176
	s_wait_xcnt 0x0
	v_cmpx_lt_u32_e32 21, v0
	s_cbranch_execz .LBB62_345
; %bb.344:
	scratch_load_b64 v[2:3], off, off offset:168
	v_mov_b64_e32 v[130:131], 0
	scratch_store_b64 off, v[130:131], off offset:168
	s_wait_loadcnt 0x0
	ds_store_b64 v1, v[2:3]
.LBB62_345:
	s_wait_xcnt 0x0
	s_or_b32 exec_lo, exec_lo, s0
	s_wait_storecnt_dscnt 0x0
	s_barrier_signal -1
	s_barrier_wait -1
	s_clause 0x5
	scratch_load_b128 v[130:133], off, off offset:168
	scratch_load_b128 v[134:137], off, off offset:184
	;; [unrolled: 1-line block ×6, first 2 shown]
	v_mov_b32_e32 v2, 0
	ds_load_b128 v[154:157], v2 offset:688
	ds_load_b128 v[158:161], v2 offset:704
	scratch_load_b128 v[162:165], off, off offset:264
	s_mov_b32 s0, exec_lo
	s_wait_loadcnt_dscnt 0x601
	v_fma_f64 v[166:167], v[132:133], v[154:155], 0
	s_wait_loadcnt 0x5
	s_delay_alu instid0(VALU_DEP_1) | instskip(SKIP_4) | instid1(VALU_DEP_1)
	v_fmac_f64_e32 v[166:167], v[134:135], v[156:157]
	scratch_load_b128 v[132:135], off, off offset:280
	s_wait_dscnt 0x0
	v_fmac_f64_e32 v[166:167], v[136:137], v[158:159]
	s_wait_loadcnt 0x5
	v_fmac_f64_e32 v[166:167], v[138:139], v[160:161]
	ds_load_b128 v[136:139], v2 offset:720
	ds_load_b128 v[154:157], v2 offset:736
	scratch_load_b128 v[158:161], off, off offset:296
	s_wait_dscnt 0x1
	v_fmac_f64_e32 v[166:167], v[140:141], v[136:137]
	s_wait_loadcnt 0x5
	s_delay_alu instid0(VALU_DEP_1) | instskip(SKIP_4) | instid1(VALU_DEP_1)
	v_fmac_f64_e32 v[166:167], v[142:143], v[138:139]
	scratch_load_b128 v[136:139], off, off offset:312
	s_wait_dscnt 0x0
	v_fmac_f64_e32 v[166:167], v[144:145], v[154:155]
	s_wait_loadcnt 0x5
	v_fmac_f64_e32 v[166:167], v[146:147], v[156:157]
	ds_load_b128 v[140:143], v2 offset:752
	ds_load_b128 v[144:147], v2 offset:768
	scratch_load_b128 v[154:157], off, off offset:328
	s_wait_dscnt 0x1
	v_fmac_f64_e32 v[166:167], v[148:149], v[140:141]
	s_wait_loadcnt 0x5
	s_delay_alu instid0(VALU_DEP_1) | instskip(SKIP_4) | instid1(VALU_DEP_1)
	v_fmac_f64_e32 v[166:167], v[150:151], v[142:143]
	scratch_load_b128 v[140:143], off, off offset:344
	s_wait_dscnt 0x0
	v_fmac_f64_e32 v[166:167], v[152:153], v[144:145]
	s_wait_loadcnt 0x5
	v_fmac_f64_e32 v[166:167], v[162:163], v[146:147]
	ds_load_b128 v[144:147], v2 offset:784
	ds_load_b128 v[148:151], v2 offset:800
	s_wait_dscnt 0x1
	v_fmac_f64_e32 v[166:167], v[164:165], v[144:145]
	scratch_load_b128 v[162:165], off, off offset:360
	s_wait_loadcnt 0x5
	v_fmac_f64_e32 v[166:167], v[132:133], v[146:147]
	s_wait_dscnt 0x0
	s_delay_alu instid0(VALU_DEP_1)
	v_fmac_f64_e32 v[166:167], v[134:135], v[148:149]
	scratch_load_b128 v[132:135], off, off offset:376
	s_wait_loadcnt 0x5
	v_fmac_f64_e32 v[166:167], v[158:159], v[150:151]
	ds_load_b128 v[144:147], v2 offset:816
	ds_load_b128 v[148:151], v2 offset:832
	s_wait_dscnt 0x1
	v_fmac_f64_e32 v[166:167], v[160:161], v[144:145]
	scratch_load_b128 v[158:161], off, off offset:392
	s_wait_loadcnt 0x5
	v_fmac_f64_e32 v[166:167], v[136:137], v[146:147]
	s_wait_dscnt 0x0
	s_delay_alu instid0(VALU_DEP_1)
	v_fmac_f64_e32 v[166:167], v[138:139], v[148:149]
	scratch_load_b128 v[136:139], off, off offset:408
	s_wait_loadcnt 0x5
	v_fmac_f64_e32 v[166:167], v[154:155], v[150:151]
	ds_load_b128 v[144:147], v2 offset:848
	ds_load_b128 v[148:151], v2 offset:864
	s_wait_dscnt 0x1
	v_fmac_f64_e32 v[166:167], v[156:157], v[144:145]
	s_wait_loadcnt 0x4
	s_delay_alu instid0(VALU_DEP_1)
	v_fmac_f64_e32 v[166:167], v[140:141], v[146:147]
	scratch_load_b128 v[144:147], off, off offset:424
	s_wait_dscnt 0x0
	v_fmac_f64_e32 v[166:167], v[142:143], v[148:149]
	scratch_load_b128 v[140:143], off, off offset:440
	s_wait_loadcnt 0x5
	v_fmac_f64_e32 v[166:167], v[162:163], v[150:151]
	ds_load_b128 v[148:151], v2 offset:880
	ds_load_b128 v[152:155], v2 offset:896
	s_wait_dscnt 0x1
	v_fmac_f64_e32 v[166:167], v[164:165], v[148:149]
	s_wait_loadcnt 0x4
	s_delay_alu instid0(VALU_DEP_1)
	v_fmac_f64_e32 v[166:167], v[132:133], v[150:151]
	scratch_load_b128 v[148:151], off, off offset:456
	s_wait_dscnt 0x0
	v_fmac_f64_e32 v[166:167], v[134:135], v[152:153]
	scratch_load_b128 v[132:135], off, off offset:472
	s_wait_loadcnt 0x5
	v_fmac_f64_e32 v[166:167], v[158:159], v[154:155]
	ds_load_b128 v[152:155], v2 offset:912
	ds_load_b128 v[156:159], v2 offset:928
	s_wait_dscnt 0x1
	v_fmac_f64_e32 v[166:167], v[160:161], v[152:153]
	s_wait_loadcnt 0x4
	s_delay_alu instid0(VALU_DEP_1) | instskip(SKIP_4) | instid1(VALU_DEP_1)
	v_fmac_f64_e32 v[166:167], v[136:137], v[154:155]
	scratch_load_b128 v[152:155], off, off offset:488
	s_wait_dscnt 0x0
	v_fmac_f64_e32 v[166:167], v[138:139], v[156:157]
	s_wait_loadcnt 0x4
	v_fmac_f64_e32 v[166:167], v[144:145], v[158:159]
	ds_load_b128 v[136:139], v2 offset:944
	ds_load_b128 v[156:159], v2 offset:960
	s_wait_dscnt 0x1
	v_fmac_f64_e32 v[166:167], v[146:147], v[136:137]
	s_wait_loadcnt 0x3
	s_delay_alu instid0(VALU_DEP_1) | instskip(SKIP_1) | instid1(VALU_DEP_1)
	v_fmac_f64_e32 v[166:167], v[140:141], v[138:139]
	s_wait_dscnt 0x0
	v_fmac_f64_e32 v[166:167], v[142:143], v[156:157]
	ds_load_b128 v[136:139], v2 offset:976
	ds_load_b128 v[140:143], v2 offset:992
	s_wait_loadcnt 0x2
	v_fmac_f64_e32 v[166:167], v[148:149], v[158:159]
	s_wait_dscnt 0x1
	s_delay_alu instid0(VALU_DEP_1) | instskip(SKIP_1) | instid1(VALU_DEP_1)
	v_fmac_f64_e32 v[166:167], v[150:151], v[136:137]
	s_wait_loadcnt 0x1
	v_fmac_f64_e32 v[166:167], v[132:133], v[138:139]
	ds_load_b64 v[132:133], v2 offset:1008
	s_wait_dscnt 0x1
	v_fmac_f64_e32 v[166:167], v[134:135], v[140:141]
	s_wait_loadcnt 0x0
	s_delay_alu instid0(VALU_DEP_1) | instskip(SKIP_1) | instid1(VALU_DEP_1)
	v_fmac_f64_e32 v[166:167], v[152:153], v[142:143]
	s_wait_dscnt 0x0
	v_fmac_f64_e32 v[166:167], v[154:155], v[132:133]
	s_delay_alu instid0(VALU_DEP_1)
	v_add_f64_e64 v[130:131], v[130:131], -v[166:167]
	scratch_store_b64 off, v[130:131], off offset:168
	s_wait_xcnt 0x0
	v_cmpx_lt_u32_e32 20, v0
	s_cbranch_execz .LBB62_347
; %bb.346:
	scratch_load_b64 v[130:131], off, off offset:160
	v_mov_b64_e32 v[132:133], 0
	scratch_store_b64 off, v[132:133], off offset:160
	s_wait_loadcnt 0x0
	ds_store_b64 v1, v[130:131]
.LBB62_347:
	s_wait_xcnt 0x0
	s_or_b32 exec_lo, exec_lo, s0
	s_wait_storecnt_dscnt 0x0
	s_barrier_signal -1
	s_barrier_wait -1
	s_clause 0x5
	scratch_load_b128 v[130:133], off, off offset:160
	scratch_load_b128 v[134:137], off, off offset:176
	;; [unrolled: 1-line block ×6, first 2 shown]
	ds_load_2addr_b64 v[154:157], v2 offset0:85 offset1:86
	ds_load_2addr_b64 v[158:161], v2 offset0:87 offset1:88
	scratch_load_b128 v[162:165], off, off offset:256
	s_mov_b32 s0, exec_lo
	s_wait_loadcnt_dscnt 0x601
	v_fma_f64 v[166:167], v[132:133], v[154:155], 0
	s_wait_loadcnt 0x5
	s_delay_alu instid0(VALU_DEP_1) | instskip(SKIP_4) | instid1(VALU_DEP_1)
	v_fmac_f64_e32 v[166:167], v[134:135], v[156:157]
	scratch_load_b128 v[132:135], off, off offset:272
	s_wait_dscnt 0x0
	v_fmac_f64_e32 v[166:167], v[136:137], v[158:159]
	s_wait_loadcnt 0x5
	v_fmac_f64_e32 v[166:167], v[138:139], v[160:161]
	ds_load_2addr_b64 v[136:139], v2 offset0:89 offset1:90
	ds_load_2addr_b64 v[154:157], v2 offset0:91 offset1:92
	scratch_load_b128 v[158:161], off, off offset:288
	s_wait_dscnt 0x1
	v_fmac_f64_e32 v[166:167], v[140:141], v[136:137]
	s_wait_loadcnt 0x5
	s_delay_alu instid0(VALU_DEP_1) | instskip(SKIP_4) | instid1(VALU_DEP_1)
	v_fmac_f64_e32 v[166:167], v[142:143], v[138:139]
	scratch_load_b128 v[136:139], off, off offset:304
	s_wait_dscnt 0x0
	v_fmac_f64_e32 v[166:167], v[144:145], v[154:155]
	s_wait_loadcnt 0x5
	v_fmac_f64_e32 v[166:167], v[146:147], v[156:157]
	ds_load_2addr_b64 v[140:143], v2 offset0:93 offset1:94
	ds_load_2addr_b64 v[144:147], v2 offset0:95 offset1:96
	scratch_load_b128 v[154:157], off, off offset:320
	s_wait_dscnt 0x1
	v_fmac_f64_e32 v[166:167], v[148:149], v[140:141]
	s_wait_loadcnt 0x5
	s_delay_alu instid0(VALU_DEP_1) | instskip(SKIP_4) | instid1(VALU_DEP_1)
	v_fmac_f64_e32 v[166:167], v[150:151], v[142:143]
	scratch_load_b128 v[140:143], off, off offset:336
	s_wait_dscnt 0x0
	v_fmac_f64_e32 v[166:167], v[152:153], v[144:145]
	s_wait_loadcnt 0x5
	v_fmac_f64_e32 v[166:167], v[162:163], v[146:147]
	ds_load_2addr_b64 v[144:147], v2 offset0:97 offset1:98
	ds_load_2addr_b64 v[148:151], v2 offset0:99 offset1:100
	s_wait_dscnt 0x1
	v_fmac_f64_e32 v[166:167], v[164:165], v[144:145]
	scratch_load_b128 v[162:165], off, off offset:352
	s_wait_loadcnt 0x5
	v_fmac_f64_e32 v[166:167], v[132:133], v[146:147]
	s_wait_dscnt 0x0
	s_delay_alu instid0(VALU_DEP_1)
	v_fmac_f64_e32 v[166:167], v[134:135], v[148:149]
	scratch_load_b128 v[132:135], off, off offset:368
	s_wait_loadcnt 0x5
	v_fmac_f64_e32 v[166:167], v[158:159], v[150:151]
	ds_load_2addr_b64 v[144:147], v2 offset0:101 offset1:102
	ds_load_2addr_b64 v[148:151], v2 offset0:103 offset1:104
	s_wait_dscnt 0x1
	v_fmac_f64_e32 v[166:167], v[160:161], v[144:145]
	scratch_load_b128 v[158:161], off, off offset:384
	s_wait_loadcnt 0x5
	v_fmac_f64_e32 v[166:167], v[136:137], v[146:147]
	s_wait_dscnt 0x0
	s_delay_alu instid0(VALU_DEP_1)
	v_fmac_f64_e32 v[166:167], v[138:139], v[148:149]
	scratch_load_b128 v[136:139], off, off offset:400
	s_wait_loadcnt 0x5
	v_fmac_f64_e32 v[166:167], v[154:155], v[150:151]
	ds_load_2addr_b64 v[144:147], v2 offset0:105 offset1:106
	ds_load_2addr_b64 v[148:151], v2 offset0:107 offset1:108
	scratch_load_b128 v[152:155], off, off offset:416
	s_wait_dscnt 0x1
	v_fmac_f64_e32 v[166:167], v[156:157], v[144:145]
	s_wait_loadcnt 0x5
	s_delay_alu instid0(VALU_DEP_1) | instskip(SKIP_1) | instid1(VALU_DEP_1)
	v_fmac_f64_e32 v[166:167], v[140:141], v[146:147]
	s_wait_dscnt 0x0
	v_fmac_f64_e32 v[166:167], v[142:143], v[148:149]
	scratch_load_b128 v[140:143], off, off offset:432
	s_wait_loadcnt 0x5
	v_fmac_f64_e32 v[166:167], v[162:163], v[150:151]
	ds_load_2addr_b64 v[144:147], v2 offset0:109 offset1:110
	ds_load_2addr_b64 v[148:151], v2 offset0:111 offset1:112
	s_wait_dscnt 0x1
	v_fmac_f64_e32 v[166:167], v[164:165], v[144:145]
	s_wait_loadcnt 0x4
	s_delay_alu instid0(VALU_DEP_1)
	v_fmac_f64_e32 v[166:167], v[132:133], v[146:147]
	scratch_load_b128 v[144:147], off, off offset:448
	s_wait_dscnt 0x0
	v_fmac_f64_e32 v[166:167], v[134:135], v[148:149]
	scratch_load_b128 v[132:135], off, off offset:464
	s_wait_loadcnt 0x5
	v_fmac_f64_e32 v[166:167], v[158:159], v[150:151]
	ds_load_2addr_b64 v[148:151], v2 offset0:113 offset1:114
	ds_load_2addr_b64 v[156:159], v2 offset0:115 offset1:116
	s_wait_dscnt 0x1
	v_fmac_f64_e32 v[166:167], v[160:161], v[148:149]
	s_wait_loadcnt 0x4
	s_delay_alu instid0(VALU_DEP_1) | instskip(SKIP_4) | instid1(VALU_DEP_1)
	v_fmac_f64_e32 v[166:167], v[136:137], v[150:151]
	scratch_load_b128 v[148:151], off, off offset:480
	s_wait_dscnt 0x0
	v_fmac_f64_e32 v[166:167], v[138:139], v[156:157]
	s_wait_loadcnt 0x4
	v_fmac_f64_e32 v[166:167], v[152:153], v[158:159]
	scratch_load_b64 v[152:153], off, off offset:496
	ds_load_2addr_b64 v[136:139], v2 offset0:117 offset1:118
	ds_load_2addr_b64 v[156:159], v2 offset0:119 offset1:120
	s_wait_dscnt 0x1
	v_fmac_f64_e32 v[166:167], v[154:155], v[136:137]
	s_wait_loadcnt 0x4
	s_delay_alu instid0(VALU_DEP_1) | instskip(SKIP_1) | instid1(VALU_DEP_1)
	v_fmac_f64_e32 v[166:167], v[140:141], v[138:139]
	s_wait_dscnt 0x0
	v_fmac_f64_e32 v[166:167], v[142:143], v[156:157]
	ds_load_2addr_b64 v[136:139], v2 offset0:121 offset1:122
	ds_load_2addr_b64 v[140:143], v2 offset0:123 offset1:124
	s_wait_loadcnt 0x3
	v_fmac_f64_e32 v[166:167], v[144:145], v[158:159]
	s_wait_dscnt 0x1
	s_delay_alu instid0(VALU_DEP_1) | instskip(SKIP_1) | instid1(VALU_DEP_1)
	v_fmac_f64_e32 v[166:167], v[146:147], v[136:137]
	s_wait_loadcnt 0x2
	v_fmac_f64_e32 v[166:167], v[132:133], v[138:139]
	s_wait_dscnt 0x0
	s_delay_alu instid0(VALU_DEP_1) | instskip(SKIP_4) | instid1(VALU_DEP_1)
	v_fmac_f64_e32 v[166:167], v[134:135], v[140:141]
	ds_load_2addr_b64 v[132:135], v2 offset0:125 offset1:126
	s_wait_loadcnt 0x1
	v_fmac_f64_e32 v[166:167], v[148:149], v[142:143]
	s_wait_dscnt 0x0
	v_fmac_f64_e32 v[166:167], v[150:151], v[132:133]
	s_wait_loadcnt 0x0
	s_delay_alu instid0(VALU_DEP_1) | instskip(NEXT) | instid1(VALU_DEP_1)
	v_fmac_f64_e32 v[166:167], v[152:153], v[134:135]
	v_add_f64_e64 v[2:3], v[130:131], -v[166:167]
	scratch_store_b64 off, v[2:3], off offset:160
	s_wait_xcnt 0x0
	v_cmpx_lt_u32_e32 19, v0
	s_cbranch_execz .LBB62_349
; %bb.348:
	scratch_load_b64 v[2:3], off, off offset:152
	v_mov_b64_e32 v[130:131], 0
	scratch_store_b64 off, v[130:131], off offset:152
	s_wait_loadcnt 0x0
	ds_store_b64 v1, v[2:3]
.LBB62_349:
	s_wait_xcnt 0x0
	s_or_b32 exec_lo, exec_lo, s0
	s_wait_storecnt_dscnt 0x0
	s_barrier_signal -1
	s_barrier_wait -1
	s_clause 0x5
	scratch_load_b128 v[130:133], off, off offset:152
	scratch_load_b128 v[134:137], off, off offset:168
	;; [unrolled: 1-line block ×6, first 2 shown]
	v_mov_b32_e32 v2, 0
	ds_load_b128 v[154:157], v2 offset:672
	ds_load_b128 v[158:161], v2 offset:688
	scratch_load_b128 v[162:165], off, off offset:248
	s_mov_b32 s0, exec_lo
	s_wait_loadcnt_dscnt 0x601
	v_fma_f64 v[166:167], v[132:133], v[154:155], 0
	s_wait_loadcnt 0x5
	s_delay_alu instid0(VALU_DEP_1) | instskip(SKIP_4) | instid1(VALU_DEP_1)
	v_fmac_f64_e32 v[166:167], v[134:135], v[156:157]
	scratch_load_b128 v[132:135], off, off offset:264
	s_wait_dscnt 0x0
	v_fmac_f64_e32 v[166:167], v[136:137], v[158:159]
	s_wait_loadcnt 0x5
	v_fmac_f64_e32 v[166:167], v[138:139], v[160:161]
	ds_load_b128 v[136:139], v2 offset:704
	ds_load_b128 v[154:157], v2 offset:720
	scratch_load_b128 v[158:161], off, off offset:280
	s_wait_dscnt 0x1
	v_fmac_f64_e32 v[166:167], v[140:141], v[136:137]
	s_wait_loadcnt 0x5
	s_delay_alu instid0(VALU_DEP_1) | instskip(SKIP_4) | instid1(VALU_DEP_1)
	v_fmac_f64_e32 v[166:167], v[142:143], v[138:139]
	scratch_load_b128 v[136:139], off, off offset:296
	s_wait_dscnt 0x0
	v_fmac_f64_e32 v[166:167], v[144:145], v[154:155]
	s_wait_loadcnt 0x5
	v_fmac_f64_e32 v[166:167], v[146:147], v[156:157]
	ds_load_b128 v[140:143], v2 offset:736
	ds_load_b128 v[144:147], v2 offset:752
	scratch_load_b128 v[154:157], off, off offset:312
	s_wait_dscnt 0x1
	v_fmac_f64_e32 v[166:167], v[148:149], v[140:141]
	s_wait_loadcnt 0x5
	s_delay_alu instid0(VALU_DEP_1) | instskip(SKIP_4) | instid1(VALU_DEP_1)
	v_fmac_f64_e32 v[166:167], v[150:151], v[142:143]
	scratch_load_b128 v[140:143], off, off offset:328
	s_wait_dscnt 0x0
	v_fmac_f64_e32 v[166:167], v[152:153], v[144:145]
	s_wait_loadcnt 0x5
	v_fmac_f64_e32 v[166:167], v[162:163], v[146:147]
	ds_load_b128 v[144:147], v2 offset:768
	ds_load_b128 v[148:151], v2 offset:784
	s_wait_dscnt 0x1
	v_fmac_f64_e32 v[166:167], v[164:165], v[144:145]
	scratch_load_b128 v[162:165], off, off offset:344
	s_wait_loadcnt 0x5
	v_fmac_f64_e32 v[166:167], v[132:133], v[146:147]
	s_wait_dscnt 0x0
	s_delay_alu instid0(VALU_DEP_1)
	v_fmac_f64_e32 v[166:167], v[134:135], v[148:149]
	scratch_load_b128 v[132:135], off, off offset:360
	s_wait_loadcnt 0x5
	v_fmac_f64_e32 v[166:167], v[158:159], v[150:151]
	ds_load_b128 v[144:147], v2 offset:800
	ds_load_b128 v[148:151], v2 offset:816
	s_wait_dscnt 0x1
	v_fmac_f64_e32 v[166:167], v[160:161], v[144:145]
	scratch_load_b128 v[158:161], off, off offset:376
	s_wait_loadcnt 0x5
	v_fmac_f64_e32 v[166:167], v[136:137], v[146:147]
	s_wait_dscnt 0x0
	s_delay_alu instid0(VALU_DEP_1)
	v_fmac_f64_e32 v[166:167], v[138:139], v[148:149]
	scratch_load_b128 v[136:139], off, off offset:392
	s_wait_loadcnt 0x5
	v_fmac_f64_e32 v[166:167], v[154:155], v[150:151]
	ds_load_b128 v[144:147], v2 offset:832
	ds_load_b128 v[148:151], v2 offset:848
	scratch_load_b128 v[152:155], off, off offset:408
	s_wait_dscnt 0x1
	v_fmac_f64_e32 v[166:167], v[156:157], v[144:145]
	s_wait_loadcnt 0x5
	s_delay_alu instid0(VALU_DEP_1) | instskip(SKIP_1) | instid1(VALU_DEP_1)
	v_fmac_f64_e32 v[166:167], v[140:141], v[146:147]
	s_wait_dscnt 0x0
	v_fmac_f64_e32 v[166:167], v[142:143], v[148:149]
	scratch_load_b128 v[140:143], off, off offset:424
	s_wait_loadcnt 0x5
	v_fmac_f64_e32 v[166:167], v[162:163], v[150:151]
	ds_load_b128 v[144:147], v2 offset:864
	ds_load_b128 v[148:151], v2 offset:880
	s_wait_dscnt 0x1
	v_fmac_f64_e32 v[166:167], v[164:165], v[144:145]
	s_wait_loadcnt 0x4
	s_delay_alu instid0(VALU_DEP_1)
	v_fmac_f64_e32 v[166:167], v[132:133], v[146:147]
	scratch_load_b128 v[144:147], off, off offset:440
	s_wait_dscnt 0x0
	v_fmac_f64_e32 v[166:167], v[134:135], v[148:149]
	scratch_load_b128 v[132:135], off, off offset:456
	s_wait_loadcnt 0x5
	v_fmac_f64_e32 v[166:167], v[158:159], v[150:151]
	ds_load_b128 v[148:151], v2 offset:896
	ds_load_b128 v[156:159], v2 offset:912
	s_wait_dscnt 0x1
	v_fmac_f64_e32 v[166:167], v[160:161], v[148:149]
	s_wait_loadcnt 0x4
	s_delay_alu instid0(VALU_DEP_1)
	v_fmac_f64_e32 v[166:167], v[136:137], v[150:151]
	scratch_load_b128 v[148:151], off, off offset:472
	s_wait_dscnt 0x0
	v_fmac_f64_e32 v[166:167], v[138:139], v[156:157]
	scratch_load_b128 v[136:139], off, off offset:488
	s_wait_loadcnt 0x5
	v_fmac_f64_e32 v[166:167], v[152:153], v[158:159]
	ds_load_b128 v[156:159], v2 offset:928
	ds_load_b128 v[160:163], v2 offset:944
	s_wait_dscnt 0x1
	v_fmac_f64_e32 v[166:167], v[154:155], v[156:157]
	s_wait_loadcnt 0x4
	s_delay_alu instid0(VALU_DEP_1) | instskip(SKIP_1) | instid1(VALU_DEP_1)
	v_fmac_f64_e32 v[166:167], v[140:141], v[158:159]
	s_wait_dscnt 0x0
	v_fmac_f64_e32 v[166:167], v[142:143], v[160:161]
	ds_load_b128 v[140:143], v2 offset:960
	ds_load_b128 v[152:155], v2 offset:976
	s_wait_loadcnt 0x3
	v_fmac_f64_e32 v[166:167], v[144:145], v[162:163]
	s_wait_dscnt 0x1
	s_delay_alu instid0(VALU_DEP_1) | instskip(SKIP_1) | instid1(VALU_DEP_1)
	v_fmac_f64_e32 v[166:167], v[146:147], v[140:141]
	s_wait_loadcnt 0x2
	v_fmac_f64_e32 v[166:167], v[132:133], v[142:143]
	s_wait_dscnt 0x0
	s_delay_alu instid0(VALU_DEP_1)
	v_fmac_f64_e32 v[166:167], v[134:135], v[152:153]
	ds_load_b128 v[132:135], v2 offset:992
	ds_load_b64 v[140:141], v2 offset:1008
	s_wait_loadcnt 0x1
	v_fmac_f64_e32 v[166:167], v[148:149], v[154:155]
	s_wait_dscnt 0x1
	s_delay_alu instid0(VALU_DEP_1) | instskip(SKIP_1) | instid1(VALU_DEP_1)
	v_fmac_f64_e32 v[166:167], v[150:151], v[132:133]
	s_wait_loadcnt 0x0
	v_fmac_f64_e32 v[166:167], v[136:137], v[134:135]
	s_wait_dscnt 0x0
	s_delay_alu instid0(VALU_DEP_1) | instskip(NEXT) | instid1(VALU_DEP_1)
	v_fmac_f64_e32 v[166:167], v[138:139], v[140:141]
	v_add_f64_e64 v[130:131], v[130:131], -v[166:167]
	scratch_store_b64 off, v[130:131], off offset:152
	s_wait_xcnt 0x0
	v_cmpx_lt_u32_e32 18, v0
	s_cbranch_execz .LBB62_351
; %bb.350:
	scratch_load_b64 v[130:131], off, off offset:144
	v_mov_b64_e32 v[132:133], 0
	scratch_store_b64 off, v[132:133], off offset:144
	s_wait_loadcnt 0x0
	ds_store_b64 v1, v[130:131]
.LBB62_351:
	s_wait_xcnt 0x0
	s_or_b32 exec_lo, exec_lo, s0
	s_wait_storecnt_dscnt 0x0
	s_barrier_signal -1
	s_barrier_wait -1
	s_clause 0x5
	scratch_load_b128 v[130:133], off, off offset:144
	scratch_load_b128 v[134:137], off, off offset:160
	scratch_load_b128 v[138:141], off, off offset:176
	scratch_load_b128 v[142:145], off, off offset:192
	scratch_load_b128 v[146:149], off, off offset:208
	scratch_load_b128 v[150:153], off, off offset:224
	ds_load_2addr_b64 v[154:157], v2 offset0:83 offset1:84
	ds_load_2addr_b64 v[158:161], v2 offset0:85 offset1:86
	scratch_load_b128 v[162:165], off, off offset:240
	s_mov_b32 s0, exec_lo
	s_wait_loadcnt_dscnt 0x601
	v_fma_f64 v[166:167], v[132:133], v[154:155], 0
	s_wait_loadcnt 0x5
	s_delay_alu instid0(VALU_DEP_1) | instskip(SKIP_4) | instid1(VALU_DEP_1)
	v_fmac_f64_e32 v[166:167], v[134:135], v[156:157]
	scratch_load_b128 v[132:135], off, off offset:256
	s_wait_dscnt 0x0
	v_fmac_f64_e32 v[166:167], v[136:137], v[158:159]
	s_wait_loadcnt 0x5
	v_fmac_f64_e32 v[166:167], v[138:139], v[160:161]
	ds_load_2addr_b64 v[136:139], v2 offset0:87 offset1:88
	ds_load_2addr_b64 v[154:157], v2 offset0:89 offset1:90
	scratch_load_b128 v[158:161], off, off offset:272
	s_wait_dscnt 0x1
	v_fmac_f64_e32 v[166:167], v[140:141], v[136:137]
	s_wait_loadcnt 0x5
	s_delay_alu instid0(VALU_DEP_1) | instskip(SKIP_4) | instid1(VALU_DEP_1)
	v_fmac_f64_e32 v[166:167], v[142:143], v[138:139]
	scratch_load_b128 v[136:139], off, off offset:288
	s_wait_dscnt 0x0
	v_fmac_f64_e32 v[166:167], v[144:145], v[154:155]
	s_wait_loadcnt 0x5
	v_fmac_f64_e32 v[166:167], v[146:147], v[156:157]
	ds_load_2addr_b64 v[140:143], v2 offset0:91 offset1:92
	ds_load_2addr_b64 v[144:147], v2 offset0:93 offset1:94
	scratch_load_b128 v[154:157], off, off offset:304
	s_wait_dscnt 0x1
	v_fmac_f64_e32 v[166:167], v[148:149], v[140:141]
	s_wait_loadcnt 0x5
	s_delay_alu instid0(VALU_DEP_1) | instskip(SKIP_4) | instid1(VALU_DEP_1)
	v_fmac_f64_e32 v[166:167], v[150:151], v[142:143]
	scratch_load_b128 v[140:143], off, off offset:320
	s_wait_dscnt 0x0
	v_fmac_f64_e32 v[166:167], v[152:153], v[144:145]
	s_wait_loadcnt 0x5
	v_fmac_f64_e32 v[166:167], v[162:163], v[146:147]
	ds_load_2addr_b64 v[144:147], v2 offset0:95 offset1:96
	ds_load_2addr_b64 v[148:151], v2 offset0:97 offset1:98
	s_wait_dscnt 0x1
	v_fmac_f64_e32 v[166:167], v[164:165], v[144:145]
	scratch_load_b128 v[162:165], off, off offset:336
	s_wait_loadcnt 0x5
	v_fmac_f64_e32 v[166:167], v[132:133], v[146:147]
	s_wait_dscnt 0x0
	s_delay_alu instid0(VALU_DEP_1)
	v_fmac_f64_e32 v[166:167], v[134:135], v[148:149]
	scratch_load_b128 v[132:135], off, off offset:352
	s_wait_loadcnt 0x5
	v_fmac_f64_e32 v[166:167], v[158:159], v[150:151]
	ds_load_2addr_b64 v[144:147], v2 offset0:99 offset1:100
	ds_load_2addr_b64 v[148:151], v2 offset0:101 offset1:102
	s_wait_dscnt 0x1
	v_fmac_f64_e32 v[166:167], v[160:161], v[144:145]
	scratch_load_b128 v[158:161], off, off offset:368
	s_wait_loadcnt 0x5
	v_fmac_f64_e32 v[166:167], v[136:137], v[146:147]
	s_wait_dscnt 0x0
	s_delay_alu instid0(VALU_DEP_1)
	v_fmac_f64_e32 v[166:167], v[138:139], v[148:149]
	scratch_load_b128 v[136:139], off, off offset:384
	s_wait_loadcnt 0x5
	v_fmac_f64_e32 v[166:167], v[154:155], v[150:151]
	ds_load_2addr_b64 v[144:147], v2 offset0:103 offset1:104
	ds_load_2addr_b64 v[148:151], v2 offset0:105 offset1:106
	scratch_load_b128 v[152:155], off, off offset:400
	s_wait_dscnt 0x1
	v_fmac_f64_e32 v[166:167], v[156:157], v[144:145]
	s_wait_loadcnt 0x5
	s_delay_alu instid0(VALU_DEP_1) | instskip(SKIP_1) | instid1(VALU_DEP_1)
	v_fmac_f64_e32 v[166:167], v[140:141], v[146:147]
	s_wait_dscnt 0x0
	v_fmac_f64_e32 v[166:167], v[142:143], v[148:149]
	scratch_load_b128 v[140:143], off, off offset:416
	s_wait_loadcnt 0x5
	v_fmac_f64_e32 v[166:167], v[162:163], v[150:151]
	ds_load_2addr_b64 v[144:147], v2 offset0:107 offset1:108
	ds_load_2addr_b64 v[148:151], v2 offset0:109 offset1:110
	s_wait_dscnt 0x1
	v_fmac_f64_e32 v[166:167], v[164:165], v[144:145]
	s_wait_loadcnt 0x4
	s_delay_alu instid0(VALU_DEP_1)
	v_fmac_f64_e32 v[166:167], v[132:133], v[146:147]
	scratch_load_b128 v[144:147], off, off offset:432
	s_wait_dscnt 0x0
	v_fmac_f64_e32 v[166:167], v[134:135], v[148:149]
	scratch_load_b128 v[132:135], off, off offset:448
	s_wait_loadcnt 0x5
	v_fmac_f64_e32 v[166:167], v[158:159], v[150:151]
	ds_load_2addr_b64 v[148:151], v2 offset0:111 offset1:112
	ds_load_2addr_b64 v[156:159], v2 offset0:113 offset1:114
	s_wait_dscnt 0x1
	v_fmac_f64_e32 v[166:167], v[160:161], v[148:149]
	s_wait_loadcnt 0x4
	s_delay_alu instid0(VALU_DEP_1)
	v_fmac_f64_e32 v[166:167], v[136:137], v[150:151]
	scratch_load_b128 v[148:151], off, off offset:464
	s_wait_dscnt 0x0
	v_fmac_f64_e32 v[166:167], v[138:139], v[156:157]
	scratch_load_b128 v[136:139], off, off offset:480
	s_wait_loadcnt 0x5
	v_fmac_f64_e32 v[166:167], v[152:153], v[158:159]
	ds_load_2addr_b64 v[156:159], v2 offset0:115 offset1:116
	ds_load_2addr_b64 v[160:163], v2 offset0:117 offset1:118
	s_wait_dscnt 0x1
	v_fmac_f64_e32 v[166:167], v[154:155], v[156:157]
	scratch_load_b64 v[156:157], off, off offset:496
	s_wait_loadcnt 0x5
	v_fmac_f64_e32 v[166:167], v[140:141], v[158:159]
	s_wait_dscnt 0x0
	s_delay_alu instid0(VALU_DEP_1)
	v_fmac_f64_e32 v[166:167], v[142:143], v[160:161]
	ds_load_2addr_b64 v[140:143], v2 offset0:119 offset1:120
	ds_load_2addr_b64 v[152:155], v2 offset0:121 offset1:122
	s_wait_loadcnt 0x4
	v_fmac_f64_e32 v[166:167], v[144:145], v[162:163]
	s_wait_dscnt 0x1
	s_delay_alu instid0(VALU_DEP_1) | instskip(SKIP_1) | instid1(VALU_DEP_1)
	v_fmac_f64_e32 v[166:167], v[146:147], v[140:141]
	s_wait_loadcnt 0x3
	v_fmac_f64_e32 v[166:167], v[132:133], v[142:143]
	s_wait_dscnt 0x0
	s_delay_alu instid0(VALU_DEP_1)
	v_fmac_f64_e32 v[166:167], v[134:135], v[152:153]
	ds_load_2addr_b64 v[132:135], v2 offset0:123 offset1:124
	ds_load_2addr_b64 v[140:143], v2 offset0:125 offset1:126
	s_wait_loadcnt 0x2
	v_fmac_f64_e32 v[166:167], v[148:149], v[154:155]
	s_wait_dscnt 0x1
	s_delay_alu instid0(VALU_DEP_1) | instskip(SKIP_1) | instid1(VALU_DEP_1)
	v_fmac_f64_e32 v[166:167], v[150:151], v[132:133]
	s_wait_loadcnt 0x1
	v_fmac_f64_e32 v[166:167], v[136:137], v[134:135]
	s_wait_dscnt 0x0
	s_delay_alu instid0(VALU_DEP_1) | instskip(SKIP_1) | instid1(VALU_DEP_1)
	v_fmac_f64_e32 v[166:167], v[138:139], v[140:141]
	s_wait_loadcnt 0x0
	v_fmac_f64_e32 v[166:167], v[156:157], v[142:143]
	s_delay_alu instid0(VALU_DEP_1)
	v_add_f64_e64 v[2:3], v[130:131], -v[166:167]
	scratch_store_b64 off, v[2:3], off offset:144
	s_wait_xcnt 0x0
	v_cmpx_lt_u32_e32 17, v0
	s_cbranch_execz .LBB62_353
; %bb.352:
	scratch_load_b64 v[2:3], off, off offset:136
	v_mov_b64_e32 v[130:131], 0
	scratch_store_b64 off, v[130:131], off offset:136
	s_wait_loadcnt 0x0
	ds_store_b64 v1, v[2:3]
.LBB62_353:
	s_wait_xcnt 0x0
	s_or_b32 exec_lo, exec_lo, s0
	s_wait_storecnt_dscnt 0x0
	s_barrier_signal -1
	s_barrier_wait -1
	s_clause 0x5
	scratch_load_b128 v[130:133], off, off offset:136
	scratch_load_b128 v[134:137], off, off offset:152
	;; [unrolled: 1-line block ×6, first 2 shown]
	v_mov_b32_e32 v2, 0
	ds_load_b128 v[154:157], v2 offset:656
	ds_load_b128 v[158:161], v2 offset:672
	scratch_load_b128 v[162:165], off, off offset:232
	s_mov_b32 s0, exec_lo
	s_wait_loadcnt_dscnt 0x601
	v_fma_f64 v[166:167], v[132:133], v[154:155], 0
	s_wait_loadcnt 0x5
	s_delay_alu instid0(VALU_DEP_1) | instskip(SKIP_4) | instid1(VALU_DEP_1)
	v_fmac_f64_e32 v[166:167], v[134:135], v[156:157]
	scratch_load_b128 v[132:135], off, off offset:248
	s_wait_dscnt 0x0
	v_fmac_f64_e32 v[166:167], v[136:137], v[158:159]
	s_wait_loadcnt 0x5
	v_fmac_f64_e32 v[166:167], v[138:139], v[160:161]
	ds_load_b128 v[136:139], v2 offset:688
	ds_load_b128 v[154:157], v2 offset:704
	scratch_load_b128 v[158:161], off, off offset:264
	s_wait_dscnt 0x1
	v_fmac_f64_e32 v[166:167], v[140:141], v[136:137]
	s_wait_loadcnt 0x5
	s_delay_alu instid0(VALU_DEP_1) | instskip(SKIP_4) | instid1(VALU_DEP_1)
	v_fmac_f64_e32 v[166:167], v[142:143], v[138:139]
	scratch_load_b128 v[136:139], off, off offset:280
	s_wait_dscnt 0x0
	v_fmac_f64_e32 v[166:167], v[144:145], v[154:155]
	s_wait_loadcnt 0x5
	v_fmac_f64_e32 v[166:167], v[146:147], v[156:157]
	ds_load_b128 v[140:143], v2 offset:720
	ds_load_b128 v[144:147], v2 offset:736
	scratch_load_b128 v[154:157], off, off offset:296
	s_wait_dscnt 0x1
	v_fmac_f64_e32 v[166:167], v[148:149], v[140:141]
	s_wait_loadcnt 0x5
	s_delay_alu instid0(VALU_DEP_1) | instskip(SKIP_4) | instid1(VALU_DEP_1)
	v_fmac_f64_e32 v[166:167], v[150:151], v[142:143]
	scratch_load_b128 v[140:143], off, off offset:312
	s_wait_dscnt 0x0
	v_fmac_f64_e32 v[166:167], v[152:153], v[144:145]
	s_wait_loadcnt 0x5
	v_fmac_f64_e32 v[166:167], v[162:163], v[146:147]
	ds_load_b128 v[144:147], v2 offset:752
	ds_load_b128 v[148:151], v2 offset:768
	s_wait_dscnt 0x1
	v_fmac_f64_e32 v[166:167], v[164:165], v[144:145]
	scratch_load_b128 v[162:165], off, off offset:328
	s_wait_loadcnt 0x5
	v_fmac_f64_e32 v[166:167], v[132:133], v[146:147]
	s_wait_dscnt 0x0
	s_delay_alu instid0(VALU_DEP_1)
	v_fmac_f64_e32 v[166:167], v[134:135], v[148:149]
	scratch_load_b128 v[132:135], off, off offset:344
	s_wait_loadcnt 0x5
	v_fmac_f64_e32 v[166:167], v[158:159], v[150:151]
	ds_load_b128 v[144:147], v2 offset:784
	ds_load_b128 v[148:151], v2 offset:800
	s_wait_dscnt 0x1
	v_fmac_f64_e32 v[166:167], v[160:161], v[144:145]
	scratch_load_b128 v[158:161], off, off offset:360
	s_wait_loadcnt 0x5
	v_fmac_f64_e32 v[166:167], v[136:137], v[146:147]
	s_wait_dscnt 0x0
	s_delay_alu instid0(VALU_DEP_1)
	v_fmac_f64_e32 v[166:167], v[138:139], v[148:149]
	scratch_load_b128 v[136:139], off, off offset:376
	s_wait_loadcnt 0x5
	v_fmac_f64_e32 v[166:167], v[154:155], v[150:151]
	ds_load_b128 v[144:147], v2 offset:816
	ds_load_b128 v[148:151], v2 offset:832
	scratch_load_b128 v[152:155], off, off offset:392
	s_wait_dscnt 0x1
	v_fmac_f64_e32 v[166:167], v[156:157], v[144:145]
	s_wait_loadcnt 0x5
	s_delay_alu instid0(VALU_DEP_1) | instskip(SKIP_1) | instid1(VALU_DEP_1)
	v_fmac_f64_e32 v[166:167], v[140:141], v[146:147]
	s_wait_dscnt 0x0
	v_fmac_f64_e32 v[166:167], v[142:143], v[148:149]
	scratch_load_b128 v[140:143], off, off offset:408
	s_wait_loadcnt 0x5
	v_fmac_f64_e32 v[166:167], v[162:163], v[150:151]
	ds_load_b128 v[144:147], v2 offset:848
	ds_load_b128 v[148:151], v2 offset:864
	s_wait_dscnt 0x1
	v_fmac_f64_e32 v[166:167], v[164:165], v[144:145]
	s_wait_loadcnt 0x4
	s_delay_alu instid0(VALU_DEP_1)
	v_fmac_f64_e32 v[166:167], v[132:133], v[146:147]
	scratch_load_b128 v[144:147], off, off offset:424
	s_wait_dscnt 0x0
	v_fmac_f64_e32 v[166:167], v[134:135], v[148:149]
	scratch_load_b128 v[132:135], off, off offset:440
	s_wait_loadcnt 0x5
	v_fmac_f64_e32 v[166:167], v[158:159], v[150:151]
	ds_load_b128 v[148:151], v2 offset:880
	ds_load_b128 v[156:159], v2 offset:896
	s_wait_dscnt 0x1
	v_fmac_f64_e32 v[166:167], v[160:161], v[148:149]
	s_wait_loadcnt 0x4
	s_delay_alu instid0(VALU_DEP_1)
	v_fmac_f64_e32 v[166:167], v[136:137], v[150:151]
	scratch_load_b128 v[148:151], off, off offset:456
	s_wait_dscnt 0x0
	v_fmac_f64_e32 v[166:167], v[138:139], v[156:157]
	scratch_load_b128 v[136:139], off, off offset:472
	s_wait_loadcnt 0x5
	v_fmac_f64_e32 v[166:167], v[152:153], v[158:159]
	ds_load_b128 v[156:159], v2 offset:912
	ds_load_b128 v[160:163], v2 offset:928
	s_wait_dscnt 0x1
	v_fmac_f64_e32 v[166:167], v[154:155], v[156:157]
	scratch_load_b128 v[152:155], off, off offset:488
	s_wait_loadcnt 0x5
	v_fmac_f64_e32 v[166:167], v[140:141], v[158:159]
	s_wait_dscnt 0x0
	s_delay_alu instid0(VALU_DEP_1)
	v_fmac_f64_e32 v[166:167], v[142:143], v[160:161]
	ds_load_b128 v[140:143], v2 offset:944
	ds_load_b128 v[156:159], v2 offset:960
	s_wait_loadcnt 0x4
	v_fmac_f64_e32 v[166:167], v[144:145], v[162:163]
	s_wait_dscnt 0x1
	s_delay_alu instid0(VALU_DEP_1) | instskip(SKIP_1) | instid1(VALU_DEP_1)
	v_fmac_f64_e32 v[166:167], v[146:147], v[140:141]
	s_wait_loadcnt 0x3
	v_fmac_f64_e32 v[166:167], v[132:133], v[142:143]
	s_wait_dscnt 0x0
	s_delay_alu instid0(VALU_DEP_1)
	v_fmac_f64_e32 v[166:167], v[134:135], v[156:157]
	ds_load_b128 v[132:135], v2 offset:976
	ds_load_b128 v[140:143], v2 offset:992
	s_wait_loadcnt 0x2
	v_fmac_f64_e32 v[166:167], v[148:149], v[158:159]
	s_wait_dscnt 0x1
	s_delay_alu instid0(VALU_DEP_1) | instskip(SKIP_4) | instid1(VALU_DEP_1)
	v_fmac_f64_e32 v[166:167], v[150:151], v[132:133]
	ds_load_b64 v[132:133], v2 offset:1008
	s_wait_loadcnt 0x1
	v_fmac_f64_e32 v[166:167], v[136:137], v[134:135]
	s_wait_dscnt 0x1
	v_fmac_f64_e32 v[166:167], v[138:139], v[140:141]
	s_wait_loadcnt 0x0
	s_delay_alu instid0(VALU_DEP_1) | instskip(SKIP_1) | instid1(VALU_DEP_1)
	v_fmac_f64_e32 v[166:167], v[152:153], v[142:143]
	s_wait_dscnt 0x0
	v_fmac_f64_e32 v[166:167], v[154:155], v[132:133]
	s_delay_alu instid0(VALU_DEP_1)
	v_add_f64_e64 v[130:131], v[130:131], -v[166:167]
	scratch_store_b64 off, v[130:131], off offset:136
	s_wait_xcnt 0x0
	v_cmpx_lt_u32_e32 16, v0
	s_cbranch_execz .LBB62_355
; %bb.354:
	scratch_load_b64 v[130:131], off, off offset:128
	v_mov_b64_e32 v[132:133], 0
	scratch_store_b64 off, v[132:133], off offset:128
	s_wait_loadcnt 0x0
	ds_store_b64 v1, v[130:131]
.LBB62_355:
	s_wait_xcnt 0x0
	s_or_b32 exec_lo, exec_lo, s0
	s_wait_storecnt_dscnt 0x0
	s_barrier_signal -1
	s_barrier_wait -1
	s_clause 0x5
	scratch_load_b128 v[130:133], off, off offset:128
	scratch_load_b128 v[134:137], off, off offset:144
	;; [unrolled: 1-line block ×6, first 2 shown]
	ds_load_2addr_b64 v[154:157], v2 offset0:81 offset1:82
	ds_load_2addr_b64 v[158:161], v2 offset0:83 offset1:84
	scratch_load_b128 v[162:165], off, off offset:224
	s_mov_b32 s0, exec_lo
	s_wait_loadcnt_dscnt 0x601
	v_fma_f64 v[166:167], v[132:133], v[154:155], 0
	s_wait_loadcnt 0x5
	s_delay_alu instid0(VALU_DEP_1) | instskip(SKIP_4) | instid1(VALU_DEP_1)
	v_fmac_f64_e32 v[166:167], v[134:135], v[156:157]
	scratch_load_b128 v[132:135], off, off offset:240
	s_wait_dscnt 0x0
	v_fmac_f64_e32 v[166:167], v[136:137], v[158:159]
	s_wait_loadcnt 0x5
	v_fmac_f64_e32 v[166:167], v[138:139], v[160:161]
	ds_load_2addr_b64 v[136:139], v2 offset0:85 offset1:86
	ds_load_2addr_b64 v[154:157], v2 offset0:87 offset1:88
	scratch_load_b128 v[158:161], off, off offset:256
	s_wait_dscnt 0x1
	v_fmac_f64_e32 v[166:167], v[140:141], v[136:137]
	s_wait_loadcnt 0x5
	s_delay_alu instid0(VALU_DEP_1) | instskip(SKIP_4) | instid1(VALU_DEP_1)
	v_fmac_f64_e32 v[166:167], v[142:143], v[138:139]
	scratch_load_b128 v[136:139], off, off offset:272
	s_wait_dscnt 0x0
	v_fmac_f64_e32 v[166:167], v[144:145], v[154:155]
	s_wait_loadcnt 0x5
	v_fmac_f64_e32 v[166:167], v[146:147], v[156:157]
	ds_load_2addr_b64 v[140:143], v2 offset0:89 offset1:90
	ds_load_2addr_b64 v[144:147], v2 offset0:91 offset1:92
	scratch_load_b128 v[154:157], off, off offset:288
	s_wait_dscnt 0x1
	v_fmac_f64_e32 v[166:167], v[148:149], v[140:141]
	s_wait_loadcnt 0x5
	s_delay_alu instid0(VALU_DEP_1) | instskip(SKIP_4) | instid1(VALU_DEP_1)
	v_fmac_f64_e32 v[166:167], v[150:151], v[142:143]
	scratch_load_b128 v[140:143], off, off offset:304
	s_wait_dscnt 0x0
	v_fmac_f64_e32 v[166:167], v[152:153], v[144:145]
	s_wait_loadcnt 0x5
	v_fmac_f64_e32 v[166:167], v[162:163], v[146:147]
	ds_load_2addr_b64 v[144:147], v2 offset0:93 offset1:94
	ds_load_2addr_b64 v[148:151], v2 offset0:95 offset1:96
	s_wait_dscnt 0x1
	v_fmac_f64_e32 v[166:167], v[164:165], v[144:145]
	scratch_load_b128 v[162:165], off, off offset:320
	s_wait_loadcnt 0x5
	v_fmac_f64_e32 v[166:167], v[132:133], v[146:147]
	s_wait_dscnt 0x0
	s_delay_alu instid0(VALU_DEP_1)
	v_fmac_f64_e32 v[166:167], v[134:135], v[148:149]
	scratch_load_b128 v[132:135], off, off offset:336
	s_wait_loadcnt 0x5
	v_fmac_f64_e32 v[166:167], v[158:159], v[150:151]
	ds_load_2addr_b64 v[144:147], v2 offset0:97 offset1:98
	ds_load_2addr_b64 v[148:151], v2 offset0:99 offset1:100
	s_wait_dscnt 0x1
	v_fmac_f64_e32 v[166:167], v[160:161], v[144:145]
	scratch_load_b128 v[158:161], off, off offset:352
	s_wait_loadcnt 0x5
	v_fmac_f64_e32 v[166:167], v[136:137], v[146:147]
	s_wait_dscnt 0x0
	s_delay_alu instid0(VALU_DEP_1)
	v_fmac_f64_e32 v[166:167], v[138:139], v[148:149]
	scratch_load_b128 v[136:139], off, off offset:368
	s_wait_loadcnt 0x5
	v_fmac_f64_e32 v[166:167], v[154:155], v[150:151]
	ds_load_2addr_b64 v[144:147], v2 offset0:101 offset1:102
	ds_load_2addr_b64 v[148:151], v2 offset0:103 offset1:104
	scratch_load_b128 v[152:155], off, off offset:384
	s_wait_dscnt 0x1
	v_fmac_f64_e32 v[166:167], v[156:157], v[144:145]
	s_wait_loadcnt 0x5
	s_delay_alu instid0(VALU_DEP_1) | instskip(SKIP_1) | instid1(VALU_DEP_1)
	v_fmac_f64_e32 v[166:167], v[140:141], v[146:147]
	s_wait_dscnt 0x0
	v_fmac_f64_e32 v[166:167], v[142:143], v[148:149]
	scratch_load_b128 v[140:143], off, off offset:400
	s_wait_loadcnt 0x5
	v_fmac_f64_e32 v[166:167], v[162:163], v[150:151]
	ds_load_2addr_b64 v[144:147], v2 offset0:105 offset1:106
	ds_load_2addr_b64 v[148:151], v2 offset0:107 offset1:108
	s_wait_dscnt 0x1
	v_fmac_f64_e32 v[166:167], v[164:165], v[144:145]
	scratch_load_b128 v[162:165], off, off offset:416
	s_wait_loadcnt 0x5
	v_fmac_f64_e32 v[166:167], v[132:133], v[146:147]
	s_wait_dscnt 0x0
	s_delay_alu instid0(VALU_DEP_1)
	v_fmac_f64_e32 v[166:167], v[134:135], v[148:149]
	scratch_load_b128 v[132:135], off, off offset:432
	s_wait_loadcnt 0x5
	v_fmac_f64_e32 v[166:167], v[158:159], v[150:151]
	ds_load_2addr_b64 v[144:147], v2 offset0:109 offset1:110
	ds_load_2addr_b64 v[148:151], v2 offset0:111 offset1:112
	s_wait_dscnt 0x1
	v_fmac_f64_e32 v[166:167], v[160:161], v[144:145]
	s_wait_loadcnt 0x4
	s_delay_alu instid0(VALU_DEP_1)
	v_fmac_f64_e32 v[166:167], v[136:137], v[146:147]
	scratch_load_b128 v[144:147], off, off offset:448
	s_wait_dscnt 0x0
	v_fmac_f64_e32 v[166:167], v[138:139], v[148:149]
	scratch_load_b128 v[136:139], off, off offset:464
	s_wait_loadcnt 0x5
	v_fmac_f64_e32 v[166:167], v[152:153], v[150:151]
	ds_load_2addr_b64 v[148:151], v2 offset0:113 offset1:114
	ds_load_2addr_b64 v[156:159], v2 offset0:115 offset1:116
	s_wait_dscnt 0x1
	v_fmac_f64_e32 v[166:167], v[154:155], v[148:149]
	s_wait_loadcnt 0x4
	s_delay_alu instid0(VALU_DEP_1)
	v_fmac_f64_e32 v[166:167], v[140:141], v[150:151]
	scratch_load_b128 v[148:151], off, off offset:480
	s_wait_dscnt 0x0
	v_fmac_f64_e32 v[166:167], v[142:143], v[156:157]
	scratch_load_b64 v[156:157], off, off offset:496
	ds_load_2addr_b64 v[140:143], v2 offset0:117 offset1:118
	ds_load_2addr_b64 v[152:155], v2 offset0:119 offset1:120
	s_wait_loadcnt 0x5
	v_fmac_f64_e32 v[166:167], v[162:163], v[158:159]
	s_wait_dscnt 0x1
	s_delay_alu instid0(VALU_DEP_1) | instskip(SKIP_1) | instid1(VALU_DEP_1)
	v_fmac_f64_e32 v[166:167], v[164:165], v[140:141]
	s_wait_loadcnt 0x4
	v_fmac_f64_e32 v[166:167], v[132:133], v[142:143]
	s_wait_dscnt 0x0
	s_delay_alu instid0(VALU_DEP_1)
	v_fmac_f64_e32 v[166:167], v[134:135], v[152:153]
	ds_load_2addr_b64 v[132:135], v2 offset0:121 offset1:122
	ds_load_2addr_b64 v[140:143], v2 offset0:123 offset1:124
	s_wait_loadcnt 0x3
	v_fmac_f64_e32 v[166:167], v[144:145], v[154:155]
	s_wait_dscnt 0x1
	s_delay_alu instid0(VALU_DEP_1) | instskip(SKIP_1) | instid1(VALU_DEP_1)
	v_fmac_f64_e32 v[166:167], v[146:147], v[132:133]
	s_wait_loadcnt 0x2
	v_fmac_f64_e32 v[166:167], v[136:137], v[134:135]
	ds_load_2addr_b64 v[132:135], v2 offset0:125 offset1:126
	s_wait_dscnt 0x1
	v_fmac_f64_e32 v[166:167], v[138:139], v[140:141]
	s_wait_loadcnt 0x1
	s_delay_alu instid0(VALU_DEP_1) | instskip(SKIP_1) | instid1(VALU_DEP_1)
	v_fmac_f64_e32 v[166:167], v[148:149], v[142:143]
	s_wait_dscnt 0x0
	v_fmac_f64_e32 v[166:167], v[150:151], v[132:133]
	s_wait_loadcnt 0x0
	s_delay_alu instid0(VALU_DEP_1) | instskip(NEXT) | instid1(VALU_DEP_1)
	v_fmac_f64_e32 v[166:167], v[156:157], v[134:135]
	v_add_f64_e64 v[2:3], v[130:131], -v[166:167]
	scratch_store_b64 off, v[2:3], off offset:128
	s_wait_xcnt 0x0
	v_cmpx_lt_u32_e32 15, v0
	s_cbranch_execz .LBB62_357
; %bb.356:
	scratch_load_b64 v[2:3], off, off offset:120
	v_mov_b64_e32 v[130:131], 0
	scratch_store_b64 off, v[130:131], off offset:120
	s_wait_loadcnt 0x0
	ds_store_b64 v1, v[2:3]
.LBB62_357:
	s_wait_xcnt 0x0
	s_or_b32 exec_lo, exec_lo, s0
	s_wait_storecnt_dscnt 0x0
	s_barrier_signal -1
	s_barrier_wait -1
	s_clause 0x5
	scratch_load_b128 v[130:133], off, off offset:120
	scratch_load_b128 v[134:137], off, off offset:136
	;; [unrolled: 1-line block ×6, first 2 shown]
	v_mov_b32_e32 v2, 0
	ds_load_b128 v[154:157], v2 offset:640
	ds_load_b128 v[158:161], v2 offset:656
	scratch_load_b128 v[162:165], off, off offset:216
	s_mov_b32 s0, exec_lo
	s_wait_loadcnt_dscnt 0x601
	v_fma_f64 v[166:167], v[132:133], v[154:155], 0
	s_wait_loadcnt 0x5
	s_delay_alu instid0(VALU_DEP_1) | instskip(SKIP_4) | instid1(VALU_DEP_1)
	v_fmac_f64_e32 v[166:167], v[134:135], v[156:157]
	scratch_load_b128 v[132:135], off, off offset:232
	s_wait_dscnt 0x0
	v_fmac_f64_e32 v[166:167], v[136:137], v[158:159]
	s_wait_loadcnt 0x5
	v_fmac_f64_e32 v[166:167], v[138:139], v[160:161]
	ds_load_b128 v[136:139], v2 offset:672
	ds_load_b128 v[154:157], v2 offset:688
	scratch_load_b128 v[158:161], off, off offset:248
	s_wait_dscnt 0x1
	v_fmac_f64_e32 v[166:167], v[140:141], v[136:137]
	s_wait_loadcnt 0x5
	s_delay_alu instid0(VALU_DEP_1) | instskip(SKIP_4) | instid1(VALU_DEP_1)
	v_fmac_f64_e32 v[166:167], v[142:143], v[138:139]
	scratch_load_b128 v[136:139], off, off offset:264
	s_wait_dscnt 0x0
	v_fmac_f64_e32 v[166:167], v[144:145], v[154:155]
	s_wait_loadcnt 0x5
	v_fmac_f64_e32 v[166:167], v[146:147], v[156:157]
	ds_load_b128 v[140:143], v2 offset:704
	ds_load_b128 v[144:147], v2 offset:720
	scratch_load_b128 v[154:157], off, off offset:280
	s_wait_dscnt 0x1
	v_fmac_f64_e32 v[166:167], v[148:149], v[140:141]
	s_wait_loadcnt 0x5
	s_delay_alu instid0(VALU_DEP_1) | instskip(SKIP_4) | instid1(VALU_DEP_1)
	v_fmac_f64_e32 v[166:167], v[150:151], v[142:143]
	scratch_load_b128 v[140:143], off, off offset:296
	s_wait_dscnt 0x0
	v_fmac_f64_e32 v[166:167], v[152:153], v[144:145]
	s_wait_loadcnt 0x5
	v_fmac_f64_e32 v[166:167], v[162:163], v[146:147]
	ds_load_b128 v[144:147], v2 offset:736
	ds_load_b128 v[148:151], v2 offset:752
	s_wait_dscnt 0x1
	v_fmac_f64_e32 v[166:167], v[164:165], v[144:145]
	scratch_load_b128 v[162:165], off, off offset:312
	s_wait_loadcnt 0x5
	v_fmac_f64_e32 v[166:167], v[132:133], v[146:147]
	s_wait_dscnt 0x0
	s_delay_alu instid0(VALU_DEP_1)
	v_fmac_f64_e32 v[166:167], v[134:135], v[148:149]
	scratch_load_b128 v[132:135], off, off offset:328
	s_wait_loadcnt 0x5
	v_fmac_f64_e32 v[166:167], v[158:159], v[150:151]
	ds_load_b128 v[144:147], v2 offset:768
	ds_load_b128 v[148:151], v2 offset:784
	s_wait_dscnt 0x1
	v_fmac_f64_e32 v[166:167], v[160:161], v[144:145]
	scratch_load_b128 v[158:161], off, off offset:344
	s_wait_loadcnt 0x5
	v_fmac_f64_e32 v[166:167], v[136:137], v[146:147]
	s_wait_dscnt 0x0
	s_delay_alu instid0(VALU_DEP_1)
	v_fmac_f64_e32 v[166:167], v[138:139], v[148:149]
	scratch_load_b128 v[136:139], off, off offset:360
	s_wait_loadcnt 0x5
	v_fmac_f64_e32 v[166:167], v[154:155], v[150:151]
	ds_load_b128 v[144:147], v2 offset:800
	ds_load_b128 v[148:151], v2 offset:816
	scratch_load_b128 v[152:155], off, off offset:376
	s_wait_dscnt 0x1
	v_fmac_f64_e32 v[166:167], v[156:157], v[144:145]
	s_wait_loadcnt 0x5
	s_delay_alu instid0(VALU_DEP_1) | instskip(SKIP_1) | instid1(VALU_DEP_1)
	v_fmac_f64_e32 v[166:167], v[140:141], v[146:147]
	s_wait_dscnt 0x0
	v_fmac_f64_e32 v[166:167], v[142:143], v[148:149]
	scratch_load_b128 v[140:143], off, off offset:392
	s_wait_loadcnt 0x5
	v_fmac_f64_e32 v[166:167], v[162:163], v[150:151]
	ds_load_b128 v[144:147], v2 offset:832
	ds_load_b128 v[148:151], v2 offset:848
	s_wait_dscnt 0x1
	v_fmac_f64_e32 v[166:167], v[164:165], v[144:145]
	scratch_load_b128 v[162:165], off, off offset:408
	s_wait_loadcnt 0x5
	v_fmac_f64_e32 v[166:167], v[132:133], v[146:147]
	s_wait_dscnt 0x0
	s_delay_alu instid0(VALU_DEP_1)
	v_fmac_f64_e32 v[166:167], v[134:135], v[148:149]
	scratch_load_b128 v[132:135], off, off offset:424
	s_wait_loadcnt 0x5
	v_fmac_f64_e32 v[166:167], v[158:159], v[150:151]
	ds_load_b128 v[144:147], v2 offset:864
	ds_load_b128 v[148:151], v2 offset:880
	s_wait_dscnt 0x1
	v_fmac_f64_e32 v[166:167], v[160:161], v[144:145]
	s_wait_loadcnt 0x4
	s_delay_alu instid0(VALU_DEP_1)
	v_fmac_f64_e32 v[166:167], v[136:137], v[146:147]
	scratch_load_b128 v[144:147], off, off offset:440
	s_wait_dscnt 0x0
	v_fmac_f64_e32 v[166:167], v[138:139], v[148:149]
	scratch_load_b128 v[136:139], off, off offset:456
	s_wait_loadcnt 0x5
	v_fmac_f64_e32 v[166:167], v[152:153], v[150:151]
	ds_load_b128 v[148:151], v2 offset:896
	ds_load_b128 v[156:159], v2 offset:912
	s_wait_dscnt 0x1
	v_fmac_f64_e32 v[166:167], v[154:155], v[148:149]
	s_wait_loadcnt 0x4
	s_delay_alu instid0(VALU_DEP_1)
	v_fmac_f64_e32 v[166:167], v[140:141], v[150:151]
	scratch_load_b128 v[148:151], off, off offset:472
	s_wait_dscnt 0x0
	v_fmac_f64_e32 v[166:167], v[142:143], v[156:157]
	scratch_load_b128 v[140:143], off, off offset:488
	s_wait_loadcnt 0x5
	v_fmac_f64_e32 v[166:167], v[162:163], v[158:159]
	ds_load_b128 v[152:155], v2 offset:928
	ds_load_b128 v[156:159], v2 offset:944
	s_wait_dscnt 0x1
	v_fmac_f64_e32 v[166:167], v[164:165], v[152:153]
	s_wait_loadcnt 0x4
	s_delay_alu instid0(VALU_DEP_1) | instskip(SKIP_1) | instid1(VALU_DEP_1)
	v_fmac_f64_e32 v[166:167], v[132:133], v[154:155]
	s_wait_dscnt 0x0
	v_fmac_f64_e32 v[166:167], v[134:135], v[156:157]
	ds_load_b128 v[132:135], v2 offset:960
	ds_load_b128 v[152:155], v2 offset:976
	s_wait_loadcnt 0x3
	v_fmac_f64_e32 v[166:167], v[144:145], v[158:159]
	s_wait_dscnt 0x1
	s_delay_alu instid0(VALU_DEP_1) | instskip(SKIP_1) | instid1(VALU_DEP_1)
	v_fmac_f64_e32 v[166:167], v[146:147], v[132:133]
	s_wait_loadcnt 0x2
	v_fmac_f64_e32 v[166:167], v[136:137], v[134:135]
	ds_load_b128 v[132:135], v2 offset:992
	ds_load_b64 v[136:137], v2 offset:1008
	s_wait_dscnt 0x2
	v_fmac_f64_e32 v[166:167], v[138:139], v[152:153]
	s_wait_loadcnt 0x1
	s_delay_alu instid0(VALU_DEP_1) | instskip(SKIP_1) | instid1(VALU_DEP_1)
	v_fmac_f64_e32 v[166:167], v[148:149], v[154:155]
	s_wait_dscnt 0x1
	v_fmac_f64_e32 v[166:167], v[150:151], v[132:133]
	s_wait_loadcnt 0x0
	s_delay_alu instid0(VALU_DEP_1) | instskip(SKIP_1) | instid1(VALU_DEP_1)
	v_fmac_f64_e32 v[166:167], v[140:141], v[134:135]
	s_wait_dscnt 0x0
	v_fmac_f64_e32 v[166:167], v[142:143], v[136:137]
	s_delay_alu instid0(VALU_DEP_1)
	v_add_f64_e64 v[130:131], v[130:131], -v[166:167]
	scratch_store_b64 off, v[130:131], off offset:120
	s_wait_xcnt 0x0
	v_cmpx_lt_u32_e32 14, v0
	s_cbranch_execz .LBB62_359
; %bb.358:
	scratch_load_b64 v[130:131], off, off offset:112
	v_mov_b64_e32 v[132:133], 0
	scratch_store_b64 off, v[132:133], off offset:112
	s_wait_loadcnt 0x0
	ds_store_b64 v1, v[130:131]
.LBB62_359:
	s_wait_xcnt 0x0
	s_or_b32 exec_lo, exec_lo, s0
	s_wait_storecnt_dscnt 0x0
	s_barrier_signal -1
	s_barrier_wait -1
	s_clause 0x5
	scratch_load_b128 v[130:133], off, off offset:112
	scratch_load_b128 v[134:137], off, off offset:128
	;; [unrolled: 1-line block ×6, first 2 shown]
	ds_load_2addr_b64 v[154:157], v2 offset0:79 offset1:80
	ds_load_2addr_b64 v[158:161], v2 offset0:81 offset1:82
	scratch_load_b128 v[162:165], off, off offset:208
	s_mov_b32 s0, exec_lo
	s_wait_loadcnt_dscnt 0x601
	v_fma_f64 v[166:167], v[132:133], v[154:155], 0
	s_wait_loadcnt 0x5
	s_delay_alu instid0(VALU_DEP_1) | instskip(SKIP_4) | instid1(VALU_DEP_1)
	v_fmac_f64_e32 v[166:167], v[134:135], v[156:157]
	scratch_load_b128 v[132:135], off, off offset:224
	s_wait_dscnt 0x0
	v_fmac_f64_e32 v[166:167], v[136:137], v[158:159]
	s_wait_loadcnt 0x5
	v_fmac_f64_e32 v[166:167], v[138:139], v[160:161]
	ds_load_2addr_b64 v[136:139], v2 offset0:83 offset1:84
	ds_load_2addr_b64 v[154:157], v2 offset0:85 offset1:86
	scratch_load_b128 v[158:161], off, off offset:240
	s_wait_dscnt 0x1
	v_fmac_f64_e32 v[166:167], v[140:141], v[136:137]
	s_wait_loadcnt 0x5
	s_delay_alu instid0(VALU_DEP_1) | instskip(SKIP_4) | instid1(VALU_DEP_1)
	v_fmac_f64_e32 v[166:167], v[142:143], v[138:139]
	scratch_load_b128 v[136:139], off, off offset:256
	s_wait_dscnt 0x0
	v_fmac_f64_e32 v[166:167], v[144:145], v[154:155]
	s_wait_loadcnt 0x5
	v_fmac_f64_e32 v[166:167], v[146:147], v[156:157]
	ds_load_2addr_b64 v[140:143], v2 offset0:87 offset1:88
	ds_load_2addr_b64 v[144:147], v2 offset0:89 offset1:90
	scratch_load_b128 v[154:157], off, off offset:272
	s_wait_dscnt 0x1
	v_fmac_f64_e32 v[166:167], v[148:149], v[140:141]
	s_wait_loadcnt 0x5
	s_delay_alu instid0(VALU_DEP_1) | instskip(SKIP_4) | instid1(VALU_DEP_1)
	v_fmac_f64_e32 v[166:167], v[150:151], v[142:143]
	scratch_load_b128 v[140:143], off, off offset:288
	s_wait_dscnt 0x0
	v_fmac_f64_e32 v[166:167], v[152:153], v[144:145]
	s_wait_loadcnt 0x5
	v_fmac_f64_e32 v[166:167], v[162:163], v[146:147]
	ds_load_2addr_b64 v[144:147], v2 offset0:91 offset1:92
	ds_load_2addr_b64 v[148:151], v2 offset0:93 offset1:94
	s_wait_dscnt 0x1
	v_fmac_f64_e32 v[166:167], v[164:165], v[144:145]
	scratch_load_b128 v[162:165], off, off offset:304
	s_wait_loadcnt 0x5
	v_fmac_f64_e32 v[166:167], v[132:133], v[146:147]
	s_wait_dscnt 0x0
	s_delay_alu instid0(VALU_DEP_1)
	v_fmac_f64_e32 v[166:167], v[134:135], v[148:149]
	scratch_load_b128 v[132:135], off, off offset:320
	s_wait_loadcnt 0x5
	v_fmac_f64_e32 v[166:167], v[158:159], v[150:151]
	ds_load_2addr_b64 v[144:147], v2 offset0:95 offset1:96
	ds_load_2addr_b64 v[148:151], v2 offset0:97 offset1:98
	s_wait_dscnt 0x1
	v_fmac_f64_e32 v[166:167], v[160:161], v[144:145]
	scratch_load_b128 v[158:161], off, off offset:336
	s_wait_loadcnt 0x5
	v_fmac_f64_e32 v[166:167], v[136:137], v[146:147]
	s_wait_dscnt 0x0
	s_delay_alu instid0(VALU_DEP_1)
	v_fmac_f64_e32 v[166:167], v[138:139], v[148:149]
	scratch_load_b128 v[136:139], off, off offset:352
	s_wait_loadcnt 0x5
	v_fmac_f64_e32 v[166:167], v[154:155], v[150:151]
	ds_load_2addr_b64 v[144:147], v2 offset0:99 offset1:100
	ds_load_2addr_b64 v[148:151], v2 offset0:101 offset1:102
	scratch_load_b128 v[152:155], off, off offset:368
	s_wait_dscnt 0x1
	v_fmac_f64_e32 v[166:167], v[156:157], v[144:145]
	s_wait_loadcnt 0x5
	s_delay_alu instid0(VALU_DEP_1) | instskip(SKIP_1) | instid1(VALU_DEP_1)
	v_fmac_f64_e32 v[166:167], v[140:141], v[146:147]
	s_wait_dscnt 0x0
	v_fmac_f64_e32 v[166:167], v[142:143], v[148:149]
	scratch_load_b128 v[140:143], off, off offset:384
	s_wait_loadcnt 0x5
	v_fmac_f64_e32 v[166:167], v[162:163], v[150:151]
	ds_load_2addr_b64 v[144:147], v2 offset0:103 offset1:104
	ds_load_2addr_b64 v[148:151], v2 offset0:105 offset1:106
	s_wait_dscnt 0x1
	v_fmac_f64_e32 v[166:167], v[164:165], v[144:145]
	scratch_load_b128 v[162:165], off, off offset:400
	s_wait_loadcnt 0x5
	v_fmac_f64_e32 v[166:167], v[132:133], v[146:147]
	s_wait_dscnt 0x0
	s_delay_alu instid0(VALU_DEP_1)
	v_fmac_f64_e32 v[166:167], v[134:135], v[148:149]
	scratch_load_b128 v[132:135], off, off offset:416
	s_wait_loadcnt 0x5
	v_fmac_f64_e32 v[166:167], v[158:159], v[150:151]
	ds_load_2addr_b64 v[144:147], v2 offset0:107 offset1:108
	ds_load_2addr_b64 v[148:151], v2 offset0:109 offset1:110
	s_wait_dscnt 0x1
	v_fmac_f64_e32 v[166:167], v[160:161], v[144:145]
	s_wait_loadcnt 0x4
	s_delay_alu instid0(VALU_DEP_1)
	v_fmac_f64_e32 v[166:167], v[136:137], v[146:147]
	scratch_load_b128 v[144:147], off, off offset:432
	s_wait_dscnt 0x0
	v_fmac_f64_e32 v[166:167], v[138:139], v[148:149]
	scratch_load_b128 v[136:139], off, off offset:448
	s_wait_loadcnt 0x5
	v_fmac_f64_e32 v[166:167], v[152:153], v[150:151]
	ds_load_2addr_b64 v[148:151], v2 offset0:111 offset1:112
	ds_load_2addr_b64 v[156:159], v2 offset0:113 offset1:114
	s_wait_dscnt 0x1
	v_fmac_f64_e32 v[166:167], v[154:155], v[148:149]
	s_wait_loadcnt 0x4
	s_delay_alu instid0(VALU_DEP_1)
	v_fmac_f64_e32 v[166:167], v[140:141], v[150:151]
	scratch_load_b128 v[148:151], off, off offset:464
	s_wait_dscnt 0x0
	v_fmac_f64_e32 v[166:167], v[142:143], v[156:157]
	scratch_load_b128 v[140:143], off, off offset:480
	s_wait_loadcnt 0x5
	v_fmac_f64_e32 v[166:167], v[162:163], v[158:159]
	ds_load_2addr_b64 v[152:155], v2 offset0:115 offset1:116
	ds_load_2addr_b64 v[156:159], v2 offset0:117 offset1:118
	scratch_load_b64 v[160:161], off, off offset:496
	s_wait_dscnt 0x1
	v_fmac_f64_e32 v[166:167], v[164:165], v[152:153]
	s_wait_loadcnt 0x5
	s_delay_alu instid0(VALU_DEP_1) | instskip(SKIP_1) | instid1(VALU_DEP_1)
	v_fmac_f64_e32 v[166:167], v[132:133], v[154:155]
	s_wait_dscnt 0x0
	v_fmac_f64_e32 v[166:167], v[134:135], v[156:157]
	ds_load_2addr_b64 v[132:135], v2 offset0:119 offset1:120
	ds_load_2addr_b64 v[152:155], v2 offset0:121 offset1:122
	s_wait_loadcnt 0x4
	v_fmac_f64_e32 v[166:167], v[144:145], v[158:159]
	s_wait_dscnt 0x1
	s_delay_alu instid0(VALU_DEP_1) | instskip(SKIP_1) | instid1(VALU_DEP_1)
	v_fmac_f64_e32 v[166:167], v[146:147], v[132:133]
	s_wait_loadcnt 0x3
	v_fmac_f64_e32 v[166:167], v[136:137], v[134:135]
	s_wait_dscnt 0x0
	s_delay_alu instid0(VALU_DEP_1)
	v_fmac_f64_e32 v[166:167], v[138:139], v[152:153]
	ds_load_2addr_b64 v[132:135], v2 offset0:123 offset1:124
	ds_load_2addr_b64 v[136:139], v2 offset0:125 offset1:126
	s_wait_loadcnt 0x2
	v_fmac_f64_e32 v[166:167], v[148:149], v[154:155]
	s_wait_dscnt 0x1
	s_delay_alu instid0(VALU_DEP_1) | instskip(SKIP_1) | instid1(VALU_DEP_1)
	v_fmac_f64_e32 v[166:167], v[150:151], v[132:133]
	s_wait_loadcnt 0x1
	v_fmac_f64_e32 v[166:167], v[140:141], v[134:135]
	s_wait_dscnt 0x0
	s_delay_alu instid0(VALU_DEP_1) | instskip(SKIP_1) | instid1(VALU_DEP_1)
	v_fmac_f64_e32 v[166:167], v[142:143], v[136:137]
	s_wait_loadcnt 0x0
	v_fmac_f64_e32 v[166:167], v[160:161], v[138:139]
	s_delay_alu instid0(VALU_DEP_1)
	v_add_f64_e64 v[2:3], v[130:131], -v[166:167]
	scratch_store_b64 off, v[2:3], off offset:112
	s_wait_xcnt 0x0
	v_cmpx_lt_u32_e32 13, v0
	s_cbranch_execz .LBB62_361
; %bb.360:
	scratch_load_b64 v[2:3], off, off offset:104
	v_mov_b64_e32 v[130:131], 0
	scratch_store_b64 off, v[130:131], off offset:104
	s_wait_loadcnt 0x0
	ds_store_b64 v1, v[2:3]
.LBB62_361:
	s_wait_xcnt 0x0
	s_or_b32 exec_lo, exec_lo, s0
	s_wait_storecnt_dscnt 0x0
	s_barrier_signal -1
	s_barrier_wait -1
	s_clause 0x5
	scratch_load_b128 v[130:133], off, off offset:104
	scratch_load_b128 v[134:137], off, off offset:120
	;; [unrolled: 1-line block ×6, first 2 shown]
	v_mov_b32_e32 v2, 0
	ds_load_b128 v[154:157], v2 offset:624
	ds_load_b128 v[158:161], v2 offset:640
	scratch_load_b128 v[162:165], off, off offset:200
	s_mov_b32 s0, exec_lo
	s_wait_loadcnt_dscnt 0x601
	v_fma_f64 v[166:167], v[132:133], v[154:155], 0
	s_wait_loadcnt 0x5
	s_delay_alu instid0(VALU_DEP_1) | instskip(SKIP_4) | instid1(VALU_DEP_1)
	v_fmac_f64_e32 v[166:167], v[134:135], v[156:157]
	scratch_load_b128 v[132:135], off, off offset:216
	s_wait_dscnt 0x0
	v_fmac_f64_e32 v[166:167], v[136:137], v[158:159]
	s_wait_loadcnt 0x5
	v_fmac_f64_e32 v[166:167], v[138:139], v[160:161]
	ds_load_b128 v[136:139], v2 offset:656
	ds_load_b128 v[154:157], v2 offset:672
	scratch_load_b128 v[158:161], off, off offset:232
	s_wait_dscnt 0x1
	v_fmac_f64_e32 v[166:167], v[140:141], v[136:137]
	s_wait_loadcnt 0x5
	s_delay_alu instid0(VALU_DEP_1) | instskip(SKIP_4) | instid1(VALU_DEP_1)
	v_fmac_f64_e32 v[166:167], v[142:143], v[138:139]
	scratch_load_b128 v[136:139], off, off offset:248
	s_wait_dscnt 0x0
	v_fmac_f64_e32 v[166:167], v[144:145], v[154:155]
	s_wait_loadcnt 0x5
	v_fmac_f64_e32 v[166:167], v[146:147], v[156:157]
	ds_load_b128 v[140:143], v2 offset:688
	ds_load_b128 v[144:147], v2 offset:704
	scratch_load_b128 v[154:157], off, off offset:264
	s_wait_dscnt 0x1
	v_fmac_f64_e32 v[166:167], v[148:149], v[140:141]
	s_wait_loadcnt 0x5
	s_delay_alu instid0(VALU_DEP_1) | instskip(SKIP_4) | instid1(VALU_DEP_1)
	v_fmac_f64_e32 v[166:167], v[150:151], v[142:143]
	scratch_load_b128 v[140:143], off, off offset:280
	s_wait_dscnt 0x0
	v_fmac_f64_e32 v[166:167], v[152:153], v[144:145]
	s_wait_loadcnt 0x5
	v_fmac_f64_e32 v[166:167], v[162:163], v[146:147]
	ds_load_b128 v[144:147], v2 offset:720
	ds_load_b128 v[148:151], v2 offset:736
	s_wait_dscnt 0x1
	v_fmac_f64_e32 v[166:167], v[164:165], v[144:145]
	scratch_load_b128 v[162:165], off, off offset:296
	s_wait_loadcnt 0x5
	v_fmac_f64_e32 v[166:167], v[132:133], v[146:147]
	s_wait_dscnt 0x0
	s_delay_alu instid0(VALU_DEP_1)
	v_fmac_f64_e32 v[166:167], v[134:135], v[148:149]
	scratch_load_b128 v[132:135], off, off offset:312
	s_wait_loadcnt 0x5
	v_fmac_f64_e32 v[166:167], v[158:159], v[150:151]
	ds_load_b128 v[144:147], v2 offset:752
	ds_load_b128 v[148:151], v2 offset:768
	s_wait_dscnt 0x1
	v_fmac_f64_e32 v[166:167], v[160:161], v[144:145]
	scratch_load_b128 v[158:161], off, off offset:328
	s_wait_loadcnt 0x5
	v_fmac_f64_e32 v[166:167], v[136:137], v[146:147]
	s_wait_dscnt 0x0
	s_delay_alu instid0(VALU_DEP_1)
	v_fmac_f64_e32 v[166:167], v[138:139], v[148:149]
	scratch_load_b128 v[136:139], off, off offset:344
	s_wait_loadcnt 0x5
	v_fmac_f64_e32 v[166:167], v[154:155], v[150:151]
	ds_load_b128 v[144:147], v2 offset:784
	ds_load_b128 v[148:151], v2 offset:800
	scratch_load_b128 v[152:155], off, off offset:360
	s_wait_dscnt 0x1
	v_fmac_f64_e32 v[166:167], v[156:157], v[144:145]
	s_wait_loadcnt 0x5
	s_delay_alu instid0(VALU_DEP_1) | instskip(SKIP_1) | instid1(VALU_DEP_1)
	v_fmac_f64_e32 v[166:167], v[140:141], v[146:147]
	s_wait_dscnt 0x0
	v_fmac_f64_e32 v[166:167], v[142:143], v[148:149]
	scratch_load_b128 v[140:143], off, off offset:376
	s_wait_loadcnt 0x5
	v_fmac_f64_e32 v[166:167], v[162:163], v[150:151]
	ds_load_b128 v[144:147], v2 offset:816
	ds_load_b128 v[148:151], v2 offset:832
	s_wait_dscnt 0x1
	v_fmac_f64_e32 v[166:167], v[164:165], v[144:145]
	scratch_load_b128 v[162:165], off, off offset:392
	s_wait_loadcnt 0x5
	v_fmac_f64_e32 v[166:167], v[132:133], v[146:147]
	s_wait_dscnt 0x0
	s_delay_alu instid0(VALU_DEP_1)
	v_fmac_f64_e32 v[166:167], v[134:135], v[148:149]
	scratch_load_b128 v[132:135], off, off offset:408
	s_wait_loadcnt 0x5
	v_fmac_f64_e32 v[166:167], v[158:159], v[150:151]
	ds_load_b128 v[144:147], v2 offset:848
	ds_load_b128 v[148:151], v2 offset:864
	s_wait_dscnt 0x1
	v_fmac_f64_e32 v[166:167], v[160:161], v[144:145]
	s_wait_loadcnt 0x4
	s_delay_alu instid0(VALU_DEP_1)
	v_fmac_f64_e32 v[166:167], v[136:137], v[146:147]
	scratch_load_b128 v[144:147], off, off offset:424
	s_wait_dscnt 0x0
	v_fmac_f64_e32 v[166:167], v[138:139], v[148:149]
	scratch_load_b128 v[136:139], off, off offset:440
	s_wait_loadcnt 0x5
	v_fmac_f64_e32 v[166:167], v[152:153], v[150:151]
	ds_load_b128 v[148:151], v2 offset:880
	ds_load_b128 v[156:159], v2 offset:896
	s_wait_dscnt 0x1
	v_fmac_f64_e32 v[166:167], v[154:155], v[148:149]
	s_wait_loadcnt 0x4
	s_delay_alu instid0(VALU_DEP_1)
	v_fmac_f64_e32 v[166:167], v[140:141], v[150:151]
	scratch_load_b128 v[148:151], off, off offset:456
	s_wait_dscnt 0x0
	v_fmac_f64_e32 v[166:167], v[142:143], v[156:157]
	scratch_load_b128 v[140:143], off, off offset:472
	s_wait_loadcnt 0x5
	v_fmac_f64_e32 v[166:167], v[162:163], v[158:159]
	ds_load_b128 v[152:155], v2 offset:912
	ds_load_b128 v[156:159], v2 offset:928
	s_wait_dscnt 0x1
	v_fmac_f64_e32 v[166:167], v[164:165], v[152:153]
	s_wait_loadcnt 0x4
	s_delay_alu instid0(VALU_DEP_1) | instskip(SKIP_4) | instid1(VALU_DEP_1)
	v_fmac_f64_e32 v[166:167], v[132:133], v[154:155]
	scratch_load_b128 v[152:155], off, off offset:488
	s_wait_dscnt 0x0
	v_fmac_f64_e32 v[166:167], v[134:135], v[156:157]
	s_wait_loadcnt 0x4
	v_fmac_f64_e32 v[166:167], v[144:145], v[158:159]
	ds_load_b128 v[132:135], v2 offset:944
	ds_load_b128 v[156:159], v2 offset:960
	s_wait_dscnt 0x1
	v_fmac_f64_e32 v[166:167], v[146:147], v[132:133]
	s_wait_loadcnt 0x3
	s_delay_alu instid0(VALU_DEP_1) | instskip(SKIP_1) | instid1(VALU_DEP_1)
	v_fmac_f64_e32 v[166:167], v[136:137], v[134:135]
	s_wait_dscnt 0x0
	v_fmac_f64_e32 v[166:167], v[138:139], v[156:157]
	ds_load_b128 v[132:135], v2 offset:976
	ds_load_b128 v[136:139], v2 offset:992
	s_wait_loadcnt 0x2
	v_fmac_f64_e32 v[166:167], v[148:149], v[158:159]
	s_wait_dscnt 0x1
	s_delay_alu instid0(VALU_DEP_1) | instskip(SKIP_4) | instid1(VALU_DEP_1)
	v_fmac_f64_e32 v[166:167], v[150:151], v[132:133]
	ds_load_b64 v[132:133], v2 offset:1008
	s_wait_loadcnt 0x1
	v_fmac_f64_e32 v[166:167], v[140:141], v[134:135]
	s_wait_dscnt 0x1
	v_fmac_f64_e32 v[166:167], v[142:143], v[136:137]
	s_wait_loadcnt 0x0
	s_delay_alu instid0(VALU_DEP_1) | instskip(SKIP_1) | instid1(VALU_DEP_1)
	v_fmac_f64_e32 v[166:167], v[152:153], v[138:139]
	s_wait_dscnt 0x0
	v_fmac_f64_e32 v[166:167], v[154:155], v[132:133]
	s_delay_alu instid0(VALU_DEP_1)
	v_add_f64_e64 v[130:131], v[130:131], -v[166:167]
	scratch_store_b64 off, v[130:131], off offset:104
	s_wait_xcnt 0x0
	v_cmpx_lt_u32_e32 12, v0
	s_cbranch_execz .LBB62_363
; %bb.362:
	scratch_load_b64 v[130:131], off, off offset:96
	v_mov_b64_e32 v[132:133], 0
	scratch_store_b64 off, v[132:133], off offset:96
	s_wait_loadcnt 0x0
	ds_store_b64 v1, v[130:131]
.LBB62_363:
	s_wait_xcnt 0x0
	s_or_b32 exec_lo, exec_lo, s0
	s_wait_storecnt_dscnt 0x0
	s_barrier_signal -1
	s_barrier_wait -1
	s_clause 0x5
	scratch_load_b128 v[130:133], off, off offset:96
	scratch_load_b128 v[134:137], off, off offset:112
	;; [unrolled: 1-line block ×6, first 2 shown]
	ds_load_2addr_b64 v[154:157], v2 offset0:77 offset1:78
	ds_load_2addr_b64 v[158:161], v2 offset0:79 offset1:80
	scratch_load_b128 v[162:165], off, off offset:192
	s_mov_b32 s0, exec_lo
	s_wait_loadcnt_dscnt 0x601
	v_fma_f64 v[166:167], v[132:133], v[154:155], 0
	s_wait_loadcnt 0x5
	s_delay_alu instid0(VALU_DEP_1) | instskip(SKIP_4) | instid1(VALU_DEP_1)
	v_fmac_f64_e32 v[166:167], v[134:135], v[156:157]
	scratch_load_b128 v[132:135], off, off offset:208
	s_wait_dscnt 0x0
	v_fmac_f64_e32 v[166:167], v[136:137], v[158:159]
	s_wait_loadcnt 0x5
	v_fmac_f64_e32 v[166:167], v[138:139], v[160:161]
	ds_load_2addr_b64 v[136:139], v2 offset0:81 offset1:82
	ds_load_2addr_b64 v[154:157], v2 offset0:83 offset1:84
	scratch_load_b128 v[158:161], off, off offset:224
	s_wait_dscnt 0x1
	v_fmac_f64_e32 v[166:167], v[140:141], v[136:137]
	s_wait_loadcnt 0x5
	s_delay_alu instid0(VALU_DEP_1) | instskip(SKIP_4) | instid1(VALU_DEP_1)
	v_fmac_f64_e32 v[166:167], v[142:143], v[138:139]
	scratch_load_b128 v[136:139], off, off offset:240
	s_wait_dscnt 0x0
	v_fmac_f64_e32 v[166:167], v[144:145], v[154:155]
	s_wait_loadcnt 0x5
	v_fmac_f64_e32 v[166:167], v[146:147], v[156:157]
	ds_load_2addr_b64 v[140:143], v2 offset0:85 offset1:86
	ds_load_2addr_b64 v[144:147], v2 offset0:87 offset1:88
	scratch_load_b128 v[154:157], off, off offset:256
	s_wait_dscnt 0x1
	v_fmac_f64_e32 v[166:167], v[148:149], v[140:141]
	s_wait_loadcnt 0x5
	s_delay_alu instid0(VALU_DEP_1) | instskip(SKIP_4) | instid1(VALU_DEP_1)
	v_fmac_f64_e32 v[166:167], v[150:151], v[142:143]
	scratch_load_b128 v[140:143], off, off offset:272
	s_wait_dscnt 0x0
	v_fmac_f64_e32 v[166:167], v[152:153], v[144:145]
	s_wait_loadcnt 0x5
	v_fmac_f64_e32 v[166:167], v[162:163], v[146:147]
	ds_load_2addr_b64 v[144:147], v2 offset0:89 offset1:90
	ds_load_2addr_b64 v[148:151], v2 offset0:91 offset1:92
	s_wait_dscnt 0x1
	v_fmac_f64_e32 v[166:167], v[164:165], v[144:145]
	scratch_load_b128 v[162:165], off, off offset:288
	s_wait_loadcnt 0x5
	v_fmac_f64_e32 v[166:167], v[132:133], v[146:147]
	s_wait_dscnt 0x0
	s_delay_alu instid0(VALU_DEP_1)
	v_fmac_f64_e32 v[166:167], v[134:135], v[148:149]
	scratch_load_b128 v[132:135], off, off offset:304
	s_wait_loadcnt 0x5
	v_fmac_f64_e32 v[166:167], v[158:159], v[150:151]
	ds_load_2addr_b64 v[144:147], v2 offset0:93 offset1:94
	ds_load_2addr_b64 v[148:151], v2 offset0:95 offset1:96
	s_wait_dscnt 0x1
	v_fmac_f64_e32 v[166:167], v[160:161], v[144:145]
	scratch_load_b128 v[158:161], off, off offset:320
	s_wait_loadcnt 0x5
	v_fmac_f64_e32 v[166:167], v[136:137], v[146:147]
	s_wait_dscnt 0x0
	s_delay_alu instid0(VALU_DEP_1)
	v_fmac_f64_e32 v[166:167], v[138:139], v[148:149]
	scratch_load_b128 v[136:139], off, off offset:336
	s_wait_loadcnt 0x5
	v_fmac_f64_e32 v[166:167], v[154:155], v[150:151]
	ds_load_2addr_b64 v[144:147], v2 offset0:97 offset1:98
	ds_load_2addr_b64 v[148:151], v2 offset0:99 offset1:100
	scratch_load_b128 v[152:155], off, off offset:352
	s_wait_dscnt 0x1
	v_fmac_f64_e32 v[166:167], v[156:157], v[144:145]
	s_wait_loadcnt 0x5
	s_delay_alu instid0(VALU_DEP_1) | instskip(SKIP_1) | instid1(VALU_DEP_1)
	v_fmac_f64_e32 v[166:167], v[140:141], v[146:147]
	s_wait_dscnt 0x0
	v_fmac_f64_e32 v[166:167], v[142:143], v[148:149]
	scratch_load_b128 v[140:143], off, off offset:368
	s_wait_loadcnt 0x5
	v_fmac_f64_e32 v[166:167], v[162:163], v[150:151]
	ds_load_2addr_b64 v[144:147], v2 offset0:101 offset1:102
	ds_load_2addr_b64 v[148:151], v2 offset0:103 offset1:104
	s_wait_dscnt 0x1
	v_fmac_f64_e32 v[166:167], v[164:165], v[144:145]
	scratch_load_b128 v[162:165], off, off offset:384
	s_wait_loadcnt 0x5
	v_fmac_f64_e32 v[166:167], v[132:133], v[146:147]
	s_wait_dscnt 0x0
	s_delay_alu instid0(VALU_DEP_1)
	v_fmac_f64_e32 v[166:167], v[134:135], v[148:149]
	scratch_load_b128 v[132:135], off, off offset:400
	s_wait_loadcnt 0x5
	v_fmac_f64_e32 v[166:167], v[158:159], v[150:151]
	ds_load_2addr_b64 v[144:147], v2 offset0:105 offset1:106
	ds_load_2addr_b64 v[148:151], v2 offset0:107 offset1:108
	scratch_load_b128 v[156:159], off, off offset:416
	s_wait_dscnt 0x1
	v_fmac_f64_e32 v[166:167], v[160:161], v[144:145]
	s_wait_loadcnt 0x5
	s_delay_alu instid0(VALU_DEP_1) | instskip(SKIP_1) | instid1(VALU_DEP_1)
	v_fmac_f64_e32 v[166:167], v[136:137], v[146:147]
	s_wait_dscnt 0x0
	v_fmac_f64_e32 v[166:167], v[138:139], v[148:149]
	scratch_load_b128 v[136:139], off, off offset:432
	s_wait_loadcnt 0x5
	v_fmac_f64_e32 v[166:167], v[152:153], v[150:151]
	ds_load_2addr_b64 v[144:147], v2 offset0:109 offset1:110
	ds_load_2addr_b64 v[148:151], v2 offset0:111 offset1:112
	s_wait_dscnt 0x1
	v_fmac_f64_e32 v[166:167], v[154:155], v[144:145]
	s_wait_loadcnt 0x4
	s_delay_alu instid0(VALU_DEP_1)
	v_fmac_f64_e32 v[166:167], v[140:141], v[146:147]
	scratch_load_b128 v[144:147], off, off offset:448
	s_wait_dscnt 0x0
	v_fmac_f64_e32 v[166:167], v[142:143], v[148:149]
	scratch_load_b128 v[140:143], off, off offset:464
	s_wait_loadcnt 0x5
	v_fmac_f64_e32 v[166:167], v[162:163], v[150:151]
	ds_load_2addr_b64 v[148:151], v2 offset0:113 offset1:114
	ds_load_2addr_b64 v[152:155], v2 offset0:115 offset1:116
	s_wait_dscnt 0x1
	v_fmac_f64_e32 v[166:167], v[164:165], v[148:149]
	s_wait_loadcnt 0x4
	s_delay_alu instid0(VALU_DEP_1) | instskip(SKIP_4) | instid1(VALU_DEP_1)
	v_fmac_f64_e32 v[166:167], v[132:133], v[150:151]
	scratch_load_b128 v[148:151], off, off offset:480
	s_wait_dscnt 0x0
	v_fmac_f64_e32 v[166:167], v[134:135], v[152:153]
	s_wait_loadcnt 0x4
	v_fmac_f64_e32 v[166:167], v[156:157], v[154:155]
	scratch_load_b64 v[156:157], off, off offset:496
	ds_load_2addr_b64 v[132:135], v2 offset0:117 offset1:118
	ds_load_2addr_b64 v[152:155], v2 offset0:119 offset1:120
	s_wait_dscnt 0x1
	v_fmac_f64_e32 v[166:167], v[158:159], v[132:133]
	s_wait_loadcnt 0x4
	s_delay_alu instid0(VALU_DEP_1) | instskip(SKIP_1) | instid1(VALU_DEP_1)
	v_fmac_f64_e32 v[166:167], v[136:137], v[134:135]
	s_wait_dscnt 0x0
	v_fmac_f64_e32 v[166:167], v[138:139], v[152:153]
	ds_load_2addr_b64 v[132:135], v2 offset0:121 offset1:122
	ds_load_2addr_b64 v[136:139], v2 offset0:123 offset1:124
	s_wait_loadcnt 0x3
	v_fmac_f64_e32 v[166:167], v[144:145], v[154:155]
	s_wait_dscnt 0x1
	s_delay_alu instid0(VALU_DEP_1) | instskip(SKIP_1) | instid1(VALU_DEP_1)
	v_fmac_f64_e32 v[166:167], v[146:147], v[132:133]
	s_wait_loadcnt 0x2
	v_fmac_f64_e32 v[166:167], v[140:141], v[134:135]
	ds_load_2addr_b64 v[132:135], v2 offset0:125 offset1:126
	s_wait_dscnt 0x1
	v_fmac_f64_e32 v[166:167], v[142:143], v[136:137]
	s_wait_loadcnt 0x1
	s_delay_alu instid0(VALU_DEP_1) | instskip(SKIP_1) | instid1(VALU_DEP_1)
	v_fmac_f64_e32 v[166:167], v[148:149], v[138:139]
	s_wait_dscnt 0x0
	v_fmac_f64_e32 v[166:167], v[150:151], v[132:133]
	s_wait_loadcnt 0x0
	s_delay_alu instid0(VALU_DEP_1) | instskip(NEXT) | instid1(VALU_DEP_1)
	v_fmac_f64_e32 v[166:167], v[156:157], v[134:135]
	v_add_f64_e64 v[2:3], v[130:131], -v[166:167]
	scratch_store_b64 off, v[2:3], off offset:96
	s_wait_xcnt 0x0
	v_cmpx_lt_u32_e32 11, v0
	s_cbranch_execz .LBB62_365
; %bb.364:
	scratch_load_b64 v[2:3], off, off offset:88
	v_mov_b64_e32 v[130:131], 0
	scratch_store_b64 off, v[130:131], off offset:88
	s_wait_loadcnt 0x0
	ds_store_b64 v1, v[2:3]
.LBB62_365:
	s_wait_xcnt 0x0
	s_or_b32 exec_lo, exec_lo, s0
	s_wait_storecnt_dscnt 0x0
	s_barrier_signal -1
	s_barrier_wait -1
	s_clause 0x5
	scratch_load_b128 v[130:133], off, off offset:88
	scratch_load_b128 v[134:137], off, off offset:104
	;; [unrolled: 1-line block ×6, first 2 shown]
	v_mov_b32_e32 v2, 0
	ds_load_b128 v[154:157], v2 offset:608
	ds_load_b128 v[158:161], v2 offset:624
	scratch_load_b128 v[162:165], off, off offset:184
	s_mov_b32 s0, exec_lo
	s_wait_loadcnt_dscnt 0x601
	v_fma_f64 v[166:167], v[132:133], v[154:155], 0
	s_wait_loadcnt 0x5
	s_delay_alu instid0(VALU_DEP_1) | instskip(SKIP_4) | instid1(VALU_DEP_1)
	v_fmac_f64_e32 v[166:167], v[134:135], v[156:157]
	scratch_load_b128 v[132:135], off, off offset:200
	s_wait_dscnt 0x0
	v_fmac_f64_e32 v[166:167], v[136:137], v[158:159]
	s_wait_loadcnt 0x5
	v_fmac_f64_e32 v[166:167], v[138:139], v[160:161]
	ds_load_b128 v[136:139], v2 offset:640
	ds_load_b128 v[154:157], v2 offset:656
	scratch_load_b128 v[158:161], off, off offset:216
	s_wait_dscnt 0x1
	v_fmac_f64_e32 v[166:167], v[140:141], v[136:137]
	s_wait_loadcnt 0x5
	s_delay_alu instid0(VALU_DEP_1) | instskip(SKIP_4) | instid1(VALU_DEP_1)
	v_fmac_f64_e32 v[166:167], v[142:143], v[138:139]
	scratch_load_b128 v[136:139], off, off offset:232
	s_wait_dscnt 0x0
	v_fmac_f64_e32 v[166:167], v[144:145], v[154:155]
	s_wait_loadcnt 0x5
	v_fmac_f64_e32 v[166:167], v[146:147], v[156:157]
	ds_load_b128 v[140:143], v2 offset:672
	ds_load_b128 v[144:147], v2 offset:688
	scratch_load_b128 v[154:157], off, off offset:248
	s_wait_dscnt 0x1
	v_fmac_f64_e32 v[166:167], v[148:149], v[140:141]
	s_wait_loadcnt 0x5
	s_delay_alu instid0(VALU_DEP_1) | instskip(SKIP_4) | instid1(VALU_DEP_1)
	v_fmac_f64_e32 v[166:167], v[150:151], v[142:143]
	scratch_load_b128 v[140:143], off, off offset:264
	s_wait_dscnt 0x0
	v_fmac_f64_e32 v[166:167], v[152:153], v[144:145]
	s_wait_loadcnt 0x5
	v_fmac_f64_e32 v[166:167], v[162:163], v[146:147]
	ds_load_b128 v[144:147], v2 offset:704
	ds_load_b128 v[148:151], v2 offset:720
	s_wait_dscnt 0x1
	v_fmac_f64_e32 v[166:167], v[164:165], v[144:145]
	scratch_load_b128 v[162:165], off, off offset:280
	s_wait_loadcnt 0x5
	v_fmac_f64_e32 v[166:167], v[132:133], v[146:147]
	s_wait_dscnt 0x0
	s_delay_alu instid0(VALU_DEP_1)
	v_fmac_f64_e32 v[166:167], v[134:135], v[148:149]
	scratch_load_b128 v[132:135], off, off offset:296
	s_wait_loadcnt 0x5
	v_fmac_f64_e32 v[166:167], v[158:159], v[150:151]
	ds_load_b128 v[144:147], v2 offset:736
	ds_load_b128 v[148:151], v2 offset:752
	s_wait_dscnt 0x1
	v_fmac_f64_e32 v[166:167], v[160:161], v[144:145]
	scratch_load_b128 v[158:161], off, off offset:312
	s_wait_loadcnt 0x5
	v_fmac_f64_e32 v[166:167], v[136:137], v[146:147]
	s_wait_dscnt 0x0
	s_delay_alu instid0(VALU_DEP_1)
	v_fmac_f64_e32 v[166:167], v[138:139], v[148:149]
	scratch_load_b128 v[136:139], off, off offset:328
	s_wait_loadcnt 0x5
	v_fmac_f64_e32 v[166:167], v[154:155], v[150:151]
	ds_load_b128 v[144:147], v2 offset:768
	ds_load_b128 v[148:151], v2 offset:784
	scratch_load_b128 v[152:155], off, off offset:344
	s_wait_dscnt 0x1
	v_fmac_f64_e32 v[166:167], v[156:157], v[144:145]
	s_wait_loadcnt 0x5
	s_delay_alu instid0(VALU_DEP_1) | instskip(SKIP_1) | instid1(VALU_DEP_1)
	v_fmac_f64_e32 v[166:167], v[140:141], v[146:147]
	s_wait_dscnt 0x0
	v_fmac_f64_e32 v[166:167], v[142:143], v[148:149]
	scratch_load_b128 v[140:143], off, off offset:360
	s_wait_loadcnt 0x5
	v_fmac_f64_e32 v[166:167], v[162:163], v[150:151]
	ds_load_b128 v[144:147], v2 offset:800
	ds_load_b128 v[148:151], v2 offset:816
	s_wait_dscnt 0x1
	v_fmac_f64_e32 v[166:167], v[164:165], v[144:145]
	scratch_load_b128 v[162:165], off, off offset:376
	s_wait_loadcnt 0x5
	v_fmac_f64_e32 v[166:167], v[132:133], v[146:147]
	s_wait_dscnt 0x0
	s_delay_alu instid0(VALU_DEP_1)
	v_fmac_f64_e32 v[166:167], v[134:135], v[148:149]
	scratch_load_b128 v[132:135], off, off offset:392
	s_wait_loadcnt 0x5
	v_fmac_f64_e32 v[166:167], v[158:159], v[150:151]
	ds_load_b128 v[144:147], v2 offset:832
	ds_load_b128 v[148:151], v2 offset:848
	scratch_load_b128 v[156:159], off, off offset:408
	s_wait_dscnt 0x1
	v_fmac_f64_e32 v[166:167], v[160:161], v[144:145]
	s_wait_loadcnt 0x5
	s_delay_alu instid0(VALU_DEP_1) | instskip(SKIP_1) | instid1(VALU_DEP_1)
	v_fmac_f64_e32 v[166:167], v[136:137], v[146:147]
	s_wait_dscnt 0x0
	v_fmac_f64_e32 v[166:167], v[138:139], v[148:149]
	scratch_load_b128 v[136:139], off, off offset:424
	s_wait_loadcnt 0x5
	v_fmac_f64_e32 v[166:167], v[152:153], v[150:151]
	ds_load_b128 v[144:147], v2 offset:864
	ds_load_b128 v[148:151], v2 offset:880
	s_wait_dscnt 0x1
	v_fmac_f64_e32 v[166:167], v[154:155], v[144:145]
	s_wait_loadcnt 0x4
	s_delay_alu instid0(VALU_DEP_1)
	v_fmac_f64_e32 v[166:167], v[140:141], v[146:147]
	scratch_load_b128 v[144:147], off, off offset:440
	s_wait_dscnt 0x0
	v_fmac_f64_e32 v[166:167], v[142:143], v[148:149]
	scratch_load_b128 v[140:143], off, off offset:456
	s_wait_loadcnt 0x5
	v_fmac_f64_e32 v[166:167], v[162:163], v[150:151]
	ds_load_b128 v[148:151], v2 offset:896
	ds_load_b128 v[152:155], v2 offset:912
	s_wait_dscnt 0x1
	v_fmac_f64_e32 v[166:167], v[164:165], v[148:149]
	s_wait_loadcnt 0x4
	s_delay_alu instid0(VALU_DEP_1)
	v_fmac_f64_e32 v[166:167], v[132:133], v[150:151]
	scratch_load_b128 v[148:151], off, off offset:472
	s_wait_dscnt 0x0
	v_fmac_f64_e32 v[166:167], v[134:135], v[152:153]
	scratch_load_b128 v[132:135], off, off offset:488
	s_wait_loadcnt 0x5
	v_fmac_f64_e32 v[166:167], v[156:157], v[154:155]
	ds_load_b128 v[152:155], v2 offset:928
	ds_load_b128 v[160:163], v2 offset:944
	s_wait_dscnt 0x1
	v_fmac_f64_e32 v[166:167], v[158:159], v[152:153]
	s_wait_loadcnt 0x4
	s_delay_alu instid0(VALU_DEP_1) | instskip(SKIP_1) | instid1(VALU_DEP_1)
	v_fmac_f64_e32 v[166:167], v[136:137], v[154:155]
	s_wait_dscnt 0x0
	v_fmac_f64_e32 v[166:167], v[138:139], v[160:161]
	ds_load_b128 v[136:139], v2 offset:960
	ds_load_b128 v[152:155], v2 offset:976
	s_wait_loadcnt 0x3
	v_fmac_f64_e32 v[166:167], v[144:145], v[162:163]
	s_wait_dscnt 0x1
	s_delay_alu instid0(VALU_DEP_1) | instskip(SKIP_1) | instid1(VALU_DEP_1)
	v_fmac_f64_e32 v[166:167], v[146:147], v[136:137]
	s_wait_loadcnt 0x2
	v_fmac_f64_e32 v[166:167], v[140:141], v[138:139]
	ds_load_b128 v[136:139], v2 offset:992
	ds_load_b64 v[140:141], v2 offset:1008
	s_wait_dscnt 0x2
	v_fmac_f64_e32 v[166:167], v[142:143], v[152:153]
	s_wait_loadcnt 0x1
	s_delay_alu instid0(VALU_DEP_1) | instskip(SKIP_1) | instid1(VALU_DEP_1)
	v_fmac_f64_e32 v[166:167], v[148:149], v[154:155]
	s_wait_dscnt 0x1
	v_fmac_f64_e32 v[166:167], v[150:151], v[136:137]
	s_wait_loadcnt 0x0
	s_delay_alu instid0(VALU_DEP_1) | instskip(SKIP_1) | instid1(VALU_DEP_1)
	v_fmac_f64_e32 v[166:167], v[132:133], v[138:139]
	s_wait_dscnt 0x0
	v_fmac_f64_e32 v[166:167], v[134:135], v[140:141]
	s_delay_alu instid0(VALU_DEP_1)
	v_add_f64_e64 v[130:131], v[130:131], -v[166:167]
	scratch_store_b64 off, v[130:131], off offset:88
	s_wait_xcnt 0x0
	v_cmpx_lt_u32_e32 10, v0
	s_cbranch_execz .LBB62_367
; %bb.366:
	scratch_load_b64 v[130:131], off, off offset:80
	v_mov_b64_e32 v[132:133], 0
	scratch_store_b64 off, v[132:133], off offset:80
	s_wait_loadcnt 0x0
	ds_store_b64 v1, v[130:131]
.LBB62_367:
	s_wait_xcnt 0x0
	s_or_b32 exec_lo, exec_lo, s0
	s_wait_storecnt_dscnt 0x0
	s_barrier_signal -1
	s_barrier_wait -1
	s_clause 0x5
	scratch_load_b128 v[130:133], off, off offset:80
	scratch_load_b128 v[134:137], off, off offset:96
	;; [unrolled: 1-line block ×6, first 2 shown]
	ds_load_2addr_b64 v[154:157], v2 offset0:75 offset1:76
	ds_load_2addr_b64 v[158:161], v2 offset0:77 offset1:78
	scratch_load_b128 v[162:165], off, off offset:176
	s_mov_b32 s0, exec_lo
	s_wait_loadcnt_dscnt 0x601
	v_fma_f64 v[166:167], v[132:133], v[154:155], 0
	s_wait_loadcnt 0x5
	s_delay_alu instid0(VALU_DEP_1) | instskip(SKIP_4) | instid1(VALU_DEP_1)
	v_fmac_f64_e32 v[166:167], v[134:135], v[156:157]
	scratch_load_b128 v[132:135], off, off offset:192
	s_wait_dscnt 0x0
	v_fmac_f64_e32 v[166:167], v[136:137], v[158:159]
	s_wait_loadcnt 0x5
	v_fmac_f64_e32 v[166:167], v[138:139], v[160:161]
	ds_load_2addr_b64 v[136:139], v2 offset0:79 offset1:80
	ds_load_2addr_b64 v[154:157], v2 offset0:81 offset1:82
	scratch_load_b128 v[158:161], off, off offset:208
	s_wait_dscnt 0x1
	v_fmac_f64_e32 v[166:167], v[140:141], v[136:137]
	s_wait_loadcnt 0x5
	s_delay_alu instid0(VALU_DEP_1) | instskip(SKIP_4) | instid1(VALU_DEP_1)
	v_fmac_f64_e32 v[166:167], v[142:143], v[138:139]
	scratch_load_b128 v[136:139], off, off offset:224
	s_wait_dscnt 0x0
	v_fmac_f64_e32 v[166:167], v[144:145], v[154:155]
	s_wait_loadcnt 0x5
	v_fmac_f64_e32 v[166:167], v[146:147], v[156:157]
	ds_load_2addr_b64 v[140:143], v2 offset0:83 offset1:84
	ds_load_2addr_b64 v[144:147], v2 offset0:85 offset1:86
	scratch_load_b128 v[154:157], off, off offset:240
	s_wait_dscnt 0x1
	v_fmac_f64_e32 v[166:167], v[148:149], v[140:141]
	s_wait_loadcnt 0x5
	s_delay_alu instid0(VALU_DEP_1) | instskip(SKIP_4) | instid1(VALU_DEP_1)
	v_fmac_f64_e32 v[166:167], v[150:151], v[142:143]
	scratch_load_b128 v[140:143], off, off offset:256
	s_wait_dscnt 0x0
	v_fmac_f64_e32 v[166:167], v[152:153], v[144:145]
	s_wait_loadcnt 0x5
	v_fmac_f64_e32 v[166:167], v[162:163], v[146:147]
	ds_load_2addr_b64 v[144:147], v2 offset0:87 offset1:88
	ds_load_2addr_b64 v[148:151], v2 offset0:89 offset1:90
	s_wait_dscnt 0x1
	v_fmac_f64_e32 v[166:167], v[164:165], v[144:145]
	scratch_load_b128 v[162:165], off, off offset:272
	s_wait_loadcnt 0x5
	v_fmac_f64_e32 v[166:167], v[132:133], v[146:147]
	s_wait_dscnt 0x0
	s_delay_alu instid0(VALU_DEP_1)
	v_fmac_f64_e32 v[166:167], v[134:135], v[148:149]
	scratch_load_b128 v[132:135], off, off offset:288
	s_wait_loadcnt 0x5
	v_fmac_f64_e32 v[166:167], v[158:159], v[150:151]
	ds_load_2addr_b64 v[144:147], v2 offset0:91 offset1:92
	ds_load_2addr_b64 v[148:151], v2 offset0:93 offset1:94
	s_wait_dscnt 0x1
	v_fmac_f64_e32 v[166:167], v[160:161], v[144:145]
	scratch_load_b128 v[158:161], off, off offset:304
	s_wait_loadcnt 0x5
	v_fmac_f64_e32 v[166:167], v[136:137], v[146:147]
	s_wait_dscnt 0x0
	s_delay_alu instid0(VALU_DEP_1)
	v_fmac_f64_e32 v[166:167], v[138:139], v[148:149]
	scratch_load_b128 v[136:139], off, off offset:320
	s_wait_loadcnt 0x5
	v_fmac_f64_e32 v[166:167], v[154:155], v[150:151]
	ds_load_2addr_b64 v[144:147], v2 offset0:95 offset1:96
	ds_load_2addr_b64 v[148:151], v2 offset0:97 offset1:98
	scratch_load_b128 v[152:155], off, off offset:336
	s_wait_dscnt 0x1
	v_fmac_f64_e32 v[166:167], v[156:157], v[144:145]
	s_wait_loadcnt 0x5
	s_delay_alu instid0(VALU_DEP_1) | instskip(SKIP_1) | instid1(VALU_DEP_1)
	v_fmac_f64_e32 v[166:167], v[140:141], v[146:147]
	s_wait_dscnt 0x0
	v_fmac_f64_e32 v[166:167], v[142:143], v[148:149]
	scratch_load_b128 v[140:143], off, off offset:352
	s_wait_loadcnt 0x5
	v_fmac_f64_e32 v[166:167], v[162:163], v[150:151]
	ds_load_2addr_b64 v[144:147], v2 offset0:99 offset1:100
	ds_load_2addr_b64 v[148:151], v2 offset0:101 offset1:102
	s_wait_dscnt 0x1
	v_fmac_f64_e32 v[166:167], v[164:165], v[144:145]
	scratch_load_b128 v[162:165], off, off offset:368
	s_wait_loadcnt 0x5
	v_fmac_f64_e32 v[166:167], v[132:133], v[146:147]
	s_wait_dscnt 0x0
	s_delay_alu instid0(VALU_DEP_1)
	v_fmac_f64_e32 v[166:167], v[134:135], v[148:149]
	scratch_load_b128 v[132:135], off, off offset:384
	s_wait_loadcnt 0x5
	v_fmac_f64_e32 v[166:167], v[158:159], v[150:151]
	ds_load_2addr_b64 v[144:147], v2 offset0:103 offset1:104
	ds_load_2addr_b64 v[148:151], v2 offset0:105 offset1:106
	scratch_load_b128 v[156:159], off, off offset:400
	s_wait_dscnt 0x1
	v_fmac_f64_e32 v[166:167], v[160:161], v[144:145]
	s_wait_loadcnt 0x5
	s_delay_alu instid0(VALU_DEP_1) | instskip(SKIP_1) | instid1(VALU_DEP_1)
	v_fmac_f64_e32 v[166:167], v[136:137], v[146:147]
	s_wait_dscnt 0x0
	v_fmac_f64_e32 v[166:167], v[138:139], v[148:149]
	scratch_load_b128 v[136:139], off, off offset:416
	s_wait_loadcnt 0x5
	v_fmac_f64_e32 v[166:167], v[152:153], v[150:151]
	ds_load_2addr_b64 v[144:147], v2 offset0:107 offset1:108
	ds_load_2addr_b64 v[148:151], v2 offset0:109 offset1:110
	s_wait_dscnt 0x1
	v_fmac_f64_e32 v[166:167], v[154:155], v[144:145]
	s_wait_loadcnt 0x4
	s_delay_alu instid0(VALU_DEP_1)
	v_fmac_f64_e32 v[166:167], v[140:141], v[146:147]
	scratch_load_b128 v[144:147], off, off offset:432
	s_wait_dscnt 0x0
	v_fmac_f64_e32 v[166:167], v[142:143], v[148:149]
	scratch_load_b128 v[140:143], off, off offset:448
	s_wait_loadcnt 0x5
	v_fmac_f64_e32 v[166:167], v[162:163], v[150:151]
	ds_load_2addr_b64 v[148:151], v2 offset0:111 offset1:112
	ds_load_2addr_b64 v[152:155], v2 offset0:113 offset1:114
	s_wait_dscnt 0x1
	v_fmac_f64_e32 v[166:167], v[164:165], v[148:149]
	s_wait_loadcnt 0x4
	s_delay_alu instid0(VALU_DEP_1)
	v_fmac_f64_e32 v[166:167], v[132:133], v[150:151]
	scratch_load_b128 v[148:151], off, off offset:464
	s_wait_dscnt 0x0
	v_fmac_f64_e32 v[166:167], v[134:135], v[152:153]
	scratch_load_b128 v[132:135], off, off offset:480
	s_wait_loadcnt 0x5
	v_fmac_f64_e32 v[166:167], v[156:157], v[154:155]
	ds_load_2addr_b64 v[152:155], v2 offset0:115 offset1:116
	ds_load_2addr_b64 v[160:163], v2 offset0:117 offset1:118
	scratch_load_b64 v[156:157], off, off offset:496
	s_wait_dscnt 0x1
	v_fmac_f64_e32 v[166:167], v[158:159], v[152:153]
	s_wait_loadcnt 0x5
	s_delay_alu instid0(VALU_DEP_1) | instskip(SKIP_1) | instid1(VALU_DEP_1)
	v_fmac_f64_e32 v[166:167], v[136:137], v[154:155]
	s_wait_dscnt 0x0
	v_fmac_f64_e32 v[166:167], v[138:139], v[160:161]
	ds_load_2addr_b64 v[136:139], v2 offset0:119 offset1:120
	ds_load_2addr_b64 v[152:155], v2 offset0:121 offset1:122
	s_wait_loadcnt 0x4
	v_fmac_f64_e32 v[166:167], v[144:145], v[162:163]
	s_wait_dscnt 0x1
	s_delay_alu instid0(VALU_DEP_1) | instskip(SKIP_1) | instid1(VALU_DEP_1)
	v_fmac_f64_e32 v[166:167], v[146:147], v[136:137]
	s_wait_loadcnt 0x3
	v_fmac_f64_e32 v[166:167], v[140:141], v[138:139]
	s_wait_dscnt 0x0
	s_delay_alu instid0(VALU_DEP_1)
	v_fmac_f64_e32 v[166:167], v[142:143], v[152:153]
	ds_load_2addr_b64 v[136:139], v2 offset0:123 offset1:124
	ds_load_2addr_b64 v[140:143], v2 offset0:125 offset1:126
	s_wait_loadcnt 0x2
	v_fmac_f64_e32 v[166:167], v[148:149], v[154:155]
	s_wait_dscnt 0x1
	s_delay_alu instid0(VALU_DEP_1) | instskip(SKIP_1) | instid1(VALU_DEP_1)
	v_fmac_f64_e32 v[166:167], v[150:151], v[136:137]
	s_wait_loadcnt 0x1
	v_fmac_f64_e32 v[166:167], v[132:133], v[138:139]
	s_wait_dscnt 0x0
	s_delay_alu instid0(VALU_DEP_1) | instskip(SKIP_1) | instid1(VALU_DEP_1)
	v_fmac_f64_e32 v[166:167], v[134:135], v[140:141]
	s_wait_loadcnt 0x0
	v_fmac_f64_e32 v[166:167], v[156:157], v[142:143]
	s_delay_alu instid0(VALU_DEP_1)
	v_add_f64_e64 v[2:3], v[130:131], -v[166:167]
	scratch_store_b64 off, v[2:3], off offset:80
	s_wait_xcnt 0x0
	v_cmpx_lt_u32_e32 9, v0
	s_cbranch_execz .LBB62_369
; %bb.368:
	scratch_load_b64 v[2:3], off, off offset:72
	v_mov_b64_e32 v[130:131], 0
	scratch_store_b64 off, v[130:131], off offset:72
	s_wait_loadcnt 0x0
	ds_store_b64 v1, v[2:3]
.LBB62_369:
	s_wait_xcnt 0x0
	s_or_b32 exec_lo, exec_lo, s0
	s_wait_storecnt_dscnt 0x0
	s_barrier_signal -1
	s_barrier_wait -1
	s_clause 0x5
	scratch_load_b128 v[130:133], off, off offset:72
	scratch_load_b128 v[134:137], off, off offset:88
	;; [unrolled: 1-line block ×6, first 2 shown]
	v_mov_b32_e32 v2, 0
	ds_load_b128 v[154:157], v2 offset:592
	ds_load_b128 v[158:161], v2 offset:608
	scratch_load_b128 v[162:165], off, off offset:168
	s_mov_b32 s0, exec_lo
	s_wait_loadcnt_dscnt 0x601
	v_fma_f64 v[166:167], v[132:133], v[154:155], 0
	s_wait_loadcnt 0x5
	s_delay_alu instid0(VALU_DEP_1) | instskip(SKIP_4) | instid1(VALU_DEP_1)
	v_fmac_f64_e32 v[166:167], v[134:135], v[156:157]
	scratch_load_b128 v[132:135], off, off offset:184
	s_wait_dscnt 0x0
	v_fmac_f64_e32 v[166:167], v[136:137], v[158:159]
	s_wait_loadcnt 0x5
	v_fmac_f64_e32 v[166:167], v[138:139], v[160:161]
	ds_load_b128 v[136:139], v2 offset:624
	ds_load_b128 v[154:157], v2 offset:640
	scratch_load_b128 v[158:161], off, off offset:200
	s_wait_dscnt 0x1
	v_fmac_f64_e32 v[166:167], v[140:141], v[136:137]
	s_wait_loadcnt 0x5
	s_delay_alu instid0(VALU_DEP_1) | instskip(SKIP_4) | instid1(VALU_DEP_1)
	v_fmac_f64_e32 v[166:167], v[142:143], v[138:139]
	scratch_load_b128 v[136:139], off, off offset:216
	s_wait_dscnt 0x0
	v_fmac_f64_e32 v[166:167], v[144:145], v[154:155]
	s_wait_loadcnt 0x5
	v_fmac_f64_e32 v[166:167], v[146:147], v[156:157]
	ds_load_b128 v[140:143], v2 offset:656
	ds_load_b128 v[144:147], v2 offset:672
	scratch_load_b128 v[154:157], off, off offset:232
	s_wait_dscnt 0x1
	v_fmac_f64_e32 v[166:167], v[148:149], v[140:141]
	s_wait_loadcnt 0x5
	s_delay_alu instid0(VALU_DEP_1) | instskip(SKIP_4) | instid1(VALU_DEP_1)
	v_fmac_f64_e32 v[166:167], v[150:151], v[142:143]
	scratch_load_b128 v[140:143], off, off offset:248
	s_wait_dscnt 0x0
	v_fmac_f64_e32 v[166:167], v[152:153], v[144:145]
	s_wait_loadcnt 0x5
	v_fmac_f64_e32 v[166:167], v[162:163], v[146:147]
	ds_load_b128 v[144:147], v2 offset:688
	ds_load_b128 v[148:151], v2 offset:704
	s_wait_dscnt 0x1
	v_fmac_f64_e32 v[166:167], v[164:165], v[144:145]
	scratch_load_b128 v[162:165], off, off offset:264
	s_wait_loadcnt 0x5
	v_fmac_f64_e32 v[166:167], v[132:133], v[146:147]
	s_wait_dscnt 0x0
	s_delay_alu instid0(VALU_DEP_1)
	v_fmac_f64_e32 v[166:167], v[134:135], v[148:149]
	scratch_load_b128 v[132:135], off, off offset:280
	s_wait_loadcnt 0x5
	v_fmac_f64_e32 v[166:167], v[158:159], v[150:151]
	ds_load_b128 v[144:147], v2 offset:720
	ds_load_b128 v[148:151], v2 offset:736
	s_wait_dscnt 0x1
	v_fmac_f64_e32 v[166:167], v[160:161], v[144:145]
	scratch_load_b128 v[158:161], off, off offset:296
	s_wait_loadcnt 0x5
	v_fmac_f64_e32 v[166:167], v[136:137], v[146:147]
	s_wait_dscnt 0x0
	s_delay_alu instid0(VALU_DEP_1)
	v_fmac_f64_e32 v[166:167], v[138:139], v[148:149]
	scratch_load_b128 v[136:139], off, off offset:312
	s_wait_loadcnt 0x5
	v_fmac_f64_e32 v[166:167], v[154:155], v[150:151]
	ds_load_b128 v[144:147], v2 offset:752
	ds_load_b128 v[148:151], v2 offset:768
	scratch_load_b128 v[152:155], off, off offset:328
	s_wait_dscnt 0x1
	v_fmac_f64_e32 v[166:167], v[156:157], v[144:145]
	s_wait_loadcnt 0x5
	s_delay_alu instid0(VALU_DEP_1) | instskip(SKIP_1) | instid1(VALU_DEP_1)
	v_fmac_f64_e32 v[166:167], v[140:141], v[146:147]
	s_wait_dscnt 0x0
	v_fmac_f64_e32 v[166:167], v[142:143], v[148:149]
	scratch_load_b128 v[140:143], off, off offset:344
	s_wait_loadcnt 0x5
	v_fmac_f64_e32 v[166:167], v[162:163], v[150:151]
	ds_load_b128 v[144:147], v2 offset:784
	ds_load_b128 v[148:151], v2 offset:800
	s_wait_dscnt 0x1
	v_fmac_f64_e32 v[166:167], v[164:165], v[144:145]
	scratch_load_b128 v[162:165], off, off offset:360
	s_wait_loadcnt 0x5
	v_fmac_f64_e32 v[166:167], v[132:133], v[146:147]
	s_wait_dscnt 0x0
	s_delay_alu instid0(VALU_DEP_1)
	v_fmac_f64_e32 v[166:167], v[134:135], v[148:149]
	scratch_load_b128 v[132:135], off, off offset:376
	s_wait_loadcnt 0x5
	v_fmac_f64_e32 v[166:167], v[158:159], v[150:151]
	ds_load_b128 v[144:147], v2 offset:816
	ds_load_b128 v[148:151], v2 offset:832
	scratch_load_b128 v[156:159], off, off offset:392
	s_wait_dscnt 0x1
	v_fmac_f64_e32 v[166:167], v[160:161], v[144:145]
	s_wait_loadcnt 0x5
	s_delay_alu instid0(VALU_DEP_1) | instskip(SKIP_1) | instid1(VALU_DEP_1)
	v_fmac_f64_e32 v[166:167], v[136:137], v[146:147]
	s_wait_dscnt 0x0
	v_fmac_f64_e32 v[166:167], v[138:139], v[148:149]
	scratch_load_b128 v[136:139], off, off offset:408
	s_wait_loadcnt 0x5
	v_fmac_f64_e32 v[166:167], v[152:153], v[150:151]
	ds_load_b128 v[144:147], v2 offset:848
	ds_load_b128 v[148:151], v2 offset:864
	s_wait_dscnt 0x1
	v_fmac_f64_e32 v[166:167], v[154:155], v[144:145]
	s_wait_loadcnt 0x4
	s_delay_alu instid0(VALU_DEP_1)
	v_fmac_f64_e32 v[166:167], v[140:141], v[146:147]
	scratch_load_b128 v[144:147], off, off offset:424
	s_wait_dscnt 0x0
	v_fmac_f64_e32 v[166:167], v[142:143], v[148:149]
	scratch_load_b128 v[140:143], off, off offset:440
	s_wait_loadcnt 0x5
	v_fmac_f64_e32 v[166:167], v[162:163], v[150:151]
	ds_load_b128 v[148:151], v2 offset:880
	ds_load_b128 v[152:155], v2 offset:896
	s_wait_dscnt 0x1
	v_fmac_f64_e32 v[166:167], v[164:165], v[148:149]
	s_wait_loadcnt 0x4
	s_delay_alu instid0(VALU_DEP_1)
	v_fmac_f64_e32 v[166:167], v[132:133], v[150:151]
	scratch_load_b128 v[148:151], off, off offset:456
	;; [unrolled: 13-line block ×3, first 2 shown]
	s_wait_dscnt 0x0
	v_fmac_f64_e32 v[166:167], v[138:139], v[160:161]
	ds_load_b128 v[136:139], v2 offset:944
	ds_load_b128 v[156:159], v2 offset:960
	s_wait_loadcnt 0x4
	v_fmac_f64_e32 v[166:167], v[144:145], v[162:163]
	s_wait_dscnt 0x1
	s_delay_alu instid0(VALU_DEP_1) | instskip(SKIP_1) | instid1(VALU_DEP_1)
	v_fmac_f64_e32 v[166:167], v[146:147], v[136:137]
	s_wait_loadcnt 0x3
	v_fmac_f64_e32 v[166:167], v[140:141], v[138:139]
	s_wait_dscnt 0x0
	s_delay_alu instid0(VALU_DEP_1)
	v_fmac_f64_e32 v[166:167], v[142:143], v[156:157]
	ds_load_b128 v[136:139], v2 offset:976
	ds_load_b128 v[140:143], v2 offset:992
	s_wait_loadcnt 0x2
	v_fmac_f64_e32 v[166:167], v[148:149], v[158:159]
	s_wait_dscnt 0x1
	s_delay_alu instid0(VALU_DEP_1) | instskip(SKIP_1) | instid1(VALU_DEP_1)
	v_fmac_f64_e32 v[166:167], v[150:151], v[136:137]
	s_wait_loadcnt 0x1
	v_fmac_f64_e32 v[166:167], v[132:133], v[138:139]
	ds_load_b64 v[132:133], v2 offset:1008
	s_wait_dscnt 0x1
	v_fmac_f64_e32 v[166:167], v[134:135], v[140:141]
	s_wait_loadcnt 0x0
	s_delay_alu instid0(VALU_DEP_1) | instskip(SKIP_1) | instid1(VALU_DEP_1)
	v_fmac_f64_e32 v[166:167], v[152:153], v[142:143]
	s_wait_dscnt 0x0
	v_fmac_f64_e32 v[166:167], v[154:155], v[132:133]
	s_delay_alu instid0(VALU_DEP_1)
	v_add_f64_e64 v[130:131], v[130:131], -v[166:167]
	scratch_store_b64 off, v[130:131], off offset:72
	s_wait_xcnt 0x0
	v_cmpx_lt_u32_e32 8, v0
	s_cbranch_execz .LBB62_371
; %bb.370:
	scratch_load_b64 v[130:131], off, off offset:64
	v_mov_b64_e32 v[132:133], 0
	scratch_store_b64 off, v[132:133], off offset:64
	s_wait_loadcnt 0x0
	ds_store_b64 v1, v[130:131]
.LBB62_371:
	s_wait_xcnt 0x0
	s_or_b32 exec_lo, exec_lo, s0
	s_wait_storecnt_dscnt 0x0
	s_barrier_signal -1
	s_barrier_wait -1
	s_clause 0x5
	scratch_load_b128 v[130:133], off, off offset:64
	scratch_load_b128 v[134:137], off, off offset:80
	;; [unrolled: 1-line block ×6, first 2 shown]
	ds_load_2addr_b64 v[154:157], v2 offset0:73 offset1:74
	ds_load_2addr_b64 v[158:161], v2 offset0:75 offset1:76
	scratch_load_b128 v[162:165], off, off offset:160
	s_mov_b32 s0, exec_lo
	s_wait_loadcnt_dscnt 0x601
	v_fma_f64 v[166:167], v[132:133], v[154:155], 0
	s_wait_loadcnt 0x5
	s_delay_alu instid0(VALU_DEP_1) | instskip(SKIP_4) | instid1(VALU_DEP_1)
	v_fmac_f64_e32 v[166:167], v[134:135], v[156:157]
	scratch_load_b128 v[132:135], off, off offset:176
	s_wait_dscnt 0x0
	v_fmac_f64_e32 v[166:167], v[136:137], v[158:159]
	s_wait_loadcnt 0x5
	v_fmac_f64_e32 v[166:167], v[138:139], v[160:161]
	ds_load_2addr_b64 v[136:139], v2 offset0:77 offset1:78
	ds_load_2addr_b64 v[154:157], v2 offset0:79 offset1:80
	scratch_load_b128 v[158:161], off, off offset:192
	s_wait_dscnt 0x1
	v_fmac_f64_e32 v[166:167], v[140:141], v[136:137]
	s_wait_loadcnt 0x5
	s_delay_alu instid0(VALU_DEP_1) | instskip(SKIP_4) | instid1(VALU_DEP_1)
	v_fmac_f64_e32 v[166:167], v[142:143], v[138:139]
	scratch_load_b128 v[136:139], off, off offset:208
	s_wait_dscnt 0x0
	v_fmac_f64_e32 v[166:167], v[144:145], v[154:155]
	s_wait_loadcnt 0x5
	v_fmac_f64_e32 v[166:167], v[146:147], v[156:157]
	ds_load_2addr_b64 v[140:143], v2 offset0:81 offset1:82
	ds_load_2addr_b64 v[144:147], v2 offset0:83 offset1:84
	scratch_load_b128 v[154:157], off, off offset:224
	s_wait_dscnt 0x1
	v_fmac_f64_e32 v[166:167], v[148:149], v[140:141]
	s_wait_loadcnt 0x5
	s_delay_alu instid0(VALU_DEP_1) | instskip(SKIP_4) | instid1(VALU_DEP_1)
	v_fmac_f64_e32 v[166:167], v[150:151], v[142:143]
	scratch_load_b128 v[140:143], off, off offset:240
	s_wait_dscnt 0x0
	v_fmac_f64_e32 v[166:167], v[152:153], v[144:145]
	s_wait_loadcnt 0x5
	v_fmac_f64_e32 v[166:167], v[162:163], v[146:147]
	ds_load_2addr_b64 v[144:147], v2 offset0:85 offset1:86
	ds_load_2addr_b64 v[148:151], v2 offset0:87 offset1:88
	s_wait_dscnt 0x1
	v_fmac_f64_e32 v[166:167], v[164:165], v[144:145]
	scratch_load_b128 v[162:165], off, off offset:256
	s_wait_loadcnt 0x5
	v_fmac_f64_e32 v[166:167], v[132:133], v[146:147]
	s_wait_dscnt 0x0
	s_delay_alu instid0(VALU_DEP_1)
	v_fmac_f64_e32 v[166:167], v[134:135], v[148:149]
	scratch_load_b128 v[132:135], off, off offset:272
	s_wait_loadcnt 0x5
	v_fmac_f64_e32 v[166:167], v[158:159], v[150:151]
	ds_load_2addr_b64 v[144:147], v2 offset0:89 offset1:90
	ds_load_2addr_b64 v[148:151], v2 offset0:91 offset1:92
	s_wait_dscnt 0x1
	v_fmac_f64_e32 v[166:167], v[160:161], v[144:145]
	scratch_load_b128 v[158:161], off, off offset:288
	s_wait_loadcnt 0x5
	v_fmac_f64_e32 v[166:167], v[136:137], v[146:147]
	s_wait_dscnt 0x0
	s_delay_alu instid0(VALU_DEP_1)
	v_fmac_f64_e32 v[166:167], v[138:139], v[148:149]
	scratch_load_b128 v[136:139], off, off offset:304
	s_wait_loadcnt 0x5
	v_fmac_f64_e32 v[166:167], v[154:155], v[150:151]
	ds_load_2addr_b64 v[144:147], v2 offset0:93 offset1:94
	ds_load_2addr_b64 v[148:151], v2 offset0:95 offset1:96
	scratch_load_b128 v[152:155], off, off offset:320
	s_wait_dscnt 0x1
	v_fmac_f64_e32 v[166:167], v[156:157], v[144:145]
	s_wait_loadcnt 0x5
	s_delay_alu instid0(VALU_DEP_1) | instskip(SKIP_1) | instid1(VALU_DEP_1)
	v_fmac_f64_e32 v[166:167], v[140:141], v[146:147]
	s_wait_dscnt 0x0
	v_fmac_f64_e32 v[166:167], v[142:143], v[148:149]
	scratch_load_b128 v[140:143], off, off offset:336
	s_wait_loadcnt 0x5
	v_fmac_f64_e32 v[166:167], v[162:163], v[150:151]
	ds_load_2addr_b64 v[144:147], v2 offset0:97 offset1:98
	ds_load_2addr_b64 v[148:151], v2 offset0:99 offset1:100
	s_wait_dscnt 0x1
	v_fmac_f64_e32 v[166:167], v[164:165], v[144:145]
	scratch_load_b128 v[162:165], off, off offset:352
	s_wait_loadcnt 0x5
	v_fmac_f64_e32 v[166:167], v[132:133], v[146:147]
	s_wait_dscnt 0x0
	s_delay_alu instid0(VALU_DEP_1)
	v_fmac_f64_e32 v[166:167], v[134:135], v[148:149]
	scratch_load_b128 v[132:135], off, off offset:368
	s_wait_loadcnt 0x5
	v_fmac_f64_e32 v[166:167], v[158:159], v[150:151]
	ds_load_2addr_b64 v[144:147], v2 offset0:101 offset1:102
	ds_load_2addr_b64 v[148:151], v2 offset0:103 offset1:104
	scratch_load_b128 v[156:159], off, off offset:384
	s_wait_dscnt 0x1
	v_fmac_f64_e32 v[166:167], v[160:161], v[144:145]
	s_wait_loadcnt 0x5
	s_delay_alu instid0(VALU_DEP_1) | instskip(SKIP_1) | instid1(VALU_DEP_1)
	v_fmac_f64_e32 v[166:167], v[136:137], v[146:147]
	s_wait_dscnt 0x0
	v_fmac_f64_e32 v[166:167], v[138:139], v[148:149]
	scratch_load_b128 v[136:139], off, off offset:400
	s_wait_loadcnt 0x5
	v_fmac_f64_e32 v[166:167], v[152:153], v[150:151]
	ds_load_2addr_b64 v[144:147], v2 offset0:105 offset1:106
	ds_load_2addr_b64 v[148:151], v2 offset0:107 offset1:108
	s_wait_dscnt 0x1
	v_fmac_f64_e32 v[166:167], v[154:155], v[144:145]
	scratch_load_b128 v[152:155], off, off offset:416
	s_wait_loadcnt 0x5
	v_fmac_f64_e32 v[166:167], v[140:141], v[146:147]
	s_wait_dscnt 0x0
	s_delay_alu instid0(VALU_DEP_1)
	v_fmac_f64_e32 v[166:167], v[142:143], v[148:149]
	scratch_load_b128 v[140:143], off, off offset:432
	s_wait_loadcnt 0x5
	v_fmac_f64_e32 v[166:167], v[162:163], v[150:151]
	ds_load_2addr_b64 v[144:147], v2 offset0:109 offset1:110
	ds_load_2addr_b64 v[148:151], v2 offset0:111 offset1:112
	s_wait_dscnt 0x1
	v_fmac_f64_e32 v[166:167], v[164:165], v[144:145]
	s_wait_loadcnt 0x4
	s_delay_alu instid0(VALU_DEP_1)
	v_fmac_f64_e32 v[166:167], v[132:133], v[146:147]
	scratch_load_b128 v[144:147], off, off offset:448
	s_wait_dscnt 0x0
	v_fmac_f64_e32 v[166:167], v[134:135], v[148:149]
	scratch_load_b128 v[132:135], off, off offset:464
	s_wait_loadcnt 0x5
	v_fmac_f64_e32 v[166:167], v[156:157], v[150:151]
	ds_load_2addr_b64 v[148:151], v2 offset0:113 offset1:114
	ds_load_2addr_b64 v[160:163], v2 offset0:115 offset1:116
	s_wait_dscnt 0x1
	v_fmac_f64_e32 v[166:167], v[158:159], v[148:149]
	s_wait_loadcnt 0x4
	s_delay_alu instid0(VALU_DEP_1) | instskip(SKIP_4) | instid1(VALU_DEP_1)
	v_fmac_f64_e32 v[166:167], v[136:137], v[150:151]
	scratch_load_b128 v[148:151], off, off offset:480
	s_wait_dscnt 0x0
	v_fmac_f64_e32 v[166:167], v[138:139], v[160:161]
	s_wait_loadcnt 0x4
	v_fmac_f64_e32 v[166:167], v[152:153], v[162:163]
	scratch_load_b64 v[152:153], off, off offset:496
	ds_load_2addr_b64 v[136:139], v2 offset0:117 offset1:118
	ds_load_2addr_b64 v[156:159], v2 offset0:119 offset1:120
	s_wait_dscnt 0x1
	v_fmac_f64_e32 v[166:167], v[154:155], v[136:137]
	s_wait_loadcnt 0x4
	s_delay_alu instid0(VALU_DEP_1) | instskip(SKIP_1) | instid1(VALU_DEP_1)
	v_fmac_f64_e32 v[166:167], v[140:141], v[138:139]
	s_wait_dscnt 0x0
	v_fmac_f64_e32 v[166:167], v[142:143], v[156:157]
	ds_load_2addr_b64 v[136:139], v2 offset0:121 offset1:122
	ds_load_2addr_b64 v[140:143], v2 offset0:123 offset1:124
	s_wait_loadcnt 0x3
	v_fmac_f64_e32 v[166:167], v[144:145], v[158:159]
	s_wait_dscnt 0x1
	s_delay_alu instid0(VALU_DEP_1) | instskip(SKIP_1) | instid1(VALU_DEP_1)
	v_fmac_f64_e32 v[166:167], v[146:147], v[136:137]
	s_wait_loadcnt 0x2
	v_fmac_f64_e32 v[166:167], v[132:133], v[138:139]
	s_wait_dscnt 0x0
	s_delay_alu instid0(VALU_DEP_1) | instskip(SKIP_4) | instid1(VALU_DEP_1)
	v_fmac_f64_e32 v[166:167], v[134:135], v[140:141]
	ds_load_2addr_b64 v[132:135], v2 offset0:125 offset1:126
	s_wait_loadcnt 0x1
	v_fmac_f64_e32 v[166:167], v[148:149], v[142:143]
	s_wait_dscnt 0x0
	v_fmac_f64_e32 v[166:167], v[150:151], v[132:133]
	s_wait_loadcnt 0x0
	s_delay_alu instid0(VALU_DEP_1) | instskip(NEXT) | instid1(VALU_DEP_1)
	v_fmac_f64_e32 v[166:167], v[152:153], v[134:135]
	v_add_f64_e64 v[2:3], v[130:131], -v[166:167]
	scratch_store_b64 off, v[2:3], off offset:64
	s_wait_xcnt 0x0
	v_cmpx_lt_u32_e32 7, v0
	s_cbranch_execz .LBB62_373
; %bb.372:
	scratch_load_b64 v[2:3], off, off offset:56
	v_mov_b64_e32 v[130:131], 0
	scratch_store_b64 off, v[130:131], off offset:56
	s_wait_loadcnt 0x0
	ds_store_b64 v1, v[2:3]
.LBB62_373:
	s_wait_xcnt 0x0
	s_or_b32 exec_lo, exec_lo, s0
	s_wait_storecnt_dscnt 0x0
	s_barrier_signal -1
	s_barrier_wait -1
	s_clause 0x5
	scratch_load_b128 v[130:133], off, off offset:56
	scratch_load_b128 v[134:137], off, off offset:72
	;; [unrolled: 1-line block ×6, first 2 shown]
	v_mov_b32_e32 v2, 0
	ds_load_b128 v[154:157], v2 offset:576
	ds_load_b128 v[158:161], v2 offset:592
	scratch_load_b128 v[162:165], off, off offset:152
	s_mov_b32 s0, exec_lo
	s_wait_loadcnt_dscnt 0x601
	v_fma_f64 v[166:167], v[132:133], v[154:155], 0
	s_wait_loadcnt 0x5
	s_delay_alu instid0(VALU_DEP_1) | instskip(SKIP_4) | instid1(VALU_DEP_1)
	v_fmac_f64_e32 v[166:167], v[134:135], v[156:157]
	scratch_load_b128 v[132:135], off, off offset:168
	s_wait_dscnt 0x0
	v_fmac_f64_e32 v[166:167], v[136:137], v[158:159]
	s_wait_loadcnt 0x5
	v_fmac_f64_e32 v[166:167], v[138:139], v[160:161]
	ds_load_b128 v[136:139], v2 offset:608
	ds_load_b128 v[154:157], v2 offset:624
	scratch_load_b128 v[158:161], off, off offset:184
	s_wait_dscnt 0x1
	v_fmac_f64_e32 v[166:167], v[140:141], v[136:137]
	s_wait_loadcnt 0x5
	s_delay_alu instid0(VALU_DEP_1) | instskip(SKIP_4) | instid1(VALU_DEP_1)
	v_fmac_f64_e32 v[166:167], v[142:143], v[138:139]
	scratch_load_b128 v[136:139], off, off offset:200
	s_wait_dscnt 0x0
	v_fmac_f64_e32 v[166:167], v[144:145], v[154:155]
	s_wait_loadcnt 0x5
	v_fmac_f64_e32 v[166:167], v[146:147], v[156:157]
	ds_load_b128 v[140:143], v2 offset:640
	ds_load_b128 v[144:147], v2 offset:656
	scratch_load_b128 v[154:157], off, off offset:216
	s_wait_dscnt 0x1
	v_fmac_f64_e32 v[166:167], v[148:149], v[140:141]
	s_wait_loadcnt 0x5
	s_delay_alu instid0(VALU_DEP_1) | instskip(SKIP_4) | instid1(VALU_DEP_1)
	v_fmac_f64_e32 v[166:167], v[150:151], v[142:143]
	scratch_load_b128 v[140:143], off, off offset:232
	s_wait_dscnt 0x0
	v_fmac_f64_e32 v[166:167], v[152:153], v[144:145]
	s_wait_loadcnt 0x5
	v_fmac_f64_e32 v[166:167], v[162:163], v[146:147]
	ds_load_b128 v[144:147], v2 offset:672
	ds_load_b128 v[148:151], v2 offset:688
	s_wait_dscnt 0x1
	v_fmac_f64_e32 v[166:167], v[164:165], v[144:145]
	scratch_load_b128 v[162:165], off, off offset:248
	s_wait_loadcnt 0x5
	v_fmac_f64_e32 v[166:167], v[132:133], v[146:147]
	s_wait_dscnt 0x0
	s_delay_alu instid0(VALU_DEP_1)
	v_fmac_f64_e32 v[166:167], v[134:135], v[148:149]
	scratch_load_b128 v[132:135], off, off offset:264
	s_wait_loadcnt 0x5
	v_fmac_f64_e32 v[166:167], v[158:159], v[150:151]
	ds_load_b128 v[144:147], v2 offset:704
	ds_load_b128 v[148:151], v2 offset:720
	s_wait_dscnt 0x1
	v_fmac_f64_e32 v[166:167], v[160:161], v[144:145]
	scratch_load_b128 v[158:161], off, off offset:280
	s_wait_loadcnt 0x5
	v_fmac_f64_e32 v[166:167], v[136:137], v[146:147]
	s_wait_dscnt 0x0
	s_delay_alu instid0(VALU_DEP_1)
	v_fmac_f64_e32 v[166:167], v[138:139], v[148:149]
	scratch_load_b128 v[136:139], off, off offset:296
	s_wait_loadcnt 0x5
	v_fmac_f64_e32 v[166:167], v[154:155], v[150:151]
	ds_load_b128 v[144:147], v2 offset:736
	ds_load_b128 v[148:151], v2 offset:752
	scratch_load_b128 v[152:155], off, off offset:312
	s_wait_dscnt 0x1
	v_fmac_f64_e32 v[166:167], v[156:157], v[144:145]
	s_wait_loadcnt 0x5
	s_delay_alu instid0(VALU_DEP_1) | instskip(SKIP_1) | instid1(VALU_DEP_1)
	v_fmac_f64_e32 v[166:167], v[140:141], v[146:147]
	s_wait_dscnt 0x0
	v_fmac_f64_e32 v[166:167], v[142:143], v[148:149]
	scratch_load_b128 v[140:143], off, off offset:328
	s_wait_loadcnt 0x5
	v_fmac_f64_e32 v[166:167], v[162:163], v[150:151]
	ds_load_b128 v[144:147], v2 offset:768
	ds_load_b128 v[148:151], v2 offset:784
	s_wait_dscnt 0x1
	v_fmac_f64_e32 v[166:167], v[164:165], v[144:145]
	scratch_load_b128 v[162:165], off, off offset:344
	s_wait_loadcnt 0x5
	v_fmac_f64_e32 v[166:167], v[132:133], v[146:147]
	s_wait_dscnt 0x0
	s_delay_alu instid0(VALU_DEP_1)
	v_fmac_f64_e32 v[166:167], v[134:135], v[148:149]
	scratch_load_b128 v[132:135], off, off offset:360
	s_wait_loadcnt 0x5
	v_fmac_f64_e32 v[166:167], v[158:159], v[150:151]
	ds_load_b128 v[144:147], v2 offset:800
	ds_load_b128 v[148:151], v2 offset:816
	scratch_load_b128 v[156:159], off, off offset:376
	s_wait_dscnt 0x1
	v_fmac_f64_e32 v[166:167], v[160:161], v[144:145]
	s_wait_loadcnt 0x5
	s_delay_alu instid0(VALU_DEP_1) | instskip(SKIP_1) | instid1(VALU_DEP_1)
	v_fmac_f64_e32 v[166:167], v[136:137], v[146:147]
	s_wait_dscnt 0x0
	v_fmac_f64_e32 v[166:167], v[138:139], v[148:149]
	scratch_load_b128 v[136:139], off, off offset:392
	s_wait_loadcnt 0x5
	v_fmac_f64_e32 v[166:167], v[152:153], v[150:151]
	ds_load_b128 v[144:147], v2 offset:832
	ds_load_b128 v[148:151], v2 offset:848
	s_wait_dscnt 0x1
	v_fmac_f64_e32 v[166:167], v[154:155], v[144:145]
	scratch_load_b128 v[152:155], off, off offset:408
	s_wait_loadcnt 0x5
	v_fmac_f64_e32 v[166:167], v[140:141], v[146:147]
	s_wait_dscnt 0x0
	s_delay_alu instid0(VALU_DEP_1)
	v_fmac_f64_e32 v[166:167], v[142:143], v[148:149]
	scratch_load_b128 v[140:143], off, off offset:424
	s_wait_loadcnt 0x5
	v_fmac_f64_e32 v[166:167], v[162:163], v[150:151]
	ds_load_b128 v[144:147], v2 offset:864
	ds_load_b128 v[148:151], v2 offset:880
	s_wait_dscnt 0x1
	v_fmac_f64_e32 v[166:167], v[164:165], v[144:145]
	s_wait_loadcnt 0x4
	s_delay_alu instid0(VALU_DEP_1)
	v_fmac_f64_e32 v[166:167], v[132:133], v[146:147]
	scratch_load_b128 v[144:147], off, off offset:440
	s_wait_dscnt 0x0
	v_fmac_f64_e32 v[166:167], v[134:135], v[148:149]
	scratch_load_b128 v[132:135], off, off offset:456
	s_wait_loadcnt 0x5
	v_fmac_f64_e32 v[166:167], v[156:157], v[150:151]
	ds_load_b128 v[148:151], v2 offset:896
	ds_load_b128 v[160:163], v2 offset:912
	s_wait_dscnt 0x1
	v_fmac_f64_e32 v[166:167], v[158:159], v[148:149]
	s_wait_loadcnt 0x4
	s_delay_alu instid0(VALU_DEP_1)
	v_fmac_f64_e32 v[166:167], v[136:137], v[150:151]
	scratch_load_b128 v[148:151], off, off offset:472
	s_wait_dscnt 0x0
	v_fmac_f64_e32 v[166:167], v[138:139], v[160:161]
	scratch_load_b128 v[136:139], off, off offset:488
	s_wait_loadcnt 0x5
	v_fmac_f64_e32 v[166:167], v[152:153], v[162:163]
	ds_load_b128 v[156:159], v2 offset:928
	ds_load_b128 v[160:163], v2 offset:944
	s_wait_dscnt 0x1
	v_fmac_f64_e32 v[166:167], v[154:155], v[156:157]
	s_wait_loadcnt 0x4
	s_delay_alu instid0(VALU_DEP_1) | instskip(SKIP_1) | instid1(VALU_DEP_1)
	v_fmac_f64_e32 v[166:167], v[140:141], v[158:159]
	s_wait_dscnt 0x0
	v_fmac_f64_e32 v[166:167], v[142:143], v[160:161]
	ds_load_b128 v[140:143], v2 offset:960
	ds_load_b128 v[152:155], v2 offset:976
	s_wait_loadcnt 0x3
	v_fmac_f64_e32 v[166:167], v[144:145], v[162:163]
	s_wait_dscnt 0x1
	s_delay_alu instid0(VALU_DEP_1) | instskip(SKIP_1) | instid1(VALU_DEP_1)
	v_fmac_f64_e32 v[166:167], v[146:147], v[140:141]
	s_wait_loadcnt 0x2
	v_fmac_f64_e32 v[166:167], v[132:133], v[142:143]
	s_wait_dscnt 0x0
	s_delay_alu instid0(VALU_DEP_1)
	v_fmac_f64_e32 v[166:167], v[134:135], v[152:153]
	ds_load_b128 v[132:135], v2 offset:992
	ds_load_b64 v[140:141], v2 offset:1008
	s_wait_loadcnt 0x1
	v_fmac_f64_e32 v[166:167], v[148:149], v[154:155]
	s_wait_dscnt 0x1
	s_delay_alu instid0(VALU_DEP_1) | instskip(SKIP_1) | instid1(VALU_DEP_1)
	v_fmac_f64_e32 v[166:167], v[150:151], v[132:133]
	s_wait_loadcnt 0x0
	v_fmac_f64_e32 v[166:167], v[136:137], v[134:135]
	s_wait_dscnt 0x0
	s_delay_alu instid0(VALU_DEP_1) | instskip(NEXT) | instid1(VALU_DEP_1)
	v_fmac_f64_e32 v[166:167], v[138:139], v[140:141]
	v_add_f64_e64 v[130:131], v[130:131], -v[166:167]
	scratch_store_b64 off, v[130:131], off offset:56
	s_wait_xcnt 0x0
	v_cmpx_lt_u32_e32 6, v0
	s_cbranch_execz .LBB62_375
; %bb.374:
	scratch_load_b64 v[130:131], off, off offset:48
	v_mov_b64_e32 v[132:133], 0
	scratch_store_b64 off, v[132:133], off offset:48
	s_wait_loadcnt 0x0
	ds_store_b64 v1, v[130:131]
.LBB62_375:
	s_wait_xcnt 0x0
	s_or_b32 exec_lo, exec_lo, s0
	s_wait_storecnt_dscnt 0x0
	s_barrier_signal -1
	s_barrier_wait -1
	s_clause 0x5
	scratch_load_b128 v[130:133], off, off offset:48
	scratch_load_b128 v[134:137], off, off offset:64
	;; [unrolled: 1-line block ×6, first 2 shown]
	ds_load_2addr_b64 v[154:157], v2 offset0:71 offset1:72
	ds_load_2addr_b64 v[158:161], v2 offset0:73 offset1:74
	scratch_load_b128 v[162:165], off, off offset:144
	s_mov_b32 s0, exec_lo
	s_wait_loadcnt_dscnt 0x601
	v_fma_f64 v[166:167], v[132:133], v[154:155], 0
	s_wait_loadcnt 0x5
	s_delay_alu instid0(VALU_DEP_1) | instskip(SKIP_4) | instid1(VALU_DEP_1)
	v_fmac_f64_e32 v[166:167], v[134:135], v[156:157]
	scratch_load_b128 v[132:135], off, off offset:160
	s_wait_dscnt 0x0
	v_fmac_f64_e32 v[166:167], v[136:137], v[158:159]
	s_wait_loadcnt 0x5
	v_fmac_f64_e32 v[166:167], v[138:139], v[160:161]
	ds_load_2addr_b64 v[136:139], v2 offset0:75 offset1:76
	ds_load_2addr_b64 v[154:157], v2 offset0:77 offset1:78
	scratch_load_b128 v[158:161], off, off offset:176
	s_wait_dscnt 0x1
	v_fmac_f64_e32 v[166:167], v[140:141], v[136:137]
	s_wait_loadcnt 0x5
	s_delay_alu instid0(VALU_DEP_1) | instskip(SKIP_4) | instid1(VALU_DEP_1)
	v_fmac_f64_e32 v[166:167], v[142:143], v[138:139]
	scratch_load_b128 v[136:139], off, off offset:192
	s_wait_dscnt 0x0
	v_fmac_f64_e32 v[166:167], v[144:145], v[154:155]
	s_wait_loadcnt 0x5
	v_fmac_f64_e32 v[166:167], v[146:147], v[156:157]
	ds_load_2addr_b64 v[140:143], v2 offset0:79 offset1:80
	ds_load_2addr_b64 v[144:147], v2 offset0:81 offset1:82
	scratch_load_b128 v[154:157], off, off offset:208
	s_wait_dscnt 0x1
	v_fmac_f64_e32 v[166:167], v[148:149], v[140:141]
	s_wait_loadcnt 0x5
	s_delay_alu instid0(VALU_DEP_1) | instskip(SKIP_4) | instid1(VALU_DEP_1)
	v_fmac_f64_e32 v[166:167], v[150:151], v[142:143]
	scratch_load_b128 v[140:143], off, off offset:224
	s_wait_dscnt 0x0
	v_fmac_f64_e32 v[166:167], v[152:153], v[144:145]
	s_wait_loadcnt 0x5
	v_fmac_f64_e32 v[166:167], v[162:163], v[146:147]
	ds_load_2addr_b64 v[144:147], v2 offset0:83 offset1:84
	ds_load_2addr_b64 v[148:151], v2 offset0:85 offset1:86
	s_wait_dscnt 0x1
	v_fmac_f64_e32 v[166:167], v[164:165], v[144:145]
	scratch_load_b128 v[162:165], off, off offset:240
	s_wait_loadcnt 0x5
	v_fmac_f64_e32 v[166:167], v[132:133], v[146:147]
	s_wait_dscnt 0x0
	s_delay_alu instid0(VALU_DEP_1)
	v_fmac_f64_e32 v[166:167], v[134:135], v[148:149]
	scratch_load_b128 v[132:135], off, off offset:256
	s_wait_loadcnt 0x5
	v_fmac_f64_e32 v[166:167], v[158:159], v[150:151]
	ds_load_2addr_b64 v[144:147], v2 offset0:87 offset1:88
	ds_load_2addr_b64 v[148:151], v2 offset0:89 offset1:90
	s_wait_dscnt 0x1
	v_fmac_f64_e32 v[166:167], v[160:161], v[144:145]
	scratch_load_b128 v[158:161], off, off offset:272
	s_wait_loadcnt 0x5
	v_fmac_f64_e32 v[166:167], v[136:137], v[146:147]
	s_wait_dscnt 0x0
	s_delay_alu instid0(VALU_DEP_1)
	v_fmac_f64_e32 v[166:167], v[138:139], v[148:149]
	scratch_load_b128 v[136:139], off, off offset:288
	s_wait_loadcnt 0x5
	v_fmac_f64_e32 v[166:167], v[154:155], v[150:151]
	ds_load_2addr_b64 v[144:147], v2 offset0:91 offset1:92
	ds_load_2addr_b64 v[148:151], v2 offset0:93 offset1:94
	scratch_load_b128 v[152:155], off, off offset:304
	s_wait_dscnt 0x1
	v_fmac_f64_e32 v[166:167], v[156:157], v[144:145]
	s_wait_loadcnt 0x5
	s_delay_alu instid0(VALU_DEP_1) | instskip(SKIP_1) | instid1(VALU_DEP_1)
	v_fmac_f64_e32 v[166:167], v[140:141], v[146:147]
	s_wait_dscnt 0x0
	v_fmac_f64_e32 v[166:167], v[142:143], v[148:149]
	scratch_load_b128 v[140:143], off, off offset:320
	s_wait_loadcnt 0x5
	v_fmac_f64_e32 v[166:167], v[162:163], v[150:151]
	ds_load_2addr_b64 v[144:147], v2 offset0:95 offset1:96
	ds_load_2addr_b64 v[148:151], v2 offset0:97 offset1:98
	s_wait_dscnt 0x1
	v_fmac_f64_e32 v[166:167], v[164:165], v[144:145]
	scratch_load_b128 v[162:165], off, off offset:336
	s_wait_loadcnt 0x5
	v_fmac_f64_e32 v[166:167], v[132:133], v[146:147]
	s_wait_dscnt 0x0
	s_delay_alu instid0(VALU_DEP_1)
	v_fmac_f64_e32 v[166:167], v[134:135], v[148:149]
	scratch_load_b128 v[132:135], off, off offset:352
	s_wait_loadcnt 0x5
	v_fmac_f64_e32 v[166:167], v[158:159], v[150:151]
	ds_load_2addr_b64 v[144:147], v2 offset0:99 offset1:100
	ds_load_2addr_b64 v[148:151], v2 offset0:101 offset1:102
	scratch_load_b128 v[156:159], off, off offset:368
	s_wait_dscnt 0x1
	v_fmac_f64_e32 v[166:167], v[160:161], v[144:145]
	s_wait_loadcnt 0x5
	s_delay_alu instid0(VALU_DEP_1) | instskip(SKIP_1) | instid1(VALU_DEP_1)
	v_fmac_f64_e32 v[166:167], v[136:137], v[146:147]
	s_wait_dscnt 0x0
	v_fmac_f64_e32 v[166:167], v[138:139], v[148:149]
	scratch_load_b128 v[136:139], off, off offset:384
	s_wait_loadcnt 0x5
	v_fmac_f64_e32 v[166:167], v[152:153], v[150:151]
	ds_load_2addr_b64 v[144:147], v2 offset0:103 offset1:104
	ds_load_2addr_b64 v[148:151], v2 offset0:105 offset1:106
	s_wait_dscnt 0x1
	v_fmac_f64_e32 v[166:167], v[154:155], v[144:145]
	scratch_load_b128 v[152:155], off, off offset:400
	s_wait_loadcnt 0x5
	v_fmac_f64_e32 v[166:167], v[140:141], v[146:147]
	s_wait_dscnt 0x0
	s_delay_alu instid0(VALU_DEP_1)
	v_fmac_f64_e32 v[166:167], v[142:143], v[148:149]
	scratch_load_b128 v[140:143], off, off offset:416
	s_wait_loadcnt 0x5
	v_fmac_f64_e32 v[166:167], v[162:163], v[150:151]
	ds_load_2addr_b64 v[144:147], v2 offset0:107 offset1:108
	ds_load_2addr_b64 v[148:151], v2 offset0:109 offset1:110
	s_wait_dscnt 0x1
	v_fmac_f64_e32 v[166:167], v[164:165], v[144:145]
	s_wait_loadcnt 0x4
	s_delay_alu instid0(VALU_DEP_1)
	v_fmac_f64_e32 v[166:167], v[132:133], v[146:147]
	scratch_load_b128 v[144:147], off, off offset:432
	s_wait_dscnt 0x0
	v_fmac_f64_e32 v[166:167], v[134:135], v[148:149]
	scratch_load_b128 v[132:135], off, off offset:448
	s_wait_loadcnt 0x5
	v_fmac_f64_e32 v[166:167], v[156:157], v[150:151]
	ds_load_2addr_b64 v[148:151], v2 offset0:111 offset1:112
	ds_load_2addr_b64 v[160:163], v2 offset0:113 offset1:114
	s_wait_dscnt 0x1
	v_fmac_f64_e32 v[166:167], v[158:159], v[148:149]
	s_wait_loadcnt 0x4
	s_delay_alu instid0(VALU_DEP_1)
	v_fmac_f64_e32 v[166:167], v[136:137], v[150:151]
	scratch_load_b128 v[148:151], off, off offset:464
	s_wait_dscnt 0x0
	v_fmac_f64_e32 v[166:167], v[138:139], v[160:161]
	scratch_load_b128 v[136:139], off, off offset:480
	s_wait_loadcnt 0x5
	v_fmac_f64_e32 v[166:167], v[152:153], v[162:163]
	ds_load_2addr_b64 v[156:159], v2 offset0:115 offset1:116
	ds_load_2addr_b64 v[160:163], v2 offset0:117 offset1:118
	s_wait_dscnt 0x1
	v_fmac_f64_e32 v[166:167], v[154:155], v[156:157]
	scratch_load_b64 v[156:157], off, off offset:496
	s_wait_loadcnt 0x5
	v_fmac_f64_e32 v[166:167], v[140:141], v[158:159]
	s_wait_dscnt 0x0
	s_delay_alu instid0(VALU_DEP_1)
	v_fmac_f64_e32 v[166:167], v[142:143], v[160:161]
	ds_load_2addr_b64 v[140:143], v2 offset0:119 offset1:120
	ds_load_2addr_b64 v[152:155], v2 offset0:121 offset1:122
	s_wait_loadcnt 0x4
	v_fmac_f64_e32 v[166:167], v[144:145], v[162:163]
	s_wait_dscnt 0x1
	s_delay_alu instid0(VALU_DEP_1) | instskip(SKIP_1) | instid1(VALU_DEP_1)
	v_fmac_f64_e32 v[166:167], v[146:147], v[140:141]
	s_wait_loadcnt 0x3
	v_fmac_f64_e32 v[166:167], v[132:133], v[142:143]
	s_wait_dscnt 0x0
	s_delay_alu instid0(VALU_DEP_1)
	v_fmac_f64_e32 v[166:167], v[134:135], v[152:153]
	ds_load_2addr_b64 v[132:135], v2 offset0:123 offset1:124
	ds_load_2addr_b64 v[140:143], v2 offset0:125 offset1:126
	s_wait_loadcnt 0x2
	v_fmac_f64_e32 v[166:167], v[148:149], v[154:155]
	s_wait_dscnt 0x1
	s_delay_alu instid0(VALU_DEP_1) | instskip(SKIP_1) | instid1(VALU_DEP_1)
	v_fmac_f64_e32 v[166:167], v[150:151], v[132:133]
	s_wait_loadcnt 0x1
	v_fmac_f64_e32 v[166:167], v[136:137], v[134:135]
	s_wait_dscnt 0x0
	s_delay_alu instid0(VALU_DEP_1) | instskip(SKIP_1) | instid1(VALU_DEP_1)
	v_fmac_f64_e32 v[166:167], v[138:139], v[140:141]
	s_wait_loadcnt 0x0
	v_fmac_f64_e32 v[166:167], v[156:157], v[142:143]
	s_delay_alu instid0(VALU_DEP_1)
	v_add_f64_e64 v[2:3], v[130:131], -v[166:167]
	scratch_store_b64 off, v[2:3], off offset:48
	s_wait_xcnt 0x0
	v_cmpx_lt_u32_e32 5, v0
	s_cbranch_execz .LBB62_377
; %bb.376:
	scratch_load_b64 v[2:3], off, off offset:40
	v_mov_b64_e32 v[130:131], 0
	scratch_store_b64 off, v[130:131], off offset:40
	s_wait_loadcnt 0x0
	ds_store_b64 v1, v[2:3]
.LBB62_377:
	s_wait_xcnt 0x0
	s_or_b32 exec_lo, exec_lo, s0
	s_wait_storecnt_dscnt 0x0
	s_barrier_signal -1
	s_barrier_wait -1
	s_clause 0x5
	scratch_load_b128 v[130:133], off, off offset:40
	scratch_load_b128 v[134:137], off, off offset:56
	;; [unrolled: 1-line block ×6, first 2 shown]
	v_mov_b32_e32 v2, 0
	ds_load_b128 v[154:157], v2 offset:560
	ds_load_b128 v[158:161], v2 offset:576
	scratch_load_b128 v[162:165], off, off offset:136
	s_mov_b32 s0, exec_lo
	s_wait_loadcnt_dscnt 0x601
	v_fma_f64 v[166:167], v[132:133], v[154:155], 0
	s_wait_loadcnt 0x5
	s_delay_alu instid0(VALU_DEP_1) | instskip(SKIP_4) | instid1(VALU_DEP_1)
	v_fmac_f64_e32 v[166:167], v[134:135], v[156:157]
	scratch_load_b128 v[132:135], off, off offset:152
	s_wait_dscnt 0x0
	v_fmac_f64_e32 v[166:167], v[136:137], v[158:159]
	s_wait_loadcnt 0x5
	v_fmac_f64_e32 v[166:167], v[138:139], v[160:161]
	ds_load_b128 v[136:139], v2 offset:592
	ds_load_b128 v[154:157], v2 offset:608
	scratch_load_b128 v[158:161], off, off offset:168
	s_wait_dscnt 0x1
	v_fmac_f64_e32 v[166:167], v[140:141], v[136:137]
	s_wait_loadcnt 0x5
	s_delay_alu instid0(VALU_DEP_1) | instskip(SKIP_4) | instid1(VALU_DEP_1)
	v_fmac_f64_e32 v[166:167], v[142:143], v[138:139]
	scratch_load_b128 v[136:139], off, off offset:184
	s_wait_dscnt 0x0
	v_fmac_f64_e32 v[166:167], v[144:145], v[154:155]
	s_wait_loadcnt 0x5
	v_fmac_f64_e32 v[166:167], v[146:147], v[156:157]
	ds_load_b128 v[140:143], v2 offset:624
	ds_load_b128 v[144:147], v2 offset:640
	scratch_load_b128 v[154:157], off, off offset:200
	s_wait_dscnt 0x1
	v_fmac_f64_e32 v[166:167], v[148:149], v[140:141]
	s_wait_loadcnt 0x5
	s_delay_alu instid0(VALU_DEP_1) | instskip(SKIP_4) | instid1(VALU_DEP_1)
	v_fmac_f64_e32 v[166:167], v[150:151], v[142:143]
	scratch_load_b128 v[140:143], off, off offset:216
	s_wait_dscnt 0x0
	v_fmac_f64_e32 v[166:167], v[152:153], v[144:145]
	s_wait_loadcnt 0x5
	v_fmac_f64_e32 v[166:167], v[162:163], v[146:147]
	ds_load_b128 v[144:147], v2 offset:656
	ds_load_b128 v[148:151], v2 offset:672
	s_wait_dscnt 0x1
	v_fmac_f64_e32 v[166:167], v[164:165], v[144:145]
	scratch_load_b128 v[162:165], off, off offset:232
	s_wait_loadcnt 0x5
	v_fmac_f64_e32 v[166:167], v[132:133], v[146:147]
	s_wait_dscnt 0x0
	s_delay_alu instid0(VALU_DEP_1)
	v_fmac_f64_e32 v[166:167], v[134:135], v[148:149]
	scratch_load_b128 v[132:135], off, off offset:248
	s_wait_loadcnt 0x5
	v_fmac_f64_e32 v[166:167], v[158:159], v[150:151]
	ds_load_b128 v[144:147], v2 offset:688
	ds_load_b128 v[148:151], v2 offset:704
	s_wait_dscnt 0x1
	v_fmac_f64_e32 v[166:167], v[160:161], v[144:145]
	scratch_load_b128 v[158:161], off, off offset:264
	s_wait_loadcnt 0x5
	v_fmac_f64_e32 v[166:167], v[136:137], v[146:147]
	s_wait_dscnt 0x0
	s_delay_alu instid0(VALU_DEP_1)
	v_fmac_f64_e32 v[166:167], v[138:139], v[148:149]
	scratch_load_b128 v[136:139], off, off offset:280
	s_wait_loadcnt 0x5
	v_fmac_f64_e32 v[166:167], v[154:155], v[150:151]
	ds_load_b128 v[144:147], v2 offset:720
	ds_load_b128 v[148:151], v2 offset:736
	scratch_load_b128 v[152:155], off, off offset:296
	s_wait_dscnt 0x1
	v_fmac_f64_e32 v[166:167], v[156:157], v[144:145]
	s_wait_loadcnt 0x5
	s_delay_alu instid0(VALU_DEP_1) | instskip(SKIP_1) | instid1(VALU_DEP_1)
	v_fmac_f64_e32 v[166:167], v[140:141], v[146:147]
	s_wait_dscnt 0x0
	v_fmac_f64_e32 v[166:167], v[142:143], v[148:149]
	scratch_load_b128 v[140:143], off, off offset:312
	s_wait_loadcnt 0x5
	v_fmac_f64_e32 v[166:167], v[162:163], v[150:151]
	ds_load_b128 v[144:147], v2 offset:752
	ds_load_b128 v[148:151], v2 offset:768
	s_wait_dscnt 0x1
	v_fmac_f64_e32 v[166:167], v[164:165], v[144:145]
	scratch_load_b128 v[162:165], off, off offset:328
	s_wait_loadcnt 0x5
	v_fmac_f64_e32 v[166:167], v[132:133], v[146:147]
	s_wait_dscnt 0x0
	s_delay_alu instid0(VALU_DEP_1)
	v_fmac_f64_e32 v[166:167], v[134:135], v[148:149]
	scratch_load_b128 v[132:135], off, off offset:344
	s_wait_loadcnt 0x5
	v_fmac_f64_e32 v[166:167], v[158:159], v[150:151]
	ds_load_b128 v[144:147], v2 offset:784
	ds_load_b128 v[148:151], v2 offset:800
	scratch_load_b128 v[156:159], off, off offset:360
	s_wait_dscnt 0x1
	v_fmac_f64_e32 v[166:167], v[160:161], v[144:145]
	s_wait_loadcnt 0x5
	s_delay_alu instid0(VALU_DEP_1) | instskip(SKIP_1) | instid1(VALU_DEP_1)
	v_fmac_f64_e32 v[166:167], v[136:137], v[146:147]
	s_wait_dscnt 0x0
	v_fmac_f64_e32 v[166:167], v[138:139], v[148:149]
	scratch_load_b128 v[136:139], off, off offset:376
	s_wait_loadcnt 0x5
	v_fmac_f64_e32 v[166:167], v[152:153], v[150:151]
	ds_load_b128 v[144:147], v2 offset:816
	ds_load_b128 v[148:151], v2 offset:832
	s_wait_dscnt 0x1
	v_fmac_f64_e32 v[166:167], v[154:155], v[144:145]
	scratch_load_b128 v[152:155], off, off offset:392
	s_wait_loadcnt 0x5
	v_fmac_f64_e32 v[166:167], v[140:141], v[146:147]
	s_wait_dscnt 0x0
	s_delay_alu instid0(VALU_DEP_1)
	v_fmac_f64_e32 v[166:167], v[142:143], v[148:149]
	scratch_load_b128 v[140:143], off, off offset:408
	s_wait_loadcnt 0x5
	v_fmac_f64_e32 v[166:167], v[162:163], v[150:151]
	ds_load_b128 v[144:147], v2 offset:848
	ds_load_b128 v[148:151], v2 offset:864
	s_wait_dscnt 0x1
	v_fmac_f64_e32 v[166:167], v[164:165], v[144:145]
	s_wait_loadcnt 0x4
	s_delay_alu instid0(VALU_DEP_1)
	v_fmac_f64_e32 v[166:167], v[132:133], v[146:147]
	scratch_load_b128 v[144:147], off, off offset:424
	s_wait_dscnt 0x0
	v_fmac_f64_e32 v[166:167], v[134:135], v[148:149]
	scratch_load_b128 v[132:135], off, off offset:440
	s_wait_loadcnt 0x5
	v_fmac_f64_e32 v[166:167], v[156:157], v[150:151]
	ds_load_b128 v[148:151], v2 offset:880
	ds_load_b128 v[160:163], v2 offset:896
	s_wait_dscnt 0x1
	v_fmac_f64_e32 v[166:167], v[158:159], v[148:149]
	s_wait_loadcnt 0x4
	s_delay_alu instid0(VALU_DEP_1)
	v_fmac_f64_e32 v[166:167], v[136:137], v[150:151]
	scratch_load_b128 v[148:151], off, off offset:456
	s_wait_dscnt 0x0
	v_fmac_f64_e32 v[166:167], v[138:139], v[160:161]
	scratch_load_b128 v[136:139], off, off offset:472
	s_wait_loadcnt 0x5
	v_fmac_f64_e32 v[166:167], v[152:153], v[162:163]
	ds_load_b128 v[156:159], v2 offset:912
	ds_load_b128 v[160:163], v2 offset:928
	s_wait_dscnt 0x1
	v_fmac_f64_e32 v[166:167], v[154:155], v[156:157]
	scratch_load_b128 v[152:155], off, off offset:488
	s_wait_loadcnt 0x5
	v_fmac_f64_e32 v[166:167], v[140:141], v[158:159]
	s_wait_dscnt 0x0
	s_delay_alu instid0(VALU_DEP_1)
	v_fmac_f64_e32 v[166:167], v[142:143], v[160:161]
	ds_load_b128 v[140:143], v2 offset:944
	ds_load_b128 v[156:159], v2 offset:960
	s_wait_loadcnt 0x4
	v_fmac_f64_e32 v[166:167], v[144:145], v[162:163]
	s_wait_dscnt 0x1
	s_delay_alu instid0(VALU_DEP_1) | instskip(SKIP_1) | instid1(VALU_DEP_1)
	v_fmac_f64_e32 v[166:167], v[146:147], v[140:141]
	s_wait_loadcnt 0x3
	v_fmac_f64_e32 v[166:167], v[132:133], v[142:143]
	s_wait_dscnt 0x0
	s_delay_alu instid0(VALU_DEP_1)
	v_fmac_f64_e32 v[166:167], v[134:135], v[156:157]
	ds_load_b128 v[132:135], v2 offset:976
	ds_load_b128 v[140:143], v2 offset:992
	s_wait_loadcnt 0x2
	v_fmac_f64_e32 v[166:167], v[148:149], v[158:159]
	s_wait_dscnt 0x1
	s_delay_alu instid0(VALU_DEP_1) | instskip(SKIP_4) | instid1(VALU_DEP_1)
	v_fmac_f64_e32 v[166:167], v[150:151], v[132:133]
	ds_load_b64 v[132:133], v2 offset:1008
	s_wait_loadcnt 0x1
	v_fmac_f64_e32 v[166:167], v[136:137], v[134:135]
	s_wait_dscnt 0x1
	v_fmac_f64_e32 v[166:167], v[138:139], v[140:141]
	s_wait_loadcnt 0x0
	s_delay_alu instid0(VALU_DEP_1) | instskip(SKIP_1) | instid1(VALU_DEP_1)
	v_fmac_f64_e32 v[166:167], v[152:153], v[142:143]
	s_wait_dscnt 0x0
	v_fmac_f64_e32 v[166:167], v[154:155], v[132:133]
	s_delay_alu instid0(VALU_DEP_1)
	v_add_f64_e64 v[130:131], v[130:131], -v[166:167]
	scratch_store_b64 off, v[130:131], off offset:40
	s_wait_xcnt 0x0
	v_cmpx_lt_u32_e32 4, v0
	s_cbranch_execz .LBB62_379
; %bb.378:
	scratch_load_b64 v[130:131], off, off offset:32
	v_mov_b64_e32 v[132:133], 0
	scratch_store_b64 off, v[132:133], off offset:32
	s_wait_loadcnt 0x0
	ds_store_b64 v1, v[130:131]
.LBB62_379:
	s_wait_xcnt 0x0
	s_or_b32 exec_lo, exec_lo, s0
	s_wait_storecnt_dscnt 0x0
	s_barrier_signal -1
	s_barrier_wait -1
	s_clause 0x5
	scratch_load_b128 v[130:133], off, off offset:32
	scratch_load_b128 v[134:137], off, off offset:48
	;; [unrolled: 1-line block ×6, first 2 shown]
	ds_load_2addr_b64 v[154:157], v2 offset0:69 offset1:70
	ds_load_2addr_b64 v[158:161], v2 offset0:71 offset1:72
	scratch_load_b128 v[162:165], off, off offset:128
	s_mov_b32 s0, exec_lo
	s_wait_loadcnt_dscnt 0x601
	v_fma_f64 v[166:167], v[132:133], v[154:155], 0
	s_wait_loadcnt 0x5
	s_delay_alu instid0(VALU_DEP_1) | instskip(SKIP_4) | instid1(VALU_DEP_1)
	v_fmac_f64_e32 v[166:167], v[134:135], v[156:157]
	scratch_load_b128 v[132:135], off, off offset:144
	s_wait_dscnt 0x0
	v_fmac_f64_e32 v[166:167], v[136:137], v[158:159]
	s_wait_loadcnt 0x5
	v_fmac_f64_e32 v[166:167], v[138:139], v[160:161]
	ds_load_2addr_b64 v[136:139], v2 offset0:73 offset1:74
	ds_load_2addr_b64 v[154:157], v2 offset0:75 offset1:76
	scratch_load_b128 v[158:161], off, off offset:160
	s_wait_dscnt 0x1
	v_fmac_f64_e32 v[166:167], v[140:141], v[136:137]
	s_wait_loadcnt 0x5
	s_delay_alu instid0(VALU_DEP_1) | instskip(SKIP_4) | instid1(VALU_DEP_1)
	v_fmac_f64_e32 v[166:167], v[142:143], v[138:139]
	scratch_load_b128 v[136:139], off, off offset:176
	s_wait_dscnt 0x0
	v_fmac_f64_e32 v[166:167], v[144:145], v[154:155]
	s_wait_loadcnt 0x5
	v_fmac_f64_e32 v[166:167], v[146:147], v[156:157]
	ds_load_2addr_b64 v[140:143], v2 offset0:77 offset1:78
	ds_load_2addr_b64 v[144:147], v2 offset0:79 offset1:80
	scratch_load_b128 v[154:157], off, off offset:192
	s_wait_dscnt 0x1
	v_fmac_f64_e32 v[166:167], v[148:149], v[140:141]
	s_wait_loadcnt 0x5
	s_delay_alu instid0(VALU_DEP_1) | instskip(SKIP_4) | instid1(VALU_DEP_1)
	v_fmac_f64_e32 v[166:167], v[150:151], v[142:143]
	scratch_load_b128 v[140:143], off, off offset:208
	s_wait_dscnt 0x0
	v_fmac_f64_e32 v[166:167], v[152:153], v[144:145]
	s_wait_loadcnt 0x5
	v_fmac_f64_e32 v[166:167], v[162:163], v[146:147]
	ds_load_2addr_b64 v[144:147], v2 offset0:81 offset1:82
	ds_load_2addr_b64 v[148:151], v2 offset0:83 offset1:84
	s_wait_dscnt 0x1
	v_fmac_f64_e32 v[166:167], v[164:165], v[144:145]
	scratch_load_b128 v[162:165], off, off offset:224
	s_wait_loadcnt 0x5
	v_fmac_f64_e32 v[166:167], v[132:133], v[146:147]
	s_wait_dscnt 0x0
	s_delay_alu instid0(VALU_DEP_1)
	v_fmac_f64_e32 v[166:167], v[134:135], v[148:149]
	scratch_load_b128 v[132:135], off, off offset:240
	s_wait_loadcnt 0x5
	v_fmac_f64_e32 v[166:167], v[158:159], v[150:151]
	ds_load_2addr_b64 v[144:147], v2 offset0:85 offset1:86
	ds_load_2addr_b64 v[148:151], v2 offset0:87 offset1:88
	s_wait_dscnt 0x1
	v_fmac_f64_e32 v[166:167], v[160:161], v[144:145]
	scratch_load_b128 v[158:161], off, off offset:256
	s_wait_loadcnt 0x5
	v_fmac_f64_e32 v[166:167], v[136:137], v[146:147]
	s_wait_dscnt 0x0
	s_delay_alu instid0(VALU_DEP_1)
	v_fmac_f64_e32 v[166:167], v[138:139], v[148:149]
	scratch_load_b128 v[136:139], off, off offset:272
	s_wait_loadcnt 0x5
	v_fmac_f64_e32 v[166:167], v[154:155], v[150:151]
	ds_load_2addr_b64 v[144:147], v2 offset0:89 offset1:90
	ds_load_2addr_b64 v[148:151], v2 offset0:91 offset1:92
	scratch_load_b128 v[152:155], off, off offset:288
	s_wait_dscnt 0x1
	v_fmac_f64_e32 v[166:167], v[156:157], v[144:145]
	s_wait_loadcnt 0x5
	s_delay_alu instid0(VALU_DEP_1) | instskip(SKIP_1) | instid1(VALU_DEP_1)
	v_fmac_f64_e32 v[166:167], v[140:141], v[146:147]
	s_wait_dscnt 0x0
	v_fmac_f64_e32 v[166:167], v[142:143], v[148:149]
	scratch_load_b128 v[140:143], off, off offset:304
	s_wait_loadcnt 0x5
	v_fmac_f64_e32 v[166:167], v[162:163], v[150:151]
	ds_load_2addr_b64 v[144:147], v2 offset0:93 offset1:94
	ds_load_2addr_b64 v[148:151], v2 offset0:95 offset1:96
	s_wait_dscnt 0x1
	v_fmac_f64_e32 v[166:167], v[164:165], v[144:145]
	scratch_load_b128 v[162:165], off, off offset:320
	s_wait_loadcnt 0x5
	v_fmac_f64_e32 v[166:167], v[132:133], v[146:147]
	s_wait_dscnt 0x0
	s_delay_alu instid0(VALU_DEP_1)
	v_fmac_f64_e32 v[166:167], v[134:135], v[148:149]
	scratch_load_b128 v[132:135], off, off offset:336
	s_wait_loadcnt 0x5
	v_fmac_f64_e32 v[166:167], v[158:159], v[150:151]
	ds_load_2addr_b64 v[144:147], v2 offset0:97 offset1:98
	ds_load_2addr_b64 v[148:151], v2 offset0:99 offset1:100
	scratch_load_b128 v[156:159], off, off offset:352
	s_wait_dscnt 0x1
	v_fmac_f64_e32 v[166:167], v[160:161], v[144:145]
	s_wait_loadcnt 0x5
	s_delay_alu instid0(VALU_DEP_1) | instskip(SKIP_1) | instid1(VALU_DEP_1)
	v_fmac_f64_e32 v[166:167], v[136:137], v[146:147]
	s_wait_dscnt 0x0
	;; [unrolled: 26-line block ×3, first 2 shown]
	v_fmac_f64_e32 v[166:167], v[134:135], v[148:149]
	scratch_load_b128 v[132:135], off, off offset:432
	s_wait_loadcnt 0x5
	v_fmac_f64_e32 v[166:167], v[156:157], v[150:151]
	ds_load_2addr_b64 v[144:147], v2 offset0:109 offset1:110
	ds_load_2addr_b64 v[148:151], v2 offset0:111 offset1:112
	s_wait_dscnt 0x1
	v_fmac_f64_e32 v[166:167], v[158:159], v[144:145]
	s_wait_loadcnt 0x4
	s_delay_alu instid0(VALU_DEP_1)
	v_fmac_f64_e32 v[166:167], v[136:137], v[146:147]
	scratch_load_b128 v[144:147], off, off offset:448
	s_wait_dscnt 0x0
	v_fmac_f64_e32 v[166:167], v[138:139], v[148:149]
	scratch_load_b128 v[136:139], off, off offset:464
	s_wait_loadcnt 0x5
	v_fmac_f64_e32 v[166:167], v[152:153], v[150:151]
	ds_load_2addr_b64 v[148:151], v2 offset0:113 offset1:114
	ds_load_2addr_b64 v[156:159], v2 offset0:115 offset1:116
	s_wait_dscnt 0x1
	v_fmac_f64_e32 v[166:167], v[154:155], v[148:149]
	s_wait_loadcnt 0x4
	s_delay_alu instid0(VALU_DEP_1)
	v_fmac_f64_e32 v[166:167], v[140:141], v[150:151]
	scratch_load_b128 v[148:151], off, off offset:480
	s_wait_dscnt 0x0
	v_fmac_f64_e32 v[166:167], v[142:143], v[156:157]
	scratch_load_b64 v[156:157], off, off offset:496
	ds_load_2addr_b64 v[140:143], v2 offset0:117 offset1:118
	ds_load_2addr_b64 v[152:155], v2 offset0:119 offset1:120
	s_wait_loadcnt 0x5
	v_fmac_f64_e32 v[166:167], v[160:161], v[158:159]
	s_wait_dscnt 0x1
	s_delay_alu instid0(VALU_DEP_1) | instskip(SKIP_1) | instid1(VALU_DEP_1)
	v_fmac_f64_e32 v[166:167], v[162:163], v[140:141]
	s_wait_loadcnt 0x4
	v_fmac_f64_e32 v[166:167], v[132:133], v[142:143]
	s_wait_dscnt 0x0
	s_delay_alu instid0(VALU_DEP_1)
	v_fmac_f64_e32 v[166:167], v[134:135], v[152:153]
	ds_load_2addr_b64 v[132:135], v2 offset0:121 offset1:122
	ds_load_2addr_b64 v[140:143], v2 offset0:123 offset1:124
	s_wait_loadcnt 0x3
	v_fmac_f64_e32 v[166:167], v[144:145], v[154:155]
	s_wait_dscnt 0x1
	s_delay_alu instid0(VALU_DEP_1) | instskip(SKIP_1) | instid1(VALU_DEP_1)
	v_fmac_f64_e32 v[166:167], v[146:147], v[132:133]
	s_wait_loadcnt 0x2
	v_fmac_f64_e32 v[166:167], v[136:137], v[134:135]
	ds_load_2addr_b64 v[132:135], v2 offset0:125 offset1:126
	s_wait_dscnt 0x1
	v_fmac_f64_e32 v[166:167], v[138:139], v[140:141]
	s_wait_loadcnt 0x1
	s_delay_alu instid0(VALU_DEP_1) | instskip(SKIP_1) | instid1(VALU_DEP_1)
	v_fmac_f64_e32 v[166:167], v[148:149], v[142:143]
	s_wait_dscnt 0x0
	v_fmac_f64_e32 v[166:167], v[150:151], v[132:133]
	s_wait_loadcnt 0x0
	s_delay_alu instid0(VALU_DEP_1) | instskip(NEXT) | instid1(VALU_DEP_1)
	v_fmac_f64_e32 v[166:167], v[156:157], v[134:135]
	v_add_f64_e64 v[2:3], v[130:131], -v[166:167]
	scratch_store_b64 off, v[2:3], off offset:32
	s_wait_xcnt 0x0
	v_cmpx_lt_u32_e32 3, v0
	s_cbranch_execz .LBB62_381
; %bb.380:
	scratch_load_b64 v[2:3], off, off offset:24
	v_mov_b64_e32 v[130:131], 0
	scratch_store_b64 off, v[130:131], off offset:24
	s_wait_loadcnt 0x0
	ds_store_b64 v1, v[2:3]
.LBB62_381:
	s_wait_xcnt 0x0
	s_or_b32 exec_lo, exec_lo, s0
	s_wait_storecnt_dscnt 0x0
	s_barrier_signal -1
	s_barrier_wait -1
	s_clause 0x5
	scratch_load_b128 v[130:133], off, off offset:24
	scratch_load_b128 v[134:137], off, off offset:40
	;; [unrolled: 1-line block ×6, first 2 shown]
	v_mov_b32_e32 v2, 0
	ds_load_b128 v[154:157], v2 offset:544
	ds_load_b128 v[158:161], v2 offset:560
	scratch_load_b128 v[162:165], off, off offset:120
	s_mov_b32 s0, exec_lo
	s_wait_loadcnt_dscnt 0x601
	v_fma_f64 v[166:167], v[132:133], v[154:155], 0
	s_wait_loadcnt 0x5
	s_delay_alu instid0(VALU_DEP_1) | instskip(SKIP_4) | instid1(VALU_DEP_1)
	v_fmac_f64_e32 v[166:167], v[134:135], v[156:157]
	scratch_load_b128 v[132:135], off, off offset:136
	s_wait_dscnt 0x0
	v_fmac_f64_e32 v[166:167], v[136:137], v[158:159]
	s_wait_loadcnt 0x5
	v_fmac_f64_e32 v[166:167], v[138:139], v[160:161]
	ds_load_b128 v[136:139], v2 offset:576
	ds_load_b128 v[154:157], v2 offset:592
	scratch_load_b128 v[158:161], off, off offset:152
	s_wait_dscnt 0x1
	v_fmac_f64_e32 v[166:167], v[140:141], v[136:137]
	s_wait_loadcnt 0x5
	s_delay_alu instid0(VALU_DEP_1) | instskip(SKIP_4) | instid1(VALU_DEP_1)
	v_fmac_f64_e32 v[166:167], v[142:143], v[138:139]
	scratch_load_b128 v[136:139], off, off offset:168
	s_wait_dscnt 0x0
	v_fmac_f64_e32 v[166:167], v[144:145], v[154:155]
	s_wait_loadcnt 0x5
	v_fmac_f64_e32 v[166:167], v[146:147], v[156:157]
	ds_load_b128 v[140:143], v2 offset:608
	ds_load_b128 v[144:147], v2 offset:624
	scratch_load_b128 v[154:157], off, off offset:184
	s_wait_dscnt 0x1
	v_fmac_f64_e32 v[166:167], v[148:149], v[140:141]
	s_wait_loadcnt 0x5
	s_delay_alu instid0(VALU_DEP_1) | instskip(SKIP_4) | instid1(VALU_DEP_1)
	v_fmac_f64_e32 v[166:167], v[150:151], v[142:143]
	scratch_load_b128 v[140:143], off, off offset:200
	s_wait_dscnt 0x0
	v_fmac_f64_e32 v[166:167], v[152:153], v[144:145]
	s_wait_loadcnt 0x5
	v_fmac_f64_e32 v[166:167], v[162:163], v[146:147]
	ds_load_b128 v[144:147], v2 offset:640
	ds_load_b128 v[148:151], v2 offset:656
	s_wait_dscnt 0x1
	v_fmac_f64_e32 v[166:167], v[164:165], v[144:145]
	scratch_load_b128 v[162:165], off, off offset:216
	s_wait_loadcnt 0x5
	v_fmac_f64_e32 v[166:167], v[132:133], v[146:147]
	s_wait_dscnt 0x0
	s_delay_alu instid0(VALU_DEP_1)
	v_fmac_f64_e32 v[166:167], v[134:135], v[148:149]
	scratch_load_b128 v[132:135], off, off offset:232
	s_wait_loadcnt 0x5
	v_fmac_f64_e32 v[166:167], v[158:159], v[150:151]
	ds_load_b128 v[144:147], v2 offset:672
	ds_load_b128 v[148:151], v2 offset:688
	s_wait_dscnt 0x1
	v_fmac_f64_e32 v[166:167], v[160:161], v[144:145]
	scratch_load_b128 v[158:161], off, off offset:248
	s_wait_loadcnt 0x5
	v_fmac_f64_e32 v[166:167], v[136:137], v[146:147]
	s_wait_dscnt 0x0
	s_delay_alu instid0(VALU_DEP_1)
	v_fmac_f64_e32 v[166:167], v[138:139], v[148:149]
	scratch_load_b128 v[136:139], off, off offset:264
	s_wait_loadcnt 0x5
	v_fmac_f64_e32 v[166:167], v[154:155], v[150:151]
	ds_load_b128 v[144:147], v2 offset:704
	ds_load_b128 v[148:151], v2 offset:720
	scratch_load_b128 v[152:155], off, off offset:280
	s_wait_dscnt 0x1
	v_fmac_f64_e32 v[166:167], v[156:157], v[144:145]
	s_wait_loadcnt 0x5
	s_delay_alu instid0(VALU_DEP_1) | instskip(SKIP_1) | instid1(VALU_DEP_1)
	v_fmac_f64_e32 v[166:167], v[140:141], v[146:147]
	s_wait_dscnt 0x0
	v_fmac_f64_e32 v[166:167], v[142:143], v[148:149]
	scratch_load_b128 v[140:143], off, off offset:296
	s_wait_loadcnt 0x5
	v_fmac_f64_e32 v[166:167], v[162:163], v[150:151]
	ds_load_b128 v[144:147], v2 offset:736
	ds_load_b128 v[148:151], v2 offset:752
	s_wait_dscnt 0x1
	v_fmac_f64_e32 v[166:167], v[164:165], v[144:145]
	scratch_load_b128 v[162:165], off, off offset:312
	s_wait_loadcnt 0x5
	v_fmac_f64_e32 v[166:167], v[132:133], v[146:147]
	s_wait_dscnt 0x0
	s_delay_alu instid0(VALU_DEP_1)
	v_fmac_f64_e32 v[166:167], v[134:135], v[148:149]
	scratch_load_b128 v[132:135], off, off offset:328
	s_wait_loadcnt 0x5
	v_fmac_f64_e32 v[166:167], v[158:159], v[150:151]
	ds_load_b128 v[144:147], v2 offset:768
	ds_load_b128 v[148:151], v2 offset:784
	scratch_load_b128 v[156:159], off, off offset:344
	s_wait_dscnt 0x1
	v_fmac_f64_e32 v[166:167], v[160:161], v[144:145]
	s_wait_loadcnt 0x5
	s_delay_alu instid0(VALU_DEP_1) | instskip(SKIP_1) | instid1(VALU_DEP_1)
	v_fmac_f64_e32 v[166:167], v[136:137], v[146:147]
	s_wait_dscnt 0x0
	;; [unrolled: 26-line block ×3, first 2 shown]
	v_fmac_f64_e32 v[166:167], v[134:135], v[148:149]
	scratch_load_b128 v[132:135], off, off offset:424
	s_wait_loadcnt 0x5
	v_fmac_f64_e32 v[166:167], v[156:157], v[150:151]
	ds_load_b128 v[144:147], v2 offset:864
	ds_load_b128 v[148:151], v2 offset:880
	s_wait_dscnt 0x1
	v_fmac_f64_e32 v[166:167], v[158:159], v[144:145]
	s_wait_loadcnt 0x4
	s_delay_alu instid0(VALU_DEP_1)
	v_fmac_f64_e32 v[166:167], v[136:137], v[146:147]
	scratch_load_b128 v[144:147], off, off offset:440
	s_wait_dscnt 0x0
	v_fmac_f64_e32 v[166:167], v[138:139], v[148:149]
	scratch_load_b128 v[136:139], off, off offset:456
	s_wait_loadcnt 0x5
	v_fmac_f64_e32 v[166:167], v[152:153], v[150:151]
	ds_load_b128 v[148:151], v2 offset:896
	ds_load_b128 v[156:159], v2 offset:912
	s_wait_dscnt 0x1
	v_fmac_f64_e32 v[166:167], v[154:155], v[148:149]
	s_wait_loadcnt 0x4
	s_delay_alu instid0(VALU_DEP_1)
	v_fmac_f64_e32 v[166:167], v[140:141], v[150:151]
	scratch_load_b128 v[148:151], off, off offset:472
	s_wait_dscnt 0x0
	v_fmac_f64_e32 v[166:167], v[142:143], v[156:157]
	scratch_load_b128 v[140:143], off, off offset:488
	s_wait_loadcnt 0x5
	v_fmac_f64_e32 v[166:167], v[160:161], v[158:159]
	ds_load_b128 v[152:155], v2 offset:928
	ds_load_b128 v[156:159], v2 offset:944
	s_wait_dscnt 0x1
	v_fmac_f64_e32 v[166:167], v[162:163], v[152:153]
	s_wait_loadcnt 0x4
	s_delay_alu instid0(VALU_DEP_1) | instskip(SKIP_1) | instid1(VALU_DEP_1)
	v_fmac_f64_e32 v[166:167], v[132:133], v[154:155]
	s_wait_dscnt 0x0
	v_fmac_f64_e32 v[166:167], v[134:135], v[156:157]
	ds_load_b128 v[132:135], v2 offset:960
	ds_load_b128 v[152:155], v2 offset:976
	s_wait_loadcnt 0x3
	v_fmac_f64_e32 v[166:167], v[144:145], v[158:159]
	s_wait_dscnt 0x1
	s_delay_alu instid0(VALU_DEP_1) | instskip(SKIP_1) | instid1(VALU_DEP_1)
	v_fmac_f64_e32 v[166:167], v[146:147], v[132:133]
	s_wait_loadcnt 0x2
	v_fmac_f64_e32 v[166:167], v[136:137], v[134:135]
	ds_load_b128 v[132:135], v2 offset:992
	ds_load_b64 v[136:137], v2 offset:1008
	s_wait_dscnt 0x2
	v_fmac_f64_e32 v[166:167], v[138:139], v[152:153]
	s_wait_loadcnt 0x1
	s_delay_alu instid0(VALU_DEP_1) | instskip(SKIP_1) | instid1(VALU_DEP_1)
	v_fmac_f64_e32 v[166:167], v[148:149], v[154:155]
	s_wait_dscnt 0x1
	v_fmac_f64_e32 v[166:167], v[150:151], v[132:133]
	s_wait_loadcnt 0x0
	s_delay_alu instid0(VALU_DEP_1) | instskip(SKIP_1) | instid1(VALU_DEP_1)
	v_fmac_f64_e32 v[166:167], v[140:141], v[134:135]
	s_wait_dscnt 0x0
	v_fmac_f64_e32 v[166:167], v[142:143], v[136:137]
	s_delay_alu instid0(VALU_DEP_1)
	v_add_f64_e64 v[130:131], v[130:131], -v[166:167]
	scratch_store_b64 off, v[130:131], off offset:24
	s_wait_xcnt 0x0
	v_cmpx_lt_u32_e32 2, v0
	s_cbranch_execz .LBB62_383
; %bb.382:
	scratch_load_b64 v[130:131], off, off offset:16
	v_mov_b64_e32 v[132:133], 0
	scratch_store_b64 off, v[132:133], off offset:16
	s_wait_loadcnt 0x0
	ds_store_b64 v1, v[130:131]
.LBB62_383:
	s_wait_xcnt 0x0
	s_or_b32 exec_lo, exec_lo, s0
	s_wait_storecnt_dscnt 0x0
	s_barrier_signal -1
	s_barrier_wait -1
	s_clause 0x5
	scratch_load_b128 v[130:133], off, off offset:16
	scratch_load_b128 v[134:137], off, off offset:32
	;; [unrolled: 1-line block ×6, first 2 shown]
	ds_load_2addr_b64 v[154:157], v2 offset0:67 offset1:68
	ds_load_2addr_b64 v[158:161], v2 offset0:69 offset1:70
	scratch_load_b128 v[162:165], off, off offset:112
	s_mov_b32 s0, exec_lo
	s_wait_loadcnt_dscnt 0x601
	v_fma_f64 v[166:167], v[132:133], v[154:155], 0
	s_wait_loadcnt 0x5
	s_delay_alu instid0(VALU_DEP_1) | instskip(SKIP_4) | instid1(VALU_DEP_1)
	v_fmac_f64_e32 v[166:167], v[134:135], v[156:157]
	scratch_load_b128 v[132:135], off, off offset:128
	s_wait_dscnt 0x0
	v_fmac_f64_e32 v[166:167], v[136:137], v[158:159]
	s_wait_loadcnt 0x5
	v_fmac_f64_e32 v[166:167], v[138:139], v[160:161]
	ds_load_2addr_b64 v[136:139], v2 offset0:71 offset1:72
	ds_load_2addr_b64 v[154:157], v2 offset0:73 offset1:74
	scratch_load_b128 v[158:161], off, off offset:144
	s_wait_dscnt 0x1
	v_fmac_f64_e32 v[166:167], v[140:141], v[136:137]
	s_wait_loadcnt 0x5
	s_delay_alu instid0(VALU_DEP_1) | instskip(SKIP_4) | instid1(VALU_DEP_1)
	v_fmac_f64_e32 v[166:167], v[142:143], v[138:139]
	scratch_load_b128 v[136:139], off, off offset:160
	s_wait_dscnt 0x0
	v_fmac_f64_e32 v[166:167], v[144:145], v[154:155]
	s_wait_loadcnt 0x5
	v_fmac_f64_e32 v[166:167], v[146:147], v[156:157]
	ds_load_2addr_b64 v[140:143], v2 offset0:75 offset1:76
	ds_load_2addr_b64 v[144:147], v2 offset0:77 offset1:78
	scratch_load_b128 v[154:157], off, off offset:176
	s_wait_dscnt 0x1
	v_fmac_f64_e32 v[166:167], v[148:149], v[140:141]
	s_wait_loadcnt 0x5
	s_delay_alu instid0(VALU_DEP_1) | instskip(SKIP_4) | instid1(VALU_DEP_1)
	v_fmac_f64_e32 v[166:167], v[150:151], v[142:143]
	scratch_load_b128 v[140:143], off, off offset:192
	s_wait_dscnt 0x0
	v_fmac_f64_e32 v[166:167], v[152:153], v[144:145]
	s_wait_loadcnt 0x5
	v_fmac_f64_e32 v[166:167], v[162:163], v[146:147]
	ds_load_2addr_b64 v[144:147], v2 offset0:79 offset1:80
	ds_load_2addr_b64 v[148:151], v2 offset0:81 offset1:82
	s_wait_dscnt 0x1
	v_fmac_f64_e32 v[166:167], v[164:165], v[144:145]
	scratch_load_b128 v[162:165], off, off offset:208
	s_wait_loadcnt 0x5
	v_fmac_f64_e32 v[166:167], v[132:133], v[146:147]
	s_wait_dscnt 0x0
	s_delay_alu instid0(VALU_DEP_1)
	v_fmac_f64_e32 v[166:167], v[134:135], v[148:149]
	scratch_load_b128 v[132:135], off, off offset:224
	s_wait_loadcnt 0x5
	v_fmac_f64_e32 v[166:167], v[158:159], v[150:151]
	ds_load_2addr_b64 v[144:147], v2 offset0:83 offset1:84
	ds_load_2addr_b64 v[148:151], v2 offset0:85 offset1:86
	s_wait_dscnt 0x1
	v_fmac_f64_e32 v[166:167], v[160:161], v[144:145]
	scratch_load_b128 v[158:161], off, off offset:240
	s_wait_loadcnt 0x5
	v_fmac_f64_e32 v[166:167], v[136:137], v[146:147]
	s_wait_dscnt 0x0
	s_delay_alu instid0(VALU_DEP_1)
	v_fmac_f64_e32 v[166:167], v[138:139], v[148:149]
	scratch_load_b128 v[136:139], off, off offset:256
	s_wait_loadcnt 0x5
	v_fmac_f64_e32 v[166:167], v[154:155], v[150:151]
	ds_load_2addr_b64 v[144:147], v2 offset0:87 offset1:88
	ds_load_2addr_b64 v[148:151], v2 offset0:89 offset1:90
	scratch_load_b128 v[152:155], off, off offset:272
	s_wait_dscnt 0x1
	v_fmac_f64_e32 v[166:167], v[156:157], v[144:145]
	s_wait_loadcnt 0x5
	s_delay_alu instid0(VALU_DEP_1) | instskip(SKIP_1) | instid1(VALU_DEP_1)
	v_fmac_f64_e32 v[166:167], v[140:141], v[146:147]
	s_wait_dscnt 0x0
	v_fmac_f64_e32 v[166:167], v[142:143], v[148:149]
	scratch_load_b128 v[140:143], off, off offset:288
	s_wait_loadcnt 0x5
	v_fmac_f64_e32 v[166:167], v[162:163], v[150:151]
	ds_load_2addr_b64 v[144:147], v2 offset0:91 offset1:92
	ds_load_2addr_b64 v[148:151], v2 offset0:93 offset1:94
	s_wait_dscnt 0x1
	v_fmac_f64_e32 v[166:167], v[164:165], v[144:145]
	scratch_load_b128 v[162:165], off, off offset:304
	s_wait_loadcnt 0x5
	v_fmac_f64_e32 v[166:167], v[132:133], v[146:147]
	s_wait_dscnt 0x0
	s_delay_alu instid0(VALU_DEP_1)
	v_fmac_f64_e32 v[166:167], v[134:135], v[148:149]
	scratch_load_b128 v[132:135], off, off offset:320
	s_wait_loadcnt 0x5
	v_fmac_f64_e32 v[166:167], v[158:159], v[150:151]
	ds_load_2addr_b64 v[144:147], v2 offset0:95 offset1:96
	ds_load_2addr_b64 v[148:151], v2 offset0:97 offset1:98
	scratch_load_b128 v[156:159], off, off offset:336
	s_wait_dscnt 0x1
	v_fmac_f64_e32 v[166:167], v[160:161], v[144:145]
	s_wait_loadcnt 0x5
	s_delay_alu instid0(VALU_DEP_1) | instskip(SKIP_1) | instid1(VALU_DEP_1)
	v_fmac_f64_e32 v[166:167], v[136:137], v[146:147]
	s_wait_dscnt 0x0
	;; [unrolled: 26-line block ×3, first 2 shown]
	v_fmac_f64_e32 v[166:167], v[134:135], v[148:149]
	scratch_load_b128 v[132:135], off, off offset:416
	s_wait_loadcnt 0x5
	v_fmac_f64_e32 v[166:167], v[156:157], v[150:151]
	ds_load_2addr_b64 v[144:147], v2 offset0:107 offset1:108
	ds_load_2addr_b64 v[148:151], v2 offset0:109 offset1:110
	s_wait_dscnt 0x1
	v_fmac_f64_e32 v[166:167], v[158:159], v[144:145]
	s_wait_loadcnt 0x4
	s_delay_alu instid0(VALU_DEP_1)
	v_fmac_f64_e32 v[166:167], v[136:137], v[146:147]
	scratch_load_b128 v[144:147], off, off offset:432
	s_wait_dscnt 0x0
	v_fmac_f64_e32 v[166:167], v[138:139], v[148:149]
	scratch_load_b128 v[136:139], off, off offset:448
	s_wait_loadcnt 0x5
	v_fmac_f64_e32 v[166:167], v[152:153], v[150:151]
	ds_load_2addr_b64 v[148:151], v2 offset0:111 offset1:112
	ds_load_2addr_b64 v[156:159], v2 offset0:113 offset1:114
	s_wait_dscnt 0x1
	v_fmac_f64_e32 v[166:167], v[154:155], v[148:149]
	s_wait_loadcnt 0x4
	s_delay_alu instid0(VALU_DEP_1)
	v_fmac_f64_e32 v[166:167], v[140:141], v[150:151]
	scratch_load_b128 v[148:151], off, off offset:464
	s_wait_dscnt 0x0
	v_fmac_f64_e32 v[166:167], v[142:143], v[156:157]
	scratch_load_b128 v[140:143], off, off offset:480
	s_wait_loadcnt 0x5
	v_fmac_f64_e32 v[166:167], v[160:161], v[158:159]
	ds_load_2addr_b64 v[152:155], v2 offset0:115 offset1:116
	ds_load_2addr_b64 v[156:159], v2 offset0:117 offset1:118
	scratch_load_b64 v[160:161], off, off offset:496
	s_wait_dscnt 0x1
	v_fmac_f64_e32 v[166:167], v[162:163], v[152:153]
	s_wait_loadcnt 0x5
	s_delay_alu instid0(VALU_DEP_1) | instskip(SKIP_1) | instid1(VALU_DEP_1)
	v_fmac_f64_e32 v[166:167], v[132:133], v[154:155]
	s_wait_dscnt 0x0
	v_fmac_f64_e32 v[166:167], v[134:135], v[156:157]
	ds_load_2addr_b64 v[132:135], v2 offset0:119 offset1:120
	ds_load_2addr_b64 v[152:155], v2 offset0:121 offset1:122
	s_wait_loadcnt 0x4
	v_fmac_f64_e32 v[166:167], v[144:145], v[158:159]
	s_wait_dscnt 0x1
	s_delay_alu instid0(VALU_DEP_1) | instskip(SKIP_1) | instid1(VALU_DEP_1)
	v_fmac_f64_e32 v[166:167], v[146:147], v[132:133]
	s_wait_loadcnt 0x3
	v_fmac_f64_e32 v[166:167], v[136:137], v[134:135]
	s_wait_dscnt 0x0
	s_delay_alu instid0(VALU_DEP_1)
	v_fmac_f64_e32 v[166:167], v[138:139], v[152:153]
	ds_load_2addr_b64 v[132:135], v2 offset0:123 offset1:124
	ds_load_2addr_b64 v[136:139], v2 offset0:125 offset1:126
	s_wait_loadcnt 0x2
	v_fmac_f64_e32 v[166:167], v[148:149], v[154:155]
	s_wait_dscnt 0x1
	s_delay_alu instid0(VALU_DEP_1) | instskip(SKIP_1) | instid1(VALU_DEP_1)
	v_fmac_f64_e32 v[166:167], v[150:151], v[132:133]
	s_wait_loadcnt 0x1
	v_fmac_f64_e32 v[166:167], v[140:141], v[134:135]
	s_wait_dscnt 0x0
	s_delay_alu instid0(VALU_DEP_1) | instskip(SKIP_1) | instid1(VALU_DEP_1)
	v_fmac_f64_e32 v[166:167], v[142:143], v[136:137]
	s_wait_loadcnt 0x0
	v_fmac_f64_e32 v[166:167], v[160:161], v[138:139]
	s_delay_alu instid0(VALU_DEP_1)
	v_add_f64_e64 v[2:3], v[130:131], -v[166:167]
	scratch_store_b64 off, v[2:3], off offset:16
	s_wait_xcnt 0x0
	v_cmpx_lt_u32_e32 1, v0
	s_cbranch_execz .LBB62_385
; %bb.384:
	scratch_load_b64 v[2:3], off, off offset:8
	v_mov_b64_e32 v[130:131], 0
	scratch_store_b64 off, v[130:131], off offset:8
	s_wait_loadcnt 0x0
	ds_store_b64 v1, v[2:3]
.LBB62_385:
	s_wait_xcnt 0x0
	s_or_b32 exec_lo, exec_lo, s0
	s_wait_storecnt_dscnt 0x0
	s_barrier_signal -1
	s_barrier_wait -1
	s_clause 0x3
	scratch_load_b128 v[132:135], off, off offset:8
	scratch_load_b128 v[136:139], off, off offset:24
	;; [unrolled: 1-line block ×4, first 2 shown]
	v_dual_mov_b32 v130, 0 :: v_dual_ashrrev_i32 v9, 31, v8
	ds_load_b128 v[148:151], v130 offset:528
	ds_load_b128 v[152:155], v130 offset:544
	scratch_load_b128 v[156:159], off, off offset:72
	v_dual_ashrrev_i32 v11, 31, v10 :: v_dual_ashrrev_i32 v13, 31, v12
	v_dual_ashrrev_i32 v15, 31, v14 :: v_dual_ashrrev_i32 v17, 31, v16
	;; [unrolled: 1-line block ×29, first 2 shown]
	v_ashrrev_i32_e32 v127, 31, v126
	s_mov_b32 s0, exec_lo
	v_ashrrev_i32_e32 v81, 31, v80
	s_wait_loadcnt_dscnt 0x401
	v_fma_f64 v[2:3], v[134:135], v[148:149], 0
	s_wait_loadcnt 0x3
	s_delay_alu instid0(VALU_DEP_1) | instskip(SKIP_4) | instid1(VALU_DEP_1)
	v_fmac_f64_e32 v[2:3], v[136:137], v[150:151]
	scratch_load_b128 v[134:137], off, off offset:88
	s_wait_dscnt 0x0
	v_fmac_f64_e32 v[2:3], v[138:139], v[152:153]
	s_wait_loadcnt 0x3
	v_fmac_f64_e32 v[2:3], v[140:141], v[154:155]
	ds_load_b128 v[138:141], v130 offset:560
	ds_load_b128 v[148:151], v130 offset:576
	scratch_load_b128 v[152:155], off, off offset:104
	s_wait_dscnt 0x1
	v_fmac_f64_e32 v[2:3], v[142:143], v[138:139]
	s_wait_loadcnt 0x3
	s_delay_alu instid0(VALU_DEP_1)
	v_fmac_f64_e32 v[2:3], v[144:145], v[140:141]
	scratch_load_b128 v[138:141], off, off offset:120
	s_wait_dscnt 0x0
	v_fmac_f64_e32 v[2:3], v[146:147], v[148:149]
	ds_load_b128 v[142:145], v130 offset:592
	ds_load_b128 v[146:149], v130 offset:608
	s_wait_loadcnt 0x3
	v_fmac_f64_e32 v[2:3], v[156:157], v[150:151]
	s_wait_dscnt 0x1
	s_delay_alu instid0(VALU_DEP_1) | instskip(SKIP_4) | instid1(VALU_DEP_1)
	v_fmac_f64_e32 v[2:3], v[158:159], v[142:143]
	scratch_load_b128 v[156:159], off, off offset:136
	s_wait_loadcnt 0x3
	v_fmac_f64_e32 v[2:3], v[134:135], v[144:145]
	s_wait_dscnt 0x0
	v_fmac_f64_e32 v[2:3], v[136:137], v[146:147]
	scratch_load_b128 v[134:137], off, off offset:152
	s_wait_loadcnt 0x3
	v_fmac_f64_e32 v[2:3], v[152:153], v[148:149]
	ds_load_b128 v[142:145], v130 offset:624
	ds_load_b128 v[146:149], v130 offset:640
	scratch_load_b128 v[150:153], off, off offset:168
	s_wait_dscnt 0x1
	v_fmac_f64_e32 v[2:3], v[154:155], v[142:143]
	s_wait_loadcnt 0x3
	s_delay_alu instid0(VALU_DEP_1) | instskip(SKIP_1) | instid1(VALU_DEP_1)
	v_fmac_f64_e32 v[2:3], v[138:139], v[144:145]
	s_wait_dscnt 0x0
	v_fmac_f64_e32 v[2:3], v[140:141], v[146:147]
	scratch_load_b128 v[138:141], off, off offset:184
	s_wait_loadcnt 0x3
	v_fmac_f64_e32 v[2:3], v[156:157], v[148:149]
	ds_load_b128 v[142:145], v130 offset:656
	ds_load_b128 v[146:149], v130 offset:672
	scratch_load_b128 v[154:157], off, off offset:200
	s_wait_dscnt 0x1
	v_fmac_f64_e32 v[2:3], v[158:159], v[142:143]
	s_wait_loadcnt 0x3
	s_delay_alu instid0(VALU_DEP_1) | instskip(SKIP_1) | instid1(VALU_DEP_1)
	v_fmac_f64_e32 v[2:3], v[134:135], v[144:145]
	s_wait_dscnt 0x0
	v_fmac_f64_e32 v[2:3], v[136:137], v[146:147]
	scratch_load_b128 v[134:137], off, off offset:216
	s_wait_loadcnt 0x3
	v_fmac_f64_e32 v[2:3], v[150:151], v[148:149]
	ds_load_b128 v[142:145], v130 offset:688
	ds_load_b128 v[146:149], v130 offset:704
	s_wait_dscnt 0x1
	v_fmac_f64_e32 v[2:3], v[152:153], v[142:143]
	scratch_load_b128 v[150:153], off, off offset:232
	s_wait_loadcnt 0x3
	v_fmac_f64_e32 v[2:3], v[138:139], v[144:145]
	s_wait_dscnt 0x0
	s_delay_alu instid0(VALU_DEP_1)
	v_fmac_f64_e32 v[2:3], v[140:141], v[146:147]
	scratch_load_b128 v[138:141], off, off offset:248
	s_wait_loadcnt 0x3
	v_fmac_f64_e32 v[2:3], v[154:155], v[148:149]
	ds_load_b128 v[142:145], v130 offset:720
	ds_load_b128 v[146:149], v130 offset:736
	s_wait_dscnt 0x1
	v_fmac_f64_e32 v[2:3], v[156:157], v[142:143]
	scratch_load_b128 v[154:157], off, off offset:264
	s_wait_loadcnt 0x3
	v_fmac_f64_e32 v[2:3], v[134:135], v[144:145]
	s_wait_dscnt 0x0
	s_delay_alu instid0(VALU_DEP_1)
	;; [unrolled: 13-line block ×9, first 2 shown]
	v_fmac_f64_e32 v[2:3], v[140:141], v[146:147]
	ds_load_b128 v[138:141], v130 offset:976
	ds_load_b128 v[142:145], v130 offset:992
	s_wait_loadcnt 0x2
	v_fmac_f64_e32 v[2:3], v[154:155], v[148:149]
	s_wait_dscnt 0x1
	s_delay_alu instid0(VALU_DEP_1) | instskip(SKIP_1) | instid1(VALU_DEP_1)
	v_fmac_f64_e32 v[2:3], v[156:157], v[138:139]
	s_wait_loadcnt 0x1
	v_fmac_f64_e32 v[2:3], v[134:135], v[140:141]
	ds_load_b64 v[134:135], v130 offset:1008
	s_wait_dscnt 0x1
	v_fmac_f64_e32 v[2:3], v[136:137], v[142:143]
	s_wait_loadcnt 0x0
	s_delay_alu instid0(VALU_DEP_1) | instskip(SKIP_1) | instid1(VALU_DEP_1)
	v_fmac_f64_e32 v[2:3], v[150:151], v[144:145]
	s_wait_dscnt 0x0
	v_fmac_f64_e32 v[2:3], v[152:153], v[134:135]
	s_delay_alu instid0(VALU_DEP_1)
	v_add_f64_e64 v[2:3], v[132:133], -v[2:3]
	scratch_store_b64 off, v[2:3], off offset:8
	s_wait_xcnt 0x0
	v_cmpx_ne_u32_e32 0, v0
	s_cbranch_execz .LBB62_387
; %bb.386:
	scratch_load_b64 v[2:3], off, off
	v_mov_b64_e32 v[132:133], 0
	scratch_store_b64 off, v[132:133], off
	s_wait_loadcnt 0x0
	ds_store_b64 v1, v[2:3]
.LBB62_387:
	s_wait_xcnt 0x0
	s_or_b32 exec_lo, exec_lo, s0
	s_wait_storecnt_dscnt 0x0
	s_barrier_signal -1
	s_barrier_wait -1
	s_clause 0x5
	scratch_load_b128 v[132:135], off, off
	scratch_load_b128 v[0:3], off, off offset:16
	scratch_load_b128 v[136:139], off, off offset:32
	;; [unrolled: 1-line block ×5, first 2 shown]
	ds_load_2addr_b64 v[152:155], v130 offset0:65 offset1:66
	scratch_load_b128 v[156:159], off, off offset:96
	s_and_b32 vcc_lo, exec_lo, s18
	s_wait_loadcnt_dscnt 0x600
	v_fma_f64 v[162:163], v[134:135], v[152:153], 0
	s_wait_loadcnt 0x5
	s_delay_alu instid0(VALU_DEP_1)
	v_fmac_f64_e32 v[162:163], v[0:1], v[154:155]
	ds_load_2addr_b64 v[152:155], v130 offset0:67 offset1:68
	s_wait_dscnt 0x0
	v_fmac_f64_e32 v[162:163], v[2:3], v[152:153]
	scratch_load_b128 v[0:3], off, off offset:112
	s_wait_loadcnt 0x5
	v_fmac_f64_e32 v[162:163], v[136:137], v[154:155]
	ds_load_2addr_b64 v[134:137], v130 offset0:69 offset1:70
	scratch_load_b128 v[152:155], off, off offset:128
	s_wait_dscnt 0x0
	v_fmac_f64_e32 v[162:163], v[138:139], v[134:135]
	s_wait_loadcnt 0x5
	s_delay_alu instid0(VALU_DEP_1)
	v_fmac_f64_e32 v[162:163], v[140:141], v[136:137]
	ds_load_2addr_b64 v[134:137], v130 offset0:71 offset1:72
	scratch_load_b128 v[138:141], off, off offset:144
	s_wait_dscnt 0x0
	v_fmac_f64_e32 v[162:163], v[142:143], v[134:135]
	s_wait_loadcnt 0x5
	s_delay_alu instid0(VALU_DEP_1)
	;; [unrolled: 7-line block ×4, first 2 shown]
	v_fmac_f64_e32 v[162:163], v[156:157], v[136:137]
	ds_load_2addr_b64 v[134:137], v130 offset0:77 offset1:78
	s_wait_dscnt 0x0
	v_fmac_f64_e32 v[162:163], v[158:159], v[134:135]
	scratch_load_b128 v[156:159], off, off offset:192
	s_wait_loadcnt 0x5
	v_fmac_f64_e32 v[162:163], v[0:1], v[136:137]
	ds_load_2addr_b64 v[134:137], v130 offset0:79 offset1:80
	s_wait_dscnt 0x0
	v_fmac_f64_e32 v[162:163], v[2:3], v[134:135]
	scratch_load_b128 v[0:3], off, off offset:208
	s_wait_loadcnt 0x5
	v_fmac_f64_e32 v[162:163], v[152:153], v[136:137]
	ds_load_2addr_b64 v[134:137], v130 offset0:81 offset1:82
	scratch_load_b128 v[150:153], off, off offset:224
	s_wait_dscnt 0x0
	v_fmac_f64_e32 v[162:163], v[154:155], v[134:135]
	s_wait_loadcnt 0x5
	s_delay_alu instid0(VALU_DEP_1)
	v_fmac_f64_e32 v[162:163], v[138:139], v[136:137]
	ds_load_2addr_b64 v[134:137], v130 offset0:83 offset1:84
	s_wait_dscnt 0x0
	v_fmac_f64_e32 v[162:163], v[140:141], v[134:135]
	scratch_load_b128 v[138:141], off, off offset:240
	s_wait_loadcnt 0x5
	v_fmac_f64_e32 v[162:163], v[142:143], v[136:137]
	ds_load_2addr_b64 v[134:137], v130 offset0:85 offset1:86
	s_wait_dscnt 0x0
	v_fmac_f64_e32 v[162:163], v[144:145], v[134:135]
	scratch_load_b128 v[142:145], off, off offset:256
	s_wait_loadcnt 0x5
	;; [unrolled: 6-line block ×3, first 2 shown]
	v_fmac_f64_e32 v[162:163], v[156:157], v[136:137]
	ds_load_2addr_b64 v[134:137], v130 offset0:89 offset1:90
	scratch_load_b128 v[154:157], off, off offset:288
	s_wait_dscnt 0x0
	v_fmac_f64_e32 v[162:163], v[158:159], v[134:135]
	scratch_load_b128 v[158:161], off, off offset:400
	s_wait_loadcnt 0x6
	v_fmac_f64_e32 v[162:163], v[0:1], v[136:137]
	ds_load_2addr_b64 v[134:137], v130 offset0:91 offset1:92
	s_wait_dscnt 0x0
	v_fmac_f64_e32 v[162:163], v[2:3], v[134:135]
	scratch_load_b128 v[0:3], off, off offset:304
	s_wait_loadcnt 0x6
	v_fmac_f64_e32 v[162:163], v[150:151], v[136:137]
	ds_load_2addr_b64 v[134:137], v130 offset0:93 offset1:94
	;; [unrolled: 6-line block ×7, first 2 shown]
	s_wait_dscnt 0x0
	v_fmac_f64_e32 v[162:163], v[2:3], v[134:135]
	ds_load_2addr_b64 v[0:3], v130 offset0:105 offset1:106
	s_wait_loadcnt 0x4
	v_fmac_f64_e32 v[162:163], v[150:151], v[136:137]
	scratch_load_b128 v[134:137], off, off offset:416
	s_wait_dscnt 0x0
	v_fmac_f64_e32 v[162:163], v[152:153], v[0:1]
	ds_load_2addr_b64 v[150:153], v130 offset0:113 offset1:114
	s_wait_loadcnt 0x4
	v_fmac_f64_e32 v[162:163], v[138:139], v[2:3]
	ds_load_2addr_b64 v[0:3], v130 offset0:107 offset1:108
	s_wait_dscnt 0x0
	v_fmac_f64_e32 v[162:163], v[140:141], v[0:1]
	scratch_load_b128 v[138:141], off, off offset:432
	s_wait_loadcnt 0x4
	v_fmac_f64_e32 v[162:163], v[142:143], v[2:3]
	ds_load_2addr_b64 v[0:3], v130 offset0:109 offset1:110
	s_wait_dscnt 0x0
	v_fmac_f64_e32 v[162:163], v[144:145], v[0:1]
	scratch_load_b128 v[142:145], off, off offset:448
	s_wait_loadcnt 0x4
	v_fmac_f64_e32 v[162:163], v[146:147], v[2:3]
	ds_load_2addr_b64 v[0:3], v130 offset0:111 offset1:112
	s_wait_dscnt 0x0
	v_fmac_f64_e32 v[162:163], v[148:149], v[0:1]
	scratch_load_b128 v[146:149], off, off offset:464
	s_wait_loadcnt 0x4
	v_fmac_f64_e32 v[162:163], v[154:155], v[2:3]
	s_clause 0x1
	scratch_load_b128 v[0:3], off, off offset:480
	scratch_load_b64 v[154:155], off, off offset:496
	v_fmac_f64_e32 v[162:163], v[156:157], v[150:151]
	s_delay_alu instid0(VALU_DEP_1) | instskip(SKIP_4) | instid1(VALU_DEP_1)
	v_fmac_f64_e32 v[162:163], v[158:159], v[152:153]
	ds_load_2addr_b64 v[150:153], v130 offset0:115 offset1:116
	s_wait_dscnt 0x0
	v_fmac_f64_e32 v[162:163], v[160:161], v[150:151]
	s_wait_loadcnt 0x5
	v_fmac_f64_e32 v[162:163], v[134:135], v[152:153]
	ds_load_2addr_b64 v[150:153], v130 offset0:117 offset1:118
	s_wait_dscnt 0x0
	v_fmac_f64_e32 v[162:163], v[136:137], v[150:151]
	ds_load_2addr_b64 v[134:137], v130 offset0:119 offset1:120
	s_wait_loadcnt 0x4
	v_fmac_f64_e32 v[162:163], v[138:139], v[152:153]
	s_wait_dscnt 0x0
	s_delay_alu instid0(VALU_DEP_1) | instskip(SKIP_1) | instid1(VALU_DEP_1)
	v_fmac_f64_e32 v[162:163], v[140:141], v[134:135]
	s_wait_loadcnt 0x3
	v_fmac_f64_e32 v[162:163], v[142:143], v[136:137]
	ds_load_2addr_b64 v[134:137], v130 offset0:121 offset1:122
	s_wait_dscnt 0x0
	v_fmac_f64_e32 v[162:163], v[144:145], v[134:135]
	s_wait_loadcnt 0x2
	s_delay_alu instid0(VALU_DEP_1) | instskip(SKIP_4) | instid1(VALU_DEP_1)
	v_fmac_f64_e32 v[162:163], v[146:147], v[136:137]
	ds_load_2addr_b64 v[134:137], v130 offset0:123 offset1:124
	s_wait_dscnt 0x0
	v_fmac_f64_e32 v[162:163], v[148:149], v[134:135]
	s_wait_loadcnt 0x1
	v_fmac_f64_e32 v[162:163], v[0:1], v[136:137]
	ds_load_2addr_b64 v[134:137], v130 offset0:125 offset1:126
	s_wait_dscnt 0x0
	v_fmac_f64_e32 v[162:163], v[2:3], v[134:135]
	s_wait_loadcnt 0x0
	s_delay_alu instid0(VALU_DEP_1) | instskip(NEXT) | instid1(VALU_DEP_1)
	v_fmac_f64_e32 v[162:163], v[154:155], v[136:137]
	v_add_f64_e64 v[170:171], v[132:133], -v[162:163]
	scratch_store_b64 off, v[170:171], off
	s_cbranch_vccz .LBB62_512
; %bb.388:
	v_mov_b32_e32 v0, 0
	global_load_b32 v1, v0, s[2:3] offset:244
	s_wait_loadcnt 0x0
	v_cmp_ne_u32_e32 vcc_lo, 62, v1
	s_cbranch_vccz .LBB62_390
; %bb.389:
	v_lshlrev_b32_e32 v1, 3, v1
	scratch_load_b64 v[130:131], v1, off offset:-8
	s_wait_loadcnt 0x0
	scratch_store_b64 off, v[130:131], off offset:488
	scratch_store_b64 v1, v[2:3], off offset:-8
.LBB62_390:
	global_load_b32 v0, v0, s[2:3] offset:240
	s_wait_loadcnt 0x0
	v_cmp_eq_u32_e32 vcc_lo, 61, v0
	s_cbranch_vccnz .LBB62_392
; %bb.391:
	s_wait_xcnt 0x0
	v_lshlrev_b32_e32 v0, 3, v0
	s_delay_alu instid0(VALU_DEP_1)
	v_mov_b32_e32 v130, v0
	scratch_load_b64 v[0:1], v130, off offset:-8
	scratch_load_b64 v[2:3], off, off offset:480
	s_wait_loadcnt 0x1
	scratch_store_b64 off, v[0:1], off offset:480
	s_wait_loadcnt 0x0
	scratch_store_b64 v130, v[2:3], off offset:-8
.LBB62_392:
	s_wait_xcnt 0x0
	v_mov_b32_e32 v0, 0
	global_load_b32 v1, v0, s[2:3] offset:236
	s_wait_loadcnt 0x0
	v_cmp_eq_u32_e32 vcc_lo, 60, v1
	s_cbranch_vccnz .LBB62_394
; %bb.393:
	v_lshlrev_b32_e32 v1, 3, v1
	scratch_load_b64 v[2:3], v1, off offset:-8
	scratch_load_b64 v[130:131], off, off offset:472
	s_wait_loadcnt 0x1
	scratch_store_b64 off, v[2:3], off offset:472
	s_wait_loadcnt 0x0
	scratch_store_b64 v1, v[130:131], off offset:-8
.LBB62_394:
	global_load_b32 v0, v0, s[2:3] offset:232
	s_wait_loadcnt 0x0
	v_cmp_eq_u32_e32 vcc_lo, 59, v0
	s_cbranch_vccnz .LBB62_396
; %bb.395:
	s_wait_xcnt 0x0
	v_lshlrev_b32_e32 v0, 3, v0
	s_delay_alu instid0(VALU_DEP_1)
	v_mov_b32_e32 v130, v0
	scratch_load_b64 v[0:1], v130, off offset:-8
	scratch_load_b64 v[2:3], off, off offset:464
	s_wait_loadcnt 0x1
	scratch_store_b64 off, v[0:1], off offset:464
	s_wait_loadcnt 0x0
	scratch_store_b64 v130, v[2:3], off offset:-8
.LBB62_396:
	s_wait_xcnt 0x0
	v_mov_b32_e32 v0, 0
	global_load_b32 v1, v0, s[2:3] offset:228
	s_wait_loadcnt 0x0
	v_cmp_eq_u32_e32 vcc_lo, 58, v1
	s_cbranch_vccnz .LBB62_398
; %bb.397:
	v_lshlrev_b32_e32 v1, 3, v1
	scratch_load_b64 v[2:3], v1, off offset:-8
	scratch_load_b64 v[130:131], off, off offset:456
	s_wait_loadcnt 0x1
	scratch_store_b64 off, v[2:3], off offset:456
	s_wait_loadcnt 0x0
	scratch_store_b64 v1, v[130:131], off offset:-8
.LBB62_398:
	;; [unrolled: 31-line block ×30, first 2 shown]
	global_load_b32 v0, v0, s[2:3]
	scratch_load_b64 v[170:171], off, off
	s_wait_loadcnt 0x1
	v_cmp_eq_u32_e32 vcc_lo, 1, v0
	s_cbranch_vccnz .LBB62_512
; %bb.511:
	s_wait_xcnt 0x1
	v_lshlrev_b32_e32 v0, 3, v0
	s_delay_alu instid0(VALU_DEP_1)
	v_mov_b32_e32 v2, v0
	scratch_load_b64 v[0:1], v2, off offset:-8
	s_wait_loadcnt 0x0
	scratch_store_b64 off, v[0:1], off
	scratch_store_b64 v2, v[170:171], off offset:-8
	scratch_load_b64 v[170:171], off, off
.LBB62_512:
	v_lshl_add_u64 v[176:177], v[8:9], 3, s[4:5]
	v_lshl_add_u64 v[172:173], v[10:11], 3, s[4:5]
	;; [unrolled: 1-line block ×32, first 2 shown]
	s_clause 0x6
	scratch_load_b128 v[80:83], off, off offset:8
	scratch_load_b128 v[84:87], off, off offset:24
	scratch_load_b128 v[88:91], off, off offset:40
	scratch_load_b128 v[92:95], off, off offset:56
	scratch_load_b128 v[96:99], off, off offset:72
	scratch_load_b128 v[100:103], off, off offset:88
	scratch_load_b128 v[104:107], off, off offset:104
	v_lshl_add_u64 v[168:169], v[16:17], 3, s[4:5]
	v_lshl_add_u64 v[162:163], v[18:19], 3, s[4:5]
	;; [unrolled: 1-line block ×6, first 2 shown]
	scratch_load_b128 v[108:111], off, off offset:120
	s_wait_loadcnt 0x8
	global_store_b64 v[4:5], v[170:171], off
	v_lshl_add_u64 v[164:165], v[20:21], 3, s[4:5]
	v_lshl_add_u64 v[158:159], v[22:23], 3, s[4:5]
	;; [unrolled: 1-line block ×21, first 2 shown]
	s_wait_xcnt 0xa
	v_lshl_add_u64 v[0:1], v[126:127], 3, s[4:5]
	v_lshl_add_u64 v[2:3], v[128:129], 3, s[4:5]
	s_wait_loadcnt 0x7
	s_clause 0x1
	global_store_b64 v[6:7], v[80:81], off
	global_store_b64 v[176:177], v[82:83], off
	s_clause 0x1
	scratch_load_b128 v[4:7], off, off offset:136
	scratch_load_b128 v[80:83], off, off offset:152
	s_wait_loadcnt 0x8
	s_clause 0x1
	global_store_b64 v[172:173], v[84:85], off
	global_store_b64 v[174:175], v[86:87], off
	s_clause 0x1
	scratch_load_b128 v[84:87], off, off offset:168
	scratch_load_b128 v[112:115], off, off offset:184
	;; [unrolled: 7-line block ×11, first 2 shown]
	s_wait_loadcnt 0x12
	s_clause 0x1
	global_store_b64 v[130:131], v[112:113], off
	global_store_b64 v[132:133], v[114:115], off
	scratch_load_b128 v[112:115], off, off offset:488
	s_wait_loadcnt 0x12
	s_clause 0x1
	global_store_b64 v[8:9], v[88:89], off
	global_store_b64 v[10:11], v[90:91], off
	s_wait_loadcnt 0x11
	s_clause 0x1
	global_store_b64 v[12:13], v[116:117], off
	global_store_b64 v[14:15], v[118:119], off
	;; [unrolled: 4-line block ×19, first 2 shown]
	s_sendmsg sendmsg(MSG_DEALLOC_VGPRS)
	s_endpgm
	.section	.rodata,"a",@progbits
	.p2align	6, 0x0
	.amdhsa_kernel _ZN9rocsolver6v33100L18getri_kernel_smallILi63EdPdEEvT1_iilPiilS4_bb
		.amdhsa_group_segment_fixed_size 1016
		.amdhsa_private_segment_fixed_size 512
		.amdhsa_kernarg_size 60
		.amdhsa_user_sgpr_count 2
		.amdhsa_user_sgpr_dispatch_ptr 0
		.amdhsa_user_sgpr_queue_ptr 0
		.amdhsa_user_sgpr_kernarg_segment_ptr 1
		.amdhsa_user_sgpr_dispatch_id 0
		.amdhsa_user_sgpr_kernarg_preload_length 0
		.amdhsa_user_sgpr_kernarg_preload_offset 0
		.amdhsa_user_sgpr_private_segment_size 0
		.amdhsa_wavefront_size32 1
		.amdhsa_uses_dynamic_stack 0
		.amdhsa_enable_private_segment 1
		.amdhsa_system_sgpr_workgroup_id_x 1
		.amdhsa_system_sgpr_workgroup_id_y 0
		.amdhsa_system_sgpr_workgroup_id_z 0
		.amdhsa_system_sgpr_workgroup_info 0
		.amdhsa_system_vgpr_workitem_id 0
		.amdhsa_next_free_vgpr 180
		.amdhsa_next_free_sgpr 19
		.amdhsa_named_barrier_count 0
		.amdhsa_reserve_vcc 1
		.amdhsa_float_round_mode_32 0
		.amdhsa_float_round_mode_16_64 0
		.amdhsa_float_denorm_mode_32 3
		.amdhsa_float_denorm_mode_16_64 3
		.amdhsa_fp16_overflow 0
		.amdhsa_memory_ordered 1
		.amdhsa_forward_progress 1
		.amdhsa_inst_pref_size 255
		.amdhsa_round_robin_scheduling 0
		.amdhsa_exception_fp_ieee_invalid_op 0
		.amdhsa_exception_fp_denorm_src 0
		.amdhsa_exception_fp_ieee_div_zero 0
		.amdhsa_exception_fp_ieee_overflow 0
		.amdhsa_exception_fp_ieee_underflow 0
		.amdhsa_exception_fp_ieee_inexact 0
		.amdhsa_exception_int_div_zero 0
	.end_amdhsa_kernel
	.section	.text._ZN9rocsolver6v33100L18getri_kernel_smallILi63EdPdEEvT1_iilPiilS4_bb,"axG",@progbits,_ZN9rocsolver6v33100L18getri_kernel_smallILi63EdPdEEvT1_iilPiilS4_bb,comdat
.Lfunc_end62:
	.size	_ZN9rocsolver6v33100L18getri_kernel_smallILi63EdPdEEvT1_iilPiilS4_bb, .Lfunc_end62-_ZN9rocsolver6v33100L18getri_kernel_smallILi63EdPdEEvT1_iilPiilS4_bb
                                        ; -- End function
	.set _ZN9rocsolver6v33100L18getri_kernel_smallILi63EdPdEEvT1_iilPiilS4_bb.num_vgpr, 180
	.set _ZN9rocsolver6v33100L18getri_kernel_smallILi63EdPdEEvT1_iilPiilS4_bb.num_agpr, 0
	.set _ZN9rocsolver6v33100L18getri_kernel_smallILi63EdPdEEvT1_iilPiilS4_bb.numbered_sgpr, 19
	.set _ZN9rocsolver6v33100L18getri_kernel_smallILi63EdPdEEvT1_iilPiilS4_bb.num_named_barrier, 0
	.set _ZN9rocsolver6v33100L18getri_kernel_smallILi63EdPdEEvT1_iilPiilS4_bb.private_seg_size, 512
	.set _ZN9rocsolver6v33100L18getri_kernel_smallILi63EdPdEEvT1_iilPiilS4_bb.uses_vcc, 1
	.set _ZN9rocsolver6v33100L18getri_kernel_smallILi63EdPdEEvT1_iilPiilS4_bb.uses_flat_scratch, 1
	.set _ZN9rocsolver6v33100L18getri_kernel_smallILi63EdPdEEvT1_iilPiilS4_bb.has_dyn_sized_stack, 0
	.set _ZN9rocsolver6v33100L18getri_kernel_smallILi63EdPdEEvT1_iilPiilS4_bb.has_recursion, 0
	.set _ZN9rocsolver6v33100L18getri_kernel_smallILi63EdPdEEvT1_iilPiilS4_bb.has_indirect_call, 0
	.section	.AMDGPU.csdata,"",@progbits
; Kernel info:
; codeLenInByte = 67744
; TotalNumSgprs: 21
; NumVgprs: 180
; ScratchSize: 512
; MemoryBound: 0
; FloatMode: 240
; IeeeMode: 1
; LDSByteSize: 1016 bytes/workgroup (compile time only)
; SGPRBlocks: 0
; VGPRBlocks: 11
; NumSGPRsForWavesPerEU: 21
; NumVGPRsForWavesPerEU: 180
; NamedBarCnt: 0
; Occupancy: 5
; WaveLimiterHint : 1
; COMPUTE_PGM_RSRC2:SCRATCH_EN: 1
; COMPUTE_PGM_RSRC2:USER_SGPR: 2
; COMPUTE_PGM_RSRC2:TRAP_HANDLER: 0
; COMPUTE_PGM_RSRC2:TGID_X_EN: 1
; COMPUTE_PGM_RSRC2:TGID_Y_EN: 0
; COMPUTE_PGM_RSRC2:TGID_Z_EN: 0
; COMPUTE_PGM_RSRC2:TIDIG_COMP_CNT: 0
	.section	.text._ZN9rocsolver6v33100L18getri_kernel_smallILi64EdPdEEvT1_iilPiilS4_bb,"axG",@progbits,_ZN9rocsolver6v33100L18getri_kernel_smallILi64EdPdEEvT1_iilPiilS4_bb,comdat
	.globl	_ZN9rocsolver6v33100L18getri_kernel_smallILi64EdPdEEvT1_iilPiilS4_bb ; -- Begin function _ZN9rocsolver6v33100L18getri_kernel_smallILi64EdPdEEvT1_iilPiilS4_bb
	.p2align	8
	.type	_ZN9rocsolver6v33100L18getri_kernel_smallILi64EdPdEEvT1_iilPiilS4_bb,@function
_ZN9rocsolver6v33100L18getri_kernel_smallILi64EdPdEEvT1_iilPiilS4_bb: ; @_ZN9rocsolver6v33100L18getri_kernel_smallILi64EdPdEEvT1_iilPiilS4_bb
; %bb.0:
	s_mov_b32 s2, exec_lo
	v_cmpx_gt_u32_e32 64, v0
	s_cbranch_execz .LBB63_266
; %bb.1:
	s_clause 0x2
	s_load_b32 s2, s[0:1], 0x38
	s_load_b128 s[12:15], s[0:1], 0x10
	s_load_b128 s[4:7], s[0:1], 0x28
	s_getreg_b32 s9, hwreg(HW_REG_IB_STS2, 6, 4)
	s_wait_kmcnt 0x0
	s_bitcmp1_b32 s2, 8
	s_cselect_b32 s18, -1, 0
	s_bfe_u32 s3, ttmp6, 0x4000c
	s_and_b32 s8, ttmp6, 15
	s_add_co_i32 s3, s3, 1
	s_delay_alu instid0(SALU_CYCLE_1) | instskip(NEXT) | instid1(SALU_CYCLE_1)
	s_mul_i32 s3, ttmp9, s3
	s_add_co_i32 s8, s8, s3
	s_cmp_eq_u32 s9, 0
	s_cselect_b32 s16, ttmp9, s8
	s_bfe_u32 s2, s2, 0x10008
	s_ashr_i32 s17, s16, 31
	s_cmp_eq_u32 s2, 0
                                        ; implicit-def: $sgpr2_sgpr3
	s_cbranch_scc1 .LBB63_3
; %bb.2:
	s_load_b32 s2, s[0:1], 0x20
	s_mul_u64 s[4:5], s[4:5], s[16:17]
	s_delay_alu instid0(SALU_CYCLE_1) | instskip(NEXT) | instid1(SALU_CYCLE_1)
	s_lshl_b64 s[4:5], s[4:5], 2
	s_add_nc_u64 s[4:5], s[14:15], s[4:5]
	s_wait_kmcnt 0x0
	s_ashr_i32 s3, s2, 31
	s_delay_alu instid0(SALU_CYCLE_1) | instskip(NEXT) | instid1(SALU_CYCLE_1)
	s_lshl_b64 s[2:3], s[2:3], 2
	s_add_nc_u64 s[2:3], s[4:5], s[2:3]
.LBB63_3:
	s_clause 0x1
	s_load_b128 s[8:11], s[0:1], 0x0
	s_load_b32 s14, s[0:1], 0x38
	s_wait_xcnt 0x0
	s_mul_u64 s[0:1], s[12:13], s[16:17]
	v_dual_mov_b32 v3, 0 :: v_dual_lshlrev_b32 v2, 3, v0
	s_lshl_b64 s[0:1], s[0:1], 3
	s_wait_kmcnt 0x0
	v_add3_u32 v8, s11, s11, v0
	s_ashr_i32 s5, s10, 31
	s_mov_b32 s4, s10
	s_add_nc_u64 s[0:1], s[8:9], s[0:1]
	s_lshl_b64 s[4:5], s[4:5], 3
	v_add_nc_u32_e32 v10, s11, v8
	s_add_nc_u64 s[4:5], s[0:1], s[4:5]
	s_ashr_i32 s1, s11, 31
	v_add_nc_u64_e32 v[4:5], s[4:5], v[2:3]
	s_mov_b32 s0, s11
	v_add_nc_u32_e32 v12, s11, v10
	s_bitcmp0_b32 s14, 0
	s_delay_alu instid0(VALU_DEP_2) | instskip(NEXT) | instid1(VALU_DEP_2)
	v_lshl_add_u64 v[6:7], s[0:1], 3, v[4:5]
	v_add_nc_u32_e32 v14, s11, v12
	s_clause 0x1
	global_load_b64 v[92:93], v0, s[4:5] scale_offset
	global_load_b64 v[94:95], v[6:7], off
	s_mov_b32 s1, -1
	v_add_nc_u32_e32 v16, s11, v14
	s_clause 0x1
	global_load_b64 v[96:97], v8, s[4:5] scale_offset
	global_load_b64 v[98:99], v10, s[4:5] scale_offset
	v_add_nc_u32_e32 v18, s11, v16
	s_delay_alu instid0(VALU_DEP_1) | instskip(SKIP_4) | instid1(VALU_DEP_1)
	v_add_nc_u32_e32 v20, s11, v18
	s_clause 0x1
	global_load_b64 v[100:101], v12, s[4:5] scale_offset
	global_load_b64 v[102:103], v14, s[4:5] scale_offset
	v_add_nc_u32_e32 v22, s11, v20
	v_add_nc_u32_e32 v24, s11, v22
	s_delay_alu instid0(VALU_DEP_1) | instskip(NEXT) | instid1(VALU_DEP_1)
	v_add_nc_u32_e32 v26, s11, v24
	v_add_nc_u32_e32 v28, s11, v26
	s_clause 0x3
	global_load_b64 v[104:105], v16, s[4:5] scale_offset
	global_load_b64 v[106:107], v18, s[4:5] scale_offset
	;; [unrolled: 1-line block ×4, first 2 shown]
	v_add_nc_u32_e32 v30, s11, v28
	s_delay_alu instid0(VALU_DEP_1)
	v_add_nc_u32_e32 v32, s11, v30
	s_clause 0x3
	global_load_b64 v[112:113], v24, s[4:5] scale_offset
	global_load_b64 v[114:115], v26, s[4:5] scale_offset
	;; [unrolled: 1-line block ×4, first 2 shown]
	v_add_nc_u32_e32 v34, s11, v32
	s_delay_alu instid0(VALU_DEP_1) | instskip(NEXT) | instid1(VALU_DEP_1)
	v_add_nc_u32_e32 v36, s11, v34
	v_add_nc_u32_e32 v38, s11, v36
	s_delay_alu instid0(VALU_DEP_1) | instskip(NEXT) | instid1(VALU_DEP_1)
	v_add_nc_u32_e32 v40, s11, v38
	v_add_nc_u32_e32 v42, s11, v40
	s_delay_alu instid0(VALU_DEP_1)
	v_add_nc_u32_e32 v44, s11, v42
	s_clause 0x3
	global_load_b64 v[120:121], v32, s[4:5] scale_offset
	global_load_b64 v[122:123], v34, s[4:5] scale_offset
	;; [unrolled: 1-line block ×4, first 2 shown]
	v_add_nc_u32_e32 v46, s11, v44
	s_delay_alu instid0(VALU_DEP_1) | instskip(NEXT) | instid1(VALU_DEP_1)
	v_add_nc_u32_e32 v48, s11, v46
	v_add_nc_u32_e32 v50, s11, v48
	s_delay_alu instid0(VALU_DEP_1)
	v_add_nc_u32_e32 v52, s11, v50
	s_clause 0x3
	global_load_b64 v[128:129], v40, s[4:5] scale_offset
	global_load_b64 v[130:131], v42, s[4:5] scale_offset
	;; [unrolled: 1-line block ×4, first 2 shown]
	v_add_nc_u32_e32 v54, s11, v52
	s_delay_alu instid0(VALU_DEP_1)
	v_add_nc_u32_e32 v56, s11, v54
	s_clause 0x3
	global_load_b64 v[136:137], v48, s[4:5] scale_offset
	global_load_b64 v[138:139], v50, s[4:5] scale_offset
	;; [unrolled: 1-line block ×4, first 2 shown]
	v_add_nc_u32_e32 v58, s11, v56
	s_delay_alu instid0(VALU_DEP_1) | instskip(NEXT) | instid1(VALU_DEP_1)
	v_add_nc_u32_e32 v60, s11, v58
	v_add_nc_u32_e32 v62, s11, v60
	s_delay_alu instid0(VALU_DEP_1) | instskip(SKIP_4) | instid1(VALU_DEP_1)
	v_add_nc_u32_e32 v64, s11, v62
	s_clause 0x1
	global_load_b64 v[144:145], v56, s[4:5] scale_offset
	global_load_b64 v[146:147], v58, s[4:5] scale_offset
	v_add_nc_u32_e32 v66, s11, v64
	v_add_nc_u32_e32 v68, s11, v66
	s_clause 0x3
	global_load_b64 v[148:149], v60, s[4:5] scale_offset
	global_load_b64 v[150:151], v62, s[4:5] scale_offset
	;; [unrolled: 1-line block ×4, first 2 shown]
	v_add_nc_u32_e32 v70, s11, v68
	s_delay_alu instid0(VALU_DEP_1) | instskip(NEXT) | instid1(VALU_DEP_1)
	v_add_nc_u32_e32 v72, s11, v70
	v_add_nc_u32_e32 v74, s11, v72
	s_delay_alu instid0(VALU_DEP_1) | instskip(NEXT) | instid1(VALU_DEP_1)
	v_add_nc_u32_e32 v76, s11, v74
	;; [unrolled: 3-line block ×5, first 2 shown]
	v_add_nc_u32_e32 v90, s11, v88
	s_wait_loadcnt 0x1e
	scratch_store_b128 off, v[92:95], off
	s_wait_xcnt 0x0
	v_add_nc_u32_e32 v92, s11, v90
	s_wait_loadcnt 0x1c
	scratch_store_b128 off, v[96:99], off offset:16
	s_clause 0x1
	global_load_b64 v[156:157], v68, s[4:5] scale_offset
	global_load_b64 v[158:159], v70, s[4:5] scale_offset
	v_add_nc_u32_e32 v94, s11, v92
	s_wait_xcnt 0x2
	s_delay_alu instid0(VALU_DEP_1) | instskip(SKIP_4) | instid1(VALU_DEP_1)
	v_add_nc_u32_e32 v96, s11, v94
	s_wait_loadcnt 0x1c
	scratch_store_b128 off, v[100:103], off offset:32
	v_add_nc_u32_e32 v98, s11, v96
	s_wait_xcnt 0x0
	v_add_nc_u32_e32 v100, s11, v98
	s_delay_alu instid0(VALU_DEP_1)
	v_add_nc_u32_e32 v102, s11, v100
	s_wait_loadcnt 0x1a
	scratch_store_b128 off, v[104:107], off offset:48
	s_wait_xcnt 0x0
	v_add_nc_u32_e32 v104, s11, v102
	s_clause 0x1
	global_load_b64 v[160:161], v72, s[4:5] scale_offset
	global_load_b64 v[162:163], v74, s[4:5] scale_offset
	s_wait_loadcnt 0x1a
	scratch_store_b128 off, v[108:111], off offset:64
	s_clause 0x1
	global_load_b64 v[164:165], v76, s[4:5] scale_offset
	global_load_b64 v[166:167], v78, s[4:5] scale_offset
	v_add_nc_u32_e32 v106, s11, v104
	s_wait_loadcnt 0x1a
	scratch_store_b128 off, v[112:115], off offset:80
	s_wait_xcnt 0x3
	v_add_nc_u32_e32 v108, s11, v106
	s_wait_loadcnt 0x18
	scratch_store_b128 off, v[116:119], off offset:96
	s_wait_loadcnt 0x16
	scratch_store_b128 off, v[120:123], off offset:112
	v_add_nc_u32_e32 v110, s11, v108
	s_clause 0x3
	global_load_b64 v[168:169], v80, s[4:5] scale_offset
	global_load_b64 v[170:171], v82, s[4:5] scale_offset
	global_load_b64 v[172:173], v84, s[4:5] scale_offset
	global_load_b64 v[174:175], v86, s[4:5] scale_offset
	s_wait_loadcnt 0x18
	scratch_store_b128 off, v[124:127], off offset:128
	s_wait_loadcnt 0x16
	scratch_store_b128 off, v[128:131], off offset:144
	s_clause 0x3
	global_load_b64 v[176:177], v88, s[4:5] scale_offset
	global_load_b64 v[178:179], v90, s[4:5] scale_offset
	;; [unrolled: 1-line block ×4, first 2 shown]
	s_wait_loadcnt 0x18
	scratch_store_b128 off, v[132:135], off offset:160
	s_wait_xcnt 0xd
	v_add_nc_u32_e32 v112, s11, v110
	s_wait_loadcnt 0x16
	scratch_store_b128 off, v[136:139], off offset:176
	s_wait_loadcnt 0x14
	scratch_store_b128 off, v[140:143], off offset:192
	s_clause 0x3
	global_load_b64 v[132:133], v96, s[4:5] scale_offset
	global_load_b64 v[134:135], v98, s[4:5] scale_offset
	;; [unrolled: 1-line block ×4, first 2 shown]
	v_add_nc_u32_e32 v114, s11, v112
	s_delay_alu instid0(VALU_DEP_1) | instskip(NEXT) | instid1(VALU_DEP_1)
	v_add_nc_u32_e32 v116, s11, v114
	v_add_nc_u32_e32 v118, s11, v116
	s_delay_alu instid0(VALU_DEP_1)
	v_add_nc_u32_e32 v120, s11, v118
	s_wait_loadcnt 0x16
	scratch_store_b128 off, v[144:147], off offset:208
	s_clause 0x1
	global_load_b64 v[140:141], v104, s[4:5] scale_offset
	global_load_b64 v[142:143], v106, s[4:5] scale_offset
	v_add_nc_u32_e32 v122, s11, v120
	s_delay_alu instid0(VALU_DEP_1)
	v_add_nc_u32_e32 v124, s11, v122
	s_wait_loadcnt 0x16
	scratch_store_b128 off, v[148:151], off offset:224
	s_wait_loadcnt 0x14
	scratch_store_b128 off, v[152:155], off offset:240
	v_add_nc_u32_e32 v126, s11, v124
	s_delay_alu instid0(VALU_DEP_1) | instskip(NEXT) | instid1(VALU_DEP_1)
	v_add_nc_u32_e32 v128, s11, v126
	v_add_nc_u32_e32 v130, s11, v128
	s_wait_loadcnt 0x12
	scratch_store_b128 off, v[156:159], off offset:256
	s_wait_loadcnt 0x10
	scratch_store_b128 off, v[160:163], off offset:272
	;; [unrolled: 2-line block ×4, first 2 shown]
	s_clause 0x1
	global_load_b64 v[144:145], v108, s[4:5] scale_offset
	global_load_b64 v[146:147], v110, s[4:5] scale_offset
	s_wait_loadcnt 0xc
	scratch_store_b128 off, v[172:175], off offset:320
	s_wait_loadcnt 0xa
	scratch_store_b128 off, v[176:179], off offset:336
	;; [unrolled: 2-line block ×3, first 2 shown]
	s_clause 0x3
	global_load_b64 v[148:149], v112, s[4:5] scale_offset
	global_load_b64 v[150:151], v114, s[4:5] scale_offset
	;; [unrolled: 1-line block ×4, first 2 shown]
	s_wait_loadcnt 0xa
	scratch_store_b128 off, v[132:135], off offset:368
	s_wait_loadcnt 0x8
	scratch_store_b128 off, v[136:139], off offset:384
	s_clause 0x3
	global_load_b64 v[132:133], v120, s[4:5] scale_offset
	global_load_b64 v[134:135], v122, s[4:5] scale_offset
	;; [unrolled: 1-line block ×4, first 2 shown]
	s_wait_loadcnt 0xa
	scratch_store_b128 off, v[140:143], off offset:400
	s_clause 0x1
	global_load_b64 v[140:141], v128, s[4:5] scale_offset
	global_load_b64 v[142:143], v130, s[4:5] scale_offset
	s_wait_loadcnt 0xa
	scratch_store_b128 off, v[144:147], off offset:416
	s_wait_loadcnt 0x8
	scratch_store_b128 off, v[148:151], off offset:432
	;; [unrolled: 2-line block ×6, first 2 shown]
	s_cbranch_scc1 .LBB63_264
; %bb.4:
	v_cmp_eq_u32_e64 s0, 0, v0
	s_wait_xcnt 0x0
	s_and_saveexec_b32 s1, s0
; %bb.5:
	v_mov_b32_e32 v1, 0
	ds_store_b32 v1, v1 offset:1024
; %bb.6:
	s_or_b32 exec_lo, exec_lo, s1
	s_wait_storecnt_dscnt 0x0
	s_barrier_signal -1
	s_barrier_wait -1
	scratch_load_b64 v[132:133], v0, off scale_offset
	s_mov_b32 s8, exec_lo
	s_wait_loadcnt 0x0
	v_cmpx_eq_f64_e32 0, v[132:133]
	s_cbranch_execz .LBB63_10
; %bb.7:
	v_mov_b32_e32 v1, 0
	s_mov_b32 s9, 0
	ds_load_b32 v3, v1 offset:1024
	s_wait_dscnt 0x0
	v_readfirstlane_b32 s1, v3
	v_add_nc_u32_e32 v3, 1, v0
	s_cmp_eq_u32 s1, 0
	s_delay_alu instid0(VALU_DEP_1) | instskip(SKIP_1) | instid1(SALU_CYCLE_1)
	v_cmp_gt_i32_e32 vcc_lo, s1, v3
	s_cselect_b32 s10, -1, 0
	s_or_b32 s10, s10, vcc_lo
	s_delay_alu instid0(SALU_CYCLE_1)
	s_and_b32 exec_lo, exec_lo, s10
	s_cbranch_execz .LBB63_10
; %bb.8:
	v_mov_b32_e32 v9, s1
.LBB63_9:                               ; =>This Inner Loop Header: Depth=1
	ds_cmpstore_rtn_b32 v9, v1, v3, v9 offset:1024
	s_wait_dscnt 0x0
	v_cmp_ne_u32_e32 vcc_lo, 0, v9
	v_cmp_le_i32_e64 s1, v9, v3
	s_and_b32 s1, vcc_lo, s1
	s_delay_alu instid0(SALU_CYCLE_1) | instskip(NEXT) | instid1(SALU_CYCLE_1)
	s_and_b32 s1, exec_lo, s1
	s_or_b32 s9, s1, s9
	s_delay_alu instid0(SALU_CYCLE_1)
	s_and_not1_b32 exec_lo, exec_lo, s9
	s_cbranch_execnz .LBB63_9
.LBB63_10:
	s_or_b32 exec_lo, exec_lo, s8
	v_mov_b32_e32 v1, 0
	s_barrier_signal -1
	s_barrier_wait -1
	ds_load_b32 v3, v1 offset:1024
	s_and_saveexec_b32 s1, s0
	s_cbranch_execz .LBB63_12
; %bb.11:
	s_lshl_b64 s[8:9], s[16:17], 2
	s_delay_alu instid0(SALU_CYCLE_1)
	s_add_nc_u64 s[8:9], s[6:7], s[8:9]
	s_wait_dscnt 0x0
	global_store_b32 v1, v3, s[8:9]
.LBB63_12:
	s_wait_xcnt 0x0
	s_or_b32 exec_lo, exec_lo, s1
	s_wait_dscnt 0x0
	v_cmp_ne_u32_e32 vcc_lo, 0, v3
	s_mov_b32 s1, 0
	s_cbranch_vccnz .LBB63_264
; %bb.13:
	v_lshl_add_u32 v3, v0, 3, 0
	v_or_b32_e32 v1, 0x200, v2
	scratch_load_b64 v[132:133], v3, off
	s_wait_loadcnt 0x0
	v_div_scale_f64 v[134:135], null, v[132:133], v[132:133], 1.0
	v_div_scale_f64 v[140:141], vcc_lo, 1.0, v[132:133], 1.0
	s_delay_alu instid0(VALU_DEP_2) | instskip(SKIP_1) | instid1(TRANS32_DEP_1)
	v_rcp_f64_e32 v[136:137], v[134:135]
	v_nop
	v_fma_f64 v[138:139], -v[134:135], v[136:137], 1.0
	s_delay_alu instid0(VALU_DEP_1) | instskip(NEXT) | instid1(VALU_DEP_1)
	v_fmac_f64_e32 v[136:137], v[136:137], v[138:139]
	v_fma_f64 v[138:139], -v[134:135], v[136:137], 1.0
	s_delay_alu instid0(VALU_DEP_1) | instskip(NEXT) | instid1(VALU_DEP_1)
	v_fmac_f64_e32 v[136:137], v[136:137], v[138:139]
	v_mul_f64_e32 v[138:139], v[140:141], v[136:137]
	s_delay_alu instid0(VALU_DEP_1) | instskip(NEXT) | instid1(VALU_DEP_1)
	v_fma_f64 v[134:135], -v[134:135], v[138:139], v[140:141]
	v_div_fmas_f64 v[134:135], v[134:135], v[136:137], v[138:139]
	s_delay_alu instid0(VALU_DEP_1)
	v_div_fixup_f64 v[132:133], v[134:135], v[132:133], 1.0
	scratch_store_b64 v3, v[132:133], off
	scratch_load_b64 v[134:135], off, off offset:8
	s_wait_xcnt 0x1
	v_xor_b32_e32 v133, 0x80000000, v133
	s_wait_loadcnt 0x0
	ds_store_2addr_stride64_b64 v2, v[132:133], v[134:135] offset1:1
	s_wait_storecnt_dscnt 0x0
	s_barrier_signal -1
	s_barrier_wait -1
	s_wait_xcnt 0x0
	s_and_saveexec_b32 s1, s0
	s_cbranch_execz .LBB63_15
; %bb.14:
	scratch_load_b64 v[132:133], v3, off
	ds_load_b64 v[134:135], v1
	s_wait_loadcnt_dscnt 0x0
	v_fma_f64 v[132:133], v[132:133], v[134:135], 0
	v_mov_b32_e32 v9, 0
	ds_load_b64 v[136:137], v9 offset:8
	s_wait_dscnt 0x0
	v_mul_f64_e32 v[132:133], v[132:133], v[136:137]
	scratch_store_b64 off, v[132:133], off offset:8
.LBB63_15:
	s_wait_xcnt 0x0
	s_or_b32 exec_lo, exec_lo, s1
	s_wait_storecnt 0x0
	s_barrier_signal -1
	s_barrier_wait -1
	scratch_load_b64 v[132:133], off, off offset:16
	s_mov_b32 s1, exec_lo
	s_wait_loadcnt 0x0
	ds_store_b64 v1, v[132:133]
	s_wait_dscnt 0x0
	s_barrier_signal -1
	s_barrier_wait -1
	v_cmpx_gt_u32_e32 2, v0
	s_cbranch_execz .LBB63_19
; %bb.16:
	scratch_load_b64 v[132:133], v3, off
	ds_load_b64 v[134:135], v1
	s_wait_loadcnt_dscnt 0x0
	v_fma_f64 v[132:133], v[132:133], v[134:135], 0
	s_and_saveexec_b32 s8, s0
	s_cbranch_execz .LBB63_18
; %bb.17:
	scratch_load_b64 v[134:135], off, off offset:8
	v_mov_b32_e32 v3, 0
	ds_load_b64 v[136:137], v3 offset:520
	s_wait_loadcnt_dscnt 0x0
	v_fmac_f64_e32 v[132:133], v[134:135], v[136:137]
.LBB63_18:
	s_or_b32 exec_lo, exec_lo, s8
	v_mov_b32_e32 v3, 0
	ds_load_b64 v[134:135], v3 offset:16
	s_wait_dscnt 0x0
	v_mul_f64_e32 v[132:133], v[132:133], v[134:135]
	scratch_store_b64 off, v[132:133], off offset:16
.LBB63_19:
	s_wait_xcnt 0x0
	s_or_b32 exec_lo, exec_lo, s1
	s_wait_storecnt 0x0
	s_barrier_signal -1
	s_barrier_wait -1
	scratch_load_b64 v[132:133], off, off offset:24
	v_add_nc_u32_e32 v3, -1, v0
	s_mov_b32 s0, exec_lo
	s_wait_loadcnt 0x0
	ds_store_b64 v1, v[132:133]
	s_wait_dscnt 0x0
	s_barrier_signal -1
	s_barrier_wait -1
	v_cmpx_gt_u32_e32 3, v0
	s_cbranch_execz .LBB63_23
; %bb.20:
	v_mov_b64_e32 v[132:133], 0
	v_dual_add_nc_u32 v9, -1, v0 :: v_dual_mov_b32 v13, v2
	v_or_b32_e32 v11, 0x200, v2
	s_mov_b32 s1, 0
.LBB63_21:                              ; =>This Inner Loop Header: Depth=1
	scratch_load_b64 v[134:135], v13, off
	ds_load_b64 v[136:137], v11
	v_dual_add_nc_u32 v9, 1, v9 :: v_dual_add_nc_u32 v11, 8, v11
	s_wait_xcnt 0x0
	v_add_nc_u32_e32 v13, 8, v13
	s_delay_alu instid0(VALU_DEP_2)
	v_cmp_lt_u32_e32 vcc_lo, 1, v9
	s_or_b32 s1, vcc_lo, s1
	s_wait_loadcnt_dscnt 0x0
	v_fmac_f64_e32 v[132:133], v[134:135], v[136:137]
	s_and_not1_b32 exec_lo, exec_lo, s1
	s_cbranch_execnz .LBB63_21
; %bb.22:
	s_or_b32 exec_lo, exec_lo, s1
	v_mov_b32_e32 v9, 0
	ds_load_b64 v[134:135], v9 offset:24
	s_wait_dscnt 0x0
	v_mul_f64_e32 v[132:133], v[132:133], v[134:135]
	scratch_store_b64 off, v[132:133], off offset:24
.LBB63_23:
	s_wait_xcnt 0x0
	s_or_b32 exec_lo, exec_lo, s0
	s_wait_storecnt 0x0
	s_barrier_signal -1
	s_barrier_wait -1
	scratch_load_b64 v[132:133], off, off offset:32
	s_mov_b32 s0, exec_lo
	s_wait_loadcnt 0x0
	ds_store_b64 v1, v[132:133]
	s_wait_dscnt 0x0
	s_barrier_signal -1
	s_barrier_wait -1
	v_cmpx_gt_u32_e32 4, v0
	s_cbranch_execz .LBB63_27
; %bb.24:
	v_mov_b64_e32 v[132:133], 0
	v_dual_add_nc_u32 v9, -1, v0 :: v_dual_mov_b32 v13, v2
	v_or_b32_e32 v11, 0x200, v2
	s_mov_b32 s1, 0
.LBB63_25:                              ; =>This Inner Loop Header: Depth=1
	scratch_load_b64 v[134:135], v13, off
	ds_load_b64 v[136:137], v11
	v_dual_add_nc_u32 v9, 1, v9 :: v_dual_add_nc_u32 v11, 8, v11
	s_wait_xcnt 0x0
	v_add_nc_u32_e32 v13, 8, v13
	s_delay_alu instid0(VALU_DEP_2)
	v_cmp_lt_u32_e32 vcc_lo, 2, v9
	s_or_b32 s1, vcc_lo, s1
	s_wait_loadcnt_dscnt 0x0
	v_fmac_f64_e32 v[132:133], v[134:135], v[136:137]
	s_and_not1_b32 exec_lo, exec_lo, s1
	s_cbranch_execnz .LBB63_25
; %bb.26:
	s_or_b32 exec_lo, exec_lo, s1
	v_mov_b32_e32 v9, 0
	ds_load_b64 v[134:135], v9 offset:32
	s_wait_dscnt 0x0
	v_mul_f64_e32 v[132:133], v[132:133], v[134:135]
	scratch_store_b64 off, v[132:133], off offset:32
.LBB63_27:
	s_wait_xcnt 0x0
	s_or_b32 exec_lo, exec_lo, s0
	s_wait_storecnt 0x0
	s_barrier_signal -1
	s_barrier_wait -1
	scratch_load_b64 v[132:133], off, off offset:40
	s_mov_b32 s0, exec_lo
	s_wait_loadcnt 0x0
	ds_store_b64 v1, v[132:133]
	s_wait_dscnt 0x0
	s_barrier_signal -1
	s_barrier_wait -1
	v_cmpx_gt_u32_e32 5, v0
	s_cbranch_execz .LBB63_31
; %bb.28:
	v_mov_b64_e32 v[132:133], 0
	v_dual_add_nc_u32 v9, -1, v0 :: v_dual_mov_b32 v13, v2
	v_or_b32_e32 v11, 0x200, v2
	s_mov_b32 s1, 0
.LBB63_29:                              ; =>This Inner Loop Header: Depth=1
	scratch_load_b64 v[134:135], v13, off
	ds_load_b64 v[136:137], v11
	v_dual_add_nc_u32 v9, 1, v9 :: v_dual_add_nc_u32 v11, 8, v11
	s_wait_xcnt 0x0
	v_add_nc_u32_e32 v13, 8, v13
	s_delay_alu instid0(VALU_DEP_2)
	v_cmp_lt_u32_e32 vcc_lo, 3, v9
	s_or_b32 s1, vcc_lo, s1
	s_wait_loadcnt_dscnt 0x0
	v_fmac_f64_e32 v[132:133], v[134:135], v[136:137]
	s_and_not1_b32 exec_lo, exec_lo, s1
	s_cbranch_execnz .LBB63_29
; %bb.30:
	s_or_b32 exec_lo, exec_lo, s1
	v_mov_b32_e32 v9, 0
	ds_load_b64 v[134:135], v9 offset:40
	s_wait_dscnt 0x0
	v_mul_f64_e32 v[132:133], v[132:133], v[134:135]
	scratch_store_b64 off, v[132:133], off offset:40
.LBB63_31:
	s_wait_xcnt 0x0
	s_or_b32 exec_lo, exec_lo, s0
	s_wait_storecnt 0x0
	s_barrier_signal -1
	s_barrier_wait -1
	scratch_load_b64 v[132:133], off, off offset:48
	s_mov_b32 s0, exec_lo
	s_wait_loadcnt 0x0
	ds_store_b64 v1, v[132:133]
	s_wait_dscnt 0x0
	s_barrier_signal -1
	s_barrier_wait -1
	v_cmpx_gt_u32_e32 6, v0
	s_cbranch_execz .LBB63_35
; %bb.32:
	v_mov_b64_e32 v[132:133], 0
	v_dual_add_nc_u32 v9, -1, v0 :: v_dual_mov_b32 v13, v2
	v_or_b32_e32 v11, 0x200, v2
	s_mov_b32 s1, 0
.LBB63_33:                              ; =>This Inner Loop Header: Depth=1
	scratch_load_b64 v[134:135], v13, off
	ds_load_b64 v[136:137], v11
	v_dual_add_nc_u32 v9, 1, v9 :: v_dual_add_nc_u32 v11, 8, v11
	s_wait_xcnt 0x0
	v_add_nc_u32_e32 v13, 8, v13
	s_delay_alu instid0(VALU_DEP_2)
	v_cmp_lt_u32_e32 vcc_lo, 4, v9
	s_or_b32 s1, vcc_lo, s1
	s_wait_loadcnt_dscnt 0x0
	v_fmac_f64_e32 v[132:133], v[134:135], v[136:137]
	s_and_not1_b32 exec_lo, exec_lo, s1
	s_cbranch_execnz .LBB63_33
; %bb.34:
	s_or_b32 exec_lo, exec_lo, s1
	v_mov_b32_e32 v9, 0
	ds_load_b64 v[134:135], v9 offset:48
	s_wait_dscnt 0x0
	v_mul_f64_e32 v[132:133], v[132:133], v[134:135]
	scratch_store_b64 off, v[132:133], off offset:48
.LBB63_35:
	s_wait_xcnt 0x0
	s_or_b32 exec_lo, exec_lo, s0
	s_wait_storecnt 0x0
	s_barrier_signal -1
	s_barrier_wait -1
	scratch_load_b64 v[132:133], off, off offset:56
	s_mov_b32 s0, exec_lo
	s_wait_loadcnt 0x0
	ds_store_b64 v1, v[132:133]
	s_wait_dscnt 0x0
	s_barrier_signal -1
	s_barrier_wait -1
	v_cmpx_gt_u32_e32 7, v0
	s_cbranch_execz .LBB63_39
; %bb.36:
	v_mov_b64_e32 v[132:133], 0
	v_dual_add_nc_u32 v9, -1, v0 :: v_dual_mov_b32 v13, v2
	v_or_b32_e32 v11, 0x200, v2
	s_mov_b32 s1, 0
.LBB63_37:                              ; =>This Inner Loop Header: Depth=1
	scratch_load_b64 v[134:135], v13, off
	ds_load_b64 v[136:137], v11
	v_dual_add_nc_u32 v9, 1, v9 :: v_dual_add_nc_u32 v11, 8, v11
	s_wait_xcnt 0x0
	v_add_nc_u32_e32 v13, 8, v13
	s_delay_alu instid0(VALU_DEP_2)
	v_cmp_lt_u32_e32 vcc_lo, 5, v9
	s_or_b32 s1, vcc_lo, s1
	s_wait_loadcnt_dscnt 0x0
	v_fmac_f64_e32 v[132:133], v[134:135], v[136:137]
	s_and_not1_b32 exec_lo, exec_lo, s1
	s_cbranch_execnz .LBB63_37
; %bb.38:
	s_or_b32 exec_lo, exec_lo, s1
	v_mov_b32_e32 v9, 0
	ds_load_b64 v[134:135], v9 offset:56
	s_wait_dscnt 0x0
	v_mul_f64_e32 v[132:133], v[132:133], v[134:135]
	scratch_store_b64 off, v[132:133], off offset:56
.LBB63_39:
	s_wait_xcnt 0x0
	s_or_b32 exec_lo, exec_lo, s0
	s_wait_storecnt 0x0
	s_barrier_signal -1
	s_barrier_wait -1
	scratch_load_b64 v[132:133], off, off offset:64
	s_mov_b32 s0, exec_lo
	s_wait_loadcnt 0x0
	ds_store_b64 v1, v[132:133]
	s_wait_dscnt 0x0
	s_barrier_signal -1
	s_barrier_wait -1
	v_cmpx_gt_u32_e32 8, v0
	s_cbranch_execz .LBB63_43
; %bb.40:
	v_mov_b64_e32 v[132:133], 0
	v_dual_add_nc_u32 v9, -1, v0 :: v_dual_mov_b32 v13, v2
	v_or_b32_e32 v11, 0x200, v2
	s_mov_b32 s1, 0
.LBB63_41:                              ; =>This Inner Loop Header: Depth=1
	scratch_load_b64 v[134:135], v13, off
	ds_load_b64 v[136:137], v11
	v_dual_add_nc_u32 v9, 1, v9 :: v_dual_add_nc_u32 v11, 8, v11
	s_wait_xcnt 0x0
	v_add_nc_u32_e32 v13, 8, v13
	s_delay_alu instid0(VALU_DEP_2)
	v_cmp_lt_u32_e32 vcc_lo, 6, v9
	s_or_b32 s1, vcc_lo, s1
	s_wait_loadcnt_dscnt 0x0
	v_fmac_f64_e32 v[132:133], v[134:135], v[136:137]
	s_and_not1_b32 exec_lo, exec_lo, s1
	s_cbranch_execnz .LBB63_41
; %bb.42:
	s_or_b32 exec_lo, exec_lo, s1
	v_mov_b32_e32 v9, 0
	ds_load_b64 v[134:135], v9 offset:64
	s_wait_dscnt 0x0
	v_mul_f64_e32 v[132:133], v[132:133], v[134:135]
	scratch_store_b64 off, v[132:133], off offset:64
.LBB63_43:
	s_wait_xcnt 0x0
	s_or_b32 exec_lo, exec_lo, s0
	s_wait_storecnt 0x0
	s_barrier_signal -1
	s_barrier_wait -1
	scratch_load_b64 v[132:133], off, off offset:72
	s_mov_b32 s0, exec_lo
	s_wait_loadcnt 0x0
	ds_store_b64 v1, v[132:133]
	s_wait_dscnt 0x0
	s_barrier_signal -1
	s_barrier_wait -1
	v_cmpx_gt_u32_e32 9, v0
	s_cbranch_execz .LBB63_47
; %bb.44:
	v_mov_b64_e32 v[132:133], 0
	v_dual_add_nc_u32 v9, -1, v0 :: v_dual_mov_b32 v13, v2
	v_or_b32_e32 v11, 0x200, v2
	s_mov_b32 s1, 0
.LBB63_45:                              ; =>This Inner Loop Header: Depth=1
	scratch_load_b64 v[134:135], v13, off
	ds_load_b64 v[136:137], v11
	v_dual_add_nc_u32 v9, 1, v9 :: v_dual_add_nc_u32 v11, 8, v11
	s_wait_xcnt 0x0
	v_add_nc_u32_e32 v13, 8, v13
	s_delay_alu instid0(VALU_DEP_2)
	v_cmp_lt_u32_e32 vcc_lo, 7, v9
	s_or_b32 s1, vcc_lo, s1
	s_wait_loadcnt_dscnt 0x0
	v_fmac_f64_e32 v[132:133], v[134:135], v[136:137]
	s_and_not1_b32 exec_lo, exec_lo, s1
	s_cbranch_execnz .LBB63_45
; %bb.46:
	s_or_b32 exec_lo, exec_lo, s1
	v_mov_b32_e32 v9, 0
	ds_load_b64 v[134:135], v9 offset:72
	s_wait_dscnt 0x0
	v_mul_f64_e32 v[132:133], v[132:133], v[134:135]
	scratch_store_b64 off, v[132:133], off offset:72
.LBB63_47:
	s_wait_xcnt 0x0
	s_or_b32 exec_lo, exec_lo, s0
	s_wait_storecnt 0x0
	s_barrier_signal -1
	s_barrier_wait -1
	scratch_load_b64 v[132:133], off, off offset:80
	s_mov_b32 s0, exec_lo
	s_wait_loadcnt 0x0
	ds_store_b64 v1, v[132:133]
	s_wait_dscnt 0x0
	s_barrier_signal -1
	s_barrier_wait -1
	v_cmpx_gt_u32_e32 10, v0
	s_cbranch_execz .LBB63_51
; %bb.48:
	v_mov_b64_e32 v[132:133], 0
	v_dual_add_nc_u32 v9, -1, v0 :: v_dual_mov_b32 v13, v2
	v_or_b32_e32 v11, 0x200, v2
	s_mov_b32 s1, 0
.LBB63_49:                              ; =>This Inner Loop Header: Depth=1
	scratch_load_b64 v[134:135], v13, off
	ds_load_b64 v[136:137], v11
	v_dual_add_nc_u32 v9, 1, v9 :: v_dual_add_nc_u32 v11, 8, v11
	s_wait_xcnt 0x0
	v_add_nc_u32_e32 v13, 8, v13
	s_delay_alu instid0(VALU_DEP_2)
	v_cmp_lt_u32_e32 vcc_lo, 8, v9
	s_or_b32 s1, vcc_lo, s1
	s_wait_loadcnt_dscnt 0x0
	v_fmac_f64_e32 v[132:133], v[134:135], v[136:137]
	s_and_not1_b32 exec_lo, exec_lo, s1
	s_cbranch_execnz .LBB63_49
; %bb.50:
	s_or_b32 exec_lo, exec_lo, s1
	v_mov_b32_e32 v9, 0
	ds_load_b64 v[134:135], v9 offset:80
	s_wait_dscnt 0x0
	v_mul_f64_e32 v[132:133], v[132:133], v[134:135]
	scratch_store_b64 off, v[132:133], off offset:80
.LBB63_51:
	s_wait_xcnt 0x0
	s_or_b32 exec_lo, exec_lo, s0
	s_wait_storecnt 0x0
	s_barrier_signal -1
	s_barrier_wait -1
	scratch_load_b64 v[132:133], off, off offset:88
	s_mov_b32 s0, exec_lo
	s_wait_loadcnt 0x0
	ds_store_b64 v1, v[132:133]
	s_wait_dscnt 0x0
	s_barrier_signal -1
	s_barrier_wait -1
	v_cmpx_gt_u32_e32 11, v0
	s_cbranch_execz .LBB63_55
; %bb.52:
	v_mov_b64_e32 v[132:133], 0
	v_dual_add_nc_u32 v9, -1, v0 :: v_dual_mov_b32 v13, v2
	v_or_b32_e32 v11, 0x200, v2
	s_mov_b32 s1, 0
.LBB63_53:                              ; =>This Inner Loop Header: Depth=1
	scratch_load_b64 v[134:135], v13, off
	ds_load_b64 v[136:137], v11
	v_dual_add_nc_u32 v9, 1, v9 :: v_dual_add_nc_u32 v11, 8, v11
	s_wait_xcnt 0x0
	v_add_nc_u32_e32 v13, 8, v13
	s_delay_alu instid0(VALU_DEP_2)
	v_cmp_lt_u32_e32 vcc_lo, 9, v9
	s_or_b32 s1, vcc_lo, s1
	s_wait_loadcnt_dscnt 0x0
	v_fmac_f64_e32 v[132:133], v[134:135], v[136:137]
	s_and_not1_b32 exec_lo, exec_lo, s1
	s_cbranch_execnz .LBB63_53
; %bb.54:
	s_or_b32 exec_lo, exec_lo, s1
	v_mov_b32_e32 v9, 0
	ds_load_b64 v[134:135], v9 offset:88
	s_wait_dscnt 0x0
	v_mul_f64_e32 v[132:133], v[132:133], v[134:135]
	scratch_store_b64 off, v[132:133], off offset:88
.LBB63_55:
	s_wait_xcnt 0x0
	s_or_b32 exec_lo, exec_lo, s0
	s_wait_storecnt 0x0
	s_barrier_signal -1
	s_barrier_wait -1
	scratch_load_b64 v[132:133], off, off offset:96
	s_mov_b32 s0, exec_lo
	s_wait_loadcnt 0x0
	ds_store_b64 v1, v[132:133]
	s_wait_dscnt 0x0
	s_barrier_signal -1
	s_barrier_wait -1
	v_cmpx_gt_u32_e32 12, v0
	s_cbranch_execz .LBB63_59
; %bb.56:
	v_mov_b64_e32 v[132:133], 0
	v_dual_add_nc_u32 v9, -1, v0 :: v_dual_mov_b32 v13, v2
	v_or_b32_e32 v11, 0x200, v2
	s_mov_b32 s1, 0
.LBB63_57:                              ; =>This Inner Loop Header: Depth=1
	scratch_load_b64 v[134:135], v13, off
	ds_load_b64 v[136:137], v11
	v_dual_add_nc_u32 v9, 1, v9 :: v_dual_add_nc_u32 v11, 8, v11
	s_wait_xcnt 0x0
	v_add_nc_u32_e32 v13, 8, v13
	s_delay_alu instid0(VALU_DEP_2)
	v_cmp_lt_u32_e32 vcc_lo, 10, v9
	s_or_b32 s1, vcc_lo, s1
	s_wait_loadcnt_dscnt 0x0
	v_fmac_f64_e32 v[132:133], v[134:135], v[136:137]
	s_and_not1_b32 exec_lo, exec_lo, s1
	s_cbranch_execnz .LBB63_57
; %bb.58:
	s_or_b32 exec_lo, exec_lo, s1
	v_mov_b32_e32 v9, 0
	ds_load_b64 v[134:135], v9 offset:96
	s_wait_dscnt 0x0
	v_mul_f64_e32 v[132:133], v[132:133], v[134:135]
	scratch_store_b64 off, v[132:133], off offset:96
.LBB63_59:
	s_wait_xcnt 0x0
	s_or_b32 exec_lo, exec_lo, s0
	s_wait_storecnt 0x0
	s_barrier_signal -1
	s_barrier_wait -1
	scratch_load_b64 v[132:133], off, off offset:104
	s_mov_b32 s0, exec_lo
	s_wait_loadcnt 0x0
	ds_store_b64 v1, v[132:133]
	s_wait_dscnt 0x0
	s_barrier_signal -1
	s_barrier_wait -1
	v_cmpx_gt_u32_e32 13, v0
	s_cbranch_execz .LBB63_63
; %bb.60:
	v_mov_b64_e32 v[132:133], 0
	v_dual_add_nc_u32 v9, -1, v0 :: v_dual_mov_b32 v13, v2
	v_or_b32_e32 v11, 0x200, v2
	s_mov_b32 s1, 0
.LBB63_61:                              ; =>This Inner Loop Header: Depth=1
	scratch_load_b64 v[134:135], v13, off
	ds_load_b64 v[136:137], v11
	v_dual_add_nc_u32 v9, 1, v9 :: v_dual_add_nc_u32 v11, 8, v11
	s_wait_xcnt 0x0
	v_add_nc_u32_e32 v13, 8, v13
	s_delay_alu instid0(VALU_DEP_2)
	v_cmp_lt_u32_e32 vcc_lo, 11, v9
	s_or_b32 s1, vcc_lo, s1
	s_wait_loadcnt_dscnt 0x0
	v_fmac_f64_e32 v[132:133], v[134:135], v[136:137]
	s_and_not1_b32 exec_lo, exec_lo, s1
	s_cbranch_execnz .LBB63_61
; %bb.62:
	s_or_b32 exec_lo, exec_lo, s1
	v_mov_b32_e32 v9, 0
	ds_load_b64 v[134:135], v9 offset:104
	s_wait_dscnt 0x0
	v_mul_f64_e32 v[132:133], v[132:133], v[134:135]
	scratch_store_b64 off, v[132:133], off offset:104
.LBB63_63:
	s_wait_xcnt 0x0
	s_or_b32 exec_lo, exec_lo, s0
	s_wait_storecnt 0x0
	s_barrier_signal -1
	s_barrier_wait -1
	scratch_load_b64 v[132:133], off, off offset:112
	s_mov_b32 s0, exec_lo
	s_wait_loadcnt 0x0
	ds_store_b64 v1, v[132:133]
	s_wait_dscnt 0x0
	s_barrier_signal -1
	s_barrier_wait -1
	v_cmpx_gt_u32_e32 14, v0
	s_cbranch_execz .LBB63_67
; %bb.64:
	v_mov_b64_e32 v[132:133], 0
	v_dual_add_nc_u32 v9, -1, v0 :: v_dual_mov_b32 v13, v2
	v_or_b32_e32 v11, 0x200, v2
	s_mov_b32 s1, 0
.LBB63_65:                              ; =>This Inner Loop Header: Depth=1
	scratch_load_b64 v[134:135], v13, off
	ds_load_b64 v[136:137], v11
	v_dual_add_nc_u32 v9, 1, v9 :: v_dual_add_nc_u32 v11, 8, v11
	s_wait_xcnt 0x0
	v_add_nc_u32_e32 v13, 8, v13
	s_delay_alu instid0(VALU_DEP_2)
	v_cmp_lt_u32_e32 vcc_lo, 12, v9
	s_or_b32 s1, vcc_lo, s1
	s_wait_loadcnt_dscnt 0x0
	v_fmac_f64_e32 v[132:133], v[134:135], v[136:137]
	s_and_not1_b32 exec_lo, exec_lo, s1
	s_cbranch_execnz .LBB63_65
; %bb.66:
	s_or_b32 exec_lo, exec_lo, s1
	v_mov_b32_e32 v9, 0
	ds_load_b64 v[134:135], v9 offset:112
	s_wait_dscnt 0x0
	v_mul_f64_e32 v[132:133], v[132:133], v[134:135]
	scratch_store_b64 off, v[132:133], off offset:112
.LBB63_67:
	s_wait_xcnt 0x0
	s_or_b32 exec_lo, exec_lo, s0
	s_wait_storecnt 0x0
	s_barrier_signal -1
	s_barrier_wait -1
	scratch_load_b64 v[132:133], off, off offset:120
	s_mov_b32 s0, exec_lo
	s_wait_loadcnt 0x0
	ds_store_b64 v1, v[132:133]
	s_wait_dscnt 0x0
	s_barrier_signal -1
	s_barrier_wait -1
	v_cmpx_gt_u32_e32 15, v0
	s_cbranch_execz .LBB63_71
; %bb.68:
	v_mov_b64_e32 v[132:133], 0
	v_dual_add_nc_u32 v9, -1, v0 :: v_dual_mov_b32 v13, v2
	v_or_b32_e32 v11, 0x200, v2
	s_mov_b32 s1, 0
.LBB63_69:                              ; =>This Inner Loop Header: Depth=1
	scratch_load_b64 v[134:135], v13, off
	ds_load_b64 v[136:137], v11
	v_dual_add_nc_u32 v9, 1, v9 :: v_dual_add_nc_u32 v11, 8, v11
	s_wait_xcnt 0x0
	v_add_nc_u32_e32 v13, 8, v13
	s_delay_alu instid0(VALU_DEP_2)
	v_cmp_lt_u32_e32 vcc_lo, 13, v9
	s_or_b32 s1, vcc_lo, s1
	s_wait_loadcnt_dscnt 0x0
	v_fmac_f64_e32 v[132:133], v[134:135], v[136:137]
	s_and_not1_b32 exec_lo, exec_lo, s1
	s_cbranch_execnz .LBB63_69
; %bb.70:
	s_or_b32 exec_lo, exec_lo, s1
	v_mov_b32_e32 v9, 0
	ds_load_b64 v[134:135], v9 offset:120
	s_wait_dscnt 0x0
	v_mul_f64_e32 v[132:133], v[132:133], v[134:135]
	scratch_store_b64 off, v[132:133], off offset:120
.LBB63_71:
	s_wait_xcnt 0x0
	s_or_b32 exec_lo, exec_lo, s0
	s_wait_storecnt 0x0
	s_barrier_signal -1
	s_barrier_wait -1
	scratch_load_b64 v[132:133], off, off offset:128
	s_mov_b32 s0, exec_lo
	s_wait_loadcnt 0x0
	ds_store_b64 v1, v[132:133]
	s_wait_dscnt 0x0
	s_barrier_signal -1
	s_barrier_wait -1
	v_cmpx_gt_u32_e32 16, v0
	s_cbranch_execz .LBB63_75
; %bb.72:
	v_mov_b64_e32 v[132:133], 0
	v_dual_add_nc_u32 v9, -1, v0 :: v_dual_mov_b32 v13, v2
	v_or_b32_e32 v11, 0x200, v2
	s_mov_b32 s1, 0
.LBB63_73:                              ; =>This Inner Loop Header: Depth=1
	scratch_load_b64 v[134:135], v13, off
	ds_load_b64 v[136:137], v11
	v_dual_add_nc_u32 v9, 1, v9 :: v_dual_add_nc_u32 v11, 8, v11
	s_wait_xcnt 0x0
	v_add_nc_u32_e32 v13, 8, v13
	s_delay_alu instid0(VALU_DEP_2)
	v_cmp_lt_u32_e32 vcc_lo, 14, v9
	s_or_b32 s1, vcc_lo, s1
	s_wait_loadcnt_dscnt 0x0
	v_fmac_f64_e32 v[132:133], v[134:135], v[136:137]
	s_and_not1_b32 exec_lo, exec_lo, s1
	s_cbranch_execnz .LBB63_73
; %bb.74:
	s_or_b32 exec_lo, exec_lo, s1
	v_mov_b32_e32 v9, 0
	ds_load_b64 v[134:135], v9 offset:128
	s_wait_dscnt 0x0
	v_mul_f64_e32 v[132:133], v[132:133], v[134:135]
	scratch_store_b64 off, v[132:133], off offset:128
.LBB63_75:
	s_wait_xcnt 0x0
	s_or_b32 exec_lo, exec_lo, s0
	s_wait_storecnt 0x0
	s_barrier_signal -1
	s_barrier_wait -1
	scratch_load_b64 v[132:133], off, off offset:136
	s_mov_b32 s0, exec_lo
	s_wait_loadcnt 0x0
	ds_store_b64 v1, v[132:133]
	s_wait_dscnt 0x0
	s_barrier_signal -1
	s_barrier_wait -1
	v_cmpx_gt_u32_e32 17, v0
	s_cbranch_execz .LBB63_79
; %bb.76:
	v_mov_b64_e32 v[132:133], 0
	v_dual_add_nc_u32 v9, -1, v0 :: v_dual_mov_b32 v13, v2
	v_or_b32_e32 v11, 0x200, v2
	s_mov_b32 s1, 0
.LBB63_77:                              ; =>This Inner Loop Header: Depth=1
	scratch_load_b64 v[134:135], v13, off
	ds_load_b64 v[136:137], v11
	v_dual_add_nc_u32 v9, 1, v9 :: v_dual_add_nc_u32 v11, 8, v11
	s_wait_xcnt 0x0
	v_add_nc_u32_e32 v13, 8, v13
	s_delay_alu instid0(VALU_DEP_2)
	v_cmp_lt_u32_e32 vcc_lo, 15, v9
	s_or_b32 s1, vcc_lo, s1
	s_wait_loadcnt_dscnt 0x0
	v_fmac_f64_e32 v[132:133], v[134:135], v[136:137]
	s_and_not1_b32 exec_lo, exec_lo, s1
	s_cbranch_execnz .LBB63_77
; %bb.78:
	s_or_b32 exec_lo, exec_lo, s1
	v_mov_b32_e32 v9, 0
	ds_load_b64 v[134:135], v9 offset:136
	s_wait_dscnt 0x0
	v_mul_f64_e32 v[132:133], v[132:133], v[134:135]
	scratch_store_b64 off, v[132:133], off offset:136
.LBB63_79:
	s_wait_xcnt 0x0
	s_or_b32 exec_lo, exec_lo, s0
	s_wait_storecnt 0x0
	s_barrier_signal -1
	s_barrier_wait -1
	scratch_load_b64 v[132:133], off, off offset:144
	s_mov_b32 s0, exec_lo
	s_wait_loadcnt 0x0
	ds_store_b64 v1, v[132:133]
	s_wait_dscnt 0x0
	s_barrier_signal -1
	s_barrier_wait -1
	v_cmpx_gt_u32_e32 18, v0
	s_cbranch_execz .LBB63_83
; %bb.80:
	v_mov_b64_e32 v[132:133], 0
	v_dual_add_nc_u32 v9, -1, v0 :: v_dual_mov_b32 v13, v2
	v_or_b32_e32 v11, 0x200, v2
	s_mov_b32 s1, 0
.LBB63_81:                              ; =>This Inner Loop Header: Depth=1
	scratch_load_b64 v[134:135], v13, off
	ds_load_b64 v[136:137], v11
	v_dual_add_nc_u32 v9, 1, v9 :: v_dual_add_nc_u32 v11, 8, v11
	s_wait_xcnt 0x0
	v_add_nc_u32_e32 v13, 8, v13
	s_delay_alu instid0(VALU_DEP_2)
	v_cmp_lt_u32_e32 vcc_lo, 16, v9
	s_or_b32 s1, vcc_lo, s1
	s_wait_loadcnt_dscnt 0x0
	v_fmac_f64_e32 v[132:133], v[134:135], v[136:137]
	s_and_not1_b32 exec_lo, exec_lo, s1
	s_cbranch_execnz .LBB63_81
; %bb.82:
	s_or_b32 exec_lo, exec_lo, s1
	v_mov_b32_e32 v9, 0
	ds_load_b64 v[134:135], v9 offset:144
	s_wait_dscnt 0x0
	v_mul_f64_e32 v[132:133], v[132:133], v[134:135]
	scratch_store_b64 off, v[132:133], off offset:144
.LBB63_83:
	s_wait_xcnt 0x0
	s_or_b32 exec_lo, exec_lo, s0
	s_wait_storecnt 0x0
	s_barrier_signal -1
	s_barrier_wait -1
	scratch_load_b64 v[132:133], off, off offset:152
	s_mov_b32 s0, exec_lo
	s_wait_loadcnt 0x0
	ds_store_b64 v1, v[132:133]
	s_wait_dscnt 0x0
	s_barrier_signal -1
	s_barrier_wait -1
	v_cmpx_gt_u32_e32 19, v0
	s_cbranch_execz .LBB63_87
; %bb.84:
	v_mov_b64_e32 v[132:133], 0
	v_dual_add_nc_u32 v9, -1, v0 :: v_dual_mov_b32 v13, v2
	v_or_b32_e32 v11, 0x200, v2
	s_mov_b32 s1, 0
.LBB63_85:                              ; =>This Inner Loop Header: Depth=1
	scratch_load_b64 v[134:135], v13, off
	ds_load_b64 v[136:137], v11
	v_dual_add_nc_u32 v9, 1, v9 :: v_dual_add_nc_u32 v11, 8, v11
	s_wait_xcnt 0x0
	v_add_nc_u32_e32 v13, 8, v13
	s_delay_alu instid0(VALU_DEP_2)
	v_cmp_lt_u32_e32 vcc_lo, 17, v9
	s_or_b32 s1, vcc_lo, s1
	s_wait_loadcnt_dscnt 0x0
	v_fmac_f64_e32 v[132:133], v[134:135], v[136:137]
	s_and_not1_b32 exec_lo, exec_lo, s1
	s_cbranch_execnz .LBB63_85
; %bb.86:
	s_or_b32 exec_lo, exec_lo, s1
	v_mov_b32_e32 v9, 0
	ds_load_b64 v[134:135], v9 offset:152
	s_wait_dscnt 0x0
	v_mul_f64_e32 v[132:133], v[132:133], v[134:135]
	scratch_store_b64 off, v[132:133], off offset:152
.LBB63_87:
	s_wait_xcnt 0x0
	s_or_b32 exec_lo, exec_lo, s0
	s_wait_storecnt 0x0
	s_barrier_signal -1
	s_barrier_wait -1
	scratch_load_b64 v[132:133], off, off offset:160
	s_mov_b32 s0, exec_lo
	s_wait_loadcnt 0x0
	ds_store_b64 v1, v[132:133]
	s_wait_dscnt 0x0
	s_barrier_signal -1
	s_barrier_wait -1
	v_cmpx_gt_u32_e32 20, v0
	s_cbranch_execz .LBB63_91
; %bb.88:
	v_mov_b64_e32 v[132:133], 0
	v_dual_add_nc_u32 v9, -1, v0 :: v_dual_mov_b32 v13, v2
	v_or_b32_e32 v11, 0x200, v2
	s_mov_b32 s1, 0
.LBB63_89:                              ; =>This Inner Loop Header: Depth=1
	scratch_load_b64 v[134:135], v13, off
	ds_load_b64 v[136:137], v11
	v_dual_add_nc_u32 v9, 1, v9 :: v_dual_add_nc_u32 v11, 8, v11
	s_wait_xcnt 0x0
	v_add_nc_u32_e32 v13, 8, v13
	s_delay_alu instid0(VALU_DEP_2)
	v_cmp_lt_u32_e32 vcc_lo, 18, v9
	s_or_b32 s1, vcc_lo, s1
	s_wait_loadcnt_dscnt 0x0
	v_fmac_f64_e32 v[132:133], v[134:135], v[136:137]
	s_and_not1_b32 exec_lo, exec_lo, s1
	s_cbranch_execnz .LBB63_89
; %bb.90:
	s_or_b32 exec_lo, exec_lo, s1
	v_mov_b32_e32 v9, 0
	ds_load_b64 v[134:135], v9 offset:160
	s_wait_dscnt 0x0
	v_mul_f64_e32 v[132:133], v[132:133], v[134:135]
	scratch_store_b64 off, v[132:133], off offset:160
.LBB63_91:
	s_wait_xcnt 0x0
	s_or_b32 exec_lo, exec_lo, s0
	s_wait_storecnt 0x0
	s_barrier_signal -1
	s_barrier_wait -1
	scratch_load_b64 v[132:133], off, off offset:168
	s_mov_b32 s0, exec_lo
	s_wait_loadcnt 0x0
	ds_store_b64 v1, v[132:133]
	s_wait_dscnt 0x0
	s_barrier_signal -1
	s_barrier_wait -1
	v_cmpx_gt_u32_e32 21, v0
	s_cbranch_execz .LBB63_95
; %bb.92:
	v_mov_b64_e32 v[132:133], 0
	v_dual_add_nc_u32 v9, -1, v0 :: v_dual_mov_b32 v13, v2
	v_or_b32_e32 v11, 0x200, v2
	s_mov_b32 s1, 0
.LBB63_93:                              ; =>This Inner Loop Header: Depth=1
	scratch_load_b64 v[134:135], v13, off
	ds_load_b64 v[136:137], v11
	v_dual_add_nc_u32 v9, 1, v9 :: v_dual_add_nc_u32 v11, 8, v11
	s_wait_xcnt 0x0
	v_add_nc_u32_e32 v13, 8, v13
	s_delay_alu instid0(VALU_DEP_2)
	v_cmp_lt_u32_e32 vcc_lo, 19, v9
	s_or_b32 s1, vcc_lo, s1
	s_wait_loadcnt_dscnt 0x0
	v_fmac_f64_e32 v[132:133], v[134:135], v[136:137]
	s_and_not1_b32 exec_lo, exec_lo, s1
	s_cbranch_execnz .LBB63_93
; %bb.94:
	s_or_b32 exec_lo, exec_lo, s1
	v_mov_b32_e32 v9, 0
	ds_load_b64 v[134:135], v9 offset:168
	s_wait_dscnt 0x0
	v_mul_f64_e32 v[132:133], v[132:133], v[134:135]
	scratch_store_b64 off, v[132:133], off offset:168
.LBB63_95:
	s_wait_xcnt 0x0
	s_or_b32 exec_lo, exec_lo, s0
	s_wait_storecnt 0x0
	s_barrier_signal -1
	s_barrier_wait -1
	scratch_load_b64 v[132:133], off, off offset:176
	s_mov_b32 s0, exec_lo
	s_wait_loadcnt 0x0
	ds_store_b64 v1, v[132:133]
	s_wait_dscnt 0x0
	s_barrier_signal -1
	s_barrier_wait -1
	v_cmpx_gt_u32_e32 22, v0
	s_cbranch_execz .LBB63_99
; %bb.96:
	v_mov_b64_e32 v[132:133], 0
	v_dual_add_nc_u32 v9, -1, v0 :: v_dual_mov_b32 v13, v2
	v_or_b32_e32 v11, 0x200, v2
	s_mov_b32 s1, 0
.LBB63_97:                              ; =>This Inner Loop Header: Depth=1
	scratch_load_b64 v[134:135], v13, off
	ds_load_b64 v[136:137], v11
	v_dual_add_nc_u32 v9, 1, v9 :: v_dual_add_nc_u32 v11, 8, v11
	s_wait_xcnt 0x0
	v_add_nc_u32_e32 v13, 8, v13
	s_delay_alu instid0(VALU_DEP_2)
	v_cmp_lt_u32_e32 vcc_lo, 20, v9
	s_or_b32 s1, vcc_lo, s1
	s_wait_loadcnt_dscnt 0x0
	v_fmac_f64_e32 v[132:133], v[134:135], v[136:137]
	s_and_not1_b32 exec_lo, exec_lo, s1
	s_cbranch_execnz .LBB63_97
; %bb.98:
	s_or_b32 exec_lo, exec_lo, s1
	v_mov_b32_e32 v9, 0
	ds_load_b64 v[134:135], v9 offset:176
	s_wait_dscnt 0x0
	v_mul_f64_e32 v[132:133], v[132:133], v[134:135]
	scratch_store_b64 off, v[132:133], off offset:176
.LBB63_99:
	s_wait_xcnt 0x0
	s_or_b32 exec_lo, exec_lo, s0
	s_wait_storecnt 0x0
	s_barrier_signal -1
	s_barrier_wait -1
	scratch_load_b64 v[132:133], off, off offset:184
	s_mov_b32 s0, exec_lo
	s_wait_loadcnt 0x0
	ds_store_b64 v1, v[132:133]
	s_wait_dscnt 0x0
	s_barrier_signal -1
	s_barrier_wait -1
	v_cmpx_gt_u32_e32 23, v0
	s_cbranch_execz .LBB63_103
; %bb.100:
	v_mov_b64_e32 v[132:133], 0
	v_dual_add_nc_u32 v9, -1, v0 :: v_dual_mov_b32 v13, v2
	v_or_b32_e32 v11, 0x200, v2
	s_mov_b32 s1, 0
.LBB63_101:                             ; =>This Inner Loop Header: Depth=1
	scratch_load_b64 v[134:135], v13, off
	ds_load_b64 v[136:137], v11
	v_dual_add_nc_u32 v9, 1, v9 :: v_dual_add_nc_u32 v11, 8, v11
	s_wait_xcnt 0x0
	v_add_nc_u32_e32 v13, 8, v13
	s_delay_alu instid0(VALU_DEP_2)
	v_cmp_lt_u32_e32 vcc_lo, 21, v9
	s_or_b32 s1, vcc_lo, s1
	s_wait_loadcnt_dscnt 0x0
	v_fmac_f64_e32 v[132:133], v[134:135], v[136:137]
	s_and_not1_b32 exec_lo, exec_lo, s1
	s_cbranch_execnz .LBB63_101
; %bb.102:
	s_or_b32 exec_lo, exec_lo, s1
	v_mov_b32_e32 v9, 0
	ds_load_b64 v[134:135], v9 offset:184
	s_wait_dscnt 0x0
	v_mul_f64_e32 v[132:133], v[132:133], v[134:135]
	scratch_store_b64 off, v[132:133], off offset:184
.LBB63_103:
	s_wait_xcnt 0x0
	s_or_b32 exec_lo, exec_lo, s0
	s_wait_storecnt 0x0
	s_barrier_signal -1
	s_barrier_wait -1
	scratch_load_b64 v[132:133], off, off offset:192
	s_mov_b32 s0, exec_lo
	s_wait_loadcnt 0x0
	ds_store_b64 v1, v[132:133]
	s_wait_dscnt 0x0
	s_barrier_signal -1
	s_barrier_wait -1
	v_cmpx_gt_u32_e32 24, v0
	s_cbranch_execz .LBB63_107
; %bb.104:
	v_mov_b64_e32 v[132:133], 0
	v_dual_add_nc_u32 v9, -1, v0 :: v_dual_mov_b32 v13, v2
	v_or_b32_e32 v11, 0x200, v2
	s_mov_b32 s1, 0
.LBB63_105:                             ; =>This Inner Loop Header: Depth=1
	scratch_load_b64 v[134:135], v13, off
	ds_load_b64 v[136:137], v11
	v_dual_add_nc_u32 v9, 1, v9 :: v_dual_add_nc_u32 v11, 8, v11
	s_wait_xcnt 0x0
	v_add_nc_u32_e32 v13, 8, v13
	s_delay_alu instid0(VALU_DEP_2)
	v_cmp_lt_u32_e32 vcc_lo, 22, v9
	s_or_b32 s1, vcc_lo, s1
	s_wait_loadcnt_dscnt 0x0
	v_fmac_f64_e32 v[132:133], v[134:135], v[136:137]
	s_and_not1_b32 exec_lo, exec_lo, s1
	s_cbranch_execnz .LBB63_105
; %bb.106:
	s_or_b32 exec_lo, exec_lo, s1
	v_mov_b32_e32 v9, 0
	ds_load_b64 v[134:135], v9 offset:192
	s_wait_dscnt 0x0
	v_mul_f64_e32 v[132:133], v[132:133], v[134:135]
	scratch_store_b64 off, v[132:133], off offset:192
.LBB63_107:
	s_wait_xcnt 0x0
	s_or_b32 exec_lo, exec_lo, s0
	s_wait_storecnt 0x0
	s_barrier_signal -1
	s_barrier_wait -1
	scratch_load_b64 v[132:133], off, off offset:200
	;; [unrolled: 40-line block ×40, first 2 shown]
	s_mov_b32 s0, exec_lo
	s_wait_loadcnt 0x0
	ds_store_b64 v1, v[132:133]
	s_wait_dscnt 0x0
	s_barrier_signal -1
	s_barrier_wait -1
	v_cmpx_ne_u32_e32 63, v0
	s_cbranch_execz .LBB63_263
; %bb.260:
	v_mov_b64_e32 v[132:133], 0
	s_mov_b32 s1, 0
.LBB63_261:                             ; =>This Inner Loop Header: Depth=1
	scratch_load_b64 v[134:135], v2, off
	ds_load_b64 v[136:137], v1
	v_dual_add_nc_u32 v3, 1, v3 :: v_dual_add_nc_u32 v1, 8, v1
	s_wait_xcnt 0x0
	v_add_nc_u32_e32 v2, 8, v2
	s_delay_alu instid0(VALU_DEP_2)
	v_cmp_lt_u32_e32 vcc_lo, 61, v3
	s_or_b32 s1, vcc_lo, s1
	s_wait_loadcnt_dscnt 0x0
	v_fmac_f64_e32 v[132:133], v[134:135], v[136:137]
	s_and_not1_b32 exec_lo, exec_lo, s1
	s_cbranch_execnz .LBB63_261
; %bb.262:
	s_or_b32 exec_lo, exec_lo, s1
	v_mov_b32_e32 v1, 0
	ds_load_b64 v[2:3], v1 offset:504
	s_wait_dscnt 0x0
	v_mul_f64_e32 v[2:3], v[132:133], v[2:3]
	scratch_store_b64 off, v[2:3], off offset:504
.LBB63_263:
	s_wait_xcnt 0x0
	s_or_b32 exec_lo, exec_lo, s0
	s_mov_b32 s1, -1
	s_wait_storecnt 0x0
	s_barrier_signal -1
	s_barrier_wait -1
.LBB63_264:
	s_and_b32 vcc_lo, exec_lo, s1
	s_cbranch_vccz .LBB63_266
; %bb.265:
	v_mov_b32_e32 v1, 0
	s_lshl_b64 s[0:1], s[16:17], 2
	s_delay_alu instid0(SALU_CYCLE_1)
	s_add_nc_u64 s[0:1], s[6:7], s[0:1]
	global_load_b32 v1, v1, s[0:1]
	s_wait_loadcnt 0x0
	v_cmp_ne_u32_e32 vcc_lo, 0, v1
	s_cbranch_vccz .LBB63_267
.LBB63_266:
	s_sendmsg sendmsg(MSG_DEALLOC_VGPRS)
	s_endpgm
.LBB63_267:
	s_wait_xcnt 0x0
	v_lshl_or_b32 v1, v0, 3, 0x200
	s_mov_b32 s0, exec_lo
	v_cmpx_eq_u32_e32 63, v0
	s_cbranch_execz .LBB63_269
; %bb.268:
	scratch_load_b64 v[2:3], off, off offset:496
	v_mov_b64_e32 v[132:133], 0
	scratch_store_b64 off, v[132:133], off offset:496
	s_wait_loadcnt 0x0
	ds_store_b64 v1, v[2:3]
.LBB63_269:
	s_wait_xcnt 0x0
	s_or_b32 exec_lo, exec_lo, s0
	s_wait_storecnt_dscnt 0x0
	s_barrier_signal -1
	s_barrier_wait -1
	scratch_load_b128 v[132:135], off, off offset:496
	v_mov_b32_e32 v2, 0
	s_mov_b32 s0, exec_lo
	ds_load_b64 v[136:137], v2 offset:1016
	s_wait_loadcnt_dscnt 0x0
	v_fma_f64 v[134:135], v[134:135], v[136:137], 0
	s_delay_alu instid0(VALU_DEP_1)
	v_add_f64_e64 v[132:133], v[132:133], -v[134:135]
	scratch_store_b64 off, v[132:133], off offset:496
	s_wait_xcnt 0x0
	v_cmpx_lt_u32_e32 61, v0
	s_cbranch_execz .LBB63_271
; %bb.270:
	scratch_load_b64 v[132:133], off, off offset:488
	v_mov_b64_e32 v[134:135], 0
	scratch_store_b64 off, v[134:135], off offset:488
	s_wait_loadcnt 0x0
	ds_store_b64 v1, v[132:133]
.LBB63_271:
	s_wait_xcnt 0x0
	s_or_b32 exec_lo, exec_lo, s0
	s_wait_storecnt_dscnt 0x0
	s_barrier_signal -1
	s_barrier_wait -1
	s_clause 0x1
	scratch_load_b128 v[132:135], off, off offset:488
	scratch_load_b64 v[140:141], off, off offset:504
	ds_load_b128 v[136:139], v2 offset:1008
	s_mov_b32 s0, exec_lo
	s_wait_loadcnt_dscnt 0x100
	v_fma_f64 v[2:3], v[134:135], v[136:137], 0
	s_wait_loadcnt 0x0
	s_delay_alu instid0(VALU_DEP_1) | instskip(NEXT) | instid1(VALU_DEP_1)
	v_fmac_f64_e32 v[2:3], v[140:141], v[138:139]
	v_add_f64_e64 v[2:3], v[132:133], -v[2:3]
	scratch_store_b64 off, v[2:3], off offset:488
	s_wait_xcnt 0x0
	v_cmpx_lt_u32_e32 60, v0
	s_cbranch_execz .LBB63_273
; %bb.272:
	scratch_load_b64 v[2:3], off, off offset:480
	v_mov_b64_e32 v[132:133], 0
	scratch_store_b64 off, v[132:133], off offset:480
	s_wait_loadcnt 0x0
	ds_store_b64 v1, v[2:3]
.LBB63_273:
	s_wait_xcnt 0x0
	s_or_b32 exec_lo, exec_lo, s0
	s_wait_storecnt_dscnt 0x0
	s_barrier_signal -1
	s_barrier_wait -1
	s_clause 0x1
	scratch_load_b128 v[132:135], off, off offset:480
	scratch_load_b128 v[136:139], off, off offset:496
	v_mov_b32_e32 v2, 0
	ds_load_2addr_b64 v[140:143], v2 offset0:125 offset1:126
	ds_load_b64 v[144:145], v2 offset:1016
	s_mov_b32 s0, exec_lo
	s_wait_loadcnt_dscnt 0x101
	v_fma_f64 v[134:135], v[134:135], v[140:141], 0
	s_wait_loadcnt 0x0
	s_delay_alu instid0(VALU_DEP_1) | instskip(SKIP_1) | instid1(VALU_DEP_1)
	v_fmac_f64_e32 v[134:135], v[136:137], v[142:143]
	s_wait_dscnt 0x0
	v_fmac_f64_e32 v[134:135], v[138:139], v[144:145]
	s_delay_alu instid0(VALU_DEP_1)
	v_add_f64_e64 v[132:133], v[132:133], -v[134:135]
	scratch_store_b64 off, v[132:133], off offset:480
	s_wait_xcnt 0x0
	v_cmpx_lt_u32_e32 59, v0
	s_cbranch_execz .LBB63_275
; %bb.274:
	scratch_load_b64 v[132:133], off, off offset:472
	v_mov_b64_e32 v[134:135], 0
	scratch_store_b64 off, v[134:135], off offset:472
	s_wait_loadcnt 0x0
	ds_store_b64 v1, v[132:133]
.LBB63_275:
	s_wait_xcnt 0x0
	s_or_b32 exec_lo, exec_lo, s0
	s_wait_storecnt_dscnt 0x0
	s_barrier_signal -1
	s_barrier_wait -1
	s_clause 0x2
	scratch_load_b128 v[132:135], off, off offset:472
	scratch_load_b128 v[136:139], off, off offset:488
	scratch_load_b64 v[148:149], off, off offset:504
	ds_load_b128 v[140:143], v2 offset:992
	ds_load_b128 v[144:147], v2 offset:1008
	s_mov_b32 s0, exec_lo
	s_wait_loadcnt_dscnt 0x201
	v_fma_f64 v[2:3], v[134:135], v[140:141], 0
	s_wait_loadcnt 0x1
	s_delay_alu instid0(VALU_DEP_1) | instskip(SKIP_1) | instid1(VALU_DEP_1)
	v_fmac_f64_e32 v[2:3], v[136:137], v[142:143]
	s_wait_dscnt 0x0
	v_fmac_f64_e32 v[2:3], v[138:139], v[144:145]
	s_wait_loadcnt 0x0
	s_delay_alu instid0(VALU_DEP_1) | instskip(NEXT) | instid1(VALU_DEP_1)
	v_fmac_f64_e32 v[2:3], v[148:149], v[146:147]
	v_add_f64_e64 v[2:3], v[132:133], -v[2:3]
	scratch_store_b64 off, v[2:3], off offset:472
	s_wait_xcnt 0x0
	v_cmpx_lt_u32_e32 58, v0
	s_cbranch_execz .LBB63_277
; %bb.276:
	scratch_load_b64 v[2:3], off, off offset:464
	v_mov_b64_e32 v[132:133], 0
	scratch_store_b64 off, v[132:133], off offset:464
	s_wait_loadcnt 0x0
	ds_store_b64 v1, v[2:3]
.LBB63_277:
	s_wait_xcnt 0x0
	s_or_b32 exec_lo, exec_lo, s0
	s_wait_storecnt_dscnt 0x0
	s_barrier_signal -1
	s_barrier_wait -1
	s_clause 0x2
	scratch_load_b128 v[132:135], off, off offset:464
	scratch_load_b128 v[136:139], off, off offset:480
	scratch_load_b128 v[140:143], off, off offset:496
	v_mov_b32_e32 v2, 0
	ds_load_2addr_b64 v[144:147], v2 offset0:123 offset1:124
	ds_load_2addr_b64 v[148:151], v2 offset0:125 offset1:126
	s_mov_b32 s0, exec_lo
	s_wait_loadcnt_dscnt 0x201
	v_fma_f64 v[134:135], v[134:135], v[144:145], 0
	s_wait_loadcnt 0x1
	s_delay_alu instid0(VALU_DEP_1) | instskip(SKIP_4) | instid1(VALU_DEP_1)
	v_fmac_f64_e32 v[134:135], v[136:137], v[146:147]
	ds_load_b64 v[136:137], v2 offset:1016
	s_wait_dscnt 0x1
	v_fmac_f64_e32 v[134:135], v[138:139], v[148:149]
	s_wait_loadcnt 0x0
	v_fmac_f64_e32 v[134:135], v[140:141], v[150:151]
	s_wait_dscnt 0x0
	s_delay_alu instid0(VALU_DEP_1) | instskip(NEXT) | instid1(VALU_DEP_1)
	v_fmac_f64_e32 v[134:135], v[142:143], v[136:137]
	v_add_f64_e64 v[132:133], v[132:133], -v[134:135]
	scratch_store_b64 off, v[132:133], off offset:464
	s_wait_xcnt 0x0
	v_cmpx_lt_u32_e32 57, v0
	s_cbranch_execz .LBB63_279
; %bb.278:
	scratch_load_b64 v[132:133], off, off offset:456
	v_mov_b64_e32 v[134:135], 0
	scratch_store_b64 off, v[134:135], off offset:456
	s_wait_loadcnt 0x0
	ds_store_b64 v1, v[132:133]
.LBB63_279:
	s_wait_xcnt 0x0
	s_or_b32 exec_lo, exec_lo, s0
	s_wait_storecnt_dscnt 0x0
	s_barrier_signal -1
	s_barrier_wait -1
	s_clause 0x3
	scratch_load_b128 v[132:135], off, off offset:456
	scratch_load_b128 v[136:139], off, off offset:472
	;; [unrolled: 1-line block ×3, first 2 shown]
	scratch_load_b64 v[152:153], off, off offset:504
	ds_load_b128 v[144:147], v2 offset:976
	ds_load_b128 v[148:151], v2 offset:992
	s_mov_b32 s0, exec_lo
	s_wait_loadcnt_dscnt 0x301
	v_fma_f64 v[144:145], v[134:135], v[144:145], 0
	s_wait_loadcnt 0x2
	s_delay_alu instid0(VALU_DEP_1) | instskip(SKIP_4) | instid1(VALU_DEP_1)
	v_fmac_f64_e32 v[144:145], v[136:137], v[146:147]
	ds_load_b128 v[134:137], v2 offset:1008
	s_wait_dscnt 0x1
	v_fmac_f64_e32 v[144:145], v[138:139], v[148:149]
	s_wait_loadcnt 0x1
	v_fmac_f64_e32 v[144:145], v[140:141], v[150:151]
	s_wait_dscnt 0x0
	s_delay_alu instid0(VALU_DEP_1) | instskip(SKIP_1) | instid1(VALU_DEP_1)
	v_fmac_f64_e32 v[144:145], v[142:143], v[134:135]
	s_wait_loadcnt 0x0
	v_fmac_f64_e32 v[144:145], v[152:153], v[136:137]
	s_delay_alu instid0(VALU_DEP_1)
	v_add_f64_e64 v[2:3], v[132:133], -v[144:145]
	scratch_store_b64 off, v[2:3], off offset:456
	s_wait_xcnt 0x0
	v_cmpx_lt_u32_e32 56, v0
	s_cbranch_execz .LBB63_281
; %bb.280:
	scratch_load_b64 v[2:3], off, off offset:448
	v_mov_b64_e32 v[132:133], 0
	scratch_store_b64 off, v[132:133], off offset:448
	s_wait_loadcnt 0x0
	ds_store_b64 v1, v[2:3]
.LBB63_281:
	s_wait_xcnt 0x0
	s_or_b32 exec_lo, exec_lo, s0
	s_wait_storecnt_dscnt 0x0
	s_barrier_signal -1
	s_barrier_wait -1
	s_clause 0x3
	scratch_load_b128 v[132:135], off, off offset:448
	scratch_load_b128 v[136:139], off, off offset:464
	;; [unrolled: 1-line block ×4, first 2 shown]
	v_mov_b32_e32 v2, 0
	ds_load_2addr_b64 v[148:151], v2 offset0:121 offset1:122
	ds_load_2addr_b64 v[152:155], v2 offset0:123 offset1:124
	s_mov_b32 s0, exec_lo
	s_wait_loadcnt_dscnt 0x301
	v_fma_f64 v[148:149], v[134:135], v[148:149], 0
	s_wait_loadcnt 0x2
	s_delay_alu instid0(VALU_DEP_1) | instskip(SKIP_1) | instid1(VALU_DEP_1)
	v_fmac_f64_e32 v[148:149], v[136:137], v[150:151]
	s_wait_dscnt 0x0
	v_fmac_f64_e32 v[148:149], v[138:139], v[152:153]
	ds_load_2addr_b64 v[134:137], v2 offset0:125 offset1:126
	ds_load_b64 v[138:139], v2 offset:1016
	s_wait_loadcnt 0x1
	v_fmac_f64_e32 v[148:149], v[140:141], v[154:155]
	s_wait_dscnt 0x1
	s_delay_alu instid0(VALU_DEP_1) | instskip(SKIP_1) | instid1(VALU_DEP_1)
	v_fmac_f64_e32 v[148:149], v[142:143], v[134:135]
	s_wait_loadcnt 0x0
	v_fmac_f64_e32 v[148:149], v[144:145], v[136:137]
	s_wait_dscnt 0x0
	s_delay_alu instid0(VALU_DEP_1) | instskip(NEXT) | instid1(VALU_DEP_1)
	v_fmac_f64_e32 v[148:149], v[146:147], v[138:139]
	v_add_f64_e64 v[132:133], v[132:133], -v[148:149]
	scratch_store_b64 off, v[132:133], off offset:448
	s_wait_xcnt 0x0
	v_cmpx_lt_u32_e32 55, v0
	s_cbranch_execz .LBB63_283
; %bb.282:
	scratch_load_b64 v[132:133], off, off offset:440
	v_mov_b64_e32 v[134:135], 0
	scratch_store_b64 off, v[134:135], off offset:440
	s_wait_loadcnt 0x0
	ds_store_b64 v1, v[132:133]
.LBB63_283:
	s_wait_xcnt 0x0
	s_or_b32 exec_lo, exec_lo, s0
	s_wait_storecnt_dscnt 0x0
	s_barrier_signal -1
	s_barrier_wait -1
	s_clause 0x4
	scratch_load_b128 v[132:135], off, off offset:440
	scratch_load_b128 v[136:139], off, off offset:456
	scratch_load_b128 v[140:143], off, off offset:472
	scratch_load_b128 v[144:147], off, off offset:488
	scratch_load_b64 v[156:157], off, off offset:504
	ds_load_b128 v[148:151], v2 offset:960
	ds_load_b128 v[152:155], v2 offset:976
	s_mov_b32 s0, exec_lo
	s_wait_loadcnt_dscnt 0x401
	v_fma_f64 v[148:149], v[134:135], v[148:149], 0
	s_wait_loadcnt 0x3
	s_delay_alu instid0(VALU_DEP_1) | instskip(SKIP_1) | instid1(VALU_DEP_1)
	v_fmac_f64_e32 v[148:149], v[136:137], v[150:151]
	s_wait_dscnt 0x0
	v_fmac_f64_e32 v[148:149], v[138:139], v[152:153]
	s_wait_loadcnt 0x2
	s_delay_alu instid0(VALU_DEP_1)
	v_fmac_f64_e32 v[148:149], v[140:141], v[154:155]
	ds_load_b128 v[134:137], v2 offset:992
	ds_load_b128 v[138:141], v2 offset:1008
	s_wait_dscnt 0x1
	v_fmac_f64_e32 v[148:149], v[142:143], v[134:135]
	s_wait_loadcnt 0x1
	s_delay_alu instid0(VALU_DEP_1) | instskip(SKIP_1) | instid1(VALU_DEP_1)
	v_fmac_f64_e32 v[148:149], v[144:145], v[136:137]
	s_wait_dscnt 0x0
	v_fmac_f64_e32 v[148:149], v[146:147], v[138:139]
	s_wait_loadcnt 0x0
	s_delay_alu instid0(VALU_DEP_1) | instskip(NEXT) | instid1(VALU_DEP_1)
	v_fmac_f64_e32 v[148:149], v[156:157], v[140:141]
	v_add_f64_e64 v[2:3], v[132:133], -v[148:149]
	scratch_store_b64 off, v[2:3], off offset:440
	s_wait_xcnt 0x0
	v_cmpx_lt_u32_e32 54, v0
	s_cbranch_execz .LBB63_285
; %bb.284:
	scratch_load_b64 v[2:3], off, off offset:432
	v_mov_b64_e32 v[132:133], 0
	scratch_store_b64 off, v[132:133], off offset:432
	s_wait_loadcnt 0x0
	ds_store_b64 v1, v[2:3]
.LBB63_285:
	s_wait_xcnt 0x0
	s_or_b32 exec_lo, exec_lo, s0
	s_wait_storecnt_dscnt 0x0
	s_barrier_signal -1
	s_barrier_wait -1
	s_clause 0x4
	scratch_load_b128 v[132:135], off, off offset:432
	scratch_load_b128 v[136:139], off, off offset:448
	;; [unrolled: 1-line block ×5, first 2 shown]
	v_mov_b32_e32 v2, 0
	ds_load_2addr_b64 v[152:155], v2 offset0:119 offset1:120
	ds_load_2addr_b64 v[156:159], v2 offset0:121 offset1:122
	s_mov_b32 s0, exec_lo
	s_wait_loadcnt_dscnt 0x401
	v_fma_f64 v[152:153], v[134:135], v[152:153], 0
	s_wait_loadcnt 0x3
	s_delay_alu instid0(VALU_DEP_1) | instskip(SKIP_1) | instid1(VALU_DEP_1)
	v_fmac_f64_e32 v[152:153], v[136:137], v[154:155]
	s_wait_dscnt 0x0
	v_fmac_f64_e32 v[152:153], v[138:139], v[156:157]
	s_wait_loadcnt 0x2
	s_delay_alu instid0(VALU_DEP_1)
	v_fmac_f64_e32 v[152:153], v[140:141], v[158:159]
	ds_load_2addr_b64 v[134:137], v2 offset0:123 offset1:124
	ds_load_2addr_b64 v[138:141], v2 offset0:125 offset1:126
	s_wait_dscnt 0x1
	v_fmac_f64_e32 v[152:153], v[142:143], v[134:135]
	ds_load_b64 v[134:135], v2 offset:1016
	s_wait_loadcnt 0x1
	v_fmac_f64_e32 v[152:153], v[144:145], v[136:137]
	s_wait_dscnt 0x1
	s_delay_alu instid0(VALU_DEP_1) | instskip(SKIP_1) | instid1(VALU_DEP_1)
	v_fmac_f64_e32 v[152:153], v[146:147], v[138:139]
	s_wait_loadcnt 0x0
	v_fmac_f64_e32 v[152:153], v[148:149], v[140:141]
	s_wait_dscnt 0x0
	s_delay_alu instid0(VALU_DEP_1) | instskip(NEXT) | instid1(VALU_DEP_1)
	v_fmac_f64_e32 v[152:153], v[150:151], v[134:135]
	v_add_f64_e64 v[132:133], v[132:133], -v[152:153]
	scratch_store_b64 off, v[132:133], off offset:432
	s_wait_xcnt 0x0
	v_cmpx_lt_u32_e32 53, v0
	s_cbranch_execz .LBB63_287
; %bb.286:
	scratch_load_b64 v[132:133], off, off offset:424
	v_mov_b64_e32 v[134:135], 0
	scratch_store_b64 off, v[134:135], off offset:424
	s_wait_loadcnt 0x0
	ds_store_b64 v1, v[132:133]
.LBB63_287:
	s_wait_xcnt 0x0
	s_or_b32 exec_lo, exec_lo, s0
	s_wait_storecnt_dscnt 0x0
	s_barrier_signal -1
	s_barrier_wait -1
	s_clause 0x5
	scratch_load_b128 v[132:135], off, off offset:424
	scratch_load_b128 v[136:139], off, off offset:440
	;; [unrolled: 1-line block ×5, first 2 shown]
	scratch_load_b64 v[160:161], off, off offset:504
	ds_load_b128 v[152:155], v2 offset:944
	ds_load_b128 v[156:159], v2 offset:960
	s_mov_b32 s0, exec_lo
	s_wait_loadcnt_dscnt 0x501
	v_fma_f64 v[152:153], v[134:135], v[152:153], 0
	s_wait_loadcnt 0x4
	s_delay_alu instid0(VALU_DEP_1) | instskip(SKIP_1) | instid1(VALU_DEP_1)
	v_fmac_f64_e32 v[152:153], v[136:137], v[154:155]
	s_wait_dscnt 0x0
	v_fmac_f64_e32 v[152:153], v[138:139], v[156:157]
	s_wait_loadcnt 0x3
	s_delay_alu instid0(VALU_DEP_1)
	v_fmac_f64_e32 v[152:153], v[140:141], v[158:159]
	ds_load_b128 v[134:137], v2 offset:976
	ds_load_b128 v[138:141], v2 offset:992
	s_wait_dscnt 0x1
	v_fmac_f64_e32 v[152:153], v[142:143], v[134:135]
	s_wait_loadcnt 0x2
	s_delay_alu instid0(VALU_DEP_1) | instskip(SKIP_4) | instid1(VALU_DEP_1)
	v_fmac_f64_e32 v[152:153], v[144:145], v[136:137]
	ds_load_b128 v[134:137], v2 offset:1008
	s_wait_dscnt 0x1
	v_fmac_f64_e32 v[152:153], v[146:147], v[138:139]
	s_wait_loadcnt 0x1
	v_fmac_f64_e32 v[152:153], v[148:149], v[140:141]
	s_wait_dscnt 0x0
	s_delay_alu instid0(VALU_DEP_1) | instskip(SKIP_1) | instid1(VALU_DEP_1)
	v_fmac_f64_e32 v[152:153], v[150:151], v[134:135]
	s_wait_loadcnt 0x0
	v_fmac_f64_e32 v[152:153], v[160:161], v[136:137]
	s_delay_alu instid0(VALU_DEP_1)
	v_add_f64_e64 v[2:3], v[132:133], -v[152:153]
	scratch_store_b64 off, v[2:3], off offset:424
	s_wait_xcnt 0x0
	v_cmpx_lt_u32_e32 52, v0
	s_cbranch_execz .LBB63_289
; %bb.288:
	scratch_load_b64 v[2:3], off, off offset:416
	v_mov_b64_e32 v[132:133], 0
	scratch_store_b64 off, v[132:133], off offset:416
	s_wait_loadcnt 0x0
	ds_store_b64 v1, v[2:3]
.LBB63_289:
	s_wait_xcnt 0x0
	s_or_b32 exec_lo, exec_lo, s0
	s_wait_storecnt_dscnt 0x0
	s_barrier_signal -1
	s_barrier_wait -1
	s_clause 0x5
	scratch_load_b128 v[132:135], off, off offset:416
	scratch_load_b128 v[136:139], off, off offset:432
	;; [unrolled: 1-line block ×6, first 2 shown]
	v_mov_b32_e32 v2, 0
	ds_load_2addr_b64 v[156:159], v2 offset0:117 offset1:118
	ds_load_2addr_b64 v[160:163], v2 offset0:119 offset1:120
	s_mov_b32 s0, exec_lo
	s_wait_loadcnt_dscnt 0x501
	v_fma_f64 v[156:157], v[134:135], v[156:157], 0
	s_wait_loadcnt 0x4
	s_delay_alu instid0(VALU_DEP_1) | instskip(SKIP_1) | instid1(VALU_DEP_1)
	v_fmac_f64_e32 v[156:157], v[136:137], v[158:159]
	s_wait_dscnt 0x0
	v_fmac_f64_e32 v[156:157], v[138:139], v[160:161]
	s_wait_loadcnt 0x3
	s_delay_alu instid0(VALU_DEP_1)
	v_fmac_f64_e32 v[156:157], v[140:141], v[162:163]
	ds_load_2addr_b64 v[134:137], v2 offset0:121 offset1:122
	ds_load_2addr_b64 v[138:141], v2 offset0:123 offset1:124
	s_wait_dscnt 0x1
	v_fmac_f64_e32 v[156:157], v[142:143], v[134:135]
	s_wait_loadcnt 0x2
	s_delay_alu instid0(VALU_DEP_1) | instskip(SKIP_1) | instid1(VALU_DEP_1)
	v_fmac_f64_e32 v[156:157], v[144:145], v[136:137]
	s_wait_dscnt 0x0
	v_fmac_f64_e32 v[156:157], v[146:147], v[138:139]
	ds_load_2addr_b64 v[134:137], v2 offset0:125 offset1:126
	ds_load_b64 v[138:139], v2 offset:1016
	s_wait_loadcnt 0x1
	v_fmac_f64_e32 v[156:157], v[148:149], v[140:141]
	s_wait_dscnt 0x1
	s_delay_alu instid0(VALU_DEP_1) | instskip(SKIP_1) | instid1(VALU_DEP_1)
	v_fmac_f64_e32 v[156:157], v[150:151], v[134:135]
	s_wait_loadcnt 0x0
	v_fmac_f64_e32 v[156:157], v[152:153], v[136:137]
	s_wait_dscnt 0x0
	s_delay_alu instid0(VALU_DEP_1) | instskip(NEXT) | instid1(VALU_DEP_1)
	v_fmac_f64_e32 v[156:157], v[154:155], v[138:139]
	v_add_f64_e64 v[132:133], v[132:133], -v[156:157]
	scratch_store_b64 off, v[132:133], off offset:416
	s_wait_xcnt 0x0
	v_cmpx_lt_u32_e32 51, v0
	s_cbranch_execz .LBB63_291
; %bb.290:
	scratch_load_b64 v[132:133], off, off offset:408
	v_mov_b64_e32 v[134:135], 0
	scratch_store_b64 off, v[134:135], off offset:408
	s_wait_loadcnt 0x0
	ds_store_b64 v1, v[132:133]
.LBB63_291:
	s_wait_xcnt 0x0
	s_or_b32 exec_lo, exec_lo, s0
	s_wait_storecnt_dscnt 0x0
	s_barrier_signal -1
	s_barrier_wait -1
	s_clause 0x5
	scratch_load_b128 v[132:135], off, off offset:408
	scratch_load_b128 v[136:139], off, off offset:424
	;; [unrolled: 1-line block ×6, first 2 shown]
	ds_load_b128 v[156:159], v2 offset:928
	ds_load_b128 v[160:163], v2 offset:944
	s_mov_b32 s0, exec_lo
	s_wait_loadcnt_dscnt 0x501
	v_fma_f64 v[156:157], v[134:135], v[156:157], 0
	s_wait_loadcnt 0x4
	s_delay_alu instid0(VALU_DEP_1) | instskip(SKIP_4) | instid1(VALU_DEP_1)
	v_fmac_f64_e32 v[156:157], v[136:137], v[158:159]
	scratch_load_b64 v[158:159], off, off offset:504
	s_wait_dscnt 0x0
	v_fmac_f64_e32 v[156:157], v[138:139], v[160:161]
	s_wait_loadcnt 0x4
	v_fmac_f64_e32 v[156:157], v[140:141], v[162:163]
	ds_load_b128 v[134:137], v2 offset:960
	ds_load_b128 v[138:141], v2 offset:976
	s_wait_dscnt 0x1
	v_fmac_f64_e32 v[156:157], v[142:143], v[134:135]
	s_wait_loadcnt 0x3
	s_delay_alu instid0(VALU_DEP_1) | instskip(SKIP_1) | instid1(VALU_DEP_1)
	v_fmac_f64_e32 v[156:157], v[144:145], v[136:137]
	s_wait_dscnt 0x0
	v_fmac_f64_e32 v[156:157], v[146:147], v[138:139]
	s_wait_loadcnt 0x2
	s_delay_alu instid0(VALU_DEP_1)
	v_fmac_f64_e32 v[156:157], v[148:149], v[140:141]
	ds_load_b128 v[134:137], v2 offset:992
	ds_load_b128 v[138:141], v2 offset:1008
	s_wait_dscnt 0x1
	v_fmac_f64_e32 v[156:157], v[150:151], v[134:135]
	s_wait_loadcnt 0x1
	s_delay_alu instid0(VALU_DEP_1) | instskip(SKIP_1) | instid1(VALU_DEP_1)
	v_fmac_f64_e32 v[156:157], v[152:153], v[136:137]
	s_wait_dscnt 0x0
	v_fmac_f64_e32 v[156:157], v[154:155], v[138:139]
	s_wait_loadcnt 0x0
	s_delay_alu instid0(VALU_DEP_1) | instskip(NEXT) | instid1(VALU_DEP_1)
	v_fmac_f64_e32 v[156:157], v[158:159], v[140:141]
	v_add_f64_e64 v[2:3], v[132:133], -v[156:157]
	scratch_store_b64 off, v[2:3], off offset:408
	s_wait_xcnt 0x0
	v_cmpx_lt_u32_e32 50, v0
	s_cbranch_execz .LBB63_293
; %bb.292:
	scratch_load_b64 v[2:3], off, off offset:400
	v_mov_b64_e32 v[132:133], 0
	scratch_store_b64 off, v[132:133], off offset:400
	s_wait_loadcnt 0x0
	ds_store_b64 v1, v[2:3]
.LBB63_293:
	s_wait_xcnt 0x0
	s_or_b32 exec_lo, exec_lo, s0
	s_wait_storecnt_dscnt 0x0
	s_barrier_signal -1
	s_barrier_wait -1
	s_clause 0x5
	scratch_load_b128 v[132:135], off, off offset:400
	scratch_load_b128 v[136:139], off, off offset:416
	;; [unrolled: 1-line block ×6, first 2 shown]
	v_mov_b32_e32 v2, 0
	ds_load_2addr_b64 v[156:159], v2 offset0:115 offset1:116
	ds_load_2addr_b64 v[160:163], v2 offset0:117 offset1:118
	s_mov_b32 s0, exec_lo
	s_wait_loadcnt_dscnt 0x501
	v_fma_f64 v[164:165], v[134:135], v[156:157], 0
	s_wait_loadcnt 0x4
	s_delay_alu instid0(VALU_DEP_1) | instskip(SKIP_4) | instid1(VALU_DEP_1)
	v_fmac_f64_e32 v[164:165], v[136:137], v[158:159]
	scratch_load_b128 v[134:137], off, off offset:496
	s_wait_dscnt 0x0
	v_fmac_f64_e32 v[164:165], v[138:139], v[160:161]
	s_wait_loadcnt 0x4
	v_fmac_f64_e32 v[164:165], v[140:141], v[162:163]
	ds_load_2addr_b64 v[138:141], v2 offset0:119 offset1:120
	ds_load_2addr_b64 v[156:159], v2 offset0:121 offset1:122
	s_wait_dscnt 0x1
	v_fmac_f64_e32 v[164:165], v[142:143], v[138:139]
	s_wait_loadcnt 0x3
	s_delay_alu instid0(VALU_DEP_1)
	v_fmac_f64_e32 v[164:165], v[144:145], v[140:141]
	ds_load_2addr_b64 v[138:141], v2 offset0:123 offset1:124
	ds_load_2addr_b64 v[142:145], v2 offset0:125 offset1:126
	s_wait_dscnt 0x2
	v_fmac_f64_e32 v[164:165], v[146:147], v[156:157]
	s_wait_loadcnt 0x2
	s_delay_alu instid0(VALU_DEP_1) | instskip(SKIP_1) | instid1(VALU_DEP_1)
	v_fmac_f64_e32 v[164:165], v[148:149], v[158:159]
	s_wait_dscnt 0x1
	v_fmac_f64_e32 v[164:165], v[150:151], v[138:139]
	s_wait_loadcnt 0x1
	s_delay_alu instid0(VALU_DEP_1) | instskip(SKIP_1) | instid1(VALU_DEP_1)
	v_fmac_f64_e32 v[164:165], v[152:153], v[140:141]
	s_wait_dscnt 0x0
	v_fmac_f64_e32 v[164:165], v[154:155], v[142:143]
	s_wait_loadcnt 0x0
	s_delay_alu instid0(VALU_DEP_1) | instskip(SKIP_3) | instid1(VALU_DEP_1)
	v_fmac_f64_e32 v[164:165], v[134:135], v[144:145]
	ds_load_b64 v[134:135], v2 offset:1016
	s_wait_dscnt 0x0
	v_fmac_f64_e32 v[164:165], v[136:137], v[134:135]
	v_add_f64_e64 v[132:133], v[132:133], -v[164:165]
	scratch_store_b64 off, v[132:133], off offset:400
	s_wait_xcnt 0x0
	v_cmpx_lt_u32_e32 49, v0
	s_cbranch_execz .LBB63_295
; %bb.294:
	scratch_load_b64 v[132:133], off, off offset:392
	v_mov_b64_e32 v[134:135], 0
	scratch_store_b64 off, v[134:135], off offset:392
	s_wait_loadcnt 0x0
	ds_store_b64 v1, v[132:133]
.LBB63_295:
	s_wait_xcnt 0x0
	s_or_b32 exec_lo, exec_lo, s0
	s_wait_storecnt_dscnt 0x0
	s_barrier_signal -1
	s_barrier_wait -1
	s_clause 0x5
	scratch_load_b128 v[132:135], off, off offset:392
	scratch_load_b128 v[136:139], off, off offset:408
	scratch_load_b128 v[140:143], off, off offset:424
	scratch_load_b128 v[144:147], off, off offset:440
	scratch_load_b128 v[148:151], off, off offset:456
	scratch_load_b128 v[152:155], off, off offset:472
	ds_load_b128 v[156:159], v2 offset:912
	ds_load_b128 v[160:163], v2 offset:928
	s_mov_b32 s0, exec_lo
	s_wait_loadcnt_dscnt 0x501
	v_fma_f64 v[164:165], v[134:135], v[156:157], 0
	s_wait_loadcnt 0x4
	s_delay_alu instid0(VALU_DEP_1)
	v_fmac_f64_e32 v[164:165], v[136:137], v[158:159]
	scratch_load_b128 v[134:137], off, off offset:488
	s_wait_dscnt 0x0
	v_fmac_f64_e32 v[164:165], v[138:139], v[160:161]
	scratch_load_b64 v[160:161], off, off offset:504
	s_wait_loadcnt 0x5
	v_fmac_f64_e32 v[164:165], v[140:141], v[162:163]
	ds_load_b128 v[138:141], v2 offset:944
	ds_load_b128 v[156:159], v2 offset:960
	s_wait_dscnt 0x1
	v_fmac_f64_e32 v[164:165], v[142:143], v[138:139]
	s_wait_loadcnt 0x4
	s_delay_alu instid0(VALU_DEP_1)
	v_fmac_f64_e32 v[164:165], v[144:145], v[140:141]
	ds_load_b128 v[138:141], v2 offset:976
	ds_load_b128 v[142:145], v2 offset:992
	s_wait_dscnt 0x2
	v_fmac_f64_e32 v[164:165], v[146:147], v[156:157]
	s_wait_loadcnt 0x3
	s_delay_alu instid0(VALU_DEP_1) | instskip(SKIP_1) | instid1(VALU_DEP_1)
	v_fmac_f64_e32 v[164:165], v[148:149], v[158:159]
	s_wait_dscnt 0x1
	v_fmac_f64_e32 v[164:165], v[150:151], v[138:139]
	s_wait_loadcnt 0x2
	s_delay_alu instid0(VALU_DEP_1) | instskip(SKIP_4) | instid1(VALU_DEP_1)
	v_fmac_f64_e32 v[164:165], v[152:153], v[140:141]
	ds_load_b128 v[138:141], v2 offset:1008
	s_wait_dscnt 0x1
	v_fmac_f64_e32 v[164:165], v[154:155], v[142:143]
	s_wait_loadcnt 0x1
	v_fmac_f64_e32 v[164:165], v[134:135], v[144:145]
	s_wait_dscnt 0x0
	s_delay_alu instid0(VALU_DEP_1) | instskip(SKIP_1) | instid1(VALU_DEP_1)
	v_fmac_f64_e32 v[164:165], v[136:137], v[138:139]
	s_wait_loadcnt 0x0
	v_fmac_f64_e32 v[164:165], v[160:161], v[140:141]
	s_delay_alu instid0(VALU_DEP_1)
	v_add_f64_e64 v[2:3], v[132:133], -v[164:165]
	scratch_store_b64 off, v[2:3], off offset:392
	s_wait_xcnt 0x0
	v_cmpx_lt_u32_e32 48, v0
	s_cbranch_execz .LBB63_297
; %bb.296:
	scratch_load_b64 v[2:3], off, off offset:384
	v_mov_b64_e32 v[132:133], 0
	scratch_store_b64 off, v[132:133], off offset:384
	s_wait_loadcnt 0x0
	ds_store_b64 v1, v[2:3]
.LBB63_297:
	s_wait_xcnt 0x0
	s_or_b32 exec_lo, exec_lo, s0
	s_wait_storecnt_dscnt 0x0
	s_barrier_signal -1
	s_barrier_wait -1
	s_clause 0x5
	scratch_load_b128 v[132:135], off, off offset:384
	scratch_load_b128 v[136:139], off, off offset:400
	;; [unrolled: 1-line block ×6, first 2 shown]
	v_mov_b32_e32 v2, 0
	ds_load_2addr_b64 v[156:159], v2 offset0:113 offset1:114
	ds_load_2addr_b64 v[160:163], v2 offset0:115 offset1:116
	s_mov_b32 s0, exec_lo
	s_wait_loadcnt_dscnt 0x501
	v_fma_f64 v[164:165], v[134:135], v[156:157], 0
	s_wait_loadcnt 0x4
	s_delay_alu instid0(VALU_DEP_1) | instskip(SKIP_4) | instid1(VALU_DEP_1)
	v_fmac_f64_e32 v[164:165], v[136:137], v[158:159]
	scratch_load_b128 v[134:137], off, off offset:480
	s_wait_dscnt 0x0
	v_fmac_f64_e32 v[164:165], v[138:139], v[160:161]
	s_wait_loadcnt 0x4
	v_fmac_f64_e32 v[164:165], v[140:141], v[162:163]
	scratch_load_b128 v[138:141], off, off offset:496
	ds_load_2addr_b64 v[156:159], v2 offset0:117 offset1:118
	ds_load_2addr_b64 v[160:163], v2 offset0:119 offset1:120
	s_wait_dscnt 0x1
	v_fmac_f64_e32 v[164:165], v[142:143], v[156:157]
	s_wait_loadcnt 0x4
	s_delay_alu instid0(VALU_DEP_1) | instskip(SKIP_1) | instid1(VALU_DEP_1)
	v_fmac_f64_e32 v[164:165], v[144:145], v[158:159]
	s_wait_dscnt 0x0
	v_fmac_f64_e32 v[164:165], v[146:147], v[160:161]
	s_wait_loadcnt 0x3
	s_delay_alu instid0(VALU_DEP_1)
	v_fmac_f64_e32 v[164:165], v[148:149], v[162:163]
	ds_load_2addr_b64 v[142:145], v2 offset0:121 offset1:122
	ds_load_2addr_b64 v[146:149], v2 offset0:123 offset1:124
	s_wait_dscnt 0x1
	v_fmac_f64_e32 v[164:165], v[150:151], v[142:143]
	s_wait_loadcnt 0x2
	s_delay_alu instid0(VALU_DEP_1) | instskip(SKIP_1) | instid1(VALU_DEP_1)
	v_fmac_f64_e32 v[164:165], v[152:153], v[144:145]
	s_wait_dscnt 0x0
	v_fmac_f64_e32 v[164:165], v[154:155], v[146:147]
	s_wait_loadcnt 0x1
	s_delay_alu instid0(VALU_DEP_1)
	v_fmac_f64_e32 v[164:165], v[134:135], v[148:149]
	ds_load_2addr_b64 v[142:145], v2 offset0:125 offset1:126
	ds_load_b64 v[134:135], v2 offset:1016
	s_wait_dscnt 0x1
	v_fmac_f64_e32 v[164:165], v[136:137], v[142:143]
	s_wait_loadcnt 0x0
	s_delay_alu instid0(VALU_DEP_1) | instskip(SKIP_1) | instid1(VALU_DEP_1)
	v_fmac_f64_e32 v[164:165], v[138:139], v[144:145]
	s_wait_dscnt 0x0
	v_fmac_f64_e32 v[164:165], v[140:141], v[134:135]
	s_delay_alu instid0(VALU_DEP_1)
	v_add_f64_e64 v[132:133], v[132:133], -v[164:165]
	scratch_store_b64 off, v[132:133], off offset:384
	s_wait_xcnt 0x0
	v_cmpx_lt_u32_e32 47, v0
	s_cbranch_execz .LBB63_299
; %bb.298:
	scratch_load_b64 v[132:133], off, off offset:376
	v_mov_b64_e32 v[134:135], 0
	scratch_store_b64 off, v[134:135], off offset:376
	s_wait_loadcnt 0x0
	ds_store_b64 v1, v[132:133]
.LBB63_299:
	s_wait_xcnt 0x0
	s_or_b32 exec_lo, exec_lo, s0
	s_wait_storecnt_dscnt 0x0
	s_barrier_signal -1
	s_barrier_wait -1
	s_clause 0x5
	scratch_load_b128 v[132:135], off, off offset:376
	scratch_load_b128 v[136:139], off, off offset:392
	;; [unrolled: 1-line block ×6, first 2 shown]
	ds_load_b128 v[156:159], v2 offset:896
	ds_load_b128 v[160:163], v2 offset:912
	s_mov_b32 s0, exec_lo
	s_wait_loadcnt_dscnt 0x501
	v_fma_f64 v[164:165], v[134:135], v[156:157], 0
	s_wait_loadcnt 0x4
	s_delay_alu instid0(VALU_DEP_1) | instskip(SKIP_4) | instid1(VALU_DEP_1)
	v_fmac_f64_e32 v[164:165], v[136:137], v[158:159]
	scratch_load_b128 v[134:137], off, off offset:472
	s_wait_dscnt 0x0
	v_fmac_f64_e32 v[164:165], v[138:139], v[160:161]
	s_wait_loadcnt 0x4
	v_fmac_f64_e32 v[164:165], v[140:141], v[162:163]
	scratch_load_b128 v[138:141], off, off offset:488
	ds_load_b128 v[156:159], v2 offset:928
	ds_load_b128 v[160:163], v2 offset:944
	s_wait_dscnt 0x1
	v_fmac_f64_e32 v[164:165], v[142:143], v[156:157]
	scratch_load_b64 v[156:157], off, off offset:504
	s_wait_loadcnt 0x5
	v_fmac_f64_e32 v[164:165], v[144:145], v[158:159]
	s_wait_dscnt 0x0
	s_delay_alu instid0(VALU_DEP_1) | instskip(SKIP_1) | instid1(VALU_DEP_1)
	v_fmac_f64_e32 v[164:165], v[146:147], v[160:161]
	s_wait_loadcnt 0x4
	v_fmac_f64_e32 v[164:165], v[148:149], v[162:163]
	ds_load_b128 v[142:145], v2 offset:960
	ds_load_b128 v[146:149], v2 offset:976
	s_wait_dscnt 0x1
	v_fmac_f64_e32 v[164:165], v[150:151], v[142:143]
	s_wait_loadcnt 0x3
	s_delay_alu instid0(VALU_DEP_1) | instskip(SKIP_1) | instid1(VALU_DEP_1)
	v_fmac_f64_e32 v[164:165], v[152:153], v[144:145]
	s_wait_dscnt 0x0
	v_fmac_f64_e32 v[164:165], v[154:155], v[146:147]
	s_wait_loadcnt 0x2
	s_delay_alu instid0(VALU_DEP_1)
	v_fmac_f64_e32 v[164:165], v[134:135], v[148:149]
	ds_load_b128 v[142:145], v2 offset:992
	ds_load_b128 v[146:149], v2 offset:1008
	s_wait_dscnt 0x1
	v_fmac_f64_e32 v[164:165], v[136:137], v[142:143]
	s_wait_loadcnt 0x1
	s_delay_alu instid0(VALU_DEP_1) | instskip(SKIP_1) | instid1(VALU_DEP_1)
	v_fmac_f64_e32 v[164:165], v[138:139], v[144:145]
	s_wait_dscnt 0x0
	v_fmac_f64_e32 v[164:165], v[140:141], v[146:147]
	s_wait_loadcnt 0x0
	s_delay_alu instid0(VALU_DEP_1) | instskip(NEXT) | instid1(VALU_DEP_1)
	v_fmac_f64_e32 v[164:165], v[156:157], v[148:149]
	v_add_f64_e64 v[2:3], v[132:133], -v[164:165]
	scratch_store_b64 off, v[2:3], off offset:376
	s_wait_xcnt 0x0
	v_cmpx_lt_u32_e32 46, v0
	s_cbranch_execz .LBB63_301
; %bb.300:
	scratch_load_b64 v[2:3], off, off offset:368
	v_mov_b64_e32 v[132:133], 0
	scratch_store_b64 off, v[132:133], off offset:368
	s_wait_loadcnt 0x0
	ds_store_b64 v1, v[2:3]
.LBB63_301:
	s_wait_xcnt 0x0
	s_or_b32 exec_lo, exec_lo, s0
	s_wait_storecnt_dscnt 0x0
	s_barrier_signal -1
	s_barrier_wait -1
	s_clause 0x5
	scratch_load_b128 v[132:135], off, off offset:368
	scratch_load_b128 v[136:139], off, off offset:384
	;; [unrolled: 1-line block ×6, first 2 shown]
	v_mov_b32_e32 v2, 0
	ds_load_2addr_b64 v[156:159], v2 offset0:111 offset1:112
	ds_load_2addr_b64 v[160:163], v2 offset0:113 offset1:114
	s_mov_b32 s0, exec_lo
	s_wait_loadcnt_dscnt 0x501
	v_fma_f64 v[164:165], v[134:135], v[156:157], 0
	s_wait_loadcnt 0x4
	s_delay_alu instid0(VALU_DEP_1) | instskip(SKIP_4) | instid1(VALU_DEP_1)
	v_fmac_f64_e32 v[164:165], v[136:137], v[158:159]
	scratch_load_b128 v[134:137], off, off offset:464
	s_wait_dscnt 0x0
	v_fmac_f64_e32 v[164:165], v[138:139], v[160:161]
	s_wait_loadcnt 0x4
	v_fmac_f64_e32 v[164:165], v[140:141], v[162:163]
	scratch_load_b128 v[138:141], off, off offset:480
	ds_load_2addr_b64 v[156:159], v2 offset0:115 offset1:116
	ds_load_2addr_b64 v[160:163], v2 offset0:117 offset1:118
	s_wait_dscnt 0x1
	v_fmac_f64_e32 v[164:165], v[142:143], v[156:157]
	s_wait_loadcnt 0x4
	s_delay_alu instid0(VALU_DEP_1) | instskip(SKIP_4) | instid1(VALU_DEP_1)
	v_fmac_f64_e32 v[164:165], v[144:145], v[158:159]
	scratch_load_b128 v[142:145], off, off offset:496
	s_wait_dscnt 0x0
	v_fmac_f64_e32 v[164:165], v[146:147], v[160:161]
	s_wait_loadcnt 0x4
	v_fmac_f64_e32 v[164:165], v[148:149], v[162:163]
	ds_load_2addr_b64 v[146:149], v2 offset0:119 offset1:120
	ds_load_2addr_b64 v[156:159], v2 offset0:121 offset1:122
	s_wait_dscnt 0x1
	v_fmac_f64_e32 v[164:165], v[150:151], v[146:147]
	s_wait_loadcnt 0x3
	s_delay_alu instid0(VALU_DEP_1)
	v_fmac_f64_e32 v[164:165], v[152:153], v[148:149]
	ds_load_2addr_b64 v[146:149], v2 offset0:123 offset1:124
	ds_load_2addr_b64 v[150:153], v2 offset0:125 offset1:126
	s_wait_dscnt 0x2
	v_fmac_f64_e32 v[164:165], v[154:155], v[156:157]
	s_wait_loadcnt 0x2
	s_delay_alu instid0(VALU_DEP_1) | instskip(SKIP_4) | instid1(VALU_DEP_1)
	v_fmac_f64_e32 v[164:165], v[134:135], v[158:159]
	ds_load_b64 v[134:135], v2 offset:1016
	s_wait_dscnt 0x2
	v_fmac_f64_e32 v[164:165], v[136:137], v[146:147]
	s_wait_loadcnt 0x1
	v_fmac_f64_e32 v[164:165], v[138:139], v[148:149]
	s_wait_dscnt 0x1
	s_delay_alu instid0(VALU_DEP_1) | instskip(SKIP_1) | instid1(VALU_DEP_1)
	v_fmac_f64_e32 v[164:165], v[140:141], v[150:151]
	s_wait_loadcnt 0x0
	v_fmac_f64_e32 v[164:165], v[142:143], v[152:153]
	s_wait_dscnt 0x0
	s_delay_alu instid0(VALU_DEP_1) | instskip(NEXT) | instid1(VALU_DEP_1)
	v_fmac_f64_e32 v[164:165], v[144:145], v[134:135]
	v_add_f64_e64 v[132:133], v[132:133], -v[164:165]
	scratch_store_b64 off, v[132:133], off offset:368
	s_wait_xcnt 0x0
	v_cmpx_lt_u32_e32 45, v0
	s_cbranch_execz .LBB63_303
; %bb.302:
	scratch_load_b64 v[132:133], off, off offset:360
	v_mov_b64_e32 v[134:135], 0
	scratch_store_b64 off, v[134:135], off offset:360
	s_wait_loadcnt 0x0
	ds_store_b64 v1, v[132:133]
.LBB63_303:
	s_wait_xcnt 0x0
	s_or_b32 exec_lo, exec_lo, s0
	s_wait_storecnt_dscnt 0x0
	s_barrier_signal -1
	s_barrier_wait -1
	s_clause 0x5
	scratch_load_b128 v[132:135], off, off offset:360
	scratch_load_b128 v[136:139], off, off offset:376
	scratch_load_b128 v[140:143], off, off offset:392
	scratch_load_b128 v[144:147], off, off offset:408
	scratch_load_b128 v[148:151], off, off offset:424
	scratch_load_b128 v[152:155], off, off offset:440
	ds_load_b128 v[156:159], v2 offset:880
	ds_load_b128 v[160:163], v2 offset:896
	s_mov_b32 s0, exec_lo
	s_wait_loadcnt_dscnt 0x501
	v_fma_f64 v[164:165], v[134:135], v[156:157], 0
	s_wait_loadcnt 0x4
	s_delay_alu instid0(VALU_DEP_1) | instskip(SKIP_4) | instid1(VALU_DEP_1)
	v_fmac_f64_e32 v[164:165], v[136:137], v[158:159]
	scratch_load_b128 v[134:137], off, off offset:456
	s_wait_dscnt 0x0
	v_fmac_f64_e32 v[164:165], v[138:139], v[160:161]
	s_wait_loadcnt 0x4
	v_fmac_f64_e32 v[164:165], v[140:141], v[162:163]
	scratch_load_b128 v[138:141], off, off offset:472
	ds_load_b128 v[156:159], v2 offset:912
	ds_load_b128 v[160:163], v2 offset:928
	s_wait_dscnt 0x1
	v_fmac_f64_e32 v[164:165], v[142:143], v[156:157]
	s_wait_loadcnt 0x4
	s_delay_alu instid0(VALU_DEP_1)
	v_fmac_f64_e32 v[164:165], v[144:145], v[158:159]
	scratch_load_b128 v[142:145], off, off offset:488
	s_wait_dscnt 0x0
	v_fmac_f64_e32 v[164:165], v[146:147], v[160:161]
	scratch_load_b64 v[160:161], off, off offset:504
	s_wait_loadcnt 0x5
	v_fmac_f64_e32 v[164:165], v[148:149], v[162:163]
	ds_load_b128 v[146:149], v2 offset:944
	ds_load_b128 v[156:159], v2 offset:960
	s_wait_dscnt 0x1
	v_fmac_f64_e32 v[164:165], v[150:151], v[146:147]
	s_wait_loadcnt 0x4
	s_delay_alu instid0(VALU_DEP_1)
	v_fmac_f64_e32 v[164:165], v[152:153], v[148:149]
	ds_load_b128 v[146:149], v2 offset:976
	ds_load_b128 v[150:153], v2 offset:992
	s_wait_dscnt 0x2
	v_fmac_f64_e32 v[164:165], v[154:155], v[156:157]
	s_wait_loadcnt 0x3
	s_delay_alu instid0(VALU_DEP_1) | instskip(SKIP_1) | instid1(VALU_DEP_1)
	v_fmac_f64_e32 v[164:165], v[134:135], v[158:159]
	s_wait_dscnt 0x1
	v_fmac_f64_e32 v[164:165], v[136:137], v[146:147]
	ds_load_b128 v[134:137], v2 offset:1008
	s_wait_loadcnt 0x2
	v_fmac_f64_e32 v[164:165], v[138:139], v[148:149]
	s_wait_dscnt 0x1
	s_delay_alu instid0(VALU_DEP_1) | instskip(SKIP_1) | instid1(VALU_DEP_1)
	v_fmac_f64_e32 v[164:165], v[140:141], v[150:151]
	s_wait_loadcnt 0x1
	v_fmac_f64_e32 v[164:165], v[142:143], v[152:153]
	s_wait_dscnt 0x0
	s_delay_alu instid0(VALU_DEP_1) | instskip(SKIP_1) | instid1(VALU_DEP_1)
	v_fmac_f64_e32 v[164:165], v[144:145], v[134:135]
	s_wait_loadcnt 0x0
	v_fmac_f64_e32 v[164:165], v[160:161], v[136:137]
	s_delay_alu instid0(VALU_DEP_1)
	v_add_f64_e64 v[2:3], v[132:133], -v[164:165]
	scratch_store_b64 off, v[2:3], off offset:360
	s_wait_xcnt 0x0
	v_cmpx_lt_u32_e32 44, v0
	s_cbranch_execz .LBB63_305
; %bb.304:
	scratch_load_b64 v[2:3], off, off offset:352
	v_mov_b64_e32 v[132:133], 0
	scratch_store_b64 off, v[132:133], off offset:352
	s_wait_loadcnt 0x0
	ds_store_b64 v1, v[2:3]
.LBB63_305:
	s_wait_xcnt 0x0
	s_or_b32 exec_lo, exec_lo, s0
	s_wait_storecnt_dscnt 0x0
	s_barrier_signal -1
	s_barrier_wait -1
	s_clause 0x5
	scratch_load_b128 v[132:135], off, off offset:352
	scratch_load_b128 v[136:139], off, off offset:368
	;; [unrolled: 1-line block ×6, first 2 shown]
	v_mov_b32_e32 v2, 0
	ds_load_2addr_b64 v[156:159], v2 offset0:109 offset1:110
	ds_load_2addr_b64 v[160:163], v2 offset0:111 offset1:112
	s_mov_b32 s0, exec_lo
	s_wait_loadcnt_dscnt 0x501
	v_fma_f64 v[164:165], v[134:135], v[156:157], 0
	s_wait_loadcnt 0x4
	s_delay_alu instid0(VALU_DEP_1) | instskip(SKIP_4) | instid1(VALU_DEP_1)
	v_fmac_f64_e32 v[164:165], v[136:137], v[158:159]
	scratch_load_b128 v[134:137], off, off offset:448
	s_wait_dscnt 0x0
	v_fmac_f64_e32 v[164:165], v[138:139], v[160:161]
	s_wait_loadcnt 0x4
	v_fmac_f64_e32 v[164:165], v[140:141], v[162:163]
	scratch_load_b128 v[138:141], off, off offset:464
	ds_load_2addr_b64 v[156:159], v2 offset0:113 offset1:114
	ds_load_2addr_b64 v[160:163], v2 offset0:115 offset1:116
	s_wait_dscnt 0x1
	v_fmac_f64_e32 v[164:165], v[142:143], v[156:157]
	s_wait_loadcnt 0x4
	s_delay_alu instid0(VALU_DEP_1) | instskip(SKIP_4) | instid1(VALU_DEP_1)
	v_fmac_f64_e32 v[164:165], v[144:145], v[158:159]
	scratch_load_b128 v[142:145], off, off offset:480
	s_wait_dscnt 0x0
	v_fmac_f64_e32 v[164:165], v[146:147], v[160:161]
	s_wait_loadcnt 0x4
	v_fmac_f64_e32 v[164:165], v[148:149], v[162:163]
	scratch_load_b128 v[146:149], off, off offset:496
	ds_load_2addr_b64 v[156:159], v2 offset0:117 offset1:118
	ds_load_2addr_b64 v[160:163], v2 offset0:119 offset1:120
	s_wait_dscnt 0x1
	v_fmac_f64_e32 v[164:165], v[150:151], v[156:157]
	s_wait_loadcnt 0x4
	s_delay_alu instid0(VALU_DEP_1) | instskip(SKIP_1) | instid1(VALU_DEP_1)
	v_fmac_f64_e32 v[164:165], v[152:153], v[158:159]
	s_wait_dscnt 0x0
	v_fmac_f64_e32 v[164:165], v[154:155], v[160:161]
	ds_load_2addr_b64 v[150:153], v2 offset0:121 offset1:122
	ds_load_2addr_b64 v[154:157], v2 offset0:123 offset1:124
	s_wait_loadcnt 0x3
	v_fmac_f64_e32 v[164:165], v[134:135], v[162:163]
	s_wait_dscnt 0x1
	s_delay_alu instid0(VALU_DEP_1) | instskip(SKIP_1) | instid1(VALU_DEP_1)
	v_fmac_f64_e32 v[164:165], v[136:137], v[150:151]
	s_wait_loadcnt 0x2
	v_fmac_f64_e32 v[164:165], v[138:139], v[152:153]
	ds_load_2addr_b64 v[134:137], v2 offset0:125 offset1:126
	ds_load_b64 v[138:139], v2 offset:1016
	s_wait_dscnt 0x2
	v_fmac_f64_e32 v[164:165], v[140:141], v[154:155]
	s_wait_loadcnt 0x1
	s_delay_alu instid0(VALU_DEP_1) | instskip(SKIP_1) | instid1(VALU_DEP_1)
	v_fmac_f64_e32 v[164:165], v[142:143], v[156:157]
	s_wait_dscnt 0x1
	v_fmac_f64_e32 v[164:165], v[144:145], v[134:135]
	s_wait_loadcnt 0x0
	s_delay_alu instid0(VALU_DEP_1) | instskip(SKIP_1) | instid1(VALU_DEP_1)
	v_fmac_f64_e32 v[164:165], v[146:147], v[136:137]
	s_wait_dscnt 0x0
	v_fmac_f64_e32 v[164:165], v[148:149], v[138:139]
	s_delay_alu instid0(VALU_DEP_1)
	v_add_f64_e64 v[132:133], v[132:133], -v[164:165]
	scratch_store_b64 off, v[132:133], off offset:352
	s_wait_xcnt 0x0
	v_cmpx_lt_u32_e32 43, v0
	s_cbranch_execz .LBB63_307
; %bb.306:
	scratch_load_b64 v[132:133], off, off offset:344
	v_mov_b64_e32 v[134:135], 0
	scratch_store_b64 off, v[134:135], off offset:344
	s_wait_loadcnt 0x0
	ds_store_b64 v1, v[132:133]
.LBB63_307:
	s_wait_xcnt 0x0
	s_or_b32 exec_lo, exec_lo, s0
	s_wait_storecnt_dscnt 0x0
	s_barrier_signal -1
	s_barrier_wait -1
	s_clause 0x5
	scratch_load_b128 v[132:135], off, off offset:344
	scratch_load_b128 v[136:139], off, off offset:360
	;; [unrolled: 1-line block ×6, first 2 shown]
	ds_load_b128 v[156:159], v2 offset:864
	ds_load_b128 v[160:163], v2 offset:880
	s_mov_b32 s0, exec_lo
	s_wait_loadcnt_dscnt 0x501
	v_fma_f64 v[164:165], v[134:135], v[156:157], 0
	s_wait_loadcnt 0x4
	s_delay_alu instid0(VALU_DEP_1) | instskip(SKIP_4) | instid1(VALU_DEP_1)
	v_fmac_f64_e32 v[164:165], v[136:137], v[158:159]
	scratch_load_b128 v[134:137], off, off offset:440
	s_wait_dscnt 0x0
	v_fmac_f64_e32 v[164:165], v[138:139], v[160:161]
	s_wait_loadcnt 0x4
	v_fmac_f64_e32 v[164:165], v[140:141], v[162:163]
	scratch_load_b128 v[138:141], off, off offset:456
	ds_load_b128 v[156:159], v2 offset:896
	ds_load_b128 v[160:163], v2 offset:912
	s_wait_dscnt 0x1
	v_fmac_f64_e32 v[164:165], v[142:143], v[156:157]
	s_wait_loadcnt 0x4
	s_delay_alu instid0(VALU_DEP_1) | instskip(SKIP_4) | instid1(VALU_DEP_1)
	v_fmac_f64_e32 v[164:165], v[144:145], v[158:159]
	scratch_load_b128 v[142:145], off, off offset:472
	s_wait_dscnt 0x0
	v_fmac_f64_e32 v[164:165], v[146:147], v[160:161]
	s_wait_loadcnt 0x4
	v_fmac_f64_e32 v[164:165], v[148:149], v[162:163]
	scratch_load_b128 v[146:149], off, off offset:488
	ds_load_b128 v[156:159], v2 offset:928
	ds_load_b128 v[160:163], v2 offset:944
	s_wait_dscnt 0x1
	v_fmac_f64_e32 v[164:165], v[150:151], v[156:157]
	s_wait_loadcnt 0x4
	s_delay_alu instid0(VALU_DEP_1)
	v_fmac_f64_e32 v[164:165], v[152:153], v[158:159]
	scratch_load_b64 v[158:159], off, off offset:504
	s_wait_dscnt 0x0
	v_fmac_f64_e32 v[164:165], v[154:155], v[160:161]
	ds_load_b128 v[150:153], v2 offset:960
	ds_load_b128 v[154:157], v2 offset:976
	s_wait_loadcnt 0x4
	v_fmac_f64_e32 v[164:165], v[134:135], v[162:163]
	s_wait_dscnt 0x1
	s_delay_alu instid0(VALU_DEP_1) | instskip(SKIP_1) | instid1(VALU_DEP_1)
	v_fmac_f64_e32 v[164:165], v[136:137], v[150:151]
	s_wait_loadcnt 0x3
	v_fmac_f64_e32 v[164:165], v[138:139], v[152:153]
	s_wait_dscnt 0x0
	s_delay_alu instid0(VALU_DEP_1)
	v_fmac_f64_e32 v[164:165], v[140:141], v[154:155]
	ds_load_b128 v[134:137], v2 offset:992
	ds_load_b128 v[138:141], v2 offset:1008
	s_wait_loadcnt 0x2
	v_fmac_f64_e32 v[164:165], v[142:143], v[156:157]
	s_wait_dscnt 0x1
	s_delay_alu instid0(VALU_DEP_1) | instskip(SKIP_1) | instid1(VALU_DEP_1)
	v_fmac_f64_e32 v[164:165], v[144:145], v[134:135]
	s_wait_loadcnt 0x1
	v_fmac_f64_e32 v[164:165], v[146:147], v[136:137]
	s_wait_dscnt 0x0
	s_delay_alu instid0(VALU_DEP_1) | instskip(SKIP_1) | instid1(VALU_DEP_1)
	v_fmac_f64_e32 v[164:165], v[148:149], v[138:139]
	s_wait_loadcnt 0x0
	v_fmac_f64_e32 v[164:165], v[158:159], v[140:141]
	s_delay_alu instid0(VALU_DEP_1)
	v_add_f64_e64 v[2:3], v[132:133], -v[164:165]
	scratch_store_b64 off, v[2:3], off offset:344
	s_wait_xcnt 0x0
	v_cmpx_lt_u32_e32 42, v0
	s_cbranch_execz .LBB63_309
; %bb.308:
	scratch_load_b64 v[2:3], off, off offset:336
	v_mov_b64_e32 v[132:133], 0
	scratch_store_b64 off, v[132:133], off offset:336
	s_wait_loadcnt 0x0
	ds_store_b64 v1, v[2:3]
.LBB63_309:
	s_wait_xcnt 0x0
	s_or_b32 exec_lo, exec_lo, s0
	s_wait_storecnt_dscnt 0x0
	s_barrier_signal -1
	s_barrier_wait -1
	s_clause 0x5
	scratch_load_b128 v[132:135], off, off offset:336
	scratch_load_b128 v[136:139], off, off offset:352
	scratch_load_b128 v[140:143], off, off offset:368
	scratch_load_b128 v[144:147], off, off offset:384
	scratch_load_b128 v[148:151], off, off offset:400
	scratch_load_b128 v[152:155], off, off offset:416
	v_mov_b32_e32 v2, 0
	ds_load_2addr_b64 v[156:159], v2 offset0:107 offset1:108
	ds_load_2addr_b64 v[160:163], v2 offset0:109 offset1:110
	s_mov_b32 s0, exec_lo
	s_wait_loadcnt_dscnt 0x501
	v_fma_f64 v[164:165], v[134:135], v[156:157], 0
	s_wait_loadcnt 0x4
	s_delay_alu instid0(VALU_DEP_1) | instskip(SKIP_4) | instid1(VALU_DEP_1)
	v_fmac_f64_e32 v[164:165], v[136:137], v[158:159]
	scratch_load_b128 v[134:137], off, off offset:432
	s_wait_dscnt 0x0
	v_fmac_f64_e32 v[164:165], v[138:139], v[160:161]
	s_wait_loadcnt 0x4
	v_fmac_f64_e32 v[164:165], v[140:141], v[162:163]
	scratch_load_b128 v[138:141], off, off offset:448
	ds_load_2addr_b64 v[156:159], v2 offset0:111 offset1:112
	ds_load_2addr_b64 v[160:163], v2 offset0:113 offset1:114
	s_wait_dscnt 0x1
	v_fmac_f64_e32 v[164:165], v[142:143], v[156:157]
	s_wait_loadcnt 0x4
	s_delay_alu instid0(VALU_DEP_1) | instskip(SKIP_4) | instid1(VALU_DEP_1)
	v_fmac_f64_e32 v[164:165], v[144:145], v[158:159]
	scratch_load_b128 v[142:145], off, off offset:464
	s_wait_dscnt 0x0
	v_fmac_f64_e32 v[164:165], v[146:147], v[160:161]
	s_wait_loadcnt 0x4
	v_fmac_f64_e32 v[164:165], v[148:149], v[162:163]
	scratch_load_b128 v[146:149], off, off offset:480
	ds_load_2addr_b64 v[156:159], v2 offset0:115 offset1:116
	ds_load_2addr_b64 v[160:163], v2 offset0:117 offset1:118
	s_wait_dscnt 0x1
	v_fmac_f64_e32 v[164:165], v[150:151], v[156:157]
	s_wait_loadcnt 0x4
	s_delay_alu instid0(VALU_DEP_1)
	v_fmac_f64_e32 v[164:165], v[152:153], v[158:159]
	scratch_load_b128 v[150:153], off, off offset:496
	s_wait_dscnt 0x0
	v_fmac_f64_e32 v[164:165], v[154:155], v[160:161]
	ds_load_2addr_b64 v[154:157], v2 offset0:119 offset1:120
	ds_load_2addr_b64 v[158:161], v2 offset0:121 offset1:122
	s_wait_loadcnt 0x4
	v_fmac_f64_e32 v[164:165], v[134:135], v[162:163]
	s_wait_dscnt 0x1
	s_delay_alu instid0(VALU_DEP_1) | instskip(SKIP_1) | instid1(VALU_DEP_1)
	v_fmac_f64_e32 v[164:165], v[136:137], v[154:155]
	s_wait_loadcnt 0x3
	v_fmac_f64_e32 v[164:165], v[138:139], v[156:157]
	s_wait_dscnt 0x0
	s_delay_alu instid0(VALU_DEP_1)
	v_fmac_f64_e32 v[164:165], v[140:141], v[158:159]
	ds_load_2addr_b64 v[134:137], v2 offset0:123 offset1:124
	ds_load_2addr_b64 v[138:141], v2 offset0:125 offset1:126
	s_wait_loadcnt 0x2
	v_fmac_f64_e32 v[164:165], v[142:143], v[160:161]
	s_wait_dscnt 0x1
	s_delay_alu instid0(VALU_DEP_1) | instskip(SKIP_4) | instid1(VALU_DEP_1)
	v_fmac_f64_e32 v[164:165], v[144:145], v[134:135]
	ds_load_b64 v[134:135], v2 offset:1016
	s_wait_loadcnt 0x1
	v_fmac_f64_e32 v[164:165], v[146:147], v[136:137]
	s_wait_dscnt 0x1
	v_fmac_f64_e32 v[164:165], v[148:149], v[138:139]
	s_wait_loadcnt 0x0
	s_delay_alu instid0(VALU_DEP_1) | instskip(SKIP_1) | instid1(VALU_DEP_1)
	v_fmac_f64_e32 v[164:165], v[150:151], v[140:141]
	s_wait_dscnt 0x0
	v_fmac_f64_e32 v[164:165], v[152:153], v[134:135]
	s_delay_alu instid0(VALU_DEP_1)
	v_add_f64_e64 v[132:133], v[132:133], -v[164:165]
	scratch_store_b64 off, v[132:133], off offset:336
	s_wait_xcnt 0x0
	v_cmpx_lt_u32_e32 41, v0
	s_cbranch_execz .LBB63_311
; %bb.310:
	scratch_load_b64 v[132:133], off, off offset:328
	v_mov_b64_e32 v[134:135], 0
	scratch_store_b64 off, v[134:135], off offset:328
	s_wait_loadcnt 0x0
	ds_store_b64 v1, v[132:133]
.LBB63_311:
	s_wait_xcnt 0x0
	s_or_b32 exec_lo, exec_lo, s0
	s_wait_storecnt_dscnt 0x0
	s_barrier_signal -1
	s_barrier_wait -1
	s_clause 0x5
	scratch_load_b128 v[132:135], off, off offset:328
	scratch_load_b128 v[136:139], off, off offset:344
	;; [unrolled: 1-line block ×6, first 2 shown]
	ds_load_b128 v[156:159], v2 offset:848
	ds_load_b128 v[160:163], v2 offset:864
	scratch_load_b128 v[164:167], off, off offset:424
	s_mov_b32 s0, exec_lo
	s_wait_loadcnt_dscnt 0x601
	v_fma_f64 v[168:169], v[134:135], v[156:157], 0
	s_wait_loadcnt 0x5
	s_delay_alu instid0(VALU_DEP_1) | instskip(SKIP_4) | instid1(VALU_DEP_1)
	v_fmac_f64_e32 v[168:169], v[136:137], v[158:159]
	scratch_load_b128 v[134:137], off, off offset:440
	s_wait_dscnt 0x0
	v_fmac_f64_e32 v[168:169], v[138:139], v[160:161]
	s_wait_loadcnt 0x5
	v_fmac_f64_e32 v[168:169], v[140:141], v[162:163]
	ds_load_b128 v[138:141], v2 offset:880
	ds_load_b128 v[156:159], v2 offset:896
	s_wait_dscnt 0x1
	v_fmac_f64_e32 v[168:169], v[142:143], v[138:139]
	s_wait_loadcnt 0x4
	s_delay_alu instid0(VALU_DEP_1)
	v_fmac_f64_e32 v[168:169], v[144:145], v[140:141]
	s_clause 0x1
	scratch_load_b128 v[138:141], off, off offset:456
	scratch_load_b128 v[142:145], off, off offset:472
	s_wait_dscnt 0x0
	v_fmac_f64_e32 v[168:169], v[146:147], v[156:157]
	s_wait_loadcnt 0x5
	s_delay_alu instid0(VALU_DEP_1)
	v_fmac_f64_e32 v[168:169], v[148:149], v[158:159]
	ds_load_b128 v[146:149], v2 offset:912
	ds_load_b128 v[156:159], v2 offset:928
	s_wait_dscnt 0x1
	v_fmac_f64_e32 v[168:169], v[150:151], v[146:147]
	s_wait_loadcnt 0x4
	s_delay_alu instid0(VALU_DEP_1) | instskip(SKIP_4) | instid1(VALU_DEP_1)
	v_fmac_f64_e32 v[168:169], v[152:153], v[148:149]
	scratch_load_b128 v[146:149], off, off offset:488
	s_wait_dscnt 0x0
	v_fmac_f64_e32 v[168:169], v[154:155], v[156:157]
	s_wait_loadcnt 0x4
	v_fmac_f64_e32 v[168:169], v[164:165], v[158:159]
	scratch_load_b64 v[158:159], off, off offset:504
	ds_load_b128 v[150:153], v2 offset:944
	ds_load_b128 v[154:157], v2 offset:960
	s_wait_dscnt 0x1
	v_fmac_f64_e32 v[168:169], v[166:167], v[150:151]
	s_wait_loadcnt 0x4
	s_delay_alu instid0(VALU_DEP_1) | instskip(SKIP_1) | instid1(VALU_DEP_1)
	v_fmac_f64_e32 v[168:169], v[134:135], v[152:153]
	s_wait_dscnt 0x0
	v_fmac_f64_e32 v[168:169], v[136:137], v[154:155]
	ds_load_b128 v[134:137], v2 offset:976
	ds_load_b128 v[150:153], v2 offset:992
	s_wait_loadcnt 0x3
	v_fmac_f64_e32 v[168:169], v[138:139], v[156:157]
	s_wait_dscnt 0x1
	s_delay_alu instid0(VALU_DEP_1) | instskip(SKIP_1) | instid1(VALU_DEP_1)
	v_fmac_f64_e32 v[168:169], v[140:141], v[134:135]
	s_wait_loadcnt 0x2
	v_fmac_f64_e32 v[168:169], v[142:143], v[136:137]
	ds_load_b128 v[134:137], v2 offset:1008
	s_wait_dscnt 0x1
	v_fmac_f64_e32 v[168:169], v[144:145], v[150:151]
	s_wait_loadcnt 0x1
	s_delay_alu instid0(VALU_DEP_1) | instskip(SKIP_1) | instid1(VALU_DEP_1)
	v_fmac_f64_e32 v[168:169], v[146:147], v[152:153]
	s_wait_dscnt 0x0
	v_fmac_f64_e32 v[168:169], v[148:149], v[134:135]
	s_wait_loadcnt 0x0
	s_delay_alu instid0(VALU_DEP_1) | instskip(NEXT) | instid1(VALU_DEP_1)
	v_fmac_f64_e32 v[168:169], v[158:159], v[136:137]
	v_add_f64_e64 v[2:3], v[132:133], -v[168:169]
	scratch_store_b64 off, v[2:3], off offset:328
	s_wait_xcnt 0x0
	v_cmpx_lt_u32_e32 40, v0
	s_cbranch_execz .LBB63_313
; %bb.312:
	scratch_load_b64 v[2:3], off, off offset:320
	v_mov_b64_e32 v[132:133], 0
	scratch_store_b64 off, v[132:133], off offset:320
	s_wait_loadcnt 0x0
	ds_store_b64 v1, v[2:3]
.LBB63_313:
	s_wait_xcnt 0x0
	s_or_b32 exec_lo, exec_lo, s0
	s_wait_storecnt_dscnt 0x0
	s_barrier_signal -1
	s_barrier_wait -1
	s_clause 0x5
	scratch_load_b128 v[132:135], off, off offset:320
	scratch_load_b128 v[136:139], off, off offset:336
	;; [unrolled: 1-line block ×6, first 2 shown]
	v_mov_b32_e32 v2, 0
	ds_load_2addr_b64 v[156:159], v2 offset0:105 offset1:106
	ds_load_2addr_b64 v[160:163], v2 offset0:107 offset1:108
	scratch_load_b128 v[164:167], off, off offset:416
	s_mov_b32 s0, exec_lo
	s_wait_loadcnt_dscnt 0x601
	v_fma_f64 v[168:169], v[134:135], v[156:157], 0
	s_wait_loadcnt 0x5
	s_delay_alu instid0(VALU_DEP_1) | instskip(SKIP_4) | instid1(VALU_DEP_1)
	v_fmac_f64_e32 v[168:169], v[136:137], v[158:159]
	scratch_load_b128 v[134:137], off, off offset:432
	s_wait_dscnt 0x0
	v_fmac_f64_e32 v[168:169], v[138:139], v[160:161]
	s_wait_loadcnt 0x5
	v_fmac_f64_e32 v[168:169], v[140:141], v[162:163]
	ds_load_2addr_b64 v[138:141], v2 offset0:109 offset1:110
	ds_load_2addr_b64 v[156:159], v2 offset0:111 offset1:112
	s_wait_dscnt 0x1
	v_fmac_f64_e32 v[168:169], v[142:143], v[138:139]
	s_wait_loadcnt 0x4
	s_delay_alu instid0(VALU_DEP_1)
	v_fmac_f64_e32 v[168:169], v[144:145], v[140:141]
	s_clause 0x1
	scratch_load_b128 v[138:141], off, off offset:448
	scratch_load_b128 v[142:145], off, off offset:464
	s_wait_dscnt 0x0
	v_fmac_f64_e32 v[168:169], v[146:147], v[156:157]
	s_wait_loadcnt 0x5
	s_delay_alu instid0(VALU_DEP_1)
	v_fmac_f64_e32 v[168:169], v[148:149], v[158:159]
	ds_load_2addr_b64 v[146:149], v2 offset0:113 offset1:114
	ds_load_2addr_b64 v[156:159], v2 offset0:115 offset1:116
	s_wait_dscnt 0x1
	v_fmac_f64_e32 v[168:169], v[150:151], v[146:147]
	s_wait_loadcnt 0x4
	s_delay_alu instid0(VALU_DEP_1)
	v_fmac_f64_e32 v[168:169], v[152:153], v[148:149]
	s_clause 0x1
	scratch_load_b128 v[146:149], off, off offset:480
	scratch_load_b128 v[150:153], off, off offset:496
	s_wait_dscnt 0x0
	v_fmac_f64_e32 v[168:169], v[154:155], v[156:157]
	s_wait_loadcnt 0x5
	s_delay_alu instid0(VALU_DEP_1)
	v_fmac_f64_e32 v[168:169], v[164:165], v[158:159]
	ds_load_2addr_b64 v[154:157], v2 offset0:117 offset1:118
	ds_load_2addr_b64 v[158:161], v2 offset0:119 offset1:120
	s_wait_dscnt 0x1
	v_fmac_f64_e32 v[168:169], v[166:167], v[154:155]
	s_wait_loadcnt 0x4
	s_delay_alu instid0(VALU_DEP_1) | instskip(SKIP_1) | instid1(VALU_DEP_1)
	v_fmac_f64_e32 v[168:169], v[134:135], v[156:157]
	s_wait_dscnt 0x0
	v_fmac_f64_e32 v[168:169], v[136:137], v[158:159]
	ds_load_2addr_b64 v[134:137], v2 offset0:121 offset1:122
	ds_load_2addr_b64 v[154:157], v2 offset0:123 offset1:124
	s_wait_loadcnt 0x3
	v_fmac_f64_e32 v[168:169], v[138:139], v[160:161]
	s_wait_dscnt 0x1
	s_delay_alu instid0(VALU_DEP_1) | instskip(SKIP_1) | instid1(VALU_DEP_1)
	v_fmac_f64_e32 v[168:169], v[140:141], v[134:135]
	s_wait_loadcnt 0x2
	v_fmac_f64_e32 v[168:169], v[142:143], v[136:137]
	ds_load_2addr_b64 v[134:137], v2 offset0:125 offset1:126
	ds_load_b64 v[138:139], v2 offset:1016
	s_wait_dscnt 0x2
	v_fmac_f64_e32 v[168:169], v[144:145], v[154:155]
	s_wait_loadcnt 0x1
	s_delay_alu instid0(VALU_DEP_1) | instskip(SKIP_1) | instid1(VALU_DEP_1)
	v_fmac_f64_e32 v[168:169], v[146:147], v[156:157]
	s_wait_dscnt 0x1
	v_fmac_f64_e32 v[168:169], v[148:149], v[134:135]
	s_wait_loadcnt 0x0
	s_delay_alu instid0(VALU_DEP_1) | instskip(SKIP_1) | instid1(VALU_DEP_1)
	v_fmac_f64_e32 v[168:169], v[150:151], v[136:137]
	s_wait_dscnt 0x0
	v_fmac_f64_e32 v[168:169], v[152:153], v[138:139]
	s_delay_alu instid0(VALU_DEP_1)
	v_add_f64_e64 v[132:133], v[132:133], -v[168:169]
	scratch_store_b64 off, v[132:133], off offset:320
	s_wait_xcnt 0x0
	v_cmpx_lt_u32_e32 39, v0
	s_cbranch_execz .LBB63_315
; %bb.314:
	scratch_load_b64 v[132:133], off, off offset:312
	v_mov_b64_e32 v[134:135], 0
	scratch_store_b64 off, v[134:135], off offset:312
	s_wait_loadcnt 0x0
	ds_store_b64 v1, v[132:133]
.LBB63_315:
	s_wait_xcnt 0x0
	s_or_b32 exec_lo, exec_lo, s0
	s_wait_storecnt_dscnt 0x0
	s_barrier_signal -1
	s_barrier_wait -1
	s_clause 0x5
	scratch_load_b128 v[132:135], off, off offset:312
	scratch_load_b128 v[136:139], off, off offset:328
	;; [unrolled: 1-line block ×6, first 2 shown]
	ds_load_b128 v[156:159], v2 offset:832
	ds_load_b128 v[160:163], v2 offset:848
	scratch_load_b128 v[164:167], off, off offset:408
	s_mov_b32 s0, exec_lo
	s_wait_loadcnt_dscnt 0x601
	v_fma_f64 v[168:169], v[134:135], v[156:157], 0
	s_wait_loadcnt 0x5
	s_delay_alu instid0(VALU_DEP_1) | instskip(SKIP_4) | instid1(VALU_DEP_1)
	v_fmac_f64_e32 v[168:169], v[136:137], v[158:159]
	scratch_load_b128 v[134:137], off, off offset:424
	s_wait_dscnt 0x0
	v_fmac_f64_e32 v[168:169], v[138:139], v[160:161]
	s_wait_loadcnt 0x5
	v_fmac_f64_e32 v[168:169], v[140:141], v[162:163]
	ds_load_b128 v[138:141], v2 offset:864
	ds_load_b128 v[156:159], v2 offset:880
	s_wait_dscnt 0x1
	v_fmac_f64_e32 v[168:169], v[142:143], v[138:139]
	s_wait_loadcnt 0x4
	s_delay_alu instid0(VALU_DEP_1)
	v_fmac_f64_e32 v[168:169], v[144:145], v[140:141]
	s_clause 0x1
	scratch_load_b128 v[138:141], off, off offset:440
	scratch_load_b128 v[142:145], off, off offset:456
	s_wait_dscnt 0x0
	v_fmac_f64_e32 v[168:169], v[146:147], v[156:157]
	s_wait_loadcnt 0x5
	s_delay_alu instid0(VALU_DEP_1)
	v_fmac_f64_e32 v[168:169], v[148:149], v[158:159]
	ds_load_b128 v[146:149], v2 offset:896
	ds_load_b128 v[156:159], v2 offset:912
	s_wait_dscnt 0x1
	v_fmac_f64_e32 v[168:169], v[150:151], v[146:147]
	s_wait_loadcnt 0x4
	s_delay_alu instid0(VALU_DEP_1)
	v_fmac_f64_e32 v[168:169], v[152:153], v[148:149]
	s_clause 0x1
	scratch_load_b128 v[146:149], off, off offset:472
	scratch_load_b128 v[150:153], off, off offset:488
	s_wait_dscnt 0x0
	v_fmac_f64_e32 v[168:169], v[154:155], v[156:157]
	s_wait_loadcnt 0x5
	s_delay_alu instid0(VALU_DEP_1)
	v_fmac_f64_e32 v[168:169], v[164:165], v[158:159]
	ds_load_b128 v[154:157], v2 offset:928
	ds_load_b128 v[158:161], v2 offset:944
	scratch_load_b64 v[162:163], off, off offset:504
	s_wait_dscnt 0x1
	v_fmac_f64_e32 v[168:169], v[166:167], v[154:155]
	s_wait_loadcnt 0x5
	s_delay_alu instid0(VALU_DEP_1) | instskip(SKIP_1) | instid1(VALU_DEP_1)
	v_fmac_f64_e32 v[168:169], v[134:135], v[156:157]
	s_wait_dscnt 0x0
	v_fmac_f64_e32 v[168:169], v[136:137], v[158:159]
	ds_load_b128 v[134:137], v2 offset:960
	ds_load_b128 v[154:157], v2 offset:976
	s_wait_loadcnt 0x4
	v_fmac_f64_e32 v[168:169], v[138:139], v[160:161]
	s_wait_dscnt 0x1
	s_delay_alu instid0(VALU_DEP_1) | instskip(SKIP_1) | instid1(VALU_DEP_1)
	v_fmac_f64_e32 v[168:169], v[140:141], v[134:135]
	s_wait_loadcnt 0x3
	v_fmac_f64_e32 v[168:169], v[142:143], v[136:137]
	ds_load_b128 v[134:137], v2 offset:992
	ds_load_b128 v[138:141], v2 offset:1008
	s_wait_dscnt 0x2
	v_fmac_f64_e32 v[168:169], v[144:145], v[154:155]
	s_wait_loadcnt 0x2
	s_delay_alu instid0(VALU_DEP_1) | instskip(SKIP_1) | instid1(VALU_DEP_1)
	v_fmac_f64_e32 v[168:169], v[146:147], v[156:157]
	s_wait_dscnt 0x1
	v_fmac_f64_e32 v[168:169], v[148:149], v[134:135]
	s_wait_loadcnt 0x1
	s_delay_alu instid0(VALU_DEP_1) | instskip(SKIP_1) | instid1(VALU_DEP_1)
	v_fmac_f64_e32 v[168:169], v[150:151], v[136:137]
	s_wait_dscnt 0x0
	v_fmac_f64_e32 v[168:169], v[152:153], v[138:139]
	s_wait_loadcnt 0x0
	s_delay_alu instid0(VALU_DEP_1) | instskip(NEXT) | instid1(VALU_DEP_1)
	v_fmac_f64_e32 v[168:169], v[162:163], v[140:141]
	v_add_f64_e64 v[2:3], v[132:133], -v[168:169]
	scratch_store_b64 off, v[2:3], off offset:312
	s_wait_xcnt 0x0
	v_cmpx_lt_u32_e32 38, v0
	s_cbranch_execz .LBB63_317
; %bb.316:
	scratch_load_b64 v[2:3], off, off offset:304
	v_mov_b64_e32 v[132:133], 0
	scratch_store_b64 off, v[132:133], off offset:304
	s_wait_loadcnt 0x0
	ds_store_b64 v1, v[2:3]
.LBB63_317:
	s_wait_xcnt 0x0
	s_or_b32 exec_lo, exec_lo, s0
	s_wait_storecnt_dscnt 0x0
	s_barrier_signal -1
	s_barrier_wait -1
	s_clause 0x5
	scratch_load_b128 v[132:135], off, off offset:304
	scratch_load_b128 v[136:139], off, off offset:320
	;; [unrolled: 1-line block ×6, first 2 shown]
	v_mov_b32_e32 v2, 0
	ds_load_2addr_b64 v[156:159], v2 offset0:103 offset1:104
	ds_load_2addr_b64 v[160:163], v2 offset0:105 offset1:106
	scratch_load_b128 v[164:167], off, off offset:400
	s_mov_b32 s0, exec_lo
	s_wait_loadcnt_dscnt 0x601
	v_fma_f64 v[168:169], v[134:135], v[156:157], 0
	s_wait_loadcnt 0x5
	s_delay_alu instid0(VALU_DEP_1) | instskip(SKIP_4) | instid1(VALU_DEP_1)
	v_fmac_f64_e32 v[168:169], v[136:137], v[158:159]
	scratch_load_b128 v[134:137], off, off offset:416
	s_wait_dscnt 0x0
	v_fmac_f64_e32 v[168:169], v[138:139], v[160:161]
	s_wait_loadcnt 0x5
	v_fmac_f64_e32 v[168:169], v[140:141], v[162:163]
	ds_load_2addr_b64 v[138:141], v2 offset0:107 offset1:108
	ds_load_2addr_b64 v[156:159], v2 offset0:109 offset1:110
	s_wait_dscnt 0x1
	v_fmac_f64_e32 v[168:169], v[142:143], v[138:139]
	s_wait_loadcnt 0x4
	s_delay_alu instid0(VALU_DEP_1)
	v_fmac_f64_e32 v[168:169], v[144:145], v[140:141]
	s_clause 0x1
	scratch_load_b128 v[138:141], off, off offset:432
	scratch_load_b128 v[142:145], off, off offset:448
	s_wait_dscnt 0x0
	v_fmac_f64_e32 v[168:169], v[146:147], v[156:157]
	s_wait_loadcnt 0x5
	s_delay_alu instid0(VALU_DEP_1)
	v_fmac_f64_e32 v[168:169], v[148:149], v[158:159]
	ds_load_2addr_b64 v[146:149], v2 offset0:111 offset1:112
	ds_load_2addr_b64 v[156:159], v2 offset0:113 offset1:114
	s_wait_dscnt 0x1
	v_fmac_f64_e32 v[168:169], v[150:151], v[146:147]
	s_wait_loadcnt 0x4
	s_delay_alu instid0(VALU_DEP_1)
	v_fmac_f64_e32 v[168:169], v[152:153], v[148:149]
	s_clause 0x1
	scratch_load_b128 v[146:149], off, off offset:464
	scratch_load_b128 v[150:153], off, off offset:480
	s_wait_dscnt 0x0
	v_fmac_f64_e32 v[168:169], v[154:155], v[156:157]
	s_wait_loadcnt 0x5
	s_delay_alu instid0(VALU_DEP_1)
	v_fmac_f64_e32 v[168:169], v[164:165], v[158:159]
	ds_load_2addr_b64 v[154:157], v2 offset0:115 offset1:116
	ds_load_2addr_b64 v[158:161], v2 offset0:117 offset1:118
	s_wait_dscnt 0x1
	v_fmac_f64_e32 v[168:169], v[166:167], v[154:155]
	s_wait_loadcnt 0x4
	s_delay_alu instid0(VALU_DEP_1) | instskip(SKIP_4) | instid1(VALU_DEP_1)
	v_fmac_f64_e32 v[168:169], v[134:135], v[156:157]
	scratch_load_b128 v[154:157], off, off offset:496
	s_wait_dscnt 0x0
	v_fmac_f64_e32 v[168:169], v[136:137], v[158:159]
	s_wait_loadcnt 0x4
	v_fmac_f64_e32 v[168:169], v[138:139], v[160:161]
	ds_load_2addr_b64 v[134:137], v2 offset0:119 offset1:120
	ds_load_2addr_b64 v[158:161], v2 offset0:121 offset1:122
	s_wait_dscnt 0x1
	v_fmac_f64_e32 v[168:169], v[140:141], v[134:135]
	s_wait_loadcnt 0x3
	s_delay_alu instid0(VALU_DEP_1)
	v_fmac_f64_e32 v[168:169], v[142:143], v[136:137]
	ds_load_2addr_b64 v[134:137], v2 offset0:123 offset1:124
	ds_load_2addr_b64 v[138:141], v2 offset0:125 offset1:126
	s_wait_dscnt 0x2
	v_fmac_f64_e32 v[168:169], v[144:145], v[158:159]
	s_wait_loadcnt 0x2
	s_delay_alu instid0(VALU_DEP_1) | instskip(SKIP_1) | instid1(VALU_DEP_1)
	v_fmac_f64_e32 v[168:169], v[146:147], v[160:161]
	s_wait_dscnt 0x1
	v_fmac_f64_e32 v[168:169], v[148:149], v[134:135]
	ds_load_b64 v[134:135], v2 offset:1016
	s_wait_loadcnt 0x1
	v_fmac_f64_e32 v[168:169], v[150:151], v[136:137]
	s_wait_dscnt 0x1
	s_delay_alu instid0(VALU_DEP_1) | instskip(SKIP_1) | instid1(VALU_DEP_1)
	v_fmac_f64_e32 v[168:169], v[152:153], v[138:139]
	s_wait_loadcnt 0x0
	v_fmac_f64_e32 v[168:169], v[154:155], v[140:141]
	s_wait_dscnt 0x0
	s_delay_alu instid0(VALU_DEP_1) | instskip(NEXT) | instid1(VALU_DEP_1)
	v_fmac_f64_e32 v[168:169], v[156:157], v[134:135]
	v_add_f64_e64 v[132:133], v[132:133], -v[168:169]
	scratch_store_b64 off, v[132:133], off offset:304
	s_wait_xcnt 0x0
	v_cmpx_lt_u32_e32 37, v0
	s_cbranch_execz .LBB63_319
; %bb.318:
	scratch_load_b64 v[132:133], off, off offset:296
	v_mov_b64_e32 v[134:135], 0
	scratch_store_b64 off, v[134:135], off offset:296
	s_wait_loadcnt 0x0
	ds_store_b64 v1, v[132:133]
.LBB63_319:
	s_wait_xcnt 0x0
	s_or_b32 exec_lo, exec_lo, s0
	s_wait_storecnt_dscnt 0x0
	s_barrier_signal -1
	s_barrier_wait -1
	s_clause 0x5
	scratch_load_b128 v[132:135], off, off offset:296
	scratch_load_b128 v[136:139], off, off offset:312
	;; [unrolled: 1-line block ×6, first 2 shown]
	ds_load_b128 v[156:159], v2 offset:816
	ds_load_b128 v[160:163], v2 offset:832
	scratch_load_b128 v[164:167], off, off offset:392
	s_mov_b32 s0, exec_lo
	s_wait_loadcnt_dscnt 0x601
	v_fma_f64 v[168:169], v[134:135], v[156:157], 0
	s_wait_loadcnt 0x5
	s_delay_alu instid0(VALU_DEP_1) | instskip(SKIP_4) | instid1(VALU_DEP_1)
	v_fmac_f64_e32 v[168:169], v[136:137], v[158:159]
	scratch_load_b128 v[134:137], off, off offset:408
	s_wait_dscnt 0x0
	v_fmac_f64_e32 v[168:169], v[138:139], v[160:161]
	s_wait_loadcnt 0x5
	v_fmac_f64_e32 v[168:169], v[140:141], v[162:163]
	ds_load_b128 v[138:141], v2 offset:848
	ds_load_b128 v[156:159], v2 offset:864
	scratch_load_b128 v[160:163], off, off offset:424
	s_wait_dscnt 0x1
	v_fmac_f64_e32 v[168:169], v[142:143], v[138:139]
	s_wait_loadcnt 0x5
	s_delay_alu instid0(VALU_DEP_1) | instskip(SKIP_4) | instid1(VALU_DEP_1)
	v_fmac_f64_e32 v[168:169], v[144:145], v[140:141]
	scratch_load_b128 v[138:141], off, off offset:440
	s_wait_dscnt 0x0
	v_fmac_f64_e32 v[168:169], v[146:147], v[156:157]
	s_wait_loadcnt 0x5
	v_fmac_f64_e32 v[168:169], v[148:149], v[158:159]
	ds_load_b128 v[142:145], v2 offset:880
	ds_load_b128 v[146:149], v2 offset:896
	s_wait_dscnt 0x1
	v_fmac_f64_e32 v[168:169], v[150:151], v[142:143]
	s_wait_loadcnt 0x4
	s_delay_alu instid0(VALU_DEP_1) | instskip(SKIP_4) | instid1(VALU_DEP_1)
	v_fmac_f64_e32 v[168:169], v[152:153], v[144:145]
	scratch_load_b128 v[142:145], off, off offset:456
	s_wait_dscnt 0x0
	v_fmac_f64_e32 v[168:169], v[154:155], v[146:147]
	s_wait_loadcnt 0x4
	v_fmac_f64_e32 v[168:169], v[164:165], v[148:149]
	scratch_load_b128 v[146:149], off, off offset:472
	ds_load_b128 v[150:153], v2 offset:912
	ds_load_b128 v[154:157], v2 offset:928
	scratch_load_b64 v[158:159], off, off offset:504
	s_wait_dscnt 0x1
	v_fmac_f64_e32 v[168:169], v[166:167], v[150:151]
	s_wait_loadcnt 0x5
	s_delay_alu instid0(VALU_DEP_1) | instskip(SKIP_4) | instid1(VALU_DEP_1)
	v_fmac_f64_e32 v[168:169], v[134:135], v[152:153]
	scratch_load_b128 v[150:153], off, off offset:488
	s_wait_dscnt 0x0
	v_fmac_f64_e32 v[168:169], v[136:137], v[154:155]
	s_wait_loadcnt 0x5
	v_fmac_f64_e32 v[168:169], v[160:161], v[156:157]
	ds_load_b128 v[134:137], v2 offset:944
	ds_load_b128 v[154:157], v2 offset:960
	s_wait_dscnt 0x1
	v_fmac_f64_e32 v[168:169], v[162:163], v[134:135]
	s_wait_loadcnt 0x4
	s_delay_alu instid0(VALU_DEP_1) | instskip(SKIP_1) | instid1(VALU_DEP_1)
	v_fmac_f64_e32 v[168:169], v[138:139], v[136:137]
	s_wait_dscnt 0x0
	v_fmac_f64_e32 v[168:169], v[140:141], v[154:155]
	ds_load_b128 v[134:137], v2 offset:976
	ds_load_b128 v[138:141], v2 offset:992
	s_wait_loadcnt 0x3
	v_fmac_f64_e32 v[168:169], v[142:143], v[156:157]
	s_wait_dscnt 0x1
	s_delay_alu instid0(VALU_DEP_1) | instskip(SKIP_1) | instid1(VALU_DEP_1)
	v_fmac_f64_e32 v[168:169], v[144:145], v[134:135]
	s_wait_loadcnt 0x2
	v_fmac_f64_e32 v[168:169], v[146:147], v[136:137]
	ds_load_b128 v[134:137], v2 offset:1008
	s_wait_dscnt 0x1
	v_fmac_f64_e32 v[168:169], v[148:149], v[138:139]
	s_wait_loadcnt 0x0
	s_delay_alu instid0(VALU_DEP_1) | instskip(SKIP_1) | instid1(VALU_DEP_1)
	v_fmac_f64_e32 v[168:169], v[150:151], v[140:141]
	s_wait_dscnt 0x0
	v_fmac_f64_e32 v[168:169], v[152:153], v[134:135]
	s_delay_alu instid0(VALU_DEP_1) | instskip(NEXT) | instid1(VALU_DEP_1)
	v_fmac_f64_e32 v[168:169], v[158:159], v[136:137]
	v_add_f64_e64 v[2:3], v[132:133], -v[168:169]
	scratch_store_b64 off, v[2:3], off offset:296
	s_wait_xcnt 0x0
	v_cmpx_lt_u32_e32 36, v0
	s_cbranch_execz .LBB63_321
; %bb.320:
	scratch_load_b64 v[2:3], off, off offset:288
	v_mov_b64_e32 v[132:133], 0
	scratch_store_b64 off, v[132:133], off offset:288
	s_wait_loadcnt 0x0
	ds_store_b64 v1, v[2:3]
.LBB63_321:
	s_wait_xcnt 0x0
	s_or_b32 exec_lo, exec_lo, s0
	s_wait_storecnt_dscnt 0x0
	s_barrier_signal -1
	s_barrier_wait -1
	s_clause 0x5
	scratch_load_b128 v[132:135], off, off offset:288
	scratch_load_b128 v[136:139], off, off offset:304
	;; [unrolled: 1-line block ×6, first 2 shown]
	v_mov_b32_e32 v2, 0
	ds_load_2addr_b64 v[156:159], v2 offset0:101 offset1:102
	ds_load_2addr_b64 v[160:163], v2 offset0:103 offset1:104
	scratch_load_b128 v[164:167], off, off offset:384
	s_mov_b32 s0, exec_lo
	s_wait_loadcnt_dscnt 0x601
	v_fma_f64 v[168:169], v[134:135], v[156:157], 0
	s_wait_loadcnt 0x5
	s_delay_alu instid0(VALU_DEP_1) | instskip(SKIP_4) | instid1(VALU_DEP_1)
	v_fmac_f64_e32 v[168:169], v[136:137], v[158:159]
	scratch_load_b128 v[134:137], off, off offset:400
	s_wait_dscnt 0x0
	v_fmac_f64_e32 v[168:169], v[138:139], v[160:161]
	s_wait_loadcnt 0x5
	v_fmac_f64_e32 v[168:169], v[140:141], v[162:163]
	ds_load_2addr_b64 v[138:141], v2 offset0:105 offset1:106
	ds_load_2addr_b64 v[156:159], v2 offset0:107 offset1:108
	scratch_load_b128 v[160:163], off, off offset:416
	s_wait_dscnt 0x1
	v_fmac_f64_e32 v[168:169], v[142:143], v[138:139]
	s_wait_loadcnt 0x5
	s_delay_alu instid0(VALU_DEP_1) | instskip(SKIP_4) | instid1(VALU_DEP_1)
	v_fmac_f64_e32 v[168:169], v[144:145], v[140:141]
	scratch_load_b128 v[138:141], off, off offset:432
	s_wait_dscnt 0x0
	v_fmac_f64_e32 v[168:169], v[146:147], v[156:157]
	s_wait_loadcnt 0x5
	v_fmac_f64_e32 v[168:169], v[148:149], v[158:159]
	ds_load_2addr_b64 v[142:145], v2 offset0:109 offset1:110
	ds_load_2addr_b64 v[146:149], v2 offset0:111 offset1:112
	s_wait_dscnt 0x1
	v_fmac_f64_e32 v[168:169], v[150:151], v[142:143]
	s_wait_loadcnt 0x4
	s_delay_alu instid0(VALU_DEP_1) | instskip(SKIP_4) | instid1(VALU_DEP_1)
	v_fmac_f64_e32 v[168:169], v[152:153], v[144:145]
	scratch_load_b128 v[142:145], off, off offset:448
	s_wait_dscnt 0x0
	v_fmac_f64_e32 v[168:169], v[154:155], v[146:147]
	s_wait_loadcnt 0x4
	v_fmac_f64_e32 v[168:169], v[164:165], v[148:149]
	scratch_load_b128 v[146:149], off, off offset:464
	ds_load_2addr_b64 v[150:153], v2 offset0:113 offset1:114
	ds_load_2addr_b64 v[154:157], v2 offset0:115 offset1:116
	s_wait_dscnt 0x1
	v_fmac_f64_e32 v[168:169], v[166:167], v[150:151]
	s_wait_loadcnt 0x4
	s_delay_alu instid0(VALU_DEP_1)
	v_fmac_f64_e32 v[168:169], v[134:135], v[152:153]
	scratch_load_b128 v[150:153], off, off offset:480
	s_wait_dscnt 0x0
	v_fmac_f64_e32 v[168:169], v[136:137], v[154:155]
	scratch_load_b128 v[134:137], off, off offset:496
	s_wait_loadcnt 0x5
	v_fmac_f64_e32 v[168:169], v[160:161], v[156:157]
	ds_load_2addr_b64 v[154:157], v2 offset0:117 offset1:118
	ds_load_2addr_b64 v[158:161], v2 offset0:119 offset1:120
	s_wait_dscnt 0x1
	v_fmac_f64_e32 v[168:169], v[162:163], v[154:155]
	s_wait_loadcnt 0x4
	s_delay_alu instid0(VALU_DEP_1) | instskip(SKIP_1) | instid1(VALU_DEP_1)
	v_fmac_f64_e32 v[168:169], v[138:139], v[156:157]
	s_wait_dscnt 0x0
	v_fmac_f64_e32 v[168:169], v[140:141], v[158:159]
	ds_load_2addr_b64 v[138:141], v2 offset0:121 offset1:122
	ds_load_2addr_b64 v[154:157], v2 offset0:123 offset1:124
	s_wait_loadcnt 0x3
	v_fmac_f64_e32 v[168:169], v[142:143], v[160:161]
	s_wait_dscnt 0x1
	s_delay_alu instid0(VALU_DEP_1) | instskip(SKIP_1) | instid1(VALU_DEP_1)
	v_fmac_f64_e32 v[168:169], v[144:145], v[138:139]
	s_wait_loadcnt 0x2
	v_fmac_f64_e32 v[168:169], v[146:147], v[140:141]
	ds_load_2addr_b64 v[138:141], v2 offset0:125 offset1:126
	ds_load_b64 v[142:143], v2 offset:1016
	s_wait_dscnt 0x2
	v_fmac_f64_e32 v[168:169], v[148:149], v[154:155]
	s_wait_loadcnt 0x1
	s_delay_alu instid0(VALU_DEP_1) | instskip(SKIP_1) | instid1(VALU_DEP_1)
	v_fmac_f64_e32 v[168:169], v[150:151], v[156:157]
	s_wait_dscnt 0x1
	v_fmac_f64_e32 v[168:169], v[152:153], v[138:139]
	s_wait_loadcnt 0x0
	s_delay_alu instid0(VALU_DEP_1) | instskip(SKIP_1) | instid1(VALU_DEP_1)
	v_fmac_f64_e32 v[168:169], v[134:135], v[140:141]
	s_wait_dscnt 0x0
	v_fmac_f64_e32 v[168:169], v[136:137], v[142:143]
	s_delay_alu instid0(VALU_DEP_1)
	v_add_f64_e64 v[132:133], v[132:133], -v[168:169]
	scratch_store_b64 off, v[132:133], off offset:288
	s_wait_xcnt 0x0
	v_cmpx_lt_u32_e32 35, v0
	s_cbranch_execz .LBB63_323
; %bb.322:
	scratch_load_b64 v[132:133], off, off offset:280
	v_mov_b64_e32 v[134:135], 0
	scratch_store_b64 off, v[134:135], off offset:280
	s_wait_loadcnt 0x0
	ds_store_b64 v1, v[132:133]
.LBB63_323:
	s_wait_xcnt 0x0
	s_or_b32 exec_lo, exec_lo, s0
	s_wait_storecnt_dscnt 0x0
	s_barrier_signal -1
	s_barrier_wait -1
	s_clause 0x5
	scratch_load_b128 v[132:135], off, off offset:280
	scratch_load_b128 v[136:139], off, off offset:296
	;; [unrolled: 1-line block ×6, first 2 shown]
	ds_load_b128 v[156:159], v2 offset:800
	ds_load_b128 v[160:163], v2 offset:816
	scratch_load_b128 v[164:167], off, off offset:376
	s_mov_b32 s0, exec_lo
	s_wait_loadcnt_dscnt 0x601
	v_fma_f64 v[168:169], v[134:135], v[156:157], 0
	s_wait_loadcnt 0x5
	s_delay_alu instid0(VALU_DEP_1) | instskip(SKIP_4) | instid1(VALU_DEP_1)
	v_fmac_f64_e32 v[168:169], v[136:137], v[158:159]
	scratch_load_b128 v[134:137], off, off offset:392
	s_wait_dscnt 0x0
	v_fmac_f64_e32 v[168:169], v[138:139], v[160:161]
	s_wait_loadcnt 0x5
	v_fmac_f64_e32 v[168:169], v[140:141], v[162:163]
	ds_load_b128 v[138:141], v2 offset:832
	ds_load_b128 v[156:159], v2 offset:848
	scratch_load_b128 v[160:163], off, off offset:408
	s_wait_dscnt 0x1
	v_fmac_f64_e32 v[168:169], v[142:143], v[138:139]
	s_wait_loadcnt 0x5
	s_delay_alu instid0(VALU_DEP_1) | instskip(SKIP_4) | instid1(VALU_DEP_1)
	v_fmac_f64_e32 v[168:169], v[144:145], v[140:141]
	scratch_load_b128 v[138:141], off, off offset:424
	s_wait_dscnt 0x0
	v_fmac_f64_e32 v[168:169], v[146:147], v[156:157]
	s_wait_loadcnt 0x5
	v_fmac_f64_e32 v[168:169], v[148:149], v[158:159]
	ds_load_b128 v[142:145], v2 offset:864
	ds_load_b128 v[146:149], v2 offset:880
	s_wait_dscnt 0x1
	v_fmac_f64_e32 v[168:169], v[150:151], v[142:143]
	s_wait_loadcnt 0x4
	s_delay_alu instid0(VALU_DEP_1) | instskip(SKIP_4) | instid1(VALU_DEP_1)
	v_fmac_f64_e32 v[168:169], v[152:153], v[144:145]
	scratch_load_b128 v[142:145], off, off offset:440
	s_wait_dscnt 0x0
	v_fmac_f64_e32 v[168:169], v[154:155], v[146:147]
	s_wait_loadcnt 0x4
	v_fmac_f64_e32 v[168:169], v[164:165], v[148:149]
	scratch_load_b128 v[146:149], off, off offset:456
	ds_load_b128 v[150:153], v2 offset:896
	ds_load_b128 v[154:157], v2 offset:912
	s_wait_dscnt 0x1
	v_fmac_f64_e32 v[168:169], v[166:167], v[150:151]
	s_wait_loadcnt 0x4
	s_delay_alu instid0(VALU_DEP_1)
	v_fmac_f64_e32 v[168:169], v[134:135], v[152:153]
	scratch_load_b128 v[150:153], off, off offset:472
	s_wait_dscnt 0x0
	v_fmac_f64_e32 v[168:169], v[136:137], v[154:155]
	scratch_load_b128 v[134:137], off, off offset:488
	s_wait_loadcnt 0x5
	v_fmac_f64_e32 v[168:169], v[160:161], v[156:157]
	ds_load_b128 v[154:157], v2 offset:928
	ds_load_b128 v[158:161], v2 offset:944
	s_wait_dscnt 0x1
	v_fmac_f64_e32 v[168:169], v[162:163], v[154:155]
	scratch_load_b64 v[162:163], off, off offset:504
	s_wait_loadcnt 0x5
	v_fmac_f64_e32 v[168:169], v[138:139], v[156:157]
	s_wait_dscnt 0x0
	s_delay_alu instid0(VALU_DEP_1)
	v_fmac_f64_e32 v[168:169], v[140:141], v[158:159]
	ds_load_b128 v[138:141], v2 offset:960
	ds_load_b128 v[154:157], v2 offset:976
	s_wait_loadcnt 0x4
	v_fmac_f64_e32 v[168:169], v[142:143], v[160:161]
	s_wait_dscnt 0x1
	s_delay_alu instid0(VALU_DEP_1) | instskip(SKIP_1) | instid1(VALU_DEP_1)
	v_fmac_f64_e32 v[168:169], v[144:145], v[138:139]
	s_wait_loadcnt 0x3
	v_fmac_f64_e32 v[168:169], v[146:147], v[140:141]
	ds_load_b128 v[138:141], v2 offset:992
	ds_load_b128 v[142:145], v2 offset:1008
	s_wait_dscnt 0x2
	v_fmac_f64_e32 v[168:169], v[148:149], v[154:155]
	s_wait_loadcnt 0x2
	s_delay_alu instid0(VALU_DEP_1) | instskip(SKIP_1) | instid1(VALU_DEP_1)
	v_fmac_f64_e32 v[168:169], v[150:151], v[156:157]
	s_wait_dscnt 0x1
	v_fmac_f64_e32 v[168:169], v[152:153], v[138:139]
	s_wait_loadcnt 0x1
	s_delay_alu instid0(VALU_DEP_1) | instskip(SKIP_1) | instid1(VALU_DEP_1)
	v_fmac_f64_e32 v[168:169], v[134:135], v[140:141]
	s_wait_dscnt 0x0
	v_fmac_f64_e32 v[168:169], v[136:137], v[142:143]
	s_wait_loadcnt 0x0
	s_delay_alu instid0(VALU_DEP_1) | instskip(NEXT) | instid1(VALU_DEP_1)
	v_fmac_f64_e32 v[168:169], v[162:163], v[144:145]
	v_add_f64_e64 v[2:3], v[132:133], -v[168:169]
	scratch_store_b64 off, v[2:3], off offset:280
	s_wait_xcnt 0x0
	v_cmpx_lt_u32_e32 34, v0
	s_cbranch_execz .LBB63_325
; %bb.324:
	scratch_load_b64 v[2:3], off, off offset:272
	v_mov_b64_e32 v[132:133], 0
	scratch_store_b64 off, v[132:133], off offset:272
	s_wait_loadcnt 0x0
	ds_store_b64 v1, v[2:3]
.LBB63_325:
	s_wait_xcnt 0x0
	s_or_b32 exec_lo, exec_lo, s0
	s_wait_storecnt_dscnt 0x0
	s_barrier_signal -1
	s_barrier_wait -1
	s_clause 0x5
	scratch_load_b128 v[132:135], off, off offset:272
	scratch_load_b128 v[136:139], off, off offset:288
	;; [unrolled: 1-line block ×6, first 2 shown]
	v_mov_b32_e32 v2, 0
	ds_load_2addr_b64 v[156:159], v2 offset0:99 offset1:100
	ds_load_2addr_b64 v[160:163], v2 offset0:101 offset1:102
	scratch_load_b128 v[164:167], off, off offset:368
	s_mov_b32 s0, exec_lo
	s_wait_loadcnt_dscnt 0x601
	v_fma_f64 v[168:169], v[134:135], v[156:157], 0
	s_wait_loadcnt 0x5
	s_delay_alu instid0(VALU_DEP_1) | instskip(SKIP_4) | instid1(VALU_DEP_1)
	v_fmac_f64_e32 v[168:169], v[136:137], v[158:159]
	scratch_load_b128 v[134:137], off, off offset:384
	s_wait_dscnt 0x0
	v_fmac_f64_e32 v[168:169], v[138:139], v[160:161]
	s_wait_loadcnt 0x5
	v_fmac_f64_e32 v[168:169], v[140:141], v[162:163]
	ds_load_2addr_b64 v[138:141], v2 offset0:103 offset1:104
	ds_load_2addr_b64 v[156:159], v2 offset0:105 offset1:106
	scratch_load_b128 v[160:163], off, off offset:400
	s_wait_dscnt 0x1
	v_fmac_f64_e32 v[168:169], v[142:143], v[138:139]
	s_wait_loadcnt 0x5
	s_delay_alu instid0(VALU_DEP_1) | instskip(SKIP_4) | instid1(VALU_DEP_1)
	v_fmac_f64_e32 v[168:169], v[144:145], v[140:141]
	scratch_load_b128 v[138:141], off, off offset:416
	s_wait_dscnt 0x0
	v_fmac_f64_e32 v[168:169], v[146:147], v[156:157]
	s_wait_loadcnt 0x5
	v_fmac_f64_e32 v[168:169], v[148:149], v[158:159]
	ds_load_2addr_b64 v[142:145], v2 offset0:107 offset1:108
	ds_load_2addr_b64 v[146:149], v2 offset0:109 offset1:110
	s_wait_dscnt 0x1
	v_fmac_f64_e32 v[168:169], v[150:151], v[142:143]
	s_wait_loadcnt 0x4
	s_delay_alu instid0(VALU_DEP_1) | instskip(SKIP_4) | instid1(VALU_DEP_1)
	v_fmac_f64_e32 v[168:169], v[152:153], v[144:145]
	scratch_load_b128 v[142:145], off, off offset:432
	s_wait_dscnt 0x0
	v_fmac_f64_e32 v[168:169], v[154:155], v[146:147]
	s_wait_loadcnt 0x4
	v_fmac_f64_e32 v[168:169], v[164:165], v[148:149]
	scratch_load_b128 v[146:149], off, off offset:448
	ds_load_2addr_b64 v[150:153], v2 offset0:111 offset1:112
	ds_load_2addr_b64 v[154:157], v2 offset0:113 offset1:114
	s_wait_dscnt 0x1
	v_fmac_f64_e32 v[168:169], v[166:167], v[150:151]
	s_wait_loadcnt 0x4
	s_delay_alu instid0(VALU_DEP_1)
	v_fmac_f64_e32 v[168:169], v[134:135], v[152:153]
	scratch_load_b128 v[150:153], off, off offset:464
	s_wait_dscnt 0x0
	v_fmac_f64_e32 v[168:169], v[136:137], v[154:155]
	scratch_load_b128 v[134:137], off, off offset:480
	s_wait_loadcnt 0x5
	v_fmac_f64_e32 v[168:169], v[160:161], v[156:157]
	ds_load_2addr_b64 v[154:157], v2 offset0:115 offset1:116
	ds_load_2addr_b64 v[158:161], v2 offset0:117 offset1:118
	s_wait_dscnt 0x1
	v_fmac_f64_e32 v[168:169], v[162:163], v[154:155]
	s_wait_loadcnt 0x4
	s_delay_alu instid0(VALU_DEP_1) | instskip(SKIP_4) | instid1(VALU_DEP_1)
	v_fmac_f64_e32 v[168:169], v[138:139], v[156:157]
	scratch_load_b128 v[154:157], off, off offset:496
	s_wait_dscnt 0x0
	v_fmac_f64_e32 v[168:169], v[140:141], v[158:159]
	s_wait_loadcnt 0x4
	v_fmac_f64_e32 v[168:169], v[142:143], v[160:161]
	ds_load_2addr_b64 v[138:141], v2 offset0:119 offset1:120
	ds_load_2addr_b64 v[158:161], v2 offset0:121 offset1:122
	s_wait_dscnt 0x1
	v_fmac_f64_e32 v[168:169], v[144:145], v[138:139]
	s_wait_loadcnt 0x3
	s_delay_alu instid0(VALU_DEP_1)
	v_fmac_f64_e32 v[168:169], v[146:147], v[140:141]
	ds_load_2addr_b64 v[138:141], v2 offset0:123 offset1:124
	ds_load_2addr_b64 v[142:145], v2 offset0:125 offset1:126
	s_wait_dscnt 0x2
	v_fmac_f64_e32 v[168:169], v[148:149], v[158:159]
	s_wait_loadcnt 0x2
	s_delay_alu instid0(VALU_DEP_1) | instskip(SKIP_1) | instid1(VALU_DEP_1)
	v_fmac_f64_e32 v[168:169], v[150:151], v[160:161]
	s_wait_dscnt 0x1
	v_fmac_f64_e32 v[168:169], v[152:153], v[138:139]
	s_wait_loadcnt 0x1
	s_delay_alu instid0(VALU_DEP_1) | instskip(SKIP_4) | instid1(VALU_DEP_1)
	v_fmac_f64_e32 v[168:169], v[134:135], v[140:141]
	ds_load_b64 v[134:135], v2 offset:1016
	s_wait_dscnt 0x1
	v_fmac_f64_e32 v[168:169], v[136:137], v[142:143]
	s_wait_loadcnt 0x0
	v_fmac_f64_e32 v[168:169], v[154:155], v[144:145]
	s_wait_dscnt 0x0
	s_delay_alu instid0(VALU_DEP_1) | instskip(NEXT) | instid1(VALU_DEP_1)
	v_fmac_f64_e32 v[168:169], v[156:157], v[134:135]
	v_add_f64_e64 v[132:133], v[132:133], -v[168:169]
	scratch_store_b64 off, v[132:133], off offset:272
	s_wait_xcnt 0x0
	v_cmpx_lt_u32_e32 33, v0
	s_cbranch_execz .LBB63_327
; %bb.326:
	scratch_load_b64 v[132:133], off, off offset:264
	v_mov_b64_e32 v[134:135], 0
	scratch_store_b64 off, v[134:135], off offset:264
	s_wait_loadcnt 0x0
	ds_store_b64 v1, v[132:133]
.LBB63_327:
	s_wait_xcnt 0x0
	s_or_b32 exec_lo, exec_lo, s0
	s_wait_storecnt_dscnt 0x0
	s_barrier_signal -1
	s_barrier_wait -1
	s_clause 0x5
	scratch_load_b128 v[132:135], off, off offset:264
	scratch_load_b128 v[136:139], off, off offset:280
	;; [unrolled: 1-line block ×6, first 2 shown]
	ds_load_b128 v[156:159], v2 offset:784
	ds_load_b128 v[160:163], v2 offset:800
	scratch_load_b128 v[164:167], off, off offset:360
	s_mov_b32 s0, exec_lo
	s_wait_loadcnt_dscnt 0x601
	v_fma_f64 v[168:169], v[134:135], v[156:157], 0
	s_wait_loadcnt 0x5
	s_delay_alu instid0(VALU_DEP_1) | instskip(SKIP_4) | instid1(VALU_DEP_1)
	v_fmac_f64_e32 v[168:169], v[136:137], v[158:159]
	scratch_load_b128 v[134:137], off, off offset:376
	s_wait_dscnt 0x0
	v_fmac_f64_e32 v[168:169], v[138:139], v[160:161]
	s_wait_loadcnt 0x5
	v_fmac_f64_e32 v[168:169], v[140:141], v[162:163]
	ds_load_b128 v[138:141], v2 offset:816
	ds_load_b128 v[156:159], v2 offset:832
	scratch_load_b128 v[160:163], off, off offset:392
	s_wait_dscnt 0x1
	v_fmac_f64_e32 v[168:169], v[142:143], v[138:139]
	s_wait_loadcnt 0x5
	s_delay_alu instid0(VALU_DEP_1) | instskip(SKIP_4) | instid1(VALU_DEP_1)
	v_fmac_f64_e32 v[168:169], v[144:145], v[140:141]
	scratch_load_b128 v[138:141], off, off offset:408
	s_wait_dscnt 0x0
	v_fmac_f64_e32 v[168:169], v[146:147], v[156:157]
	s_wait_loadcnt 0x5
	v_fmac_f64_e32 v[168:169], v[148:149], v[158:159]
	ds_load_b128 v[142:145], v2 offset:848
	ds_load_b128 v[146:149], v2 offset:864
	scratch_load_b128 v[156:159], off, off offset:424
	s_wait_dscnt 0x1
	v_fmac_f64_e32 v[168:169], v[150:151], v[142:143]
	s_wait_loadcnt 0x5
	s_delay_alu instid0(VALU_DEP_1) | instskip(SKIP_4) | instid1(VALU_DEP_1)
	v_fmac_f64_e32 v[168:169], v[152:153], v[144:145]
	scratch_load_b128 v[142:145], off, off offset:440
	s_wait_dscnt 0x0
	v_fmac_f64_e32 v[168:169], v[154:155], v[146:147]
	s_wait_loadcnt 0x5
	v_fmac_f64_e32 v[168:169], v[164:165], v[148:149]
	ds_load_b128 v[146:149], v2 offset:880
	ds_load_b128 v[150:153], v2 offset:896
	s_wait_dscnt 0x1
	v_fmac_f64_e32 v[168:169], v[166:167], v[146:147]
	s_wait_loadcnt 0x4
	s_delay_alu instid0(VALU_DEP_1)
	v_fmac_f64_e32 v[168:169], v[134:135], v[148:149]
	scratch_load_b128 v[146:149], off, off offset:456
	s_wait_dscnt 0x0
	v_fmac_f64_e32 v[168:169], v[136:137], v[150:151]
	scratch_load_b128 v[134:137], off, off offset:472
	s_wait_loadcnt 0x5
	v_fmac_f64_e32 v[168:169], v[160:161], v[152:153]
	ds_load_b128 v[150:153], v2 offset:912
	ds_load_b128 v[164:167], v2 offset:928
	scratch_load_b64 v[160:161], off, off offset:504
	s_wait_dscnt 0x1
	v_fmac_f64_e32 v[168:169], v[162:163], v[150:151]
	s_wait_loadcnt 0x5
	s_delay_alu instid0(VALU_DEP_1) | instskip(SKIP_4) | instid1(VALU_DEP_1)
	v_fmac_f64_e32 v[168:169], v[138:139], v[152:153]
	scratch_load_b128 v[150:153], off, off offset:488
	s_wait_dscnt 0x0
	v_fmac_f64_e32 v[168:169], v[140:141], v[164:165]
	s_wait_loadcnt 0x5
	v_fmac_f64_e32 v[168:169], v[156:157], v[166:167]
	ds_load_b128 v[138:141], v2 offset:944
	ds_load_b128 v[154:157], v2 offset:960
	s_wait_dscnt 0x1
	v_fmac_f64_e32 v[168:169], v[158:159], v[138:139]
	s_wait_loadcnt 0x4
	s_delay_alu instid0(VALU_DEP_1) | instskip(SKIP_1) | instid1(VALU_DEP_1)
	v_fmac_f64_e32 v[168:169], v[142:143], v[140:141]
	s_wait_dscnt 0x0
	v_fmac_f64_e32 v[168:169], v[144:145], v[154:155]
	ds_load_b128 v[138:141], v2 offset:976
	ds_load_b128 v[142:145], v2 offset:992
	s_wait_loadcnt 0x3
	v_fmac_f64_e32 v[168:169], v[146:147], v[156:157]
	s_wait_dscnt 0x1
	s_delay_alu instid0(VALU_DEP_1) | instskip(SKIP_1) | instid1(VALU_DEP_1)
	v_fmac_f64_e32 v[168:169], v[148:149], v[138:139]
	s_wait_loadcnt 0x2
	v_fmac_f64_e32 v[168:169], v[134:135], v[140:141]
	s_wait_dscnt 0x0
	s_delay_alu instid0(VALU_DEP_1) | instskip(SKIP_4) | instid1(VALU_DEP_1)
	v_fmac_f64_e32 v[168:169], v[136:137], v[142:143]
	ds_load_b128 v[134:137], v2 offset:1008
	s_wait_loadcnt 0x0
	v_fmac_f64_e32 v[168:169], v[150:151], v[144:145]
	s_wait_dscnt 0x0
	v_fmac_f64_e32 v[168:169], v[152:153], v[134:135]
	s_delay_alu instid0(VALU_DEP_1) | instskip(NEXT) | instid1(VALU_DEP_1)
	v_fmac_f64_e32 v[168:169], v[160:161], v[136:137]
	v_add_f64_e64 v[2:3], v[132:133], -v[168:169]
	scratch_store_b64 off, v[2:3], off offset:264
	s_wait_xcnt 0x0
	v_cmpx_lt_u32_e32 32, v0
	s_cbranch_execz .LBB63_329
; %bb.328:
	scratch_load_b64 v[2:3], off, off offset:256
	v_mov_b64_e32 v[132:133], 0
	scratch_store_b64 off, v[132:133], off offset:256
	s_wait_loadcnt 0x0
	ds_store_b64 v1, v[2:3]
.LBB63_329:
	s_wait_xcnt 0x0
	s_or_b32 exec_lo, exec_lo, s0
	s_wait_storecnt_dscnt 0x0
	s_barrier_signal -1
	s_barrier_wait -1
	s_clause 0x5
	scratch_load_b128 v[132:135], off, off offset:256
	scratch_load_b128 v[136:139], off, off offset:272
	;; [unrolled: 1-line block ×6, first 2 shown]
	v_mov_b32_e32 v2, 0
	ds_load_2addr_b64 v[156:159], v2 offset0:97 offset1:98
	ds_load_2addr_b64 v[160:163], v2 offset0:99 offset1:100
	scratch_load_b128 v[164:167], off, off offset:352
	s_mov_b32 s0, exec_lo
	s_wait_loadcnt_dscnt 0x601
	v_fma_f64 v[168:169], v[134:135], v[156:157], 0
	s_wait_loadcnt 0x5
	s_delay_alu instid0(VALU_DEP_1) | instskip(SKIP_4) | instid1(VALU_DEP_1)
	v_fmac_f64_e32 v[168:169], v[136:137], v[158:159]
	scratch_load_b128 v[134:137], off, off offset:368
	s_wait_dscnt 0x0
	v_fmac_f64_e32 v[168:169], v[138:139], v[160:161]
	s_wait_loadcnt 0x5
	v_fmac_f64_e32 v[168:169], v[140:141], v[162:163]
	ds_load_2addr_b64 v[138:141], v2 offset0:101 offset1:102
	ds_load_2addr_b64 v[156:159], v2 offset0:103 offset1:104
	scratch_load_b128 v[160:163], off, off offset:384
	s_wait_dscnt 0x1
	v_fmac_f64_e32 v[168:169], v[142:143], v[138:139]
	s_wait_loadcnt 0x5
	s_delay_alu instid0(VALU_DEP_1) | instskip(SKIP_4) | instid1(VALU_DEP_1)
	v_fmac_f64_e32 v[168:169], v[144:145], v[140:141]
	scratch_load_b128 v[138:141], off, off offset:400
	s_wait_dscnt 0x0
	v_fmac_f64_e32 v[168:169], v[146:147], v[156:157]
	s_wait_loadcnt 0x5
	v_fmac_f64_e32 v[168:169], v[148:149], v[158:159]
	ds_load_2addr_b64 v[142:145], v2 offset0:105 offset1:106
	ds_load_2addr_b64 v[146:149], v2 offset0:107 offset1:108
	scratch_load_b128 v[156:159], off, off offset:416
	s_wait_dscnt 0x1
	v_fmac_f64_e32 v[168:169], v[150:151], v[142:143]
	s_wait_loadcnt 0x5
	s_delay_alu instid0(VALU_DEP_1) | instskip(SKIP_4) | instid1(VALU_DEP_1)
	v_fmac_f64_e32 v[168:169], v[152:153], v[144:145]
	scratch_load_b128 v[142:145], off, off offset:432
	s_wait_dscnt 0x0
	v_fmac_f64_e32 v[168:169], v[154:155], v[146:147]
	s_wait_loadcnt 0x5
	v_fmac_f64_e32 v[168:169], v[164:165], v[148:149]
	ds_load_2addr_b64 v[146:149], v2 offset0:109 offset1:110
	ds_load_2addr_b64 v[150:153], v2 offset0:111 offset1:112
	s_wait_dscnt 0x1
	v_fmac_f64_e32 v[168:169], v[166:167], v[146:147]
	s_wait_loadcnt 0x4
	s_delay_alu instid0(VALU_DEP_1)
	v_fmac_f64_e32 v[168:169], v[134:135], v[148:149]
	scratch_load_b128 v[146:149], off, off offset:448
	s_wait_dscnt 0x0
	v_fmac_f64_e32 v[168:169], v[136:137], v[150:151]
	scratch_load_b128 v[134:137], off, off offset:464
	s_wait_loadcnt 0x5
	v_fmac_f64_e32 v[168:169], v[160:161], v[152:153]
	ds_load_2addr_b64 v[150:153], v2 offset0:113 offset1:114
	ds_load_2addr_b64 v[164:167], v2 offset0:115 offset1:116
	s_wait_dscnt 0x1
	v_fmac_f64_e32 v[168:169], v[162:163], v[150:151]
	s_wait_loadcnt 0x4
	s_delay_alu instid0(VALU_DEP_1)
	v_fmac_f64_e32 v[168:169], v[138:139], v[152:153]
	scratch_load_b128 v[150:153], off, off offset:480
	s_wait_dscnt 0x0
	v_fmac_f64_e32 v[168:169], v[140:141], v[164:165]
	scratch_load_b128 v[138:141], off, off offset:496
	s_wait_loadcnt 0x5
	v_fmac_f64_e32 v[168:169], v[156:157], v[166:167]
	ds_load_2addr_b64 v[154:157], v2 offset0:117 offset1:118
	ds_load_2addr_b64 v[160:163], v2 offset0:119 offset1:120
	s_wait_dscnt 0x1
	v_fmac_f64_e32 v[168:169], v[158:159], v[154:155]
	s_wait_loadcnt 0x4
	s_delay_alu instid0(VALU_DEP_1) | instskip(SKIP_1) | instid1(VALU_DEP_1)
	v_fmac_f64_e32 v[168:169], v[142:143], v[156:157]
	s_wait_dscnt 0x0
	v_fmac_f64_e32 v[168:169], v[144:145], v[160:161]
	ds_load_2addr_b64 v[142:145], v2 offset0:121 offset1:122
	ds_load_2addr_b64 v[154:157], v2 offset0:123 offset1:124
	s_wait_loadcnt 0x3
	v_fmac_f64_e32 v[168:169], v[146:147], v[162:163]
	s_wait_dscnt 0x1
	s_delay_alu instid0(VALU_DEP_1) | instskip(SKIP_1) | instid1(VALU_DEP_1)
	v_fmac_f64_e32 v[168:169], v[148:149], v[142:143]
	s_wait_loadcnt 0x2
	v_fmac_f64_e32 v[168:169], v[134:135], v[144:145]
	s_wait_dscnt 0x0
	s_delay_alu instid0(VALU_DEP_1)
	v_fmac_f64_e32 v[168:169], v[136:137], v[154:155]
	ds_load_2addr_b64 v[134:137], v2 offset0:125 offset1:126
	ds_load_b64 v[142:143], v2 offset:1016
	s_wait_loadcnt 0x1
	v_fmac_f64_e32 v[168:169], v[150:151], v[156:157]
	s_wait_dscnt 0x1
	s_delay_alu instid0(VALU_DEP_1) | instskip(SKIP_1) | instid1(VALU_DEP_1)
	v_fmac_f64_e32 v[168:169], v[152:153], v[134:135]
	s_wait_loadcnt 0x0
	v_fmac_f64_e32 v[168:169], v[138:139], v[136:137]
	s_wait_dscnt 0x0
	s_delay_alu instid0(VALU_DEP_1) | instskip(NEXT) | instid1(VALU_DEP_1)
	v_fmac_f64_e32 v[168:169], v[140:141], v[142:143]
	v_add_f64_e64 v[132:133], v[132:133], -v[168:169]
	scratch_store_b64 off, v[132:133], off offset:256
	s_wait_xcnt 0x0
	v_cmpx_lt_u32_e32 31, v0
	s_cbranch_execz .LBB63_331
; %bb.330:
	scratch_load_b64 v[132:133], off, off offset:248
	v_mov_b64_e32 v[134:135], 0
	scratch_store_b64 off, v[134:135], off offset:248
	s_wait_loadcnt 0x0
	ds_store_b64 v1, v[132:133]
.LBB63_331:
	s_wait_xcnt 0x0
	s_or_b32 exec_lo, exec_lo, s0
	s_wait_storecnt_dscnt 0x0
	s_barrier_signal -1
	s_barrier_wait -1
	s_clause 0x5
	scratch_load_b128 v[132:135], off, off offset:248
	scratch_load_b128 v[136:139], off, off offset:264
	;; [unrolled: 1-line block ×6, first 2 shown]
	ds_load_b128 v[156:159], v2 offset:768
	ds_load_b128 v[160:163], v2 offset:784
	scratch_load_b128 v[164:167], off, off offset:344
	s_mov_b32 s0, exec_lo
	s_wait_loadcnt_dscnt 0x601
	v_fma_f64 v[168:169], v[134:135], v[156:157], 0
	s_wait_loadcnt 0x5
	s_delay_alu instid0(VALU_DEP_1) | instskip(SKIP_4) | instid1(VALU_DEP_1)
	v_fmac_f64_e32 v[168:169], v[136:137], v[158:159]
	scratch_load_b128 v[134:137], off, off offset:360
	s_wait_dscnt 0x0
	v_fmac_f64_e32 v[168:169], v[138:139], v[160:161]
	s_wait_loadcnt 0x5
	v_fmac_f64_e32 v[168:169], v[140:141], v[162:163]
	ds_load_b128 v[138:141], v2 offset:800
	ds_load_b128 v[156:159], v2 offset:816
	scratch_load_b128 v[160:163], off, off offset:376
	s_wait_dscnt 0x1
	v_fmac_f64_e32 v[168:169], v[142:143], v[138:139]
	s_wait_loadcnt 0x5
	s_delay_alu instid0(VALU_DEP_1) | instskip(SKIP_4) | instid1(VALU_DEP_1)
	v_fmac_f64_e32 v[168:169], v[144:145], v[140:141]
	scratch_load_b128 v[138:141], off, off offset:392
	s_wait_dscnt 0x0
	v_fmac_f64_e32 v[168:169], v[146:147], v[156:157]
	s_wait_loadcnt 0x5
	v_fmac_f64_e32 v[168:169], v[148:149], v[158:159]
	ds_load_b128 v[142:145], v2 offset:832
	ds_load_b128 v[146:149], v2 offset:848
	scratch_load_b128 v[156:159], off, off offset:408
	s_wait_dscnt 0x1
	v_fmac_f64_e32 v[168:169], v[150:151], v[142:143]
	s_wait_loadcnt 0x5
	s_delay_alu instid0(VALU_DEP_1) | instskip(SKIP_4) | instid1(VALU_DEP_1)
	v_fmac_f64_e32 v[168:169], v[152:153], v[144:145]
	scratch_load_b128 v[142:145], off, off offset:424
	s_wait_dscnt 0x0
	v_fmac_f64_e32 v[168:169], v[154:155], v[146:147]
	s_wait_loadcnt 0x5
	v_fmac_f64_e32 v[168:169], v[164:165], v[148:149]
	ds_load_b128 v[146:149], v2 offset:864
	ds_load_b128 v[150:153], v2 offset:880
	s_wait_dscnt 0x1
	v_fmac_f64_e32 v[168:169], v[166:167], v[146:147]
	s_wait_loadcnt 0x4
	s_delay_alu instid0(VALU_DEP_1)
	v_fmac_f64_e32 v[168:169], v[134:135], v[148:149]
	scratch_load_b128 v[146:149], off, off offset:440
	s_wait_dscnt 0x0
	v_fmac_f64_e32 v[168:169], v[136:137], v[150:151]
	scratch_load_b128 v[134:137], off, off offset:456
	s_wait_loadcnt 0x5
	v_fmac_f64_e32 v[168:169], v[160:161], v[152:153]
	ds_load_b128 v[150:153], v2 offset:896
	ds_load_b128 v[164:167], v2 offset:912
	s_wait_dscnt 0x1
	v_fmac_f64_e32 v[168:169], v[162:163], v[150:151]
	s_wait_loadcnt 0x4
	s_delay_alu instid0(VALU_DEP_1)
	v_fmac_f64_e32 v[168:169], v[138:139], v[152:153]
	scratch_load_b128 v[150:153], off, off offset:472
	s_wait_dscnt 0x0
	v_fmac_f64_e32 v[168:169], v[140:141], v[164:165]
	scratch_load_b128 v[138:141], off, off offset:488
	s_wait_loadcnt 0x5
	v_fmac_f64_e32 v[168:169], v[156:157], v[166:167]
	ds_load_b128 v[154:157], v2 offset:928
	ds_load_b128 v[160:163], v2 offset:944
	s_wait_dscnt 0x1
	v_fmac_f64_e32 v[168:169], v[158:159], v[154:155]
	scratch_load_b64 v[158:159], off, off offset:504
	s_wait_loadcnt 0x5
	v_fmac_f64_e32 v[168:169], v[142:143], v[156:157]
	s_wait_dscnt 0x0
	s_delay_alu instid0(VALU_DEP_1)
	v_fmac_f64_e32 v[168:169], v[144:145], v[160:161]
	ds_load_b128 v[142:145], v2 offset:960
	ds_load_b128 v[154:157], v2 offset:976
	s_wait_loadcnt 0x4
	v_fmac_f64_e32 v[168:169], v[146:147], v[162:163]
	s_wait_dscnt 0x1
	s_delay_alu instid0(VALU_DEP_1) | instskip(SKIP_1) | instid1(VALU_DEP_1)
	v_fmac_f64_e32 v[168:169], v[148:149], v[142:143]
	s_wait_loadcnt 0x3
	v_fmac_f64_e32 v[168:169], v[134:135], v[144:145]
	s_wait_dscnt 0x0
	s_delay_alu instid0(VALU_DEP_1)
	v_fmac_f64_e32 v[168:169], v[136:137], v[154:155]
	ds_load_b128 v[134:137], v2 offset:992
	ds_load_b128 v[142:145], v2 offset:1008
	s_wait_loadcnt 0x2
	v_fmac_f64_e32 v[168:169], v[150:151], v[156:157]
	s_wait_dscnt 0x1
	s_delay_alu instid0(VALU_DEP_1) | instskip(SKIP_1) | instid1(VALU_DEP_1)
	v_fmac_f64_e32 v[168:169], v[152:153], v[134:135]
	s_wait_loadcnt 0x1
	v_fmac_f64_e32 v[168:169], v[138:139], v[136:137]
	s_wait_dscnt 0x0
	s_delay_alu instid0(VALU_DEP_1) | instskip(SKIP_1) | instid1(VALU_DEP_1)
	v_fmac_f64_e32 v[168:169], v[140:141], v[142:143]
	s_wait_loadcnt 0x0
	v_fmac_f64_e32 v[168:169], v[158:159], v[144:145]
	s_delay_alu instid0(VALU_DEP_1)
	v_add_f64_e64 v[2:3], v[132:133], -v[168:169]
	scratch_store_b64 off, v[2:3], off offset:248
	s_wait_xcnt 0x0
	v_cmpx_lt_u32_e32 30, v0
	s_cbranch_execz .LBB63_333
; %bb.332:
	scratch_load_b64 v[2:3], off, off offset:240
	v_mov_b64_e32 v[132:133], 0
	scratch_store_b64 off, v[132:133], off offset:240
	s_wait_loadcnt 0x0
	ds_store_b64 v1, v[2:3]
.LBB63_333:
	s_wait_xcnt 0x0
	s_or_b32 exec_lo, exec_lo, s0
	s_wait_storecnt_dscnt 0x0
	s_barrier_signal -1
	s_barrier_wait -1
	s_clause 0x5
	scratch_load_b128 v[132:135], off, off offset:240
	scratch_load_b128 v[136:139], off, off offset:256
	;; [unrolled: 1-line block ×6, first 2 shown]
	v_mov_b32_e32 v2, 0
	ds_load_2addr_b64 v[156:159], v2 offset0:95 offset1:96
	ds_load_2addr_b64 v[160:163], v2 offset0:97 offset1:98
	scratch_load_b128 v[164:167], off, off offset:336
	s_mov_b32 s0, exec_lo
	s_wait_loadcnt_dscnt 0x601
	v_fma_f64 v[168:169], v[134:135], v[156:157], 0
	s_wait_loadcnt 0x5
	s_delay_alu instid0(VALU_DEP_1) | instskip(SKIP_4) | instid1(VALU_DEP_1)
	v_fmac_f64_e32 v[168:169], v[136:137], v[158:159]
	scratch_load_b128 v[134:137], off, off offset:352
	s_wait_dscnt 0x0
	v_fmac_f64_e32 v[168:169], v[138:139], v[160:161]
	s_wait_loadcnt 0x5
	v_fmac_f64_e32 v[168:169], v[140:141], v[162:163]
	ds_load_2addr_b64 v[138:141], v2 offset0:99 offset1:100
	ds_load_2addr_b64 v[156:159], v2 offset0:101 offset1:102
	scratch_load_b128 v[160:163], off, off offset:368
	s_wait_dscnt 0x1
	v_fmac_f64_e32 v[168:169], v[142:143], v[138:139]
	s_wait_loadcnt 0x5
	s_delay_alu instid0(VALU_DEP_1) | instskip(SKIP_4) | instid1(VALU_DEP_1)
	v_fmac_f64_e32 v[168:169], v[144:145], v[140:141]
	scratch_load_b128 v[138:141], off, off offset:384
	s_wait_dscnt 0x0
	v_fmac_f64_e32 v[168:169], v[146:147], v[156:157]
	s_wait_loadcnt 0x5
	v_fmac_f64_e32 v[168:169], v[148:149], v[158:159]
	ds_load_2addr_b64 v[142:145], v2 offset0:103 offset1:104
	ds_load_2addr_b64 v[146:149], v2 offset0:105 offset1:106
	scratch_load_b128 v[156:159], off, off offset:400
	s_wait_dscnt 0x1
	v_fmac_f64_e32 v[168:169], v[150:151], v[142:143]
	s_wait_loadcnt 0x5
	s_delay_alu instid0(VALU_DEP_1) | instskip(SKIP_4) | instid1(VALU_DEP_1)
	v_fmac_f64_e32 v[168:169], v[152:153], v[144:145]
	scratch_load_b128 v[142:145], off, off offset:416
	s_wait_dscnt 0x0
	v_fmac_f64_e32 v[168:169], v[154:155], v[146:147]
	s_wait_loadcnt 0x5
	v_fmac_f64_e32 v[168:169], v[164:165], v[148:149]
	ds_load_2addr_b64 v[146:149], v2 offset0:107 offset1:108
	ds_load_2addr_b64 v[150:153], v2 offset0:109 offset1:110
	s_wait_dscnt 0x1
	v_fmac_f64_e32 v[168:169], v[166:167], v[146:147]
	s_wait_loadcnt 0x4
	s_delay_alu instid0(VALU_DEP_1)
	v_fmac_f64_e32 v[168:169], v[134:135], v[148:149]
	scratch_load_b128 v[146:149], off, off offset:432
	s_wait_dscnt 0x0
	v_fmac_f64_e32 v[168:169], v[136:137], v[150:151]
	scratch_load_b128 v[134:137], off, off offset:448
	s_wait_loadcnt 0x5
	v_fmac_f64_e32 v[168:169], v[160:161], v[152:153]
	ds_load_2addr_b64 v[150:153], v2 offset0:111 offset1:112
	ds_load_2addr_b64 v[164:167], v2 offset0:113 offset1:114
	s_wait_dscnt 0x1
	v_fmac_f64_e32 v[168:169], v[162:163], v[150:151]
	s_wait_loadcnt 0x4
	s_delay_alu instid0(VALU_DEP_1)
	v_fmac_f64_e32 v[168:169], v[138:139], v[152:153]
	scratch_load_b128 v[150:153], off, off offset:464
	s_wait_dscnt 0x0
	v_fmac_f64_e32 v[168:169], v[140:141], v[164:165]
	scratch_load_b128 v[138:141], off, off offset:480
	s_wait_loadcnt 0x5
	v_fmac_f64_e32 v[168:169], v[156:157], v[166:167]
	ds_load_2addr_b64 v[154:157], v2 offset0:115 offset1:116
	ds_load_2addr_b64 v[160:163], v2 offset0:117 offset1:118
	s_wait_dscnt 0x1
	v_fmac_f64_e32 v[168:169], v[158:159], v[154:155]
	s_wait_loadcnt 0x4
	s_delay_alu instid0(VALU_DEP_1)
	v_fmac_f64_e32 v[168:169], v[142:143], v[156:157]
	scratch_load_b128 v[154:157], off, off offset:496
	s_wait_dscnt 0x0
	v_fmac_f64_e32 v[168:169], v[144:145], v[160:161]
	ds_load_2addr_b64 v[142:145], v2 offset0:119 offset1:120
	ds_load_2addr_b64 v[158:161], v2 offset0:121 offset1:122
	s_wait_loadcnt 0x4
	v_fmac_f64_e32 v[168:169], v[146:147], v[162:163]
	s_wait_dscnt 0x1
	s_delay_alu instid0(VALU_DEP_1) | instskip(SKIP_1) | instid1(VALU_DEP_1)
	v_fmac_f64_e32 v[168:169], v[148:149], v[142:143]
	s_wait_loadcnt 0x3
	v_fmac_f64_e32 v[168:169], v[134:135], v[144:145]
	s_wait_dscnt 0x0
	s_delay_alu instid0(VALU_DEP_1)
	v_fmac_f64_e32 v[168:169], v[136:137], v[158:159]
	ds_load_2addr_b64 v[134:137], v2 offset0:123 offset1:124
	ds_load_2addr_b64 v[142:145], v2 offset0:125 offset1:126
	s_wait_loadcnt 0x2
	v_fmac_f64_e32 v[168:169], v[150:151], v[160:161]
	s_wait_dscnt 0x1
	s_delay_alu instid0(VALU_DEP_1) | instskip(SKIP_4) | instid1(VALU_DEP_1)
	v_fmac_f64_e32 v[168:169], v[152:153], v[134:135]
	ds_load_b64 v[134:135], v2 offset:1016
	s_wait_loadcnt 0x1
	v_fmac_f64_e32 v[168:169], v[138:139], v[136:137]
	s_wait_dscnt 0x1
	v_fmac_f64_e32 v[168:169], v[140:141], v[142:143]
	s_wait_loadcnt 0x0
	s_delay_alu instid0(VALU_DEP_1) | instskip(SKIP_1) | instid1(VALU_DEP_1)
	v_fmac_f64_e32 v[168:169], v[154:155], v[144:145]
	s_wait_dscnt 0x0
	v_fmac_f64_e32 v[168:169], v[156:157], v[134:135]
	s_delay_alu instid0(VALU_DEP_1)
	v_add_f64_e64 v[132:133], v[132:133], -v[168:169]
	scratch_store_b64 off, v[132:133], off offset:240
	s_wait_xcnt 0x0
	v_cmpx_lt_u32_e32 29, v0
	s_cbranch_execz .LBB63_335
; %bb.334:
	scratch_load_b64 v[132:133], off, off offset:232
	v_mov_b64_e32 v[134:135], 0
	scratch_store_b64 off, v[134:135], off offset:232
	s_wait_loadcnt 0x0
	ds_store_b64 v1, v[132:133]
.LBB63_335:
	s_wait_xcnt 0x0
	s_or_b32 exec_lo, exec_lo, s0
	s_wait_storecnt_dscnt 0x0
	s_barrier_signal -1
	s_barrier_wait -1
	s_clause 0x5
	scratch_load_b128 v[132:135], off, off offset:232
	scratch_load_b128 v[136:139], off, off offset:248
	;; [unrolled: 1-line block ×6, first 2 shown]
	ds_load_b128 v[156:159], v2 offset:752
	ds_load_b128 v[160:163], v2 offset:768
	scratch_load_b128 v[164:167], off, off offset:328
	s_mov_b32 s0, exec_lo
	s_wait_loadcnt_dscnt 0x601
	v_fma_f64 v[168:169], v[134:135], v[156:157], 0
	s_wait_loadcnt 0x5
	s_delay_alu instid0(VALU_DEP_1) | instskip(SKIP_4) | instid1(VALU_DEP_1)
	v_fmac_f64_e32 v[168:169], v[136:137], v[158:159]
	scratch_load_b128 v[134:137], off, off offset:344
	s_wait_dscnt 0x0
	v_fmac_f64_e32 v[168:169], v[138:139], v[160:161]
	s_wait_loadcnt 0x5
	v_fmac_f64_e32 v[168:169], v[140:141], v[162:163]
	ds_load_b128 v[138:141], v2 offset:784
	ds_load_b128 v[156:159], v2 offset:800
	scratch_load_b128 v[160:163], off, off offset:360
	s_wait_dscnt 0x1
	v_fmac_f64_e32 v[168:169], v[142:143], v[138:139]
	s_wait_loadcnt 0x5
	s_delay_alu instid0(VALU_DEP_1) | instskip(SKIP_4) | instid1(VALU_DEP_1)
	v_fmac_f64_e32 v[168:169], v[144:145], v[140:141]
	scratch_load_b128 v[138:141], off, off offset:376
	s_wait_dscnt 0x0
	v_fmac_f64_e32 v[168:169], v[146:147], v[156:157]
	s_wait_loadcnt 0x5
	v_fmac_f64_e32 v[168:169], v[148:149], v[158:159]
	ds_load_b128 v[142:145], v2 offset:816
	ds_load_b128 v[146:149], v2 offset:832
	scratch_load_b128 v[156:159], off, off offset:392
	s_wait_dscnt 0x1
	v_fmac_f64_e32 v[168:169], v[150:151], v[142:143]
	s_wait_loadcnt 0x5
	s_delay_alu instid0(VALU_DEP_1) | instskip(SKIP_4) | instid1(VALU_DEP_1)
	v_fmac_f64_e32 v[168:169], v[152:153], v[144:145]
	scratch_load_b128 v[142:145], off, off offset:408
	s_wait_dscnt 0x0
	v_fmac_f64_e32 v[168:169], v[154:155], v[146:147]
	s_wait_loadcnt 0x5
	v_fmac_f64_e32 v[168:169], v[164:165], v[148:149]
	ds_load_b128 v[146:149], v2 offset:848
	ds_load_b128 v[150:153], v2 offset:864
	s_wait_dscnt 0x1
	v_fmac_f64_e32 v[168:169], v[166:167], v[146:147]
	scratch_load_b128 v[164:167], off, off offset:424
	s_wait_loadcnt 0x5
	v_fmac_f64_e32 v[168:169], v[134:135], v[148:149]
	s_wait_dscnt 0x0
	s_delay_alu instid0(VALU_DEP_1)
	v_fmac_f64_e32 v[168:169], v[136:137], v[150:151]
	scratch_load_b128 v[134:137], off, off offset:440
	s_wait_loadcnt 0x5
	v_fmac_f64_e32 v[168:169], v[160:161], v[152:153]
	ds_load_b128 v[146:149], v2 offset:880
	ds_load_b128 v[150:153], v2 offset:896
	s_wait_dscnt 0x1
	v_fmac_f64_e32 v[168:169], v[162:163], v[146:147]
	s_wait_loadcnt 0x4
	s_delay_alu instid0(VALU_DEP_1)
	v_fmac_f64_e32 v[168:169], v[138:139], v[148:149]
	scratch_load_b128 v[146:149], off, off offset:456
	s_wait_dscnt 0x0
	v_fmac_f64_e32 v[168:169], v[140:141], v[150:151]
	scratch_load_b128 v[138:141], off, off offset:472
	s_wait_loadcnt 0x5
	v_fmac_f64_e32 v[168:169], v[156:157], v[152:153]
	ds_load_b128 v[150:153], v2 offset:912
	ds_load_b128 v[154:157], v2 offset:928
	s_wait_dscnt 0x1
	v_fmac_f64_e32 v[168:169], v[158:159], v[150:151]
	scratch_load_b64 v[158:159], off, off offset:504
	s_wait_loadcnt 0x5
	v_fmac_f64_e32 v[168:169], v[142:143], v[152:153]
	scratch_load_b128 v[150:153], off, off offset:488
	s_wait_dscnt 0x0
	v_fmac_f64_e32 v[168:169], v[144:145], v[154:155]
	s_wait_loadcnt 0x5
	s_delay_alu instid0(VALU_DEP_1)
	v_fmac_f64_e32 v[168:169], v[164:165], v[156:157]
	ds_load_b128 v[142:145], v2 offset:944
	ds_load_b128 v[154:157], v2 offset:960
	s_wait_dscnt 0x1
	v_fmac_f64_e32 v[168:169], v[166:167], v[142:143]
	s_wait_loadcnt 0x4
	s_delay_alu instid0(VALU_DEP_1) | instskip(SKIP_1) | instid1(VALU_DEP_1)
	v_fmac_f64_e32 v[168:169], v[134:135], v[144:145]
	s_wait_dscnt 0x0
	v_fmac_f64_e32 v[168:169], v[136:137], v[154:155]
	ds_load_b128 v[134:137], v2 offset:976
	ds_load_b128 v[142:145], v2 offset:992
	s_wait_loadcnt 0x3
	v_fmac_f64_e32 v[168:169], v[146:147], v[156:157]
	s_wait_dscnt 0x1
	s_delay_alu instid0(VALU_DEP_1) | instskip(SKIP_1) | instid1(VALU_DEP_1)
	v_fmac_f64_e32 v[168:169], v[148:149], v[134:135]
	s_wait_loadcnt 0x2
	v_fmac_f64_e32 v[168:169], v[138:139], v[136:137]
	ds_load_b128 v[134:137], v2 offset:1008
	s_wait_dscnt 0x1
	v_fmac_f64_e32 v[168:169], v[140:141], v[142:143]
	s_wait_loadcnt 0x0
	s_delay_alu instid0(VALU_DEP_1) | instskip(SKIP_1) | instid1(VALU_DEP_1)
	v_fmac_f64_e32 v[168:169], v[150:151], v[144:145]
	s_wait_dscnt 0x0
	v_fmac_f64_e32 v[168:169], v[152:153], v[134:135]
	s_delay_alu instid0(VALU_DEP_1) | instskip(NEXT) | instid1(VALU_DEP_1)
	v_fmac_f64_e32 v[168:169], v[158:159], v[136:137]
	v_add_f64_e64 v[2:3], v[132:133], -v[168:169]
	scratch_store_b64 off, v[2:3], off offset:232
	s_wait_xcnt 0x0
	v_cmpx_lt_u32_e32 28, v0
	s_cbranch_execz .LBB63_337
; %bb.336:
	scratch_load_b64 v[2:3], off, off offset:224
	v_mov_b64_e32 v[132:133], 0
	scratch_store_b64 off, v[132:133], off offset:224
	s_wait_loadcnt 0x0
	ds_store_b64 v1, v[2:3]
.LBB63_337:
	s_wait_xcnt 0x0
	s_or_b32 exec_lo, exec_lo, s0
	s_wait_storecnt_dscnt 0x0
	s_barrier_signal -1
	s_barrier_wait -1
	s_clause 0x5
	scratch_load_b128 v[132:135], off, off offset:224
	scratch_load_b128 v[136:139], off, off offset:240
	;; [unrolled: 1-line block ×6, first 2 shown]
	v_mov_b32_e32 v2, 0
	ds_load_2addr_b64 v[156:159], v2 offset0:93 offset1:94
	ds_load_2addr_b64 v[160:163], v2 offset0:95 offset1:96
	scratch_load_b128 v[164:167], off, off offset:320
	s_mov_b32 s0, exec_lo
	s_wait_loadcnt_dscnt 0x601
	v_fma_f64 v[168:169], v[134:135], v[156:157], 0
	s_wait_loadcnt 0x5
	s_delay_alu instid0(VALU_DEP_1) | instskip(SKIP_4) | instid1(VALU_DEP_1)
	v_fmac_f64_e32 v[168:169], v[136:137], v[158:159]
	scratch_load_b128 v[134:137], off, off offset:336
	s_wait_dscnt 0x0
	v_fmac_f64_e32 v[168:169], v[138:139], v[160:161]
	s_wait_loadcnt 0x5
	v_fmac_f64_e32 v[168:169], v[140:141], v[162:163]
	ds_load_2addr_b64 v[138:141], v2 offset0:97 offset1:98
	ds_load_2addr_b64 v[156:159], v2 offset0:99 offset1:100
	scratch_load_b128 v[160:163], off, off offset:352
	s_wait_dscnt 0x1
	v_fmac_f64_e32 v[168:169], v[142:143], v[138:139]
	s_wait_loadcnt 0x5
	s_delay_alu instid0(VALU_DEP_1) | instskip(SKIP_4) | instid1(VALU_DEP_1)
	v_fmac_f64_e32 v[168:169], v[144:145], v[140:141]
	scratch_load_b128 v[138:141], off, off offset:368
	s_wait_dscnt 0x0
	v_fmac_f64_e32 v[168:169], v[146:147], v[156:157]
	s_wait_loadcnt 0x5
	v_fmac_f64_e32 v[168:169], v[148:149], v[158:159]
	ds_load_2addr_b64 v[142:145], v2 offset0:101 offset1:102
	ds_load_2addr_b64 v[146:149], v2 offset0:103 offset1:104
	scratch_load_b128 v[156:159], off, off offset:384
	s_wait_dscnt 0x1
	v_fmac_f64_e32 v[168:169], v[150:151], v[142:143]
	s_wait_loadcnt 0x5
	s_delay_alu instid0(VALU_DEP_1) | instskip(SKIP_4) | instid1(VALU_DEP_1)
	v_fmac_f64_e32 v[168:169], v[152:153], v[144:145]
	scratch_load_b128 v[142:145], off, off offset:400
	s_wait_dscnt 0x0
	v_fmac_f64_e32 v[168:169], v[154:155], v[146:147]
	s_wait_loadcnt 0x5
	v_fmac_f64_e32 v[168:169], v[164:165], v[148:149]
	ds_load_2addr_b64 v[146:149], v2 offset0:105 offset1:106
	ds_load_2addr_b64 v[150:153], v2 offset0:107 offset1:108
	s_wait_dscnt 0x1
	v_fmac_f64_e32 v[168:169], v[166:167], v[146:147]
	scratch_load_b128 v[164:167], off, off offset:416
	s_wait_loadcnt 0x5
	v_fmac_f64_e32 v[168:169], v[134:135], v[148:149]
	s_wait_dscnt 0x0
	s_delay_alu instid0(VALU_DEP_1)
	v_fmac_f64_e32 v[168:169], v[136:137], v[150:151]
	scratch_load_b128 v[134:137], off, off offset:432
	s_wait_loadcnt 0x5
	v_fmac_f64_e32 v[168:169], v[160:161], v[152:153]
	ds_load_2addr_b64 v[146:149], v2 offset0:109 offset1:110
	ds_load_2addr_b64 v[150:153], v2 offset0:111 offset1:112
	s_wait_dscnt 0x1
	v_fmac_f64_e32 v[168:169], v[162:163], v[146:147]
	s_wait_loadcnt 0x4
	s_delay_alu instid0(VALU_DEP_1)
	v_fmac_f64_e32 v[168:169], v[138:139], v[148:149]
	scratch_load_b128 v[146:149], off, off offset:448
	s_wait_dscnt 0x0
	v_fmac_f64_e32 v[168:169], v[140:141], v[150:151]
	scratch_load_b128 v[138:141], off, off offset:464
	s_wait_loadcnt 0x5
	v_fmac_f64_e32 v[168:169], v[156:157], v[152:153]
	ds_load_2addr_b64 v[150:153], v2 offset0:113 offset1:114
	ds_load_2addr_b64 v[154:157], v2 offset0:115 offset1:116
	s_wait_dscnt 0x1
	v_fmac_f64_e32 v[168:169], v[158:159], v[150:151]
	s_wait_loadcnt 0x4
	s_delay_alu instid0(VALU_DEP_1)
	v_fmac_f64_e32 v[168:169], v[142:143], v[152:153]
	scratch_load_b128 v[150:153], off, off offset:480
	s_wait_dscnt 0x0
	v_fmac_f64_e32 v[168:169], v[144:145], v[154:155]
	scratch_load_b128 v[142:145], off, off offset:496
	s_wait_loadcnt 0x5
	v_fmac_f64_e32 v[168:169], v[164:165], v[156:157]
	ds_load_2addr_b64 v[154:157], v2 offset0:117 offset1:118
	ds_load_2addr_b64 v[158:161], v2 offset0:119 offset1:120
	s_wait_dscnt 0x1
	v_fmac_f64_e32 v[168:169], v[166:167], v[154:155]
	s_wait_loadcnt 0x4
	s_delay_alu instid0(VALU_DEP_1) | instskip(SKIP_1) | instid1(VALU_DEP_1)
	v_fmac_f64_e32 v[168:169], v[134:135], v[156:157]
	s_wait_dscnt 0x0
	v_fmac_f64_e32 v[168:169], v[136:137], v[158:159]
	ds_load_2addr_b64 v[134:137], v2 offset0:121 offset1:122
	ds_load_2addr_b64 v[154:157], v2 offset0:123 offset1:124
	s_wait_loadcnt 0x3
	v_fmac_f64_e32 v[168:169], v[146:147], v[160:161]
	s_wait_dscnt 0x1
	s_delay_alu instid0(VALU_DEP_1) | instskip(SKIP_1) | instid1(VALU_DEP_1)
	v_fmac_f64_e32 v[168:169], v[148:149], v[134:135]
	s_wait_loadcnt 0x2
	v_fmac_f64_e32 v[168:169], v[138:139], v[136:137]
	ds_load_2addr_b64 v[134:137], v2 offset0:125 offset1:126
	ds_load_b64 v[138:139], v2 offset:1016
	s_wait_dscnt 0x2
	v_fmac_f64_e32 v[168:169], v[140:141], v[154:155]
	s_wait_loadcnt 0x1
	s_delay_alu instid0(VALU_DEP_1) | instskip(SKIP_1) | instid1(VALU_DEP_1)
	v_fmac_f64_e32 v[168:169], v[150:151], v[156:157]
	s_wait_dscnt 0x1
	v_fmac_f64_e32 v[168:169], v[152:153], v[134:135]
	s_wait_loadcnt 0x0
	s_delay_alu instid0(VALU_DEP_1) | instskip(SKIP_1) | instid1(VALU_DEP_1)
	v_fmac_f64_e32 v[168:169], v[142:143], v[136:137]
	s_wait_dscnt 0x0
	v_fmac_f64_e32 v[168:169], v[144:145], v[138:139]
	s_delay_alu instid0(VALU_DEP_1)
	v_add_f64_e64 v[132:133], v[132:133], -v[168:169]
	scratch_store_b64 off, v[132:133], off offset:224
	s_wait_xcnt 0x0
	v_cmpx_lt_u32_e32 27, v0
	s_cbranch_execz .LBB63_339
; %bb.338:
	scratch_load_b64 v[132:133], off, off offset:216
	v_mov_b64_e32 v[134:135], 0
	scratch_store_b64 off, v[134:135], off offset:216
	s_wait_loadcnt 0x0
	ds_store_b64 v1, v[132:133]
.LBB63_339:
	s_wait_xcnt 0x0
	s_or_b32 exec_lo, exec_lo, s0
	s_wait_storecnt_dscnt 0x0
	s_barrier_signal -1
	s_barrier_wait -1
	s_clause 0x5
	scratch_load_b128 v[132:135], off, off offset:216
	scratch_load_b128 v[136:139], off, off offset:232
	;; [unrolled: 1-line block ×6, first 2 shown]
	ds_load_b128 v[156:159], v2 offset:736
	ds_load_b128 v[160:163], v2 offset:752
	scratch_load_b128 v[164:167], off, off offset:312
	s_mov_b32 s0, exec_lo
	s_wait_loadcnt_dscnt 0x601
	v_fma_f64 v[168:169], v[134:135], v[156:157], 0
	s_wait_loadcnt 0x5
	s_delay_alu instid0(VALU_DEP_1) | instskip(SKIP_4) | instid1(VALU_DEP_1)
	v_fmac_f64_e32 v[168:169], v[136:137], v[158:159]
	scratch_load_b128 v[134:137], off, off offset:328
	s_wait_dscnt 0x0
	v_fmac_f64_e32 v[168:169], v[138:139], v[160:161]
	s_wait_loadcnt 0x5
	v_fmac_f64_e32 v[168:169], v[140:141], v[162:163]
	ds_load_b128 v[138:141], v2 offset:768
	ds_load_b128 v[156:159], v2 offset:784
	scratch_load_b128 v[160:163], off, off offset:344
	s_wait_dscnt 0x1
	v_fmac_f64_e32 v[168:169], v[142:143], v[138:139]
	s_wait_loadcnt 0x5
	s_delay_alu instid0(VALU_DEP_1) | instskip(SKIP_4) | instid1(VALU_DEP_1)
	v_fmac_f64_e32 v[168:169], v[144:145], v[140:141]
	scratch_load_b128 v[138:141], off, off offset:360
	s_wait_dscnt 0x0
	v_fmac_f64_e32 v[168:169], v[146:147], v[156:157]
	s_wait_loadcnt 0x5
	v_fmac_f64_e32 v[168:169], v[148:149], v[158:159]
	ds_load_b128 v[142:145], v2 offset:800
	ds_load_b128 v[146:149], v2 offset:816
	scratch_load_b128 v[156:159], off, off offset:376
	s_wait_dscnt 0x1
	v_fmac_f64_e32 v[168:169], v[150:151], v[142:143]
	s_wait_loadcnt 0x5
	s_delay_alu instid0(VALU_DEP_1) | instskip(SKIP_4) | instid1(VALU_DEP_1)
	v_fmac_f64_e32 v[168:169], v[152:153], v[144:145]
	scratch_load_b128 v[142:145], off, off offset:392
	s_wait_dscnt 0x0
	v_fmac_f64_e32 v[168:169], v[154:155], v[146:147]
	s_wait_loadcnt 0x5
	v_fmac_f64_e32 v[168:169], v[164:165], v[148:149]
	ds_load_b128 v[146:149], v2 offset:832
	ds_load_b128 v[150:153], v2 offset:848
	s_wait_dscnt 0x1
	v_fmac_f64_e32 v[168:169], v[166:167], v[146:147]
	scratch_load_b128 v[164:167], off, off offset:408
	s_wait_loadcnt 0x5
	v_fmac_f64_e32 v[168:169], v[134:135], v[148:149]
	s_wait_dscnt 0x0
	s_delay_alu instid0(VALU_DEP_1)
	v_fmac_f64_e32 v[168:169], v[136:137], v[150:151]
	scratch_load_b128 v[134:137], off, off offset:424
	s_wait_loadcnt 0x5
	v_fmac_f64_e32 v[168:169], v[160:161], v[152:153]
	ds_load_b128 v[146:149], v2 offset:864
	ds_load_b128 v[150:153], v2 offset:880
	s_wait_dscnt 0x1
	v_fmac_f64_e32 v[168:169], v[162:163], v[146:147]
	s_wait_loadcnt 0x4
	s_delay_alu instid0(VALU_DEP_1)
	v_fmac_f64_e32 v[168:169], v[138:139], v[148:149]
	scratch_load_b128 v[146:149], off, off offset:440
	s_wait_dscnt 0x0
	v_fmac_f64_e32 v[168:169], v[140:141], v[150:151]
	scratch_load_b128 v[138:141], off, off offset:456
	s_wait_loadcnt 0x5
	v_fmac_f64_e32 v[168:169], v[156:157], v[152:153]
	ds_load_b128 v[150:153], v2 offset:896
	ds_load_b128 v[154:157], v2 offset:912
	s_wait_dscnt 0x1
	v_fmac_f64_e32 v[168:169], v[158:159], v[150:151]
	s_wait_loadcnt 0x4
	s_delay_alu instid0(VALU_DEP_1)
	v_fmac_f64_e32 v[168:169], v[142:143], v[152:153]
	scratch_load_b128 v[150:153], off, off offset:472
	s_wait_dscnt 0x0
	v_fmac_f64_e32 v[168:169], v[144:145], v[154:155]
	scratch_load_b128 v[142:145], off, off offset:488
	s_wait_loadcnt 0x5
	v_fmac_f64_e32 v[168:169], v[164:165], v[156:157]
	ds_load_b128 v[154:157], v2 offset:928
	ds_load_b128 v[158:161], v2 offset:944
	scratch_load_b64 v[162:163], off, off offset:504
	s_wait_dscnt 0x1
	v_fmac_f64_e32 v[168:169], v[166:167], v[154:155]
	s_wait_loadcnt 0x5
	s_delay_alu instid0(VALU_DEP_1) | instskip(SKIP_1) | instid1(VALU_DEP_1)
	v_fmac_f64_e32 v[168:169], v[134:135], v[156:157]
	s_wait_dscnt 0x0
	v_fmac_f64_e32 v[168:169], v[136:137], v[158:159]
	ds_load_b128 v[134:137], v2 offset:960
	ds_load_b128 v[154:157], v2 offset:976
	s_wait_loadcnt 0x4
	v_fmac_f64_e32 v[168:169], v[146:147], v[160:161]
	s_wait_dscnt 0x1
	s_delay_alu instid0(VALU_DEP_1) | instskip(SKIP_1) | instid1(VALU_DEP_1)
	v_fmac_f64_e32 v[168:169], v[148:149], v[134:135]
	s_wait_loadcnt 0x3
	v_fmac_f64_e32 v[168:169], v[138:139], v[136:137]
	s_wait_dscnt 0x0
	s_delay_alu instid0(VALU_DEP_1)
	v_fmac_f64_e32 v[168:169], v[140:141], v[154:155]
	ds_load_b128 v[134:137], v2 offset:992
	ds_load_b128 v[138:141], v2 offset:1008
	s_wait_loadcnt 0x2
	v_fmac_f64_e32 v[168:169], v[150:151], v[156:157]
	s_wait_dscnt 0x1
	s_delay_alu instid0(VALU_DEP_1) | instskip(SKIP_1) | instid1(VALU_DEP_1)
	v_fmac_f64_e32 v[168:169], v[152:153], v[134:135]
	s_wait_loadcnt 0x1
	v_fmac_f64_e32 v[168:169], v[142:143], v[136:137]
	s_wait_dscnt 0x0
	s_delay_alu instid0(VALU_DEP_1) | instskip(SKIP_1) | instid1(VALU_DEP_1)
	v_fmac_f64_e32 v[168:169], v[144:145], v[138:139]
	s_wait_loadcnt 0x0
	v_fmac_f64_e32 v[168:169], v[162:163], v[140:141]
	s_delay_alu instid0(VALU_DEP_1)
	v_add_f64_e64 v[2:3], v[132:133], -v[168:169]
	scratch_store_b64 off, v[2:3], off offset:216
	s_wait_xcnt 0x0
	v_cmpx_lt_u32_e32 26, v0
	s_cbranch_execz .LBB63_341
; %bb.340:
	scratch_load_b64 v[2:3], off, off offset:208
	v_mov_b64_e32 v[132:133], 0
	scratch_store_b64 off, v[132:133], off offset:208
	s_wait_loadcnt 0x0
	ds_store_b64 v1, v[2:3]
.LBB63_341:
	s_wait_xcnt 0x0
	s_or_b32 exec_lo, exec_lo, s0
	s_wait_storecnt_dscnt 0x0
	s_barrier_signal -1
	s_barrier_wait -1
	s_clause 0x5
	scratch_load_b128 v[132:135], off, off offset:208
	scratch_load_b128 v[136:139], off, off offset:224
	scratch_load_b128 v[140:143], off, off offset:240
	scratch_load_b128 v[144:147], off, off offset:256
	scratch_load_b128 v[148:151], off, off offset:272
	scratch_load_b128 v[152:155], off, off offset:288
	v_mov_b32_e32 v2, 0
	ds_load_2addr_b64 v[156:159], v2 offset0:91 offset1:92
	ds_load_2addr_b64 v[160:163], v2 offset0:93 offset1:94
	scratch_load_b128 v[164:167], off, off offset:304
	s_mov_b32 s0, exec_lo
	s_wait_loadcnt_dscnt 0x601
	v_fma_f64 v[168:169], v[134:135], v[156:157], 0
	s_wait_loadcnt 0x5
	s_delay_alu instid0(VALU_DEP_1) | instskip(SKIP_4) | instid1(VALU_DEP_1)
	v_fmac_f64_e32 v[168:169], v[136:137], v[158:159]
	scratch_load_b128 v[134:137], off, off offset:320
	s_wait_dscnt 0x0
	v_fmac_f64_e32 v[168:169], v[138:139], v[160:161]
	s_wait_loadcnt 0x5
	v_fmac_f64_e32 v[168:169], v[140:141], v[162:163]
	ds_load_2addr_b64 v[138:141], v2 offset0:95 offset1:96
	ds_load_2addr_b64 v[156:159], v2 offset0:97 offset1:98
	scratch_load_b128 v[160:163], off, off offset:336
	s_wait_dscnt 0x1
	v_fmac_f64_e32 v[168:169], v[142:143], v[138:139]
	s_wait_loadcnt 0x5
	s_delay_alu instid0(VALU_DEP_1) | instskip(SKIP_4) | instid1(VALU_DEP_1)
	v_fmac_f64_e32 v[168:169], v[144:145], v[140:141]
	scratch_load_b128 v[138:141], off, off offset:352
	s_wait_dscnt 0x0
	v_fmac_f64_e32 v[168:169], v[146:147], v[156:157]
	s_wait_loadcnt 0x5
	v_fmac_f64_e32 v[168:169], v[148:149], v[158:159]
	ds_load_2addr_b64 v[142:145], v2 offset0:99 offset1:100
	ds_load_2addr_b64 v[146:149], v2 offset0:101 offset1:102
	scratch_load_b128 v[156:159], off, off offset:368
	s_wait_dscnt 0x1
	v_fmac_f64_e32 v[168:169], v[150:151], v[142:143]
	s_wait_loadcnt 0x5
	s_delay_alu instid0(VALU_DEP_1) | instskip(SKIP_4) | instid1(VALU_DEP_1)
	v_fmac_f64_e32 v[168:169], v[152:153], v[144:145]
	scratch_load_b128 v[142:145], off, off offset:384
	s_wait_dscnt 0x0
	v_fmac_f64_e32 v[168:169], v[154:155], v[146:147]
	s_wait_loadcnt 0x5
	v_fmac_f64_e32 v[168:169], v[164:165], v[148:149]
	ds_load_2addr_b64 v[146:149], v2 offset0:103 offset1:104
	ds_load_2addr_b64 v[150:153], v2 offset0:105 offset1:106
	s_wait_dscnt 0x1
	v_fmac_f64_e32 v[168:169], v[166:167], v[146:147]
	scratch_load_b128 v[164:167], off, off offset:400
	s_wait_loadcnt 0x5
	v_fmac_f64_e32 v[168:169], v[134:135], v[148:149]
	s_wait_dscnt 0x0
	s_delay_alu instid0(VALU_DEP_1)
	v_fmac_f64_e32 v[168:169], v[136:137], v[150:151]
	scratch_load_b128 v[134:137], off, off offset:416
	s_wait_loadcnt 0x5
	v_fmac_f64_e32 v[168:169], v[160:161], v[152:153]
	ds_load_2addr_b64 v[146:149], v2 offset0:107 offset1:108
	ds_load_2addr_b64 v[150:153], v2 offset0:109 offset1:110
	s_wait_dscnt 0x1
	v_fmac_f64_e32 v[168:169], v[162:163], v[146:147]
	s_wait_loadcnt 0x4
	s_delay_alu instid0(VALU_DEP_1)
	v_fmac_f64_e32 v[168:169], v[138:139], v[148:149]
	scratch_load_b128 v[146:149], off, off offset:432
	s_wait_dscnt 0x0
	v_fmac_f64_e32 v[168:169], v[140:141], v[150:151]
	scratch_load_b128 v[138:141], off, off offset:448
	s_wait_loadcnt 0x5
	v_fmac_f64_e32 v[168:169], v[156:157], v[152:153]
	ds_load_2addr_b64 v[150:153], v2 offset0:111 offset1:112
	ds_load_2addr_b64 v[154:157], v2 offset0:113 offset1:114
	s_wait_dscnt 0x1
	v_fmac_f64_e32 v[168:169], v[158:159], v[150:151]
	s_wait_loadcnt 0x4
	s_delay_alu instid0(VALU_DEP_1)
	v_fmac_f64_e32 v[168:169], v[142:143], v[152:153]
	scratch_load_b128 v[150:153], off, off offset:464
	s_wait_dscnt 0x0
	v_fmac_f64_e32 v[168:169], v[144:145], v[154:155]
	scratch_load_b128 v[142:145], off, off offset:480
	s_wait_loadcnt 0x5
	v_fmac_f64_e32 v[168:169], v[164:165], v[156:157]
	ds_load_2addr_b64 v[154:157], v2 offset0:115 offset1:116
	ds_load_2addr_b64 v[158:161], v2 offset0:117 offset1:118
	s_wait_dscnt 0x1
	v_fmac_f64_e32 v[168:169], v[166:167], v[154:155]
	s_wait_loadcnt 0x4
	s_delay_alu instid0(VALU_DEP_1) | instskip(SKIP_4) | instid1(VALU_DEP_1)
	v_fmac_f64_e32 v[168:169], v[134:135], v[156:157]
	scratch_load_b128 v[154:157], off, off offset:496
	s_wait_dscnt 0x0
	v_fmac_f64_e32 v[168:169], v[136:137], v[158:159]
	s_wait_loadcnt 0x4
	v_fmac_f64_e32 v[168:169], v[146:147], v[160:161]
	ds_load_2addr_b64 v[134:137], v2 offset0:119 offset1:120
	ds_load_2addr_b64 v[158:161], v2 offset0:121 offset1:122
	s_wait_dscnt 0x1
	v_fmac_f64_e32 v[168:169], v[148:149], v[134:135]
	s_wait_loadcnt 0x3
	s_delay_alu instid0(VALU_DEP_1) | instskip(SKIP_1) | instid1(VALU_DEP_1)
	v_fmac_f64_e32 v[168:169], v[138:139], v[136:137]
	s_wait_dscnt 0x0
	v_fmac_f64_e32 v[168:169], v[140:141], v[158:159]
	ds_load_2addr_b64 v[134:137], v2 offset0:123 offset1:124
	ds_load_2addr_b64 v[138:141], v2 offset0:125 offset1:126
	s_wait_loadcnt 0x2
	v_fmac_f64_e32 v[168:169], v[150:151], v[160:161]
	s_wait_dscnt 0x1
	s_delay_alu instid0(VALU_DEP_1) | instskip(SKIP_4) | instid1(VALU_DEP_1)
	v_fmac_f64_e32 v[168:169], v[152:153], v[134:135]
	ds_load_b64 v[134:135], v2 offset:1016
	s_wait_loadcnt 0x1
	v_fmac_f64_e32 v[168:169], v[142:143], v[136:137]
	s_wait_dscnt 0x1
	v_fmac_f64_e32 v[168:169], v[144:145], v[138:139]
	s_wait_loadcnt 0x0
	s_delay_alu instid0(VALU_DEP_1) | instskip(SKIP_1) | instid1(VALU_DEP_1)
	v_fmac_f64_e32 v[168:169], v[154:155], v[140:141]
	s_wait_dscnt 0x0
	v_fmac_f64_e32 v[168:169], v[156:157], v[134:135]
	s_delay_alu instid0(VALU_DEP_1)
	v_add_f64_e64 v[132:133], v[132:133], -v[168:169]
	scratch_store_b64 off, v[132:133], off offset:208
	s_wait_xcnt 0x0
	v_cmpx_lt_u32_e32 25, v0
	s_cbranch_execz .LBB63_343
; %bb.342:
	scratch_load_b64 v[132:133], off, off offset:200
	v_mov_b64_e32 v[134:135], 0
	scratch_store_b64 off, v[134:135], off offset:200
	s_wait_loadcnt 0x0
	ds_store_b64 v1, v[132:133]
.LBB63_343:
	s_wait_xcnt 0x0
	s_or_b32 exec_lo, exec_lo, s0
	s_wait_storecnt_dscnt 0x0
	s_barrier_signal -1
	s_barrier_wait -1
	s_clause 0x5
	scratch_load_b128 v[132:135], off, off offset:200
	scratch_load_b128 v[136:139], off, off offset:216
	scratch_load_b128 v[140:143], off, off offset:232
	scratch_load_b128 v[144:147], off, off offset:248
	scratch_load_b128 v[148:151], off, off offset:264
	scratch_load_b128 v[152:155], off, off offset:280
	ds_load_b128 v[156:159], v2 offset:720
	ds_load_b128 v[160:163], v2 offset:736
	scratch_load_b128 v[164:167], off, off offset:296
	s_mov_b32 s0, exec_lo
	s_wait_loadcnt_dscnt 0x601
	v_fma_f64 v[168:169], v[134:135], v[156:157], 0
	s_wait_loadcnt 0x5
	s_delay_alu instid0(VALU_DEP_1) | instskip(SKIP_4) | instid1(VALU_DEP_1)
	v_fmac_f64_e32 v[168:169], v[136:137], v[158:159]
	scratch_load_b128 v[134:137], off, off offset:312
	s_wait_dscnt 0x0
	v_fmac_f64_e32 v[168:169], v[138:139], v[160:161]
	s_wait_loadcnt 0x5
	v_fmac_f64_e32 v[168:169], v[140:141], v[162:163]
	ds_load_b128 v[138:141], v2 offset:752
	ds_load_b128 v[156:159], v2 offset:768
	scratch_load_b128 v[160:163], off, off offset:328
	s_wait_dscnt 0x1
	v_fmac_f64_e32 v[168:169], v[142:143], v[138:139]
	s_wait_loadcnt 0x5
	s_delay_alu instid0(VALU_DEP_1) | instskip(SKIP_4) | instid1(VALU_DEP_1)
	v_fmac_f64_e32 v[168:169], v[144:145], v[140:141]
	scratch_load_b128 v[138:141], off, off offset:344
	s_wait_dscnt 0x0
	v_fmac_f64_e32 v[168:169], v[146:147], v[156:157]
	s_wait_loadcnt 0x5
	v_fmac_f64_e32 v[168:169], v[148:149], v[158:159]
	ds_load_b128 v[142:145], v2 offset:784
	ds_load_b128 v[146:149], v2 offset:800
	scratch_load_b128 v[156:159], off, off offset:360
	s_wait_dscnt 0x1
	v_fmac_f64_e32 v[168:169], v[150:151], v[142:143]
	s_wait_loadcnt 0x5
	s_delay_alu instid0(VALU_DEP_1) | instskip(SKIP_4) | instid1(VALU_DEP_1)
	v_fmac_f64_e32 v[168:169], v[152:153], v[144:145]
	scratch_load_b128 v[142:145], off, off offset:376
	s_wait_dscnt 0x0
	v_fmac_f64_e32 v[168:169], v[154:155], v[146:147]
	s_wait_loadcnt 0x5
	v_fmac_f64_e32 v[168:169], v[164:165], v[148:149]
	ds_load_b128 v[146:149], v2 offset:816
	ds_load_b128 v[150:153], v2 offset:832
	s_wait_dscnt 0x1
	v_fmac_f64_e32 v[168:169], v[166:167], v[146:147]
	scratch_load_b128 v[164:167], off, off offset:392
	s_wait_loadcnt 0x5
	v_fmac_f64_e32 v[168:169], v[134:135], v[148:149]
	s_wait_dscnt 0x0
	s_delay_alu instid0(VALU_DEP_1)
	v_fmac_f64_e32 v[168:169], v[136:137], v[150:151]
	scratch_load_b128 v[134:137], off, off offset:408
	s_wait_loadcnt 0x5
	v_fmac_f64_e32 v[168:169], v[160:161], v[152:153]
	ds_load_b128 v[146:149], v2 offset:848
	ds_load_b128 v[150:153], v2 offset:864
	s_wait_dscnt 0x1
	v_fmac_f64_e32 v[168:169], v[162:163], v[146:147]
	scratch_load_b128 v[160:163], off, off offset:424
	s_wait_loadcnt 0x5
	v_fmac_f64_e32 v[168:169], v[138:139], v[148:149]
	s_wait_dscnt 0x0
	s_delay_alu instid0(VALU_DEP_1)
	v_fmac_f64_e32 v[168:169], v[140:141], v[150:151]
	scratch_load_b128 v[138:141], off, off offset:440
	s_wait_loadcnt 0x5
	v_fmac_f64_e32 v[168:169], v[156:157], v[152:153]
	ds_load_b128 v[146:149], v2 offset:880
	ds_load_b128 v[150:153], v2 offset:896
	s_wait_dscnt 0x1
	v_fmac_f64_e32 v[168:169], v[158:159], v[146:147]
	s_wait_loadcnt 0x4
	s_delay_alu instid0(VALU_DEP_1)
	v_fmac_f64_e32 v[168:169], v[142:143], v[148:149]
	scratch_load_b128 v[146:149], off, off offset:456
	s_wait_dscnt 0x0
	v_fmac_f64_e32 v[168:169], v[144:145], v[150:151]
	scratch_load_b128 v[142:145], off, off offset:472
	s_wait_loadcnt 0x5
	v_fmac_f64_e32 v[168:169], v[164:165], v[152:153]
	ds_load_b128 v[150:153], v2 offset:912
	ds_load_b128 v[154:157], v2 offset:928
	scratch_load_b64 v[158:159], off, off offset:504
	s_wait_dscnt 0x1
	v_fmac_f64_e32 v[168:169], v[166:167], v[150:151]
	s_wait_loadcnt 0x5
	s_delay_alu instid0(VALU_DEP_1) | instskip(SKIP_4) | instid1(VALU_DEP_1)
	v_fmac_f64_e32 v[168:169], v[134:135], v[152:153]
	scratch_load_b128 v[150:153], off, off offset:488
	s_wait_dscnt 0x0
	v_fmac_f64_e32 v[168:169], v[136:137], v[154:155]
	s_wait_loadcnt 0x5
	v_fmac_f64_e32 v[168:169], v[160:161], v[156:157]
	ds_load_b128 v[134:137], v2 offset:944
	ds_load_b128 v[154:157], v2 offset:960
	s_wait_dscnt 0x1
	v_fmac_f64_e32 v[168:169], v[162:163], v[134:135]
	s_wait_loadcnt 0x4
	s_delay_alu instid0(VALU_DEP_1) | instskip(SKIP_1) | instid1(VALU_DEP_1)
	v_fmac_f64_e32 v[168:169], v[138:139], v[136:137]
	s_wait_dscnt 0x0
	v_fmac_f64_e32 v[168:169], v[140:141], v[154:155]
	ds_load_b128 v[134:137], v2 offset:976
	ds_load_b128 v[138:141], v2 offset:992
	s_wait_loadcnt 0x3
	v_fmac_f64_e32 v[168:169], v[146:147], v[156:157]
	s_wait_dscnt 0x1
	s_delay_alu instid0(VALU_DEP_1) | instskip(SKIP_1) | instid1(VALU_DEP_1)
	v_fmac_f64_e32 v[168:169], v[148:149], v[134:135]
	s_wait_loadcnt 0x2
	v_fmac_f64_e32 v[168:169], v[142:143], v[136:137]
	ds_load_b128 v[134:137], v2 offset:1008
	s_wait_dscnt 0x1
	v_fmac_f64_e32 v[168:169], v[144:145], v[138:139]
	s_wait_loadcnt 0x0
	s_delay_alu instid0(VALU_DEP_1) | instskip(SKIP_1) | instid1(VALU_DEP_1)
	v_fmac_f64_e32 v[168:169], v[150:151], v[140:141]
	s_wait_dscnt 0x0
	v_fmac_f64_e32 v[168:169], v[152:153], v[134:135]
	s_delay_alu instid0(VALU_DEP_1) | instskip(NEXT) | instid1(VALU_DEP_1)
	v_fmac_f64_e32 v[168:169], v[158:159], v[136:137]
	v_add_f64_e64 v[2:3], v[132:133], -v[168:169]
	scratch_store_b64 off, v[2:3], off offset:200
	s_wait_xcnt 0x0
	v_cmpx_lt_u32_e32 24, v0
	s_cbranch_execz .LBB63_345
; %bb.344:
	scratch_load_b64 v[2:3], off, off offset:192
	v_mov_b64_e32 v[132:133], 0
	scratch_store_b64 off, v[132:133], off offset:192
	s_wait_loadcnt 0x0
	ds_store_b64 v1, v[2:3]
.LBB63_345:
	s_wait_xcnt 0x0
	s_or_b32 exec_lo, exec_lo, s0
	s_wait_storecnt_dscnt 0x0
	s_barrier_signal -1
	s_barrier_wait -1
	s_clause 0x5
	scratch_load_b128 v[132:135], off, off offset:192
	scratch_load_b128 v[136:139], off, off offset:208
	;; [unrolled: 1-line block ×6, first 2 shown]
	v_mov_b32_e32 v2, 0
	ds_load_2addr_b64 v[156:159], v2 offset0:89 offset1:90
	ds_load_2addr_b64 v[160:163], v2 offset0:91 offset1:92
	scratch_load_b128 v[164:167], off, off offset:288
	s_mov_b32 s0, exec_lo
	s_wait_loadcnt_dscnt 0x601
	v_fma_f64 v[168:169], v[134:135], v[156:157], 0
	s_wait_loadcnt 0x5
	s_delay_alu instid0(VALU_DEP_1) | instskip(SKIP_4) | instid1(VALU_DEP_1)
	v_fmac_f64_e32 v[168:169], v[136:137], v[158:159]
	scratch_load_b128 v[134:137], off, off offset:304
	s_wait_dscnt 0x0
	v_fmac_f64_e32 v[168:169], v[138:139], v[160:161]
	s_wait_loadcnt 0x5
	v_fmac_f64_e32 v[168:169], v[140:141], v[162:163]
	ds_load_2addr_b64 v[138:141], v2 offset0:93 offset1:94
	ds_load_2addr_b64 v[156:159], v2 offset0:95 offset1:96
	scratch_load_b128 v[160:163], off, off offset:320
	s_wait_dscnt 0x1
	v_fmac_f64_e32 v[168:169], v[142:143], v[138:139]
	s_wait_loadcnt 0x5
	s_delay_alu instid0(VALU_DEP_1) | instskip(SKIP_4) | instid1(VALU_DEP_1)
	v_fmac_f64_e32 v[168:169], v[144:145], v[140:141]
	scratch_load_b128 v[138:141], off, off offset:336
	s_wait_dscnt 0x0
	v_fmac_f64_e32 v[168:169], v[146:147], v[156:157]
	s_wait_loadcnt 0x5
	v_fmac_f64_e32 v[168:169], v[148:149], v[158:159]
	ds_load_2addr_b64 v[142:145], v2 offset0:97 offset1:98
	ds_load_2addr_b64 v[146:149], v2 offset0:99 offset1:100
	scratch_load_b128 v[156:159], off, off offset:352
	s_wait_dscnt 0x1
	v_fmac_f64_e32 v[168:169], v[150:151], v[142:143]
	s_wait_loadcnt 0x5
	s_delay_alu instid0(VALU_DEP_1) | instskip(SKIP_4) | instid1(VALU_DEP_1)
	v_fmac_f64_e32 v[168:169], v[152:153], v[144:145]
	scratch_load_b128 v[142:145], off, off offset:368
	s_wait_dscnt 0x0
	v_fmac_f64_e32 v[168:169], v[154:155], v[146:147]
	s_wait_loadcnt 0x5
	v_fmac_f64_e32 v[168:169], v[164:165], v[148:149]
	ds_load_2addr_b64 v[146:149], v2 offset0:101 offset1:102
	ds_load_2addr_b64 v[150:153], v2 offset0:103 offset1:104
	s_wait_dscnt 0x1
	v_fmac_f64_e32 v[168:169], v[166:167], v[146:147]
	scratch_load_b128 v[164:167], off, off offset:384
	s_wait_loadcnt 0x5
	v_fmac_f64_e32 v[168:169], v[134:135], v[148:149]
	s_wait_dscnt 0x0
	s_delay_alu instid0(VALU_DEP_1)
	v_fmac_f64_e32 v[168:169], v[136:137], v[150:151]
	scratch_load_b128 v[134:137], off, off offset:400
	s_wait_loadcnt 0x5
	v_fmac_f64_e32 v[168:169], v[160:161], v[152:153]
	ds_load_2addr_b64 v[146:149], v2 offset0:105 offset1:106
	ds_load_2addr_b64 v[150:153], v2 offset0:107 offset1:108
	s_wait_dscnt 0x1
	v_fmac_f64_e32 v[168:169], v[162:163], v[146:147]
	scratch_load_b128 v[160:163], off, off offset:416
	s_wait_loadcnt 0x5
	v_fmac_f64_e32 v[168:169], v[138:139], v[148:149]
	s_wait_dscnt 0x0
	s_delay_alu instid0(VALU_DEP_1)
	v_fmac_f64_e32 v[168:169], v[140:141], v[150:151]
	scratch_load_b128 v[138:141], off, off offset:432
	s_wait_loadcnt 0x5
	v_fmac_f64_e32 v[168:169], v[156:157], v[152:153]
	ds_load_2addr_b64 v[146:149], v2 offset0:109 offset1:110
	ds_load_2addr_b64 v[150:153], v2 offset0:111 offset1:112
	s_wait_dscnt 0x1
	v_fmac_f64_e32 v[168:169], v[158:159], v[146:147]
	s_wait_loadcnt 0x4
	s_delay_alu instid0(VALU_DEP_1)
	v_fmac_f64_e32 v[168:169], v[142:143], v[148:149]
	scratch_load_b128 v[146:149], off, off offset:448
	s_wait_dscnt 0x0
	v_fmac_f64_e32 v[168:169], v[144:145], v[150:151]
	scratch_load_b128 v[142:145], off, off offset:464
	s_wait_loadcnt 0x5
	v_fmac_f64_e32 v[168:169], v[164:165], v[152:153]
	ds_load_2addr_b64 v[150:153], v2 offset0:113 offset1:114
	ds_load_2addr_b64 v[154:157], v2 offset0:115 offset1:116
	s_wait_dscnt 0x1
	v_fmac_f64_e32 v[168:169], v[166:167], v[150:151]
	s_wait_loadcnt 0x4
	s_delay_alu instid0(VALU_DEP_1)
	v_fmac_f64_e32 v[168:169], v[134:135], v[152:153]
	scratch_load_b128 v[150:153], off, off offset:480
	s_wait_dscnt 0x0
	v_fmac_f64_e32 v[168:169], v[136:137], v[154:155]
	scratch_load_b128 v[134:137], off, off offset:496
	s_wait_loadcnt 0x5
	v_fmac_f64_e32 v[168:169], v[160:161], v[156:157]
	ds_load_2addr_b64 v[154:157], v2 offset0:117 offset1:118
	ds_load_2addr_b64 v[158:161], v2 offset0:119 offset1:120
	s_wait_dscnt 0x1
	v_fmac_f64_e32 v[168:169], v[162:163], v[154:155]
	s_wait_loadcnt 0x4
	s_delay_alu instid0(VALU_DEP_1) | instskip(SKIP_1) | instid1(VALU_DEP_1)
	v_fmac_f64_e32 v[168:169], v[138:139], v[156:157]
	s_wait_dscnt 0x0
	v_fmac_f64_e32 v[168:169], v[140:141], v[158:159]
	ds_load_2addr_b64 v[138:141], v2 offset0:121 offset1:122
	ds_load_2addr_b64 v[154:157], v2 offset0:123 offset1:124
	s_wait_loadcnt 0x3
	v_fmac_f64_e32 v[168:169], v[146:147], v[160:161]
	s_wait_dscnt 0x1
	s_delay_alu instid0(VALU_DEP_1) | instskip(SKIP_1) | instid1(VALU_DEP_1)
	v_fmac_f64_e32 v[168:169], v[148:149], v[138:139]
	s_wait_loadcnt 0x2
	v_fmac_f64_e32 v[168:169], v[142:143], v[140:141]
	ds_load_2addr_b64 v[138:141], v2 offset0:125 offset1:126
	ds_load_b64 v[142:143], v2 offset:1016
	s_wait_dscnt 0x2
	v_fmac_f64_e32 v[168:169], v[144:145], v[154:155]
	s_wait_loadcnt 0x1
	s_delay_alu instid0(VALU_DEP_1) | instskip(SKIP_1) | instid1(VALU_DEP_1)
	v_fmac_f64_e32 v[168:169], v[150:151], v[156:157]
	s_wait_dscnt 0x1
	v_fmac_f64_e32 v[168:169], v[152:153], v[138:139]
	s_wait_loadcnt 0x0
	s_delay_alu instid0(VALU_DEP_1) | instskip(SKIP_1) | instid1(VALU_DEP_1)
	v_fmac_f64_e32 v[168:169], v[134:135], v[140:141]
	s_wait_dscnt 0x0
	v_fmac_f64_e32 v[168:169], v[136:137], v[142:143]
	s_delay_alu instid0(VALU_DEP_1)
	v_add_f64_e64 v[132:133], v[132:133], -v[168:169]
	scratch_store_b64 off, v[132:133], off offset:192
	s_wait_xcnt 0x0
	v_cmpx_lt_u32_e32 23, v0
	s_cbranch_execz .LBB63_347
; %bb.346:
	scratch_load_b64 v[132:133], off, off offset:184
	v_mov_b64_e32 v[134:135], 0
	scratch_store_b64 off, v[134:135], off offset:184
	s_wait_loadcnt 0x0
	ds_store_b64 v1, v[132:133]
.LBB63_347:
	s_wait_xcnt 0x0
	s_or_b32 exec_lo, exec_lo, s0
	s_wait_storecnt_dscnt 0x0
	s_barrier_signal -1
	s_barrier_wait -1
	s_clause 0x5
	scratch_load_b128 v[132:135], off, off offset:184
	scratch_load_b128 v[136:139], off, off offset:200
	;; [unrolled: 1-line block ×6, first 2 shown]
	ds_load_b128 v[156:159], v2 offset:704
	ds_load_b128 v[160:163], v2 offset:720
	scratch_load_b128 v[164:167], off, off offset:280
	s_mov_b32 s0, exec_lo
	s_wait_loadcnt_dscnt 0x601
	v_fma_f64 v[168:169], v[134:135], v[156:157], 0
	s_wait_loadcnt 0x5
	s_delay_alu instid0(VALU_DEP_1) | instskip(SKIP_4) | instid1(VALU_DEP_1)
	v_fmac_f64_e32 v[168:169], v[136:137], v[158:159]
	scratch_load_b128 v[134:137], off, off offset:296
	s_wait_dscnt 0x0
	v_fmac_f64_e32 v[168:169], v[138:139], v[160:161]
	s_wait_loadcnt 0x5
	v_fmac_f64_e32 v[168:169], v[140:141], v[162:163]
	ds_load_b128 v[138:141], v2 offset:736
	ds_load_b128 v[156:159], v2 offset:752
	scratch_load_b128 v[160:163], off, off offset:312
	s_wait_dscnt 0x1
	v_fmac_f64_e32 v[168:169], v[142:143], v[138:139]
	s_wait_loadcnt 0x5
	s_delay_alu instid0(VALU_DEP_1) | instskip(SKIP_4) | instid1(VALU_DEP_1)
	v_fmac_f64_e32 v[168:169], v[144:145], v[140:141]
	scratch_load_b128 v[138:141], off, off offset:328
	s_wait_dscnt 0x0
	v_fmac_f64_e32 v[168:169], v[146:147], v[156:157]
	s_wait_loadcnt 0x5
	v_fmac_f64_e32 v[168:169], v[148:149], v[158:159]
	ds_load_b128 v[142:145], v2 offset:768
	ds_load_b128 v[146:149], v2 offset:784
	scratch_load_b128 v[156:159], off, off offset:344
	s_wait_dscnt 0x1
	v_fmac_f64_e32 v[168:169], v[150:151], v[142:143]
	s_wait_loadcnt 0x5
	s_delay_alu instid0(VALU_DEP_1) | instskip(SKIP_4) | instid1(VALU_DEP_1)
	v_fmac_f64_e32 v[168:169], v[152:153], v[144:145]
	scratch_load_b128 v[142:145], off, off offset:360
	s_wait_dscnt 0x0
	v_fmac_f64_e32 v[168:169], v[154:155], v[146:147]
	s_wait_loadcnt 0x5
	v_fmac_f64_e32 v[168:169], v[164:165], v[148:149]
	ds_load_b128 v[146:149], v2 offset:800
	ds_load_b128 v[150:153], v2 offset:816
	s_wait_dscnt 0x1
	v_fmac_f64_e32 v[168:169], v[166:167], v[146:147]
	scratch_load_b128 v[164:167], off, off offset:376
	s_wait_loadcnt 0x5
	v_fmac_f64_e32 v[168:169], v[134:135], v[148:149]
	s_wait_dscnt 0x0
	s_delay_alu instid0(VALU_DEP_1)
	v_fmac_f64_e32 v[168:169], v[136:137], v[150:151]
	scratch_load_b128 v[134:137], off, off offset:392
	s_wait_loadcnt 0x5
	v_fmac_f64_e32 v[168:169], v[160:161], v[152:153]
	ds_load_b128 v[146:149], v2 offset:832
	ds_load_b128 v[150:153], v2 offset:848
	s_wait_dscnt 0x1
	v_fmac_f64_e32 v[168:169], v[162:163], v[146:147]
	scratch_load_b128 v[160:163], off, off offset:408
	s_wait_loadcnt 0x5
	v_fmac_f64_e32 v[168:169], v[138:139], v[148:149]
	s_wait_dscnt 0x0
	s_delay_alu instid0(VALU_DEP_1)
	v_fmac_f64_e32 v[168:169], v[140:141], v[150:151]
	scratch_load_b128 v[138:141], off, off offset:424
	s_wait_loadcnt 0x5
	v_fmac_f64_e32 v[168:169], v[156:157], v[152:153]
	ds_load_b128 v[146:149], v2 offset:864
	ds_load_b128 v[150:153], v2 offset:880
	s_wait_dscnt 0x1
	v_fmac_f64_e32 v[168:169], v[158:159], v[146:147]
	s_wait_loadcnt 0x4
	s_delay_alu instid0(VALU_DEP_1)
	v_fmac_f64_e32 v[168:169], v[142:143], v[148:149]
	scratch_load_b128 v[146:149], off, off offset:440
	s_wait_dscnt 0x0
	v_fmac_f64_e32 v[168:169], v[144:145], v[150:151]
	scratch_load_b128 v[142:145], off, off offset:456
	s_wait_loadcnt 0x5
	v_fmac_f64_e32 v[168:169], v[164:165], v[152:153]
	ds_load_b128 v[150:153], v2 offset:896
	ds_load_b128 v[154:157], v2 offset:912
	s_wait_dscnt 0x1
	v_fmac_f64_e32 v[168:169], v[166:167], v[150:151]
	s_wait_loadcnt 0x4
	s_delay_alu instid0(VALU_DEP_1)
	v_fmac_f64_e32 v[168:169], v[134:135], v[152:153]
	scratch_load_b128 v[150:153], off, off offset:472
	s_wait_dscnt 0x0
	v_fmac_f64_e32 v[168:169], v[136:137], v[154:155]
	scratch_load_b128 v[134:137], off, off offset:488
	s_wait_loadcnt 0x5
	v_fmac_f64_e32 v[168:169], v[160:161], v[156:157]
	ds_load_b128 v[154:157], v2 offset:928
	ds_load_b128 v[158:161], v2 offset:944
	s_wait_dscnt 0x1
	v_fmac_f64_e32 v[168:169], v[162:163], v[154:155]
	scratch_load_b64 v[162:163], off, off offset:504
	s_wait_loadcnt 0x5
	v_fmac_f64_e32 v[168:169], v[138:139], v[156:157]
	s_wait_dscnt 0x0
	s_delay_alu instid0(VALU_DEP_1)
	v_fmac_f64_e32 v[168:169], v[140:141], v[158:159]
	ds_load_b128 v[138:141], v2 offset:960
	ds_load_b128 v[154:157], v2 offset:976
	s_wait_loadcnt 0x4
	v_fmac_f64_e32 v[168:169], v[146:147], v[160:161]
	s_wait_dscnt 0x1
	s_delay_alu instid0(VALU_DEP_1) | instskip(SKIP_1) | instid1(VALU_DEP_1)
	v_fmac_f64_e32 v[168:169], v[148:149], v[138:139]
	s_wait_loadcnt 0x3
	v_fmac_f64_e32 v[168:169], v[142:143], v[140:141]
	s_wait_dscnt 0x0
	s_delay_alu instid0(VALU_DEP_1)
	v_fmac_f64_e32 v[168:169], v[144:145], v[154:155]
	ds_load_b128 v[138:141], v2 offset:992
	ds_load_b128 v[142:145], v2 offset:1008
	s_wait_loadcnt 0x2
	v_fmac_f64_e32 v[168:169], v[150:151], v[156:157]
	s_wait_dscnt 0x1
	s_delay_alu instid0(VALU_DEP_1) | instskip(SKIP_1) | instid1(VALU_DEP_1)
	v_fmac_f64_e32 v[168:169], v[152:153], v[138:139]
	s_wait_loadcnt 0x1
	v_fmac_f64_e32 v[168:169], v[134:135], v[140:141]
	s_wait_dscnt 0x0
	s_delay_alu instid0(VALU_DEP_1) | instskip(SKIP_1) | instid1(VALU_DEP_1)
	v_fmac_f64_e32 v[168:169], v[136:137], v[142:143]
	s_wait_loadcnt 0x0
	v_fmac_f64_e32 v[168:169], v[162:163], v[144:145]
	s_delay_alu instid0(VALU_DEP_1)
	v_add_f64_e64 v[2:3], v[132:133], -v[168:169]
	scratch_store_b64 off, v[2:3], off offset:184
	s_wait_xcnt 0x0
	v_cmpx_lt_u32_e32 22, v0
	s_cbranch_execz .LBB63_349
; %bb.348:
	scratch_load_b64 v[2:3], off, off offset:176
	v_mov_b64_e32 v[132:133], 0
	scratch_store_b64 off, v[132:133], off offset:176
	s_wait_loadcnt 0x0
	ds_store_b64 v1, v[2:3]
.LBB63_349:
	s_wait_xcnt 0x0
	s_or_b32 exec_lo, exec_lo, s0
	s_wait_storecnt_dscnt 0x0
	s_barrier_signal -1
	s_barrier_wait -1
	s_clause 0x5
	scratch_load_b128 v[132:135], off, off offset:176
	scratch_load_b128 v[136:139], off, off offset:192
	;; [unrolled: 1-line block ×6, first 2 shown]
	v_mov_b32_e32 v2, 0
	ds_load_2addr_b64 v[156:159], v2 offset0:87 offset1:88
	ds_load_2addr_b64 v[160:163], v2 offset0:89 offset1:90
	scratch_load_b128 v[164:167], off, off offset:272
	s_mov_b32 s0, exec_lo
	s_wait_loadcnt_dscnt 0x601
	v_fma_f64 v[168:169], v[134:135], v[156:157], 0
	s_wait_loadcnt 0x5
	s_delay_alu instid0(VALU_DEP_1) | instskip(SKIP_4) | instid1(VALU_DEP_1)
	v_fmac_f64_e32 v[168:169], v[136:137], v[158:159]
	scratch_load_b128 v[134:137], off, off offset:288
	s_wait_dscnt 0x0
	v_fmac_f64_e32 v[168:169], v[138:139], v[160:161]
	s_wait_loadcnt 0x5
	v_fmac_f64_e32 v[168:169], v[140:141], v[162:163]
	ds_load_2addr_b64 v[138:141], v2 offset0:91 offset1:92
	ds_load_2addr_b64 v[156:159], v2 offset0:93 offset1:94
	scratch_load_b128 v[160:163], off, off offset:304
	s_wait_dscnt 0x1
	v_fmac_f64_e32 v[168:169], v[142:143], v[138:139]
	s_wait_loadcnt 0x5
	s_delay_alu instid0(VALU_DEP_1) | instskip(SKIP_4) | instid1(VALU_DEP_1)
	v_fmac_f64_e32 v[168:169], v[144:145], v[140:141]
	scratch_load_b128 v[138:141], off, off offset:320
	s_wait_dscnt 0x0
	v_fmac_f64_e32 v[168:169], v[146:147], v[156:157]
	s_wait_loadcnt 0x5
	v_fmac_f64_e32 v[168:169], v[148:149], v[158:159]
	ds_load_2addr_b64 v[142:145], v2 offset0:95 offset1:96
	ds_load_2addr_b64 v[146:149], v2 offset0:97 offset1:98
	scratch_load_b128 v[156:159], off, off offset:336
	s_wait_dscnt 0x1
	v_fmac_f64_e32 v[168:169], v[150:151], v[142:143]
	s_wait_loadcnt 0x5
	s_delay_alu instid0(VALU_DEP_1) | instskip(SKIP_4) | instid1(VALU_DEP_1)
	v_fmac_f64_e32 v[168:169], v[152:153], v[144:145]
	scratch_load_b128 v[142:145], off, off offset:352
	s_wait_dscnt 0x0
	v_fmac_f64_e32 v[168:169], v[154:155], v[146:147]
	s_wait_loadcnt 0x5
	v_fmac_f64_e32 v[168:169], v[164:165], v[148:149]
	ds_load_2addr_b64 v[146:149], v2 offset0:99 offset1:100
	ds_load_2addr_b64 v[150:153], v2 offset0:101 offset1:102
	s_wait_dscnt 0x1
	v_fmac_f64_e32 v[168:169], v[166:167], v[146:147]
	scratch_load_b128 v[164:167], off, off offset:368
	s_wait_loadcnt 0x5
	v_fmac_f64_e32 v[168:169], v[134:135], v[148:149]
	s_wait_dscnt 0x0
	s_delay_alu instid0(VALU_DEP_1)
	v_fmac_f64_e32 v[168:169], v[136:137], v[150:151]
	scratch_load_b128 v[134:137], off, off offset:384
	s_wait_loadcnt 0x5
	v_fmac_f64_e32 v[168:169], v[160:161], v[152:153]
	ds_load_2addr_b64 v[146:149], v2 offset0:103 offset1:104
	ds_load_2addr_b64 v[150:153], v2 offset0:105 offset1:106
	s_wait_dscnt 0x1
	v_fmac_f64_e32 v[168:169], v[162:163], v[146:147]
	scratch_load_b128 v[160:163], off, off offset:400
	s_wait_loadcnt 0x5
	v_fmac_f64_e32 v[168:169], v[138:139], v[148:149]
	s_wait_dscnt 0x0
	s_delay_alu instid0(VALU_DEP_1)
	v_fmac_f64_e32 v[168:169], v[140:141], v[150:151]
	scratch_load_b128 v[138:141], off, off offset:416
	s_wait_loadcnt 0x5
	v_fmac_f64_e32 v[168:169], v[156:157], v[152:153]
	ds_load_2addr_b64 v[146:149], v2 offset0:107 offset1:108
	ds_load_2addr_b64 v[150:153], v2 offset0:109 offset1:110
	s_wait_dscnt 0x1
	v_fmac_f64_e32 v[168:169], v[158:159], v[146:147]
	s_wait_loadcnt 0x4
	s_delay_alu instid0(VALU_DEP_1)
	v_fmac_f64_e32 v[168:169], v[142:143], v[148:149]
	scratch_load_b128 v[146:149], off, off offset:432
	s_wait_dscnt 0x0
	v_fmac_f64_e32 v[168:169], v[144:145], v[150:151]
	scratch_load_b128 v[142:145], off, off offset:448
	s_wait_loadcnt 0x5
	v_fmac_f64_e32 v[168:169], v[164:165], v[152:153]
	ds_load_2addr_b64 v[150:153], v2 offset0:111 offset1:112
	ds_load_2addr_b64 v[154:157], v2 offset0:113 offset1:114
	s_wait_dscnt 0x1
	v_fmac_f64_e32 v[168:169], v[166:167], v[150:151]
	s_wait_loadcnt 0x4
	s_delay_alu instid0(VALU_DEP_1)
	v_fmac_f64_e32 v[168:169], v[134:135], v[152:153]
	scratch_load_b128 v[150:153], off, off offset:464
	s_wait_dscnt 0x0
	v_fmac_f64_e32 v[168:169], v[136:137], v[154:155]
	scratch_load_b128 v[134:137], off, off offset:480
	s_wait_loadcnt 0x5
	v_fmac_f64_e32 v[168:169], v[160:161], v[156:157]
	ds_load_2addr_b64 v[154:157], v2 offset0:115 offset1:116
	ds_load_2addr_b64 v[158:161], v2 offset0:117 offset1:118
	s_wait_dscnt 0x1
	v_fmac_f64_e32 v[168:169], v[162:163], v[154:155]
	s_wait_loadcnt 0x4
	s_delay_alu instid0(VALU_DEP_1) | instskip(SKIP_4) | instid1(VALU_DEP_1)
	v_fmac_f64_e32 v[168:169], v[138:139], v[156:157]
	scratch_load_b128 v[154:157], off, off offset:496
	s_wait_dscnt 0x0
	v_fmac_f64_e32 v[168:169], v[140:141], v[158:159]
	s_wait_loadcnt 0x4
	v_fmac_f64_e32 v[168:169], v[146:147], v[160:161]
	ds_load_2addr_b64 v[138:141], v2 offset0:119 offset1:120
	ds_load_2addr_b64 v[158:161], v2 offset0:121 offset1:122
	s_wait_dscnt 0x1
	v_fmac_f64_e32 v[168:169], v[148:149], v[138:139]
	s_wait_loadcnt 0x3
	s_delay_alu instid0(VALU_DEP_1) | instskip(SKIP_1) | instid1(VALU_DEP_1)
	v_fmac_f64_e32 v[168:169], v[142:143], v[140:141]
	s_wait_dscnt 0x0
	v_fmac_f64_e32 v[168:169], v[144:145], v[158:159]
	ds_load_2addr_b64 v[138:141], v2 offset0:123 offset1:124
	ds_load_2addr_b64 v[142:145], v2 offset0:125 offset1:126
	s_wait_loadcnt 0x2
	v_fmac_f64_e32 v[168:169], v[150:151], v[160:161]
	s_wait_dscnt 0x1
	s_delay_alu instid0(VALU_DEP_1) | instskip(SKIP_1) | instid1(VALU_DEP_1)
	v_fmac_f64_e32 v[168:169], v[152:153], v[138:139]
	s_wait_loadcnt 0x1
	v_fmac_f64_e32 v[168:169], v[134:135], v[140:141]
	ds_load_b64 v[134:135], v2 offset:1016
	s_wait_dscnt 0x1
	v_fmac_f64_e32 v[168:169], v[136:137], v[142:143]
	s_wait_loadcnt 0x0
	s_delay_alu instid0(VALU_DEP_1) | instskip(SKIP_1) | instid1(VALU_DEP_1)
	v_fmac_f64_e32 v[168:169], v[154:155], v[144:145]
	s_wait_dscnt 0x0
	v_fmac_f64_e32 v[168:169], v[156:157], v[134:135]
	s_delay_alu instid0(VALU_DEP_1)
	v_add_f64_e64 v[132:133], v[132:133], -v[168:169]
	scratch_store_b64 off, v[132:133], off offset:176
	s_wait_xcnt 0x0
	v_cmpx_lt_u32_e32 21, v0
	s_cbranch_execz .LBB63_351
; %bb.350:
	scratch_load_b64 v[132:133], off, off offset:168
	v_mov_b64_e32 v[134:135], 0
	scratch_store_b64 off, v[134:135], off offset:168
	s_wait_loadcnt 0x0
	ds_store_b64 v1, v[132:133]
.LBB63_351:
	s_wait_xcnt 0x0
	s_or_b32 exec_lo, exec_lo, s0
	s_wait_storecnt_dscnt 0x0
	s_barrier_signal -1
	s_barrier_wait -1
	s_clause 0x5
	scratch_load_b128 v[132:135], off, off offset:168
	scratch_load_b128 v[136:139], off, off offset:184
	;; [unrolled: 1-line block ×6, first 2 shown]
	ds_load_b128 v[156:159], v2 offset:688
	ds_load_b128 v[160:163], v2 offset:704
	scratch_load_b128 v[164:167], off, off offset:264
	s_mov_b32 s0, exec_lo
	s_wait_loadcnt_dscnt 0x601
	v_fma_f64 v[168:169], v[134:135], v[156:157], 0
	s_wait_loadcnt 0x5
	s_delay_alu instid0(VALU_DEP_1) | instskip(SKIP_4) | instid1(VALU_DEP_1)
	v_fmac_f64_e32 v[168:169], v[136:137], v[158:159]
	scratch_load_b128 v[134:137], off, off offset:280
	s_wait_dscnt 0x0
	v_fmac_f64_e32 v[168:169], v[138:139], v[160:161]
	s_wait_loadcnt 0x5
	v_fmac_f64_e32 v[168:169], v[140:141], v[162:163]
	ds_load_b128 v[138:141], v2 offset:720
	ds_load_b128 v[156:159], v2 offset:736
	scratch_load_b128 v[160:163], off, off offset:296
	s_wait_dscnt 0x1
	v_fmac_f64_e32 v[168:169], v[142:143], v[138:139]
	s_wait_loadcnt 0x5
	s_delay_alu instid0(VALU_DEP_1) | instskip(SKIP_4) | instid1(VALU_DEP_1)
	v_fmac_f64_e32 v[168:169], v[144:145], v[140:141]
	scratch_load_b128 v[138:141], off, off offset:312
	s_wait_dscnt 0x0
	v_fmac_f64_e32 v[168:169], v[146:147], v[156:157]
	s_wait_loadcnt 0x5
	v_fmac_f64_e32 v[168:169], v[148:149], v[158:159]
	ds_load_b128 v[142:145], v2 offset:752
	ds_load_b128 v[146:149], v2 offset:768
	scratch_load_b128 v[156:159], off, off offset:328
	s_wait_dscnt 0x1
	v_fmac_f64_e32 v[168:169], v[150:151], v[142:143]
	s_wait_loadcnt 0x5
	s_delay_alu instid0(VALU_DEP_1) | instskip(SKIP_4) | instid1(VALU_DEP_1)
	v_fmac_f64_e32 v[168:169], v[152:153], v[144:145]
	scratch_load_b128 v[142:145], off, off offset:344
	s_wait_dscnt 0x0
	v_fmac_f64_e32 v[168:169], v[154:155], v[146:147]
	s_wait_loadcnt 0x5
	v_fmac_f64_e32 v[168:169], v[164:165], v[148:149]
	ds_load_b128 v[146:149], v2 offset:784
	ds_load_b128 v[150:153], v2 offset:800
	s_wait_dscnt 0x1
	v_fmac_f64_e32 v[168:169], v[166:167], v[146:147]
	scratch_load_b128 v[164:167], off, off offset:360
	s_wait_loadcnt 0x5
	v_fmac_f64_e32 v[168:169], v[134:135], v[148:149]
	s_wait_dscnt 0x0
	s_delay_alu instid0(VALU_DEP_1)
	v_fmac_f64_e32 v[168:169], v[136:137], v[150:151]
	scratch_load_b128 v[134:137], off, off offset:376
	s_wait_loadcnt 0x5
	v_fmac_f64_e32 v[168:169], v[160:161], v[152:153]
	ds_load_b128 v[146:149], v2 offset:816
	ds_load_b128 v[150:153], v2 offset:832
	s_wait_dscnt 0x1
	v_fmac_f64_e32 v[168:169], v[162:163], v[146:147]
	scratch_load_b128 v[160:163], off, off offset:392
	s_wait_loadcnt 0x5
	v_fmac_f64_e32 v[168:169], v[138:139], v[148:149]
	s_wait_dscnt 0x0
	s_delay_alu instid0(VALU_DEP_1)
	v_fmac_f64_e32 v[168:169], v[140:141], v[150:151]
	scratch_load_b128 v[138:141], off, off offset:408
	s_wait_loadcnt 0x5
	v_fmac_f64_e32 v[168:169], v[156:157], v[152:153]
	ds_load_b128 v[146:149], v2 offset:848
	ds_load_b128 v[150:153], v2 offset:864
	scratch_load_b128 v[154:157], off, off offset:424
	s_wait_dscnt 0x1
	v_fmac_f64_e32 v[168:169], v[158:159], v[146:147]
	s_wait_loadcnt 0x5
	s_delay_alu instid0(VALU_DEP_1) | instskip(SKIP_1) | instid1(VALU_DEP_1)
	v_fmac_f64_e32 v[168:169], v[142:143], v[148:149]
	s_wait_dscnt 0x0
	v_fmac_f64_e32 v[168:169], v[144:145], v[150:151]
	scratch_load_b128 v[142:145], off, off offset:440
	s_wait_loadcnt 0x5
	v_fmac_f64_e32 v[168:169], v[164:165], v[152:153]
	ds_load_b128 v[146:149], v2 offset:880
	ds_load_b128 v[150:153], v2 offset:896
	s_wait_dscnt 0x1
	v_fmac_f64_e32 v[168:169], v[166:167], v[146:147]
	s_wait_loadcnt 0x4
	s_delay_alu instid0(VALU_DEP_1)
	v_fmac_f64_e32 v[168:169], v[134:135], v[148:149]
	scratch_load_b128 v[146:149], off, off offset:456
	s_wait_dscnt 0x0
	v_fmac_f64_e32 v[168:169], v[136:137], v[150:151]
	scratch_load_b128 v[134:137], off, off offset:472
	s_wait_loadcnt 0x5
	v_fmac_f64_e32 v[168:169], v[160:161], v[152:153]
	ds_load_b128 v[150:153], v2 offset:912
	ds_load_b128 v[158:161], v2 offset:928
	s_wait_dscnt 0x1
	v_fmac_f64_e32 v[168:169], v[162:163], v[150:151]
	s_wait_loadcnt 0x4
	s_delay_alu instid0(VALU_DEP_1) | instskip(SKIP_4) | instid1(VALU_DEP_1)
	v_fmac_f64_e32 v[168:169], v[138:139], v[152:153]
	scratch_load_b128 v[150:153], off, off offset:488
	s_wait_dscnt 0x0
	v_fmac_f64_e32 v[168:169], v[140:141], v[158:159]
	s_wait_loadcnt 0x4
	v_fmac_f64_e32 v[168:169], v[154:155], v[160:161]
	scratch_load_b64 v[154:155], off, off offset:504
	ds_load_b128 v[138:141], v2 offset:944
	ds_load_b128 v[158:161], v2 offset:960
	s_wait_dscnt 0x1
	v_fmac_f64_e32 v[168:169], v[156:157], v[138:139]
	s_wait_loadcnt 0x4
	s_delay_alu instid0(VALU_DEP_1) | instskip(SKIP_1) | instid1(VALU_DEP_1)
	v_fmac_f64_e32 v[168:169], v[142:143], v[140:141]
	s_wait_dscnt 0x0
	v_fmac_f64_e32 v[168:169], v[144:145], v[158:159]
	ds_load_b128 v[138:141], v2 offset:976
	ds_load_b128 v[142:145], v2 offset:992
	s_wait_loadcnt 0x3
	v_fmac_f64_e32 v[168:169], v[146:147], v[160:161]
	s_wait_dscnt 0x1
	s_delay_alu instid0(VALU_DEP_1) | instskip(SKIP_1) | instid1(VALU_DEP_1)
	v_fmac_f64_e32 v[168:169], v[148:149], v[138:139]
	s_wait_loadcnt 0x2
	v_fmac_f64_e32 v[168:169], v[134:135], v[140:141]
	s_wait_dscnt 0x0
	s_delay_alu instid0(VALU_DEP_1) | instskip(SKIP_4) | instid1(VALU_DEP_1)
	v_fmac_f64_e32 v[168:169], v[136:137], v[142:143]
	ds_load_b128 v[134:137], v2 offset:1008
	s_wait_loadcnt 0x1
	v_fmac_f64_e32 v[168:169], v[150:151], v[144:145]
	s_wait_dscnt 0x0
	v_fmac_f64_e32 v[168:169], v[152:153], v[134:135]
	s_wait_loadcnt 0x0
	s_delay_alu instid0(VALU_DEP_1) | instskip(NEXT) | instid1(VALU_DEP_1)
	v_fmac_f64_e32 v[168:169], v[154:155], v[136:137]
	v_add_f64_e64 v[2:3], v[132:133], -v[168:169]
	scratch_store_b64 off, v[2:3], off offset:168
	s_wait_xcnt 0x0
	v_cmpx_lt_u32_e32 20, v0
	s_cbranch_execz .LBB63_353
; %bb.352:
	scratch_load_b64 v[2:3], off, off offset:160
	v_mov_b64_e32 v[132:133], 0
	scratch_store_b64 off, v[132:133], off offset:160
	s_wait_loadcnt 0x0
	ds_store_b64 v1, v[2:3]
.LBB63_353:
	s_wait_xcnt 0x0
	s_or_b32 exec_lo, exec_lo, s0
	s_wait_storecnt_dscnt 0x0
	s_barrier_signal -1
	s_barrier_wait -1
	s_clause 0x5
	scratch_load_b128 v[132:135], off, off offset:160
	scratch_load_b128 v[136:139], off, off offset:176
	scratch_load_b128 v[140:143], off, off offset:192
	scratch_load_b128 v[144:147], off, off offset:208
	scratch_load_b128 v[148:151], off, off offset:224
	scratch_load_b128 v[152:155], off, off offset:240
	v_mov_b32_e32 v2, 0
	ds_load_2addr_b64 v[156:159], v2 offset0:85 offset1:86
	ds_load_2addr_b64 v[160:163], v2 offset0:87 offset1:88
	scratch_load_b128 v[164:167], off, off offset:256
	s_mov_b32 s0, exec_lo
	s_wait_loadcnt_dscnt 0x601
	v_fma_f64 v[168:169], v[134:135], v[156:157], 0
	s_wait_loadcnt 0x5
	s_delay_alu instid0(VALU_DEP_1) | instskip(SKIP_4) | instid1(VALU_DEP_1)
	v_fmac_f64_e32 v[168:169], v[136:137], v[158:159]
	scratch_load_b128 v[134:137], off, off offset:272
	s_wait_dscnt 0x0
	v_fmac_f64_e32 v[168:169], v[138:139], v[160:161]
	s_wait_loadcnt 0x5
	v_fmac_f64_e32 v[168:169], v[140:141], v[162:163]
	ds_load_2addr_b64 v[138:141], v2 offset0:89 offset1:90
	ds_load_2addr_b64 v[156:159], v2 offset0:91 offset1:92
	scratch_load_b128 v[160:163], off, off offset:288
	s_wait_dscnt 0x1
	v_fmac_f64_e32 v[168:169], v[142:143], v[138:139]
	s_wait_loadcnt 0x5
	s_delay_alu instid0(VALU_DEP_1) | instskip(SKIP_4) | instid1(VALU_DEP_1)
	v_fmac_f64_e32 v[168:169], v[144:145], v[140:141]
	scratch_load_b128 v[138:141], off, off offset:304
	s_wait_dscnt 0x0
	v_fmac_f64_e32 v[168:169], v[146:147], v[156:157]
	s_wait_loadcnt 0x5
	v_fmac_f64_e32 v[168:169], v[148:149], v[158:159]
	ds_load_2addr_b64 v[142:145], v2 offset0:93 offset1:94
	ds_load_2addr_b64 v[146:149], v2 offset0:95 offset1:96
	scratch_load_b128 v[156:159], off, off offset:320
	s_wait_dscnt 0x1
	v_fmac_f64_e32 v[168:169], v[150:151], v[142:143]
	s_wait_loadcnt 0x5
	s_delay_alu instid0(VALU_DEP_1) | instskip(SKIP_4) | instid1(VALU_DEP_1)
	v_fmac_f64_e32 v[168:169], v[152:153], v[144:145]
	scratch_load_b128 v[142:145], off, off offset:336
	s_wait_dscnt 0x0
	v_fmac_f64_e32 v[168:169], v[154:155], v[146:147]
	s_wait_loadcnt 0x5
	v_fmac_f64_e32 v[168:169], v[164:165], v[148:149]
	ds_load_2addr_b64 v[146:149], v2 offset0:97 offset1:98
	ds_load_2addr_b64 v[150:153], v2 offset0:99 offset1:100
	s_wait_dscnt 0x1
	v_fmac_f64_e32 v[168:169], v[166:167], v[146:147]
	scratch_load_b128 v[164:167], off, off offset:352
	s_wait_loadcnt 0x5
	v_fmac_f64_e32 v[168:169], v[134:135], v[148:149]
	s_wait_dscnt 0x0
	s_delay_alu instid0(VALU_DEP_1)
	v_fmac_f64_e32 v[168:169], v[136:137], v[150:151]
	scratch_load_b128 v[134:137], off, off offset:368
	s_wait_loadcnt 0x5
	v_fmac_f64_e32 v[168:169], v[160:161], v[152:153]
	ds_load_2addr_b64 v[146:149], v2 offset0:101 offset1:102
	ds_load_2addr_b64 v[150:153], v2 offset0:103 offset1:104
	s_wait_dscnt 0x1
	v_fmac_f64_e32 v[168:169], v[162:163], v[146:147]
	scratch_load_b128 v[160:163], off, off offset:384
	s_wait_loadcnt 0x5
	v_fmac_f64_e32 v[168:169], v[138:139], v[148:149]
	s_wait_dscnt 0x0
	s_delay_alu instid0(VALU_DEP_1)
	v_fmac_f64_e32 v[168:169], v[140:141], v[150:151]
	scratch_load_b128 v[138:141], off, off offset:400
	s_wait_loadcnt 0x5
	v_fmac_f64_e32 v[168:169], v[156:157], v[152:153]
	ds_load_2addr_b64 v[146:149], v2 offset0:105 offset1:106
	ds_load_2addr_b64 v[150:153], v2 offset0:107 offset1:108
	scratch_load_b128 v[154:157], off, off offset:416
	s_wait_dscnt 0x1
	v_fmac_f64_e32 v[168:169], v[158:159], v[146:147]
	s_wait_loadcnt 0x5
	s_delay_alu instid0(VALU_DEP_1) | instskip(SKIP_1) | instid1(VALU_DEP_1)
	v_fmac_f64_e32 v[168:169], v[142:143], v[148:149]
	s_wait_dscnt 0x0
	v_fmac_f64_e32 v[168:169], v[144:145], v[150:151]
	scratch_load_b128 v[142:145], off, off offset:432
	s_wait_loadcnt 0x5
	v_fmac_f64_e32 v[168:169], v[164:165], v[152:153]
	ds_load_2addr_b64 v[146:149], v2 offset0:109 offset1:110
	ds_load_2addr_b64 v[150:153], v2 offset0:111 offset1:112
	s_wait_dscnt 0x1
	v_fmac_f64_e32 v[168:169], v[166:167], v[146:147]
	s_wait_loadcnt 0x4
	s_delay_alu instid0(VALU_DEP_1)
	v_fmac_f64_e32 v[168:169], v[134:135], v[148:149]
	scratch_load_b128 v[146:149], off, off offset:448
	s_wait_dscnt 0x0
	v_fmac_f64_e32 v[168:169], v[136:137], v[150:151]
	scratch_load_b128 v[134:137], off, off offset:464
	s_wait_loadcnt 0x5
	v_fmac_f64_e32 v[168:169], v[160:161], v[152:153]
	ds_load_2addr_b64 v[150:153], v2 offset0:113 offset1:114
	ds_load_2addr_b64 v[158:161], v2 offset0:115 offset1:116
	s_wait_dscnt 0x1
	v_fmac_f64_e32 v[168:169], v[162:163], v[150:151]
	s_wait_loadcnt 0x4
	s_delay_alu instid0(VALU_DEP_1)
	v_fmac_f64_e32 v[168:169], v[138:139], v[152:153]
	scratch_load_b128 v[150:153], off, off offset:480
	s_wait_dscnt 0x0
	v_fmac_f64_e32 v[168:169], v[140:141], v[158:159]
	scratch_load_b128 v[138:141], off, off offset:496
	s_wait_loadcnt 0x5
	v_fmac_f64_e32 v[168:169], v[154:155], v[160:161]
	ds_load_2addr_b64 v[158:161], v2 offset0:117 offset1:118
	ds_load_2addr_b64 v[162:165], v2 offset0:119 offset1:120
	s_wait_dscnt 0x1
	v_fmac_f64_e32 v[168:169], v[156:157], v[158:159]
	s_wait_loadcnt 0x4
	s_delay_alu instid0(VALU_DEP_1) | instskip(SKIP_1) | instid1(VALU_DEP_1)
	v_fmac_f64_e32 v[168:169], v[142:143], v[160:161]
	s_wait_dscnt 0x0
	v_fmac_f64_e32 v[168:169], v[144:145], v[162:163]
	ds_load_2addr_b64 v[142:145], v2 offset0:121 offset1:122
	ds_load_2addr_b64 v[154:157], v2 offset0:123 offset1:124
	s_wait_loadcnt 0x3
	v_fmac_f64_e32 v[168:169], v[146:147], v[164:165]
	s_wait_dscnt 0x1
	s_delay_alu instid0(VALU_DEP_1) | instskip(SKIP_1) | instid1(VALU_DEP_1)
	v_fmac_f64_e32 v[168:169], v[148:149], v[142:143]
	s_wait_loadcnt 0x2
	v_fmac_f64_e32 v[168:169], v[134:135], v[144:145]
	s_wait_dscnt 0x0
	s_delay_alu instid0(VALU_DEP_1)
	v_fmac_f64_e32 v[168:169], v[136:137], v[154:155]
	ds_load_2addr_b64 v[134:137], v2 offset0:125 offset1:126
	ds_load_b64 v[142:143], v2 offset:1016
	s_wait_loadcnt 0x1
	v_fmac_f64_e32 v[168:169], v[150:151], v[156:157]
	s_wait_dscnt 0x1
	s_delay_alu instid0(VALU_DEP_1) | instskip(SKIP_1) | instid1(VALU_DEP_1)
	v_fmac_f64_e32 v[168:169], v[152:153], v[134:135]
	s_wait_loadcnt 0x0
	v_fmac_f64_e32 v[168:169], v[138:139], v[136:137]
	s_wait_dscnt 0x0
	s_delay_alu instid0(VALU_DEP_1) | instskip(NEXT) | instid1(VALU_DEP_1)
	v_fmac_f64_e32 v[168:169], v[140:141], v[142:143]
	v_add_f64_e64 v[132:133], v[132:133], -v[168:169]
	scratch_store_b64 off, v[132:133], off offset:160
	s_wait_xcnt 0x0
	v_cmpx_lt_u32_e32 19, v0
	s_cbranch_execz .LBB63_355
; %bb.354:
	scratch_load_b64 v[132:133], off, off offset:152
	v_mov_b64_e32 v[134:135], 0
	scratch_store_b64 off, v[134:135], off offset:152
	s_wait_loadcnt 0x0
	ds_store_b64 v1, v[132:133]
.LBB63_355:
	s_wait_xcnt 0x0
	s_or_b32 exec_lo, exec_lo, s0
	s_wait_storecnt_dscnt 0x0
	s_barrier_signal -1
	s_barrier_wait -1
	s_clause 0x5
	scratch_load_b128 v[132:135], off, off offset:152
	scratch_load_b128 v[136:139], off, off offset:168
	;; [unrolled: 1-line block ×6, first 2 shown]
	ds_load_b128 v[156:159], v2 offset:672
	ds_load_b128 v[160:163], v2 offset:688
	scratch_load_b128 v[164:167], off, off offset:248
	s_mov_b32 s0, exec_lo
	s_wait_loadcnt_dscnt 0x601
	v_fma_f64 v[168:169], v[134:135], v[156:157], 0
	s_wait_loadcnt 0x5
	s_delay_alu instid0(VALU_DEP_1) | instskip(SKIP_4) | instid1(VALU_DEP_1)
	v_fmac_f64_e32 v[168:169], v[136:137], v[158:159]
	scratch_load_b128 v[134:137], off, off offset:264
	s_wait_dscnt 0x0
	v_fmac_f64_e32 v[168:169], v[138:139], v[160:161]
	s_wait_loadcnt 0x5
	v_fmac_f64_e32 v[168:169], v[140:141], v[162:163]
	ds_load_b128 v[138:141], v2 offset:704
	ds_load_b128 v[156:159], v2 offset:720
	scratch_load_b128 v[160:163], off, off offset:280
	s_wait_dscnt 0x1
	v_fmac_f64_e32 v[168:169], v[142:143], v[138:139]
	s_wait_loadcnt 0x5
	s_delay_alu instid0(VALU_DEP_1) | instskip(SKIP_4) | instid1(VALU_DEP_1)
	v_fmac_f64_e32 v[168:169], v[144:145], v[140:141]
	scratch_load_b128 v[138:141], off, off offset:296
	s_wait_dscnt 0x0
	v_fmac_f64_e32 v[168:169], v[146:147], v[156:157]
	s_wait_loadcnt 0x5
	v_fmac_f64_e32 v[168:169], v[148:149], v[158:159]
	ds_load_b128 v[142:145], v2 offset:736
	ds_load_b128 v[146:149], v2 offset:752
	scratch_load_b128 v[156:159], off, off offset:312
	s_wait_dscnt 0x1
	v_fmac_f64_e32 v[168:169], v[150:151], v[142:143]
	s_wait_loadcnt 0x5
	s_delay_alu instid0(VALU_DEP_1) | instskip(SKIP_4) | instid1(VALU_DEP_1)
	v_fmac_f64_e32 v[168:169], v[152:153], v[144:145]
	scratch_load_b128 v[142:145], off, off offset:328
	s_wait_dscnt 0x0
	v_fmac_f64_e32 v[168:169], v[154:155], v[146:147]
	s_wait_loadcnt 0x5
	v_fmac_f64_e32 v[168:169], v[164:165], v[148:149]
	ds_load_b128 v[146:149], v2 offset:768
	ds_load_b128 v[150:153], v2 offset:784
	s_wait_dscnt 0x1
	v_fmac_f64_e32 v[168:169], v[166:167], v[146:147]
	scratch_load_b128 v[164:167], off, off offset:344
	s_wait_loadcnt 0x5
	v_fmac_f64_e32 v[168:169], v[134:135], v[148:149]
	s_wait_dscnt 0x0
	s_delay_alu instid0(VALU_DEP_1)
	v_fmac_f64_e32 v[168:169], v[136:137], v[150:151]
	scratch_load_b128 v[134:137], off, off offset:360
	s_wait_loadcnt 0x5
	v_fmac_f64_e32 v[168:169], v[160:161], v[152:153]
	ds_load_b128 v[146:149], v2 offset:800
	ds_load_b128 v[150:153], v2 offset:816
	s_wait_dscnt 0x1
	v_fmac_f64_e32 v[168:169], v[162:163], v[146:147]
	scratch_load_b128 v[160:163], off, off offset:376
	s_wait_loadcnt 0x5
	v_fmac_f64_e32 v[168:169], v[138:139], v[148:149]
	s_wait_dscnt 0x0
	s_delay_alu instid0(VALU_DEP_1)
	v_fmac_f64_e32 v[168:169], v[140:141], v[150:151]
	scratch_load_b128 v[138:141], off, off offset:392
	s_wait_loadcnt 0x5
	v_fmac_f64_e32 v[168:169], v[156:157], v[152:153]
	ds_load_b128 v[146:149], v2 offset:832
	ds_load_b128 v[150:153], v2 offset:848
	scratch_load_b128 v[154:157], off, off offset:408
	s_wait_dscnt 0x1
	v_fmac_f64_e32 v[168:169], v[158:159], v[146:147]
	s_wait_loadcnt 0x5
	s_delay_alu instid0(VALU_DEP_1) | instskip(SKIP_1) | instid1(VALU_DEP_1)
	v_fmac_f64_e32 v[168:169], v[142:143], v[148:149]
	s_wait_dscnt 0x0
	v_fmac_f64_e32 v[168:169], v[144:145], v[150:151]
	scratch_load_b128 v[142:145], off, off offset:424
	s_wait_loadcnt 0x5
	v_fmac_f64_e32 v[168:169], v[164:165], v[152:153]
	ds_load_b128 v[146:149], v2 offset:864
	ds_load_b128 v[150:153], v2 offset:880
	s_wait_dscnt 0x1
	v_fmac_f64_e32 v[168:169], v[166:167], v[146:147]
	s_wait_loadcnt 0x4
	s_delay_alu instid0(VALU_DEP_1)
	v_fmac_f64_e32 v[168:169], v[134:135], v[148:149]
	scratch_load_b128 v[146:149], off, off offset:440
	s_wait_dscnt 0x0
	v_fmac_f64_e32 v[168:169], v[136:137], v[150:151]
	scratch_load_b128 v[134:137], off, off offset:456
	s_wait_loadcnt 0x5
	v_fmac_f64_e32 v[168:169], v[160:161], v[152:153]
	ds_load_b128 v[150:153], v2 offset:896
	ds_load_b128 v[158:161], v2 offset:912
	s_wait_dscnt 0x1
	v_fmac_f64_e32 v[168:169], v[162:163], v[150:151]
	s_wait_loadcnt 0x4
	s_delay_alu instid0(VALU_DEP_1)
	v_fmac_f64_e32 v[168:169], v[138:139], v[152:153]
	scratch_load_b128 v[150:153], off, off offset:472
	s_wait_dscnt 0x0
	v_fmac_f64_e32 v[168:169], v[140:141], v[158:159]
	scratch_load_b128 v[138:141], off, off offset:488
	s_wait_loadcnt 0x5
	v_fmac_f64_e32 v[168:169], v[154:155], v[160:161]
	ds_load_b128 v[158:161], v2 offset:928
	ds_load_b128 v[162:165], v2 offset:944
	s_wait_dscnt 0x1
	v_fmac_f64_e32 v[168:169], v[156:157], v[158:159]
	scratch_load_b64 v[158:159], off, off offset:504
	s_wait_loadcnt 0x5
	v_fmac_f64_e32 v[168:169], v[142:143], v[160:161]
	s_wait_dscnt 0x0
	s_delay_alu instid0(VALU_DEP_1)
	v_fmac_f64_e32 v[168:169], v[144:145], v[162:163]
	ds_load_b128 v[142:145], v2 offset:960
	ds_load_b128 v[154:157], v2 offset:976
	s_wait_loadcnt 0x4
	v_fmac_f64_e32 v[168:169], v[146:147], v[164:165]
	s_wait_dscnt 0x1
	s_delay_alu instid0(VALU_DEP_1) | instskip(SKIP_1) | instid1(VALU_DEP_1)
	v_fmac_f64_e32 v[168:169], v[148:149], v[142:143]
	s_wait_loadcnt 0x3
	v_fmac_f64_e32 v[168:169], v[134:135], v[144:145]
	s_wait_dscnt 0x0
	s_delay_alu instid0(VALU_DEP_1)
	v_fmac_f64_e32 v[168:169], v[136:137], v[154:155]
	ds_load_b128 v[134:137], v2 offset:992
	ds_load_b128 v[142:145], v2 offset:1008
	s_wait_loadcnt 0x2
	v_fmac_f64_e32 v[168:169], v[150:151], v[156:157]
	s_wait_dscnt 0x1
	s_delay_alu instid0(VALU_DEP_1) | instskip(SKIP_1) | instid1(VALU_DEP_1)
	v_fmac_f64_e32 v[168:169], v[152:153], v[134:135]
	s_wait_loadcnt 0x1
	v_fmac_f64_e32 v[168:169], v[138:139], v[136:137]
	s_wait_dscnt 0x0
	s_delay_alu instid0(VALU_DEP_1) | instskip(SKIP_1) | instid1(VALU_DEP_1)
	v_fmac_f64_e32 v[168:169], v[140:141], v[142:143]
	s_wait_loadcnt 0x0
	v_fmac_f64_e32 v[168:169], v[158:159], v[144:145]
	s_delay_alu instid0(VALU_DEP_1)
	v_add_f64_e64 v[2:3], v[132:133], -v[168:169]
	scratch_store_b64 off, v[2:3], off offset:152
	s_wait_xcnt 0x0
	v_cmpx_lt_u32_e32 18, v0
	s_cbranch_execz .LBB63_357
; %bb.356:
	scratch_load_b64 v[2:3], off, off offset:144
	v_mov_b64_e32 v[132:133], 0
	scratch_store_b64 off, v[132:133], off offset:144
	s_wait_loadcnt 0x0
	ds_store_b64 v1, v[2:3]
.LBB63_357:
	s_wait_xcnt 0x0
	s_or_b32 exec_lo, exec_lo, s0
	s_wait_storecnt_dscnt 0x0
	s_barrier_signal -1
	s_barrier_wait -1
	s_clause 0x5
	scratch_load_b128 v[132:135], off, off offset:144
	scratch_load_b128 v[136:139], off, off offset:160
	scratch_load_b128 v[140:143], off, off offset:176
	scratch_load_b128 v[144:147], off, off offset:192
	scratch_load_b128 v[148:151], off, off offset:208
	scratch_load_b128 v[152:155], off, off offset:224
	v_mov_b32_e32 v2, 0
	ds_load_2addr_b64 v[156:159], v2 offset0:83 offset1:84
	ds_load_2addr_b64 v[160:163], v2 offset0:85 offset1:86
	scratch_load_b128 v[164:167], off, off offset:240
	s_mov_b32 s0, exec_lo
	s_wait_loadcnt_dscnt 0x601
	v_fma_f64 v[168:169], v[134:135], v[156:157], 0
	s_wait_loadcnt 0x5
	s_delay_alu instid0(VALU_DEP_1) | instskip(SKIP_4) | instid1(VALU_DEP_1)
	v_fmac_f64_e32 v[168:169], v[136:137], v[158:159]
	scratch_load_b128 v[134:137], off, off offset:256
	s_wait_dscnt 0x0
	v_fmac_f64_e32 v[168:169], v[138:139], v[160:161]
	s_wait_loadcnt 0x5
	v_fmac_f64_e32 v[168:169], v[140:141], v[162:163]
	ds_load_2addr_b64 v[138:141], v2 offset0:87 offset1:88
	ds_load_2addr_b64 v[156:159], v2 offset0:89 offset1:90
	scratch_load_b128 v[160:163], off, off offset:272
	s_wait_dscnt 0x1
	v_fmac_f64_e32 v[168:169], v[142:143], v[138:139]
	s_wait_loadcnt 0x5
	s_delay_alu instid0(VALU_DEP_1) | instskip(SKIP_4) | instid1(VALU_DEP_1)
	v_fmac_f64_e32 v[168:169], v[144:145], v[140:141]
	scratch_load_b128 v[138:141], off, off offset:288
	s_wait_dscnt 0x0
	v_fmac_f64_e32 v[168:169], v[146:147], v[156:157]
	s_wait_loadcnt 0x5
	v_fmac_f64_e32 v[168:169], v[148:149], v[158:159]
	ds_load_2addr_b64 v[142:145], v2 offset0:91 offset1:92
	ds_load_2addr_b64 v[146:149], v2 offset0:93 offset1:94
	scratch_load_b128 v[156:159], off, off offset:304
	s_wait_dscnt 0x1
	v_fmac_f64_e32 v[168:169], v[150:151], v[142:143]
	s_wait_loadcnt 0x5
	s_delay_alu instid0(VALU_DEP_1) | instskip(SKIP_4) | instid1(VALU_DEP_1)
	v_fmac_f64_e32 v[168:169], v[152:153], v[144:145]
	scratch_load_b128 v[142:145], off, off offset:320
	s_wait_dscnt 0x0
	v_fmac_f64_e32 v[168:169], v[154:155], v[146:147]
	s_wait_loadcnt 0x5
	v_fmac_f64_e32 v[168:169], v[164:165], v[148:149]
	ds_load_2addr_b64 v[146:149], v2 offset0:95 offset1:96
	ds_load_2addr_b64 v[150:153], v2 offset0:97 offset1:98
	s_wait_dscnt 0x1
	v_fmac_f64_e32 v[168:169], v[166:167], v[146:147]
	scratch_load_b128 v[164:167], off, off offset:336
	s_wait_loadcnt 0x5
	v_fmac_f64_e32 v[168:169], v[134:135], v[148:149]
	s_wait_dscnt 0x0
	s_delay_alu instid0(VALU_DEP_1)
	v_fmac_f64_e32 v[168:169], v[136:137], v[150:151]
	scratch_load_b128 v[134:137], off, off offset:352
	s_wait_loadcnt 0x5
	v_fmac_f64_e32 v[168:169], v[160:161], v[152:153]
	ds_load_2addr_b64 v[146:149], v2 offset0:99 offset1:100
	ds_load_2addr_b64 v[150:153], v2 offset0:101 offset1:102
	s_wait_dscnt 0x1
	v_fmac_f64_e32 v[168:169], v[162:163], v[146:147]
	scratch_load_b128 v[160:163], off, off offset:368
	s_wait_loadcnt 0x5
	v_fmac_f64_e32 v[168:169], v[138:139], v[148:149]
	s_wait_dscnt 0x0
	s_delay_alu instid0(VALU_DEP_1)
	v_fmac_f64_e32 v[168:169], v[140:141], v[150:151]
	scratch_load_b128 v[138:141], off, off offset:384
	s_wait_loadcnt 0x5
	v_fmac_f64_e32 v[168:169], v[156:157], v[152:153]
	ds_load_2addr_b64 v[146:149], v2 offset0:103 offset1:104
	ds_load_2addr_b64 v[150:153], v2 offset0:105 offset1:106
	scratch_load_b128 v[154:157], off, off offset:400
	s_wait_dscnt 0x1
	v_fmac_f64_e32 v[168:169], v[158:159], v[146:147]
	s_wait_loadcnt 0x5
	s_delay_alu instid0(VALU_DEP_1) | instskip(SKIP_1) | instid1(VALU_DEP_1)
	v_fmac_f64_e32 v[168:169], v[142:143], v[148:149]
	s_wait_dscnt 0x0
	v_fmac_f64_e32 v[168:169], v[144:145], v[150:151]
	scratch_load_b128 v[142:145], off, off offset:416
	s_wait_loadcnt 0x5
	v_fmac_f64_e32 v[168:169], v[164:165], v[152:153]
	ds_load_2addr_b64 v[146:149], v2 offset0:107 offset1:108
	ds_load_2addr_b64 v[150:153], v2 offset0:109 offset1:110
	s_wait_dscnt 0x1
	v_fmac_f64_e32 v[168:169], v[166:167], v[146:147]
	s_wait_loadcnt 0x4
	s_delay_alu instid0(VALU_DEP_1)
	v_fmac_f64_e32 v[168:169], v[134:135], v[148:149]
	scratch_load_b128 v[146:149], off, off offset:432
	s_wait_dscnt 0x0
	v_fmac_f64_e32 v[168:169], v[136:137], v[150:151]
	scratch_load_b128 v[134:137], off, off offset:448
	s_wait_loadcnt 0x5
	v_fmac_f64_e32 v[168:169], v[160:161], v[152:153]
	ds_load_2addr_b64 v[150:153], v2 offset0:111 offset1:112
	ds_load_2addr_b64 v[158:161], v2 offset0:113 offset1:114
	s_wait_dscnt 0x1
	v_fmac_f64_e32 v[168:169], v[162:163], v[150:151]
	s_wait_loadcnt 0x4
	s_delay_alu instid0(VALU_DEP_1)
	v_fmac_f64_e32 v[168:169], v[138:139], v[152:153]
	scratch_load_b128 v[150:153], off, off offset:464
	s_wait_dscnt 0x0
	v_fmac_f64_e32 v[168:169], v[140:141], v[158:159]
	scratch_load_b128 v[138:141], off, off offset:480
	s_wait_loadcnt 0x5
	v_fmac_f64_e32 v[168:169], v[154:155], v[160:161]
	ds_load_2addr_b64 v[158:161], v2 offset0:115 offset1:116
	ds_load_2addr_b64 v[162:165], v2 offset0:117 offset1:118
	s_wait_dscnt 0x1
	v_fmac_f64_e32 v[168:169], v[156:157], v[158:159]
	scratch_load_b128 v[154:157], off, off offset:496
	s_wait_loadcnt 0x5
	v_fmac_f64_e32 v[168:169], v[142:143], v[160:161]
	s_wait_dscnt 0x0
	s_delay_alu instid0(VALU_DEP_1)
	v_fmac_f64_e32 v[168:169], v[144:145], v[162:163]
	ds_load_2addr_b64 v[142:145], v2 offset0:119 offset1:120
	ds_load_2addr_b64 v[158:161], v2 offset0:121 offset1:122
	s_wait_loadcnt 0x4
	v_fmac_f64_e32 v[168:169], v[146:147], v[164:165]
	s_wait_dscnt 0x1
	s_delay_alu instid0(VALU_DEP_1) | instskip(SKIP_1) | instid1(VALU_DEP_1)
	v_fmac_f64_e32 v[168:169], v[148:149], v[142:143]
	s_wait_loadcnt 0x3
	v_fmac_f64_e32 v[168:169], v[134:135], v[144:145]
	s_wait_dscnt 0x0
	s_delay_alu instid0(VALU_DEP_1)
	v_fmac_f64_e32 v[168:169], v[136:137], v[158:159]
	ds_load_2addr_b64 v[134:137], v2 offset0:123 offset1:124
	ds_load_2addr_b64 v[142:145], v2 offset0:125 offset1:126
	s_wait_loadcnt 0x2
	v_fmac_f64_e32 v[168:169], v[150:151], v[160:161]
	s_wait_dscnt 0x1
	s_delay_alu instid0(VALU_DEP_1) | instskip(SKIP_4) | instid1(VALU_DEP_1)
	v_fmac_f64_e32 v[168:169], v[152:153], v[134:135]
	ds_load_b64 v[134:135], v2 offset:1016
	s_wait_loadcnt 0x1
	v_fmac_f64_e32 v[168:169], v[138:139], v[136:137]
	s_wait_dscnt 0x1
	v_fmac_f64_e32 v[168:169], v[140:141], v[142:143]
	s_wait_loadcnt 0x0
	s_delay_alu instid0(VALU_DEP_1) | instskip(SKIP_1) | instid1(VALU_DEP_1)
	v_fmac_f64_e32 v[168:169], v[154:155], v[144:145]
	s_wait_dscnt 0x0
	v_fmac_f64_e32 v[168:169], v[156:157], v[134:135]
	s_delay_alu instid0(VALU_DEP_1)
	v_add_f64_e64 v[132:133], v[132:133], -v[168:169]
	scratch_store_b64 off, v[132:133], off offset:144
	s_wait_xcnt 0x0
	v_cmpx_lt_u32_e32 17, v0
	s_cbranch_execz .LBB63_359
; %bb.358:
	scratch_load_b64 v[132:133], off, off offset:136
	v_mov_b64_e32 v[134:135], 0
	scratch_store_b64 off, v[134:135], off offset:136
	s_wait_loadcnt 0x0
	ds_store_b64 v1, v[132:133]
.LBB63_359:
	s_wait_xcnt 0x0
	s_or_b32 exec_lo, exec_lo, s0
	s_wait_storecnt_dscnt 0x0
	s_barrier_signal -1
	s_barrier_wait -1
	s_clause 0x5
	scratch_load_b128 v[132:135], off, off offset:136
	scratch_load_b128 v[136:139], off, off offset:152
	;; [unrolled: 1-line block ×6, first 2 shown]
	ds_load_b128 v[156:159], v2 offset:656
	ds_load_b128 v[160:163], v2 offset:672
	scratch_load_b128 v[164:167], off, off offset:232
	s_mov_b32 s0, exec_lo
	s_wait_loadcnt_dscnt 0x601
	v_fma_f64 v[168:169], v[134:135], v[156:157], 0
	s_wait_loadcnt 0x5
	s_delay_alu instid0(VALU_DEP_1) | instskip(SKIP_4) | instid1(VALU_DEP_1)
	v_fmac_f64_e32 v[168:169], v[136:137], v[158:159]
	scratch_load_b128 v[134:137], off, off offset:248
	s_wait_dscnt 0x0
	v_fmac_f64_e32 v[168:169], v[138:139], v[160:161]
	s_wait_loadcnt 0x5
	v_fmac_f64_e32 v[168:169], v[140:141], v[162:163]
	ds_load_b128 v[138:141], v2 offset:688
	ds_load_b128 v[156:159], v2 offset:704
	scratch_load_b128 v[160:163], off, off offset:264
	s_wait_dscnt 0x1
	v_fmac_f64_e32 v[168:169], v[142:143], v[138:139]
	s_wait_loadcnt 0x5
	s_delay_alu instid0(VALU_DEP_1) | instskip(SKIP_4) | instid1(VALU_DEP_1)
	v_fmac_f64_e32 v[168:169], v[144:145], v[140:141]
	scratch_load_b128 v[138:141], off, off offset:280
	s_wait_dscnt 0x0
	v_fmac_f64_e32 v[168:169], v[146:147], v[156:157]
	s_wait_loadcnt 0x5
	v_fmac_f64_e32 v[168:169], v[148:149], v[158:159]
	ds_load_b128 v[142:145], v2 offset:720
	ds_load_b128 v[146:149], v2 offset:736
	scratch_load_b128 v[156:159], off, off offset:296
	s_wait_dscnt 0x1
	v_fmac_f64_e32 v[168:169], v[150:151], v[142:143]
	s_wait_loadcnt 0x5
	s_delay_alu instid0(VALU_DEP_1) | instskip(SKIP_4) | instid1(VALU_DEP_1)
	v_fmac_f64_e32 v[168:169], v[152:153], v[144:145]
	scratch_load_b128 v[142:145], off, off offset:312
	s_wait_dscnt 0x0
	v_fmac_f64_e32 v[168:169], v[154:155], v[146:147]
	s_wait_loadcnt 0x5
	v_fmac_f64_e32 v[168:169], v[164:165], v[148:149]
	ds_load_b128 v[146:149], v2 offset:752
	ds_load_b128 v[150:153], v2 offset:768
	s_wait_dscnt 0x1
	v_fmac_f64_e32 v[168:169], v[166:167], v[146:147]
	scratch_load_b128 v[164:167], off, off offset:328
	s_wait_loadcnt 0x5
	v_fmac_f64_e32 v[168:169], v[134:135], v[148:149]
	s_wait_dscnt 0x0
	s_delay_alu instid0(VALU_DEP_1)
	v_fmac_f64_e32 v[168:169], v[136:137], v[150:151]
	scratch_load_b128 v[134:137], off, off offset:344
	s_wait_loadcnt 0x5
	v_fmac_f64_e32 v[168:169], v[160:161], v[152:153]
	ds_load_b128 v[146:149], v2 offset:784
	ds_load_b128 v[150:153], v2 offset:800
	s_wait_dscnt 0x1
	v_fmac_f64_e32 v[168:169], v[162:163], v[146:147]
	scratch_load_b128 v[160:163], off, off offset:360
	s_wait_loadcnt 0x5
	v_fmac_f64_e32 v[168:169], v[138:139], v[148:149]
	s_wait_dscnt 0x0
	s_delay_alu instid0(VALU_DEP_1)
	v_fmac_f64_e32 v[168:169], v[140:141], v[150:151]
	scratch_load_b128 v[138:141], off, off offset:376
	s_wait_loadcnt 0x5
	v_fmac_f64_e32 v[168:169], v[156:157], v[152:153]
	ds_load_b128 v[146:149], v2 offset:816
	ds_load_b128 v[150:153], v2 offset:832
	scratch_load_b128 v[154:157], off, off offset:392
	s_wait_dscnt 0x1
	v_fmac_f64_e32 v[168:169], v[158:159], v[146:147]
	s_wait_loadcnt 0x5
	s_delay_alu instid0(VALU_DEP_1) | instskip(SKIP_1) | instid1(VALU_DEP_1)
	v_fmac_f64_e32 v[168:169], v[142:143], v[148:149]
	s_wait_dscnt 0x0
	v_fmac_f64_e32 v[168:169], v[144:145], v[150:151]
	scratch_load_b128 v[142:145], off, off offset:408
	s_wait_loadcnt 0x5
	v_fmac_f64_e32 v[168:169], v[164:165], v[152:153]
	ds_load_b128 v[146:149], v2 offset:848
	ds_load_b128 v[150:153], v2 offset:864
	s_wait_dscnt 0x1
	v_fmac_f64_e32 v[168:169], v[166:167], v[146:147]
	scratch_load_b128 v[164:167], off, off offset:424
	s_wait_loadcnt 0x5
	v_fmac_f64_e32 v[168:169], v[134:135], v[148:149]
	s_wait_dscnt 0x0
	s_delay_alu instid0(VALU_DEP_1)
	v_fmac_f64_e32 v[168:169], v[136:137], v[150:151]
	scratch_load_b128 v[134:137], off, off offset:440
	s_wait_loadcnt 0x5
	v_fmac_f64_e32 v[168:169], v[160:161], v[152:153]
	ds_load_b128 v[146:149], v2 offset:880
	ds_load_b128 v[150:153], v2 offset:896
	s_wait_dscnt 0x1
	v_fmac_f64_e32 v[168:169], v[162:163], v[146:147]
	s_wait_loadcnt 0x4
	s_delay_alu instid0(VALU_DEP_1)
	v_fmac_f64_e32 v[168:169], v[138:139], v[148:149]
	scratch_load_b128 v[146:149], off, off offset:456
	s_wait_dscnt 0x0
	v_fmac_f64_e32 v[168:169], v[140:141], v[150:151]
	scratch_load_b128 v[138:141], off, off offset:472
	s_wait_loadcnt 0x5
	v_fmac_f64_e32 v[168:169], v[154:155], v[152:153]
	ds_load_b128 v[150:153], v2 offset:912
	ds_load_b128 v[158:161], v2 offset:928
	s_wait_dscnt 0x1
	v_fmac_f64_e32 v[168:169], v[156:157], v[150:151]
	s_wait_loadcnt 0x4
	s_delay_alu instid0(VALU_DEP_1)
	v_fmac_f64_e32 v[168:169], v[142:143], v[152:153]
	scratch_load_b128 v[150:153], off, off offset:488
	s_wait_dscnt 0x0
	v_fmac_f64_e32 v[168:169], v[144:145], v[158:159]
	scratch_load_b64 v[158:159], off, off offset:504
	ds_load_b128 v[142:145], v2 offset:944
	ds_load_b128 v[154:157], v2 offset:960
	s_wait_loadcnt 0x5
	v_fmac_f64_e32 v[168:169], v[164:165], v[160:161]
	s_wait_dscnt 0x1
	s_delay_alu instid0(VALU_DEP_1) | instskip(SKIP_1) | instid1(VALU_DEP_1)
	v_fmac_f64_e32 v[168:169], v[166:167], v[142:143]
	s_wait_loadcnt 0x4
	v_fmac_f64_e32 v[168:169], v[134:135], v[144:145]
	s_wait_dscnt 0x0
	s_delay_alu instid0(VALU_DEP_1)
	v_fmac_f64_e32 v[168:169], v[136:137], v[154:155]
	ds_load_b128 v[134:137], v2 offset:976
	ds_load_b128 v[142:145], v2 offset:992
	s_wait_loadcnt 0x3
	v_fmac_f64_e32 v[168:169], v[146:147], v[156:157]
	s_wait_dscnt 0x1
	s_delay_alu instid0(VALU_DEP_1) | instskip(SKIP_1) | instid1(VALU_DEP_1)
	v_fmac_f64_e32 v[168:169], v[148:149], v[134:135]
	s_wait_loadcnt 0x2
	v_fmac_f64_e32 v[168:169], v[138:139], v[136:137]
	ds_load_b128 v[134:137], v2 offset:1008
	s_wait_dscnt 0x1
	v_fmac_f64_e32 v[168:169], v[140:141], v[142:143]
	s_wait_loadcnt 0x1
	s_delay_alu instid0(VALU_DEP_1) | instskip(SKIP_1) | instid1(VALU_DEP_1)
	v_fmac_f64_e32 v[168:169], v[150:151], v[144:145]
	s_wait_dscnt 0x0
	v_fmac_f64_e32 v[168:169], v[152:153], v[134:135]
	s_wait_loadcnt 0x0
	s_delay_alu instid0(VALU_DEP_1) | instskip(NEXT) | instid1(VALU_DEP_1)
	v_fmac_f64_e32 v[168:169], v[158:159], v[136:137]
	v_add_f64_e64 v[2:3], v[132:133], -v[168:169]
	scratch_store_b64 off, v[2:3], off offset:136
	s_wait_xcnt 0x0
	v_cmpx_lt_u32_e32 16, v0
	s_cbranch_execz .LBB63_361
; %bb.360:
	scratch_load_b64 v[2:3], off, off offset:128
	v_mov_b64_e32 v[132:133], 0
	scratch_store_b64 off, v[132:133], off offset:128
	s_wait_loadcnt 0x0
	ds_store_b64 v1, v[2:3]
.LBB63_361:
	s_wait_xcnt 0x0
	s_or_b32 exec_lo, exec_lo, s0
	s_wait_storecnt_dscnt 0x0
	s_barrier_signal -1
	s_barrier_wait -1
	s_clause 0x5
	scratch_load_b128 v[132:135], off, off offset:128
	scratch_load_b128 v[136:139], off, off offset:144
	;; [unrolled: 1-line block ×6, first 2 shown]
	v_mov_b32_e32 v2, 0
	ds_load_2addr_b64 v[156:159], v2 offset0:81 offset1:82
	ds_load_2addr_b64 v[160:163], v2 offset0:83 offset1:84
	scratch_load_b128 v[164:167], off, off offset:224
	s_mov_b32 s0, exec_lo
	s_wait_loadcnt_dscnt 0x601
	v_fma_f64 v[168:169], v[134:135], v[156:157], 0
	s_wait_loadcnt 0x5
	s_delay_alu instid0(VALU_DEP_1) | instskip(SKIP_4) | instid1(VALU_DEP_1)
	v_fmac_f64_e32 v[168:169], v[136:137], v[158:159]
	scratch_load_b128 v[134:137], off, off offset:240
	s_wait_dscnt 0x0
	v_fmac_f64_e32 v[168:169], v[138:139], v[160:161]
	s_wait_loadcnt 0x5
	v_fmac_f64_e32 v[168:169], v[140:141], v[162:163]
	ds_load_2addr_b64 v[138:141], v2 offset0:85 offset1:86
	ds_load_2addr_b64 v[156:159], v2 offset0:87 offset1:88
	scratch_load_b128 v[160:163], off, off offset:256
	s_wait_dscnt 0x1
	v_fmac_f64_e32 v[168:169], v[142:143], v[138:139]
	s_wait_loadcnt 0x5
	s_delay_alu instid0(VALU_DEP_1) | instskip(SKIP_4) | instid1(VALU_DEP_1)
	v_fmac_f64_e32 v[168:169], v[144:145], v[140:141]
	scratch_load_b128 v[138:141], off, off offset:272
	s_wait_dscnt 0x0
	v_fmac_f64_e32 v[168:169], v[146:147], v[156:157]
	s_wait_loadcnt 0x5
	v_fmac_f64_e32 v[168:169], v[148:149], v[158:159]
	ds_load_2addr_b64 v[142:145], v2 offset0:89 offset1:90
	ds_load_2addr_b64 v[146:149], v2 offset0:91 offset1:92
	scratch_load_b128 v[156:159], off, off offset:288
	s_wait_dscnt 0x1
	v_fmac_f64_e32 v[168:169], v[150:151], v[142:143]
	s_wait_loadcnt 0x5
	s_delay_alu instid0(VALU_DEP_1) | instskip(SKIP_4) | instid1(VALU_DEP_1)
	v_fmac_f64_e32 v[168:169], v[152:153], v[144:145]
	scratch_load_b128 v[142:145], off, off offset:304
	s_wait_dscnt 0x0
	v_fmac_f64_e32 v[168:169], v[154:155], v[146:147]
	s_wait_loadcnt 0x5
	v_fmac_f64_e32 v[168:169], v[164:165], v[148:149]
	ds_load_2addr_b64 v[146:149], v2 offset0:93 offset1:94
	ds_load_2addr_b64 v[150:153], v2 offset0:95 offset1:96
	s_wait_dscnt 0x1
	v_fmac_f64_e32 v[168:169], v[166:167], v[146:147]
	scratch_load_b128 v[164:167], off, off offset:320
	s_wait_loadcnt 0x5
	v_fmac_f64_e32 v[168:169], v[134:135], v[148:149]
	s_wait_dscnt 0x0
	s_delay_alu instid0(VALU_DEP_1)
	v_fmac_f64_e32 v[168:169], v[136:137], v[150:151]
	scratch_load_b128 v[134:137], off, off offset:336
	s_wait_loadcnt 0x5
	v_fmac_f64_e32 v[168:169], v[160:161], v[152:153]
	ds_load_2addr_b64 v[146:149], v2 offset0:97 offset1:98
	ds_load_2addr_b64 v[150:153], v2 offset0:99 offset1:100
	s_wait_dscnt 0x1
	v_fmac_f64_e32 v[168:169], v[162:163], v[146:147]
	scratch_load_b128 v[160:163], off, off offset:352
	s_wait_loadcnt 0x5
	v_fmac_f64_e32 v[168:169], v[138:139], v[148:149]
	s_wait_dscnt 0x0
	s_delay_alu instid0(VALU_DEP_1)
	v_fmac_f64_e32 v[168:169], v[140:141], v[150:151]
	scratch_load_b128 v[138:141], off, off offset:368
	s_wait_loadcnt 0x5
	v_fmac_f64_e32 v[168:169], v[156:157], v[152:153]
	ds_load_2addr_b64 v[146:149], v2 offset0:101 offset1:102
	ds_load_2addr_b64 v[150:153], v2 offset0:103 offset1:104
	scratch_load_b128 v[154:157], off, off offset:384
	s_wait_dscnt 0x1
	v_fmac_f64_e32 v[168:169], v[158:159], v[146:147]
	s_wait_loadcnt 0x5
	s_delay_alu instid0(VALU_DEP_1) | instskip(SKIP_1) | instid1(VALU_DEP_1)
	v_fmac_f64_e32 v[168:169], v[142:143], v[148:149]
	s_wait_dscnt 0x0
	v_fmac_f64_e32 v[168:169], v[144:145], v[150:151]
	scratch_load_b128 v[142:145], off, off offset:400
	s_wait_loadcnt 0x5
	v_fmac_f64_e32 v[168:169], v[164:165], v[152:153]
	ds_load_2addr_b64 v[146:149], v2 offset0:105 offset1:106
	ds_load_2addr_b64 v[150:153], v2 offset0:107 offset1:108
	s_wait_dscnt 0x1
	v_fmac_f64_e32 v[168:169], v[166:167], v[146:147]
	scratch_load_b128 v[164:167], off, off offset:416
	s_wait_loadcnt 0x5
	v_fmac_f64_e32 v[168:169], v[134:135], v[148:149]
	s_wait_dscnt 0x0
	s_delay_alu instid0(VALU_DEP_1)
	v_fmac_f64_e32 v[168:169], v[136:137], v[150:151]
	scratch_load_b128 v[134:137], off, off offset:432
	s_wait_loadcnt 0x5
	v_fmac_f64_e32 v[168:169], v[160:161], v[152:153]
	ds_load_2addr_b64 v[146:149], v2 offset0:109 offset1:110
	ds_load_2addr_b64 v[150:153], v2 offset0:111 offset1:112
	s_wait_dscnt 0x1
	v_fmac_f64_e32 v[168:169], v[162:163], v[146:147]
	s_wait_loadcnt 0x4
	s_delay_alu instid0(VALU_DEP_1)
	v_fmac_f64_e32 v[168:169], v[138:139], v[148:149]
	scratch_load_b128 v[146:149], off, off offset:448
	s_wait_dscnt 0x0
	v_fmac_f64_e32 v[168:169], v[140:141], v[150:151]
	scratch_load_b128 v[138:141], off, off offset:464
	s_wait_loadcnt 0x5
	v_fmac_f64_e32 v[168:169], v[154:155], v[152:153]
	ds_load_2addr_b64 v[150:153], v2 offset0:113 offset1:114
	ds_load_2addr_b64 v[158:161], v2 offset0:115 offset1:116
	s_wait_dscnt 0x1
	v_fmac_f64_e32 v[168:169], v[156:157], v[150:151]
	s_wait_loadcnt 0x4
	s_delay_alu instid0(VALU_DEP_1)
	v_fmac_f64_e32 v[168:169], v[142:143], v[152:153]
	scratch_load_b128 v[150:153], off, off offset:480
	s_wait_dscnt 0x0
	v_fmac_f64_e32 v[168:169], v[144:145], v[158:159]
	scratch_load_b128 v[142:145], off, off offset:496
	s_wait_loadcnt 0x5
	v_fmac_f64_e32 v[168:169], v[164:165], v[160:161]
	ds_load_2addr_b64 v[154:157], v2 offset0:117 offset1:118
	ds_load_2addr_b64 v[158:161], v2 offset0:119 offset1:120
	s_wait_dscnt 0x1
	v_fmac_f64_e32 v[168:169], v[166:167], v[154:155]
	s_wait_loadcnt 0x4
	s_delay_alu instid0(VALU_DEP_1) | instskip(SKIP_1) | instid1(VALU_DEP_1)
	v_fmac_f64_e32 v[168:169], v[134:135], v[156:157]
	s_wait_dscnt 0x0
	v_fmac_f64_e32 v[168:169], v[136:137], v[158:159]
	ds_load_2addr_b64 v[134:137], v2 offset0:121 offset1:122
	ds_load_2addr_b64 v[154:157], v2 offset0:123 offset1:124
	s_wait_loadcnt 0x3
	v_fmac_f64_e32 v[168:169], v[146:147], v[160:161]
	s_wait_dscnt 0x1
	s_delay_alu instid0(VALU_DEP_1) | instskip(SKIP_1) | instid1(VALU_DEP_1)
	v_fmac_f64_e32 v[168:169], v[148:149], v[134:135]
	s_wait_loadcnt 0x2
	v_fmac_f64_e32 v[168:169], v[138:139], v[136:137]
	ds_load_2addr_b64 v[134:137], v2 offset0:125 offset1:126
	ds_load_b64 v[138:139], v2 offset:1016
	s_wait_dscnt 0x2
	v_fmac_f64_e32 v[168:169], v[140:141], v[154:155]
	s_wait_loadcnt 0x1
	s_delay_alu instid0(VALU_DEP_1) | instskip(SKIP_1) | instid1(VALU_DEP_1)
	v_fmac_f64_e32 v[168:169], v[150:151], v[156:157]
	s_wait_dscnt 0x1
	v_fmac_f64_e32 v[168:169], v[152:153], v[134:135]
	s_wait_loadcnt 0x0
	s_delay_alu instid0(VALU_DEP_1) | instskip(SKIP_1) | instid1(VALU_DEP_1)
	v_fmac_f64_e32 v[168:169], v[142:143], v[136:137]
	s_wait_dscnt 0x0
	v_fmac_f64_e32 v[168:169], v[144:145], v[138:139]
	s_delay_alu instid0(VALU_DEP_1)
	v_add_f64_e64 v[132:133], v[132:133], -v[168:169]
	scratch_store_b64 off, v[132:133], off offset:128
	s_wait_xcnt 0x0
	v_cmpx_lt_u32_e32 15, v0
	s_cbranch_execz .LBB63_363
; %bb.362:
	scratch_load_b64 v[132:133], off, off offset:120
	v_mov_b64_e32 v[134:135], 0
	scratch_store_b64 off, v[134:135], off offset:120
	s_wait_loadcnt 0x0
	ds_store_b64 v1, v[132:133]
.LBB63_363:
	s_wait_xcnt 0x0
	s_or_b32 exec_lo, exec_lo, s0
	s_wait_storecnt_dscnt 0x0
	s_barrier_signal -1
	s_barrier_wait -1
	s_clause 0x5
	scratch_load_b128 v[132:135], off, off offset:120
	scratch_load_b128 v[136:139], off, off offset:136
	;; [unrolled: 1-line block ×6, first 2 shown]
	ds_load_b128 v[156:159], v2 offset:640
	ds_load_b128 v[160:163], v2 offset:656
	scratch_load_b128 v[164:167], off, off offset:216
	s_mov_b32 s0, exec_lo
	s_wait_loadcnt_dscnt 0x601
	v_fma_f64 v[168:169], v[134:135], v[156:157], 0
	s_wait_loadcnt 0x5
	s_delay_alu instid0(VALU_DEP_1) | instskip(SKIP_4) | instid1(VALU_DEP_1)
	v_fmac_f64_e32 v[168:169], v[136:137], v[158:159]
	scratch_load_b128 v[134:137], off, off offset:232
	s_wait_dscnt 0x0
	v_fmac_f64_e32 v[168:169], v[138:139], v[160:161]
	s_wait_loadcnt 0x5
	v_fmac_f64_e32 v[168:169], v[140:141], v[162:163]
	ds_load_b128 v[138:141], v2 offset:672
	ds_load_b128 v[156:159], v2 offset:688
	scratch_load_b128 v[160:163], off, off offset:248
	s_wait_dscnt 0x1
	v_fmac_f64_e32 v[168:169], v[142:143], v[138:139]
	s_wait_loadcnt 0x5
	s_delay_alu instid0(VALU_DEP_1) | instskip(SKIP_4) | instid1(VALU_DEP_1)
	v_fmac_f64_e32 v[168:169], v[144:145], v[140:141]
	scratch_load_b128 v[138:141], off, off offset:264
	s_wait_dscnt 0x0
	v_fmac_f64_e32 v[168:169], v[146:147], v[156:157]
	s_wait_loadcnt 0x5
	v_fmac_f64_e32 v[168:169], v[148:149], v[158:159]
	ds_load_b128 v[142:145], v2 offset:704
	ds_load_b128 v[146:149], v2 offset:720
	scratch_load_b128 v[156:159], off, off offset:280
	s_wait_dscnt 0x1
	v_fmac_f64_e32 v[168:169], v[150:151], v[142:143]
	s_wait_loadcnt 0x5
	s_delay_alu instid0(VALU_DEP_1) | instskip(SKIP_4) | instid1(VALU_DEP_1)
	v_fmac_f64_e32 v[168:169], v[152:153], v[144:145]
	scratch_load_b128 v[142:145], off, off offset:296
	s_wait_dscnt 0x0
	v_fmac_f64_e32 v[168:169], v[154:155], v[146:147]
	s_wait_loadcnt 0x5
	v_fmac_f64_e32 v[168:169], v[164:165], v[148:149]
	ds_load_b128 v[146:149], v2 offset:736
	ds_load_b128 v[150:153], v2 offset:752
	s_wait_dscnt 0x1
	v_fmac_f64_e32 v[168:169], v[166:167], v[146:147]
	scratch_load_b128 v[164:167], off, off offset:312
	s_wait_loadcnt 0x5
	v_fmac_f64_e32 v[168:169], v[134:135], v[148:149]
	s_wait_dscnt 0x0
	s_delay_alu instid0(VALU_DEP_1)
	v_fmac_f64_e32 v[168:169], v[136:137], v[150:151]
	scratch_load_b128 v[134:137], off, off offset:328
	s_wait_loadcnt 0x5
	v_fmac_f64_e32 v[168:169], v[160:161], v[152:153]
	ds_load_b128 v[146:149], v2 offset:768
	ds_load_b128 v[150:153], v2 offset:784
	s_wait_dscnt 0x1
	v_fmac_f64_e32 v[168:169], v[162:163], v[146:147]
	scratch_load_b128 v[160:163], off, off offset:344
	s_wait_loadcnt 0x5
	v_fmac_f64_e32 v[168:169], v[138:139], v[148:149]
	s_wait_dscnt 0x0
	s_delay_alu instid0(VALU_DEP_1)
	v_fmac_f64_e32 v[168:169], v[140:141], v[150:151]
	scratch_load_b128 v[138:141], off, off offset:360
	s_wait_loadcnt 0x5
	v_fmac_f64_e32 v[168:169], v[156:157], v[152:153]
	ds_load_b128 v[146:149], v2 offset:800
	ds_load_b128 v[150:153], v2 offset:816
	scratch_load_b128 v[154:157], off, off offset:376
	s_wait_dscnt 0x1
	v_fmac_f64_e32 v[168:169], v[158:159], v[146:147]
	s_wait_loadcnt 0x5
	s_delay_alu instid0(VALU_DEP_1) | instskip(SKIP_1) | instid1(VALU_DEP_1)
	v_fmac_f64_e32 v[168:169], v[142:143], v[148:149]
	s_wait_dscnt 0x0
	v_fmac_f64_e32 v[168:169], v[144:145], v[150:151]
	scratch_load_b128 v[142:145], off, off offset:392
	s_wait_loadcnt 0x5
	v_fmac_f64_e32 v[168:169], v[164:165], v[152:153]
	ds_load_b128 v[146:149], v2 offset:832
	ds_load_b128 v[150:153], v2 offset:848
	s_wait_dscnt 0x1
	v_fmac_f64_e32 v[168:169], v[166:167], v[146:147]
	scratch_load_b128 v[164:167], off, off offset:408
	s_wait_loadcnt 0x5
	v_fmac_f64_e32 v[168:169], v[134:135], v[148:149]
	s_wait_dscnt 0x0
	s_delay_alu instid0(VALU_DEP_1)
	v_fmac_f64_e32 v[168:169], v[136:137], v[150:151]
	scratch_load_b128 v[134:137], off, off offset:424
	s_wait_loadcnt 0x5
	v_fmac_f64_e32 v[168:169], v[160:161], v[152:153]
	ds_load_b128 v[146:149], v2 offset:864
	ds_load_b128 v[150:153], v2 offset:880
	s_wait_dscnt 0x1
	v_fmac_f64_e32 v[168:169], v[162:163], v[146:147]
	s_wait_loadcnt 0x4
	s_delay_alu instid0(VALU_DEP_1)
	v_fmac_f64_e32 v[168:169], v[138:139], v[148:149]
	scratch_load_b128 v[146:149], off, off offset:440
	s_wait_dscnt 0x0
	v_fmac_f64_e32 v[168:169], v[140:141], v[150:151]
	scratch_load_b128 v[138:141], off, off offset:456
	s_wait_loadcnt 0x5
	v_fmac_f64_e32 v[168:169], v[154:155], v[152:153]
	ds_load_b128 v[150:153], v2 offset:896
	ds_load_b128 v[158:161], v2 offset:912
	s_wait_dscnt 0x1
	v_fmac_f64_e32 v[168:169], v[156:157], v[150:151]
	s_wait_loadcnt 0x4
	s_delay_alu instid0(VALU_DEP_1)
	v_fmac_f64_e32 v[168:169], v[142:143], v[152:153]
	scratch_load_b128 v[150:153], off, off offset:472
	s_wait_dscnt 0x0
	v_fmac_f64_e32 v[168:169], v[144:145], v[158:159]
	scratch_load_b128 v[142:145], off, off offset:488
	s_wait_loadcnt 0x5
	v_fmac_f64_e32 v[168:169], v[164:165], v[160:161]
	ds_load_b128 v[154:157], v2 offset:928
	ds_load_b128 v[158:161], v2 offset:944
	scratch_load_b64 v[162:163], off, off offset:504
	s_wait_dscnt 0x1
	v_fmac_f64_e32 v[168:169], v[166:167], v[154:155]
	s_wait_loadcnt 0x5
	s_delay_alu instid0(VALU_DEP_1) | instskip(SKIP_1) | instid1(VALU_DEP_1)
	v_fmac_f64_e32 v[168:169], v[134:135], v[156:157]
	s_wait_dscnt 0x0
	v_fmac_f64_e32 v[168:169], v[136:137], v[158:159]
	ds_load_b128 v[134:137], v2 offset:960
	ds_load_b128 v[154:157], v2 offset:976
	s_wait_loadcnt 0x4
	v_fmac_f64_e32 v[168:169], v[146:147], v[160:161]
	s_wait_dscnt 0x1
	s_delay_alu instid0(VALU_DEP_1) | instskip(SKIP_1) | instid1(VALU_DEP_1)
	v_fmac_f64_e32 v[168:169], v[148:149], v[134:135]
	s_wait_loadcnt 0x3
	v_fmac_f64_e32 v[168:169], v[138:139], v[136:137]
	s_wait_dscnt 0x0
	s_delay_alu instid0(VALU_DEP_1)
	v_fmac_f64_e32 v[168:169], v[140:141], v[154:155]
	ds_load_b128 v[134:137], v2 offset:992
	ds_load_b128 v[138:141], v2 offset:1008
	s_wait_loadcnt 0x2
	v_fmac_f64_e32 v[168:169], v[150:151], v[156:157]
	s_wait_dscnt 0x1
	s_delay_alu instid0(VALU_DEP_1) | instskip(SKIP_1) | instid1(VALU_DEP_1)
	v_fmac_f64_e32 v[168:169], v[152:153], v[134:135]
	s_wait_loadcnt 0x1
	v_fmac_f64_e32 v[168:169], v[142:143], v[136:137]
	s_wait_dscnt 0x0
	s_delay_alu instid0(VALU_DEP_1) | instskip(SKIP_1) | instid1(VALU_DEP_1)
	v_fmac_f64_e32 v[168:169], v[144:145], v[138:139]
	s_wait_loadcnt 0x0
	v_fmac_f64_e32 v[168:169], v[162:163], v[140:141]
	s_delay_alu instid0(VALU_DEP_1)
	v_add_f64_e64 v[2:3], v[132:133], -v[168:169]
	scratch_store_b64 off, v[2:3], off offset:120
	s_wait_xcnt 0x0
	v_cmpx_lt_u32_e32 14, v0
	s_cbranch_execz .LBB63_365
; %bb.364:
	scratch_load_b64 v[2:3], off, off offset:112
	v_mov_b64_e32 v[132:133], 0
	scratch_store_b64 off, v[132:133], off offset:112
	s_wait_loadcnt 0x0
	ds_store_b64 v1, v[2:3]
.LBB63_365:
	s_wait_xcnt 0x0
	s_or_b32 exec_lo, exec_lo, s0
	s_wait_storecnt_dscnt 0x0
	s_barrier_signal -1
	s_barrier_wait -1
	s_clause 0x5
	scratch_load_b128 v[132:135], off, off offset:112
	scratch_load_b128 v[136:139], off, off offset:128
	scratch_load_b128 v[140:143], off, off offset:144
	scratch_load_b128 v[144:147], off, off offset:160
	scratch_load_b128 v[148:151], off, off offset:176
	scratch_load_b128 v[152:155], off, off offset:192
	v_mov_b32_e32 v2, 0
	ds_load_2addr_b64 v[156:159], v2 offset0:79 offset1:80
	ds_load_2addr_b64 v[160:163], v2 offset0:81 offset1:82
	scratch_load_b128 v[164:167], off, off offset:208
	s_mov_b32 s0, exec_lo
	s_wait_loadcnt_dscnt 0x601
	v_fma_f64 v[168:169], v[134:135], v[156:157], 0
	s_wait_loadcnt 0x5
	s_delay_alu instid0(VALU_DEP_1) | instskip(SKIP_4) | instid1(VALU_DEP_1)
	v_fmac_f64_e32 v[168:169], v[136:137], v[158:159]
	scratch_load_b128 v[134:137], off, off offset:224
	s_wait_dscnt 0x0
	v_fmac_f64_e32 v[168:169], v[138:139], v[160:161]
	s_wait_loadcnt 0x5
	v_fmac_f64_e32 v[168:169], v[140:141], v[162:163]
	ds_load_2addr_b64 v[138:141], v2 offset0:83 offset1:84
	ds_load_2addr_b64 v[156:159], v2 offset0:85 offset1:86
	scratch_load_b128 v[160:163], off, off offset:240
	s_wait_dscnt 0x1
	v_fmac_f64_e32 v[168:169], v[142:143], v[138:139]
	s_wait_loadcnt 0x5
	s_delay_alu instid0(VALU_DEP_1) | instskip(SKIP_4) | instid1(VALU_DEP_1)
	v_fmac_f64_e32 v[168:169], v[144:145], v[140:141]
	scratch_load_b128 v[138:141], off, off offset:256
	s_wait_dscnt 0x0
	v_fmac_f64_e32 v[168:169], v[146:147], v[156:157]
	s_wait_loadcnt 0x5
	v_fmac_f64_e32 v[168:169], v[148:149], v[158:159]
	ds_load_2addr_b64 v[142:145], v2 offset0:87 offset1:88
	ds_load_2addr_b64 v[146:149], v2 offset0:89 offset1:90
	scratch_load_b128 v[156:159], off, off offset:272
	s_wait_dscnt 0x1
	v_fmac_f64_e32 v[168:169], v[150:151], v[142:143]
	s_wait_loadcnt 0x5
	s_delay_alu instid0(VALU_DEP_1) | instskip(SKIP_4) | instid1(VALU_DEP_1)
	v_fmac_f64_e32 v[168:169], v[152:153], v[144:145]
	scratch_load_b128 v[142:145], off, off offset:288
	s_wait_dscnt 0x0
	v_fmac_f64_e32 v[168:169], v[154:155], v[146:147]
	s_wait_loadcnt 0x5
	v_fmac_f64_e32 v[168:169], v[164:165], v[148:149]
	ds_load_2addr_b64 v[146:149], v2 offset0:91 offset1:92
	ds_load_2addr_b64 v[150:153], v2 offset0:93 offset1:94
	s_wait_dscnt 0x1
	v_fmac_f64_e32 v[168:169], v[166:167], v[146:147]
	scratch_load_b128 v[164:167], off, off offset:304
	s_wait_loadcnt 0x5
	v_fmac_f64_e32 v[168:169], v[134:135], v[148:149]
	s_wait_dscnt 0x0
	s_delay_alu instid0(VALU_DEP_1)
	v_fmac_f64_e32 v[168:169], v[136:137], v[150:151]
	scratch_load_b128 v[134:137], off, off offset:320
	s_wait_loadcnt 0x5
	v_fmac_f64_e32 v[168:169], v[160:161], v[152:153]
	ds_load_2addr_b64 v[146:149], v2 offset0:95 offset1:96
	ds_load_2addr_b64 v[150:153], v2 offset0:97 offset1:98
	s_wait_dscnt 0x1
	v_fmac_f64_e32 v[168:169], v[162:163], v[146:147]
	scratch_load_b128 v[160:163], off, off offset:336
	s_wait_loadcnt 0x5
	v_fmac_f64_e32 v[168:169], v[138:139], v[148:149]
	s_wait_dscnt 0x0
	s_delay_alu instid0(VALU_DEP_1)
	v_fmac_f64_e32 v[168:169], v[140:141], v[150:151]
	scratch_load_b128 v[138:141], off, off offset:352
	s_wait_loadcnt 0x5
	v_fmac_f64_e32 v[168:169], v[156:157], v[152:153]
	ds_load_2addr_b64 v[146:149], v2 offset0:99 offset1:100
	ds_load_2addr_b64 v[150:153], v2 offset0:101 offset1:102
	scratch_load_b128 v[154:157], off, off offset:368
	s_wait_dscnt 0x1
	v_fmac_f64_e32 v[168:169], v[158:159], v[146:147]
	s_wait_loadcnt 0x5
	s_delay_alu instid0(VALU_DEP_1) | instskip(SKIP_1) | instid1(VALU_DEP_1)
	v_fmac_f64_e32 v[168:169], v[142:143], v[148:149]
	s_wait_dscnt 0x0
	v_fmac_f64_e32 v[168:169], v[144:145], v[150:151]
	scratch_load_b128 v[142:145], off, off offset:384
	s_wait_loadcnt 0x5
	v_fmac_f64_e32 v[168:169], v[164:165], v[152:153]
	ds_load_2addr_b64 v[146:149], v2 offset0:103 offset1:104
	ds_load_2addr_b64 v[150:153], v2 offset0:105 offset1:106
	s_wait_dscnt 0x1
	v_fmac_f64_e32 v[168:169], v[166:167], v[146:147]
	scratch_load_b128 v[164:167], off, off offset:400
	s_wait_loadcnt 0x5
	v_fmac_f64_e32 v[168:169], v[134:135], v[148:149]
	s_wait_dscnt 0x0
	s_delay_alu instid0(VALU_DEP_1)
	v_fmac_f64_e32 v[168:169], v[136:137], v[150:151]
	scratch_load_b128 v[134:137], off, off offset:416
	s_wait_loadcnt 0x5
	v_fmac_f64_e32 v[168:169], v[160:161], v[152:153]
	ds_load_2addr_b64 v[146:149], v2 offset0:107 offset1:108
	ds_load_2addr_b64 v[150:153], v2 offset0:109 offset1:110
	s_wait_dscnt 0x1
	v_fmac_f64_e32 v[168:169], v[162:163], v[146:147]
	s_wait_loadcnt 0x4
	s_delay_alu instid0(VALU_DEP_1)
	v_fmac_f64_e32 v[168:169], v[138:139], v[148:149]
	scratch_load_b128 v[146:149], off, off offset:432
	s_wait_dscnt 0x0
	v_fmac_f64_e32 v[168:169], v[140:141], v[150:151]
	scratch_load_b128 v[138:141], off, off offset:448
	s_wait_loadcnt 0x5
	v_fmac_f64_e32 v[168:169], v[154:155], v[152:153]
	ds_load_2addr_b64 v[150:153], v2 offset0:111 offset1:112
	ds_load_2addr_b64 v[158:161], v2 offset0:113 offset1:114
	s_wait_dscnt 0x1
	v_fmac_f64_e32 v[168:169], v[156:157], v[150:151]
	s_wait_loadcnt 0x4
	s_delay_alu instid0(VALU_DEP_1)
	v_fmac_f64_e32 v[168:169], v[142:143], v[152:153]
	scratch_load_b128 v[150:153], off, off offset:464
	s_wait_dscnt 0x0
	v_fmac_f64_e32 v[168:169], v[144:145], v[158:159]
	scratch_load_b128 v[142:145], off, off offset:480
	s_wait_loadcnt 0x5
	v_fmac_f64_e32 v[168:169], v[164:165], v[160:161]
	ds_load_2addr_b64 v[154:157], v2 offset0:115 offset1:116
	ds_load_2addr_b64 v[158:161], v2 offset0:117 offset1:118
	s_wait_dscnt 0x1
	v_fmac_f64_e32 v[168:169], v[166:167], v[154:155]
	s_wait_loadcnt 0x4
	s_delay_alu instid0(VALU_DEP_1) | instskip(SKIP_4) | instid1(VALU_DEP_1)
	v_fmac_f64_e32 v[168:169], v[134:135], v[156:157]
	scratch_load_b128 v[154:157], off, off offset:496
	s_wait_dscnt 0x0
	v_fmac_f64_e32 v[168:169], v[136:137], v[158:159]
	s_wait_loadcnt 0x4
	v_fmac_f64_e32 v[168:169], v[146:147], v[160:161]
	ds_load_2addr_b64 v[134:137], v2 offset0:119 offset1:120
	ds_load_2addr_b64 v[158:161], v2 offset0:121 offset1:122
	s_wait_dscnt 0x1
	v_fmac_f64_e32 v[168:169], v[148:149], v[134:135]
	s_wait_loadcnt 0x3
	s_delay_alu instid0(VALU_DEP_1) | instskip(SKIP_1) | instid1(VALU_DEP_1)
	v_fmac_f64_e32 v[168:169], v[138:139], v[136:137]
	s_wait_dscnt 0x0
	v_fmac_f64_e32 v[168:169], v[140:141], v[158:159]
	ds_load_2addr_b64 v[134:137], v2 offset0:123 offset1:124
	ds_load_2addr_b64 v[138:141], v2 offset0:125 offset1:126
	s_wait_loadcnt 0x2
	v_fmac_f64_e32 v[168:169], v[150:151], v[160:161]
	s_wait_dscnt 0x1
	s_delay_alu instid0(VALU_DEP_1) | instskip(SKIP_4) | instid1(VALU_DEP_1)
	v_fmac_f64_e32 v[168:169], v[152:153], v[134:135]
	ds_load_b64 v[134:135], v2 offset:1016
	s_wait_loadcnt 0x1
	v_fmac_f64_e32 v[168:169], v[142:143], v[136:137]
	s_wait_dscnt 0x1
	v_fmac_f64_e32 v[168:169], v[144:145], v[138:139]
	s_wait_loadcnt 0x0
	s_delay_alu instid0(VALU_DEP_1) | instskip(SKIP_1) | instid1(VALU_DEP_1)
	v_fmac_f64_e32 v[168:169], v[154:155], v[140:141]
	s_wait_dscnt 0x0
	v_fmac_f64_e32 v[168:169], v[156:157], v[134:135]
	s_delay_alu instid0(VALU_DEP_1)
	v_add_f64_e64 v[132:133], v[132:133], -v[168:169]
	scratch_store_b64 off, v[132:133], off offset:112
	s_wait_xcnt 0x0
	v_cmpx_lt_u32_e32 13, v0
	s_cbranch_execz .LBB63_367
; %bb.366:
	scratch_load_b64 v[132:133], off, off offset:104
	v_mov_b64_e32 v[134:135], 0
	scratch_store_b64 off, v[134:135], off offset:104
	s_wait_loadcnt 0x0
	ds_store_b64 v1, v[132:133]
.LBB63_367:
	s_wait_xcnt 0x0
	s_or_b32 exec_lo, exec_lo, s0
	s_wait_storecnt_dscnt 0x0
	s_barrier_signal -1
	s_barrier_wait -1
	s_clause 0x5
	scratch_load_b128 v[132:135], off, off offset:104
	scratch_load_b128 v[136:139], off, off offset:120
	;; [unrolled: 1-line block ×6, first 2 shown]
	ds_load_b128 v[156:159], v2 offset:624
	ds_load_b128 v[160:163], v2 offset:640
	scratch_load_b128 v[164:167], off, off offset:200
	s_mov_b32 s0, exec_lo
	s_wait_loadcnt_dscnt 0x601
	v_fma_f64 v[168:169], v[134:135], v[156:157], 0
	s_wait_loadcnt 0x5
	s_delay_alu instid0(VALU_DEP_1) | instskip(SKIP_4) | instid1(VALU_DEP_1)
	v_fmac_f64_e32 v[168:169], v[136:137], v[158:159]
	scratch_load_b128 v[134:137], off, off offset:216
	s_wait_dscnt 0x0
	v_fmac_f64_e32 v[168:169], v[138:139], v[160:161]
	s_wait_loadcnt 0x5
	v_fmac_f64_e32 v[168:169], v[140:141], v[162:163]
	ds_load_b128 v[138:141], v2 offset:656
	ds_load_b128 v[156:159], v2 offset:672
	scratch_load_b128 v[160:163], off, off offset:232
	s_wait_dscnt 0x1
	v_fmac_f64_e32 v[168:169], v[142:143], v[138:139]
	s_wait_loadcnt 0x5
	s_delay_alu instid0(VALU_DEP_1) | instskip(SKIP_4) | instid1(VALU_DEP_1)
	v_fmac_f64_e32 v[168:169], v[144:145], v[140:141]
	scratch_load_b128 v[138:141], off, off offset:248
	s_wait_dscnt 0x0
	v_fmac_f64_e32 v[168:169], v[146:147], v[156:157]
	s_wait_loadcnt 0x5
	v_fmac_f64_e32 v[168:169], v[148:149], v[158:159]
	ds_load_b128 v[142:145], v2 offset:688
	ds_load_b128 v[146:149], v2 offset:704
	scratch_load_b128 v[156:159], off, off offset:264
	s_wait_dscnt 0x1
	v_fmac_f64_e32 v[168:169], v[150:151], v[142:143]
	s_wait_loadcnt 0x5
	s_delay_alu instid0(VALU_DEP_1) | instskip(SKIP_4) | instid1(VALU_DEP_1)
	v_fmac_f64_e32 v[168:169], v[152:153], v[144:145]
	scratch_load_b128 v[142:145], off, off offset:280
	s_wait_dscnt 0x0
	v_fmac_f64_e32 v[168:169], v[154:155], v[146:147]
	s_wait_loadcnt 0x5
	v_fmac_f64_e32 v[168:169], v[164:165], v[148:149]
	ds_load_b128 v[146:149], v2 offset:720
	ds_load_b128 v[150:153], v2 offset:736
	s_wait_dscnt 0x1
	v_fmac_f64_e32 v[168:169], v[166:167], v[146:147]
	scratch_load_b128 v[164:167], off, off offset:296
	s_wait_loadcnt 0x5
	v_fmac_f64_e32 v[168:169], v[134:135], v[148:149]
	s_wait_dscnt 0x0
	s_delay_alu instid0(VALU_DEP_1)
	v_fmac_f64_e32 v[168:169], v[136:137], v[150:151]
	scratch_load_b128 v[134:137], off, off offset:312
	s_wait_loadcnt 0x5
	v_fmac_f64_e32 v[168:169], v[160:161], v[152:153]
	ds_load_b128 v[146:149], v2 offset:752
	ds_load_b128 v[150:153], v2 offset:768
	s_wait_dscnt 0x1
	v_fmac_f64_e32 v[168:169], v[162:163], v[146:147]
	scratch_load_b128 v[160:163], off, off offset:328
	s_wait_loadcnt 0x5
	v_fmac_f64_e32 v[168:169], v[138:139], v[148:149]
	s_wait_dscnt 0x0
	s_delay_alu instid0(VALU_DEP_1)
	v_fmac_f64_e32 v[168:169], v[140:141], v[150:151]
	scratch_load_b128 v[138:141], off, off offset:344
	s_wait_loadcnt 0x5
	v_fmac_f64_e32 v[168:169], v[156:157], v[152:153]
	ds_load_b128 v[146:149], v2 offset:784
	ds_load_b128 v[150:153], v2 offset:800
	scratch_load_b128 v[154:157], off, off offset:360
	s_wait_dscnt 0x1
	v_fmac_f64_e32 v[168:169], v[158:159], v[146:147]
	s_wait_loadcnt 0x5
	s_delay_alu instid0(VALU_DEP_1) | instskip(SKIP_1) | instid1(VALU_DEP_1)
	v_fmac_f64_e32 v[168:169], v[142:143], v[148:149]
	s_wait_dscnt 0x0
	v_fmac_f64_e32 v[168:169], v[144:145], v[150:151]
	scratch_load_b128 v[142:145], off, off offset:376
	s_wait_loadcnt 0x5
	v_fmac_f64_e32 v[168:169], v[164:165], v[152:153]
	ds_load_b128 v[146:149], v2 offset:816
	ds_load_b128 v[150:153], v2 offset:832
	s_wait_dscnt 0x1
	v_fmac_f64_e32 v[168:169], v[166:167], v[146:147]
	scratch_load_b128 v[164:167], off, off offset:392
	s_wait_loadcnt 0x5
	v_fmac_f64_e32 v[168:169], v[134:135], v[148:149]
	s_wait_dscnt 0x0
	s_delay_alu instid0(VALU_DEP_1)
	v_fmac_f64_e32 v[168:169], v[136:137], v[150:151]
	scratch_load_b128 v[134:137], off, off offset:408
	s_wait_loadcnt 0x5
	v_fmac_f64_e32 v[168:169], v[160:161], v[152:153]
	ds_load_b128 v[146:149], v2 offset:848
	ds_load_b128 v[150:153], v2 offset:864
	scratch_load_b128 v[158:161], off, off offset:424
	s_wait_dscnt 0x1
	v_fmac_f64_e32 v[168:169], v[162:163], v[146:147]
	s_wait_loadcnt 0x5
	s_delay_alu instid0(VALU_DEP_1) | instskip(SKIP_1) | instid1(VALU_DEP_1)
	v_fmac_f64_e32 v[168:169], v[138:139], v[148:149]
	s_wait_dscnt 0x0
	v_fmac_f64_e32 v[168:169], v[140:141], v[150:151]
	scratch_load_b128 v[138:141], off, off offset:440
	s_wait_loadcnt 0x5
	v_fmac_f64_e32 v[168:169], v[154:155], v[152:153]
	ds_load_b128 v[146:149], v2 offset:880
	ds_load_b128 v[150:153], v2 offset:896
	s_wait_dscnt 0x1
	v_fmac_f64_e32 v[168:169], v[156:157], v[146:147]
	s_wait_loadcnt 0x4
	s_delay_alu instid0(VALU_DEP_1)
	v_fmac_f64_e32 v[168:169], v[142:143], v[148:149]
	scratch_load_b128 v[146:149], off, off offset:456
	s_wait_dscnt 0x0
	v_fmac_f64_e32 v[168:169], v[144:145], v[150:151]
	scratch_load_b128 v[142:145], off, off offset:472
	s_wait_loadcnt 0x5
	v_fmac_f64_e32 v[168:169], v[164:165], v[152:153]
	ds_load_b128 v[150:153], v2 offset:912
	ds_load_b128 v[154:157], v2 offset:928
	s_wait_dscnt 0x1
	v_fmac_f64_e32 v[168:169], v[166:167], v[150:151]
	s_wait_loadcnt 0x4
	s_delay_alu instid0(VALU_DEP_1) | instskip(SKIP_4) | instid1(VALU_DEP_1)
	v_fmac_f64_e32 v[168:169], v[134:135], v[152:153]
	scratch_load_b128 v[150:153], off, off offset:488
	s_wait_dscnt 0x0
	v_fmac_f64_e32 v[168:169], v[136:137], v[154:155]
	s_wait_loadcnt 0x4
	v_fmac_f64_e32 v[168:169], v[158:159], v[156:157]
	scratch_load_b64 v[158:159], off, off offset:504
	ds_load_b128 v[134:137], v2 offset:944
	ds_load_b128 v[154:157], v2 offset:960
	s_wait_dscnt 0x1
	v_fmac_f64_e32 v[168:169], v[160:161], v[134:135]
	s_wait_loadcnt 0x4
	s_delay_alu instid0(VALU_DEP_1) | instskip(SKIP_1) | instid1(VALU_DEP_1)
	v_fmac_f64_e32 v[168:169], v[138:139], v[136:137]
	s_wait_dscnt 0x0
	v_fmac_f64_e32 v[168:169], v[140:141], v[154:155]
	ds_load_b128 v[134:137], v2 offset:976
	ds_load_b128 v[138:141], v2 offset:992
	s_wait_loadcnt 0x3
	v_fmac_f64_e32 v[168:169], v[146:147], v[156:157]
	s_wait_dscnt 0x1
	s_delay_alu instid0(VALU_DEP_1) | instskip(SKIP_1) | instid1(VALU_DEP_1)
	v_fmac_f64_e32 v[168:169], v[148:149], v[134:135]
	s_wait_loadcnt 0x2
	v_fmac_f64_e32 v[168:169], v[142:143], v[136:137]
	ds_load_b128 v[134:137], v2 offset:1008
	s_wait_dscnt 0x1
	v_fmac_f64_e32 v[168:169], v[144:145], v[138:139]
	s_wait_loadcnt 0x1
	s_delay_alu instid0(VALU_DEP_1) | instskip(SKIP_1) | instid1(VALU_DEP_1)
	v_fmac_f64_e32 v[168:169], v[150:151], v[140:141]
	s_wait_dscnt 0x0
	v_fmac_f64_e32 v[168:169], v[152:153], v[134:135]
	s_wait_loadcnt 0x0
	s_delay_alu instid0(VALU_DEP_1) | instskip(NEXT) | instid1(VALU_DEP_1)
	v_fmac_f64_e32 v[168:169], v[158:159], v[136:137]
	v_add_f64_e64 v[2:3], v[132:133], -v[168:169]
	scratch_store_b64 off, v[2:3], off offset:104
	s_wait_xcnt 0x0
	v_cmpx_lt_u32_e32 12, v0
	s_cbranch_execz .LBB63_369
; %bb.368:
	scratch_load_b64 v[2:3], off, off offset:96
	v_mov_b64_e32 v[132:133], 0
	scratch_store_b64 off, v[132:133], off offset:96
	s_wait_loadcnt 0x0
	ds_store_b64 v1, v[2:3]
.LBB63_369:
	s_wait_xcnt 0x0
	s_or_b32 exec_lo, exec_lo, s0
	s_wait_storecnt_dscnt 0x0
	s_barrier_signal -1
	s_barrier_wait -1
	s_clause 0x5
	scratch_load_b128 v[132:135], off, off offset:96
	scratch_load_b128 v[136:139], off, off offset:112
	;; [unrolled: 1-line block ×6, first 2 shown]
	v_mov_b32_e32 v2, 0
	ds_load_2addr_b64 v[156:159], v2 offset0:77 offset1:78
	ds_load_2addr_b64 v[160:163], v2 offset0:79 offset1:80
	scratch_load_b128 v[164:167], off, off offset:192
	s_mov_b32 s0, exec_lo
	s_wait_loadcnt_dscnt 0x601
	v_fma_f64 v[168:169], v[134:135], v[156:157], 0
	s_wait_loadcnt 0x5
	s_delay_alu instid0(VALU_DEP_1) | instskip(SKIP_4) | instid1(VALU_DEP_1)
	v_fmac_f64_e32 v[168:169], v[136:137], v[158:159]
	scratch_load_b128 v[134:137], off, off offset:208
	s_wait_dscnt 0x0
	v_fmac_f64_e32 v[168:169], v[138:139], v[160:161]
	s_wait_loadcnt 0x5
	v_fmac_f64_e32 v[168:169], v[140:141], v[162:163]
	ds_load_2addr_b64 v[138:141], v2 offset0:81 offset1:82
	ds_load_2addr_b64 v[156:159], v2 offset0:83 offset1:84
	scratch_load_b128 v[160:163], off, off offset:224
	s_wait_dscnt 0x1
	v_fmac_f64_e32 v[168:169], v[142:143], v[138:139]
	s_wait_loadcnt 0x5
	s_delay_alu instid0(VALU_DEP_1) | instskip(SKIP_4) | instid1(VALU_DEP_1)
	v_fmac_f64_e32 v[168:169], v[144:145], v[140:141]
	scratch_load_b128 v[138:141], off, off offset:240
	s_wait_dscnt 0x0
	v_fmac_f64_e32 v[168:169], v[146:147], v[156:157]
	s_wait_loadcnt 0x5
	v_fmac_f64_e32 v[168:169], v[148:149], v[158:159]
	ds_load_2addr_b64 v[142:145], v2 offset0:85 offset1:86
	ds_load_2addr_b64 v[146:149], v2 offset0:87 offset1:88
	scratch_load_b128 v[156:159], off, off offset:256
	s_wait_dscnt 0x1
	v_fmac_f64_e32 v[168:169], v[150:151], v[142:143]
	s_wait_loadcnt 0x5
	s_delay_alu instid0(VALU_DEP_1) | instskip(SKIP_4) | instid1(VALU_DEP_1)
	v_fmac_f64_e32 v[168:169], v[152:153], v[144:145]
	scratch_load_b128 v[142:145], off, off offset:272
	s_wait_dscnt 0x0
	v_fmac_f64_e32 v[168:169], v[154:155], v[146:147]
	s_wait_loadcnt 0x5
	v_fmac_f64_e32 v[168:169], v[164:165], v[148:149]
	ds_load_2addr_b64 v[146:149], v2 offset0:89 offset1:90
	ds_load_2addr_b64 v[150:153], v2 offset0:91 offset1:92
	s_wait_dscnt 0x1
	v_fmac_f64_e32 v[168:169], v[166:167], v[146:147]
	scratch_load_b128 v[164:167], off, off offset:288
	s_wait_loadcnt 0x5
	v_fmac_f64_e32 v[168:169], v[134:135], v[148:149]
	s_wait_dscnt 0x0
	s_delay_alu instid0(VALU_DEP_1)
	v_fmac_f64_e32 v[168:169], v[136:137], v[150:151]
	scratch_load_b128 v[134:137], off, off offset:304
	s_wait_loadcnt 0x5
	v_fmac_f64_e32 v[168:169], v[160:161], v[152:153]
	ds_load_2addr_b64 v[146:149], v2 offset0:93 offset1:94
	ds_load_2addr_b64 v[150:153], v2 offset0:95 offset1:96
	s_wait_dscnt 0x1
	v_fmac_f64_e32 v[168:169], v[162:163], v[146:147]
	scratch_load_b128 v[160:163], off, off offset:320
	s_wait_loadcnt 0x5
	v_fmac_f64_e32 v[168:169], v[138:139], v[148:149]
	s_wait_dscnt 0x0
	s_delay_alu instid0(VALU_DEP_1)
	v_fmac_f64_e32 v[168:169], v[140:141], v[150:151]
	scratch_load_b128 v[138:141], off, off offset:336
	s_wait_loadcnt 0x5
	v_fmac_f64_e32 v[168:169], v[156:157], v[152:153]
	ds_load_2addr_b64 v[146:149], v2 offset0:97 offset1:98
	ds_load_2addr_b64 v[150:153], v2 offset0:99 offset1:100
	scratch_load_b128 v[154:157], off, off offset:352
	s_wait_dscnt 0x1
	v_fmac_f64_e32 v[168:169], v[158:159], v[146:147]
	s_wait_loadcnt 0x5
	s_delay_alu instid0(VALU_DEP_1) | instskip(SKIP_1) | instid1(VALU_DEP_1)
	v_fmac_f64_e32 v[168:169], v[142:143], v[148:149]
	s_wait_dscnt 0x0
	v_fmac_f64_e32 v[168:169], v[144:145], v[150:151]
	scratch_load_b128 v[142:145], off, off offset:368
	s_wait_loadcnt 0x5
	v_fmac_f64_e32 v[168:169], v[164:165], v[152:153]
	ds_load_2addr_b64 v[146:149], v2 offset0:101 offset1:102
	ds_load_2addr_b64 v[150:153], v2 offset0:103 offset1:104
	s_wait_dscnt 0x1
	v_fmac_f64_e32 v[168:169], v[166:167], v[146:147]
	scratch_load_b128 v[164:167], off, off offset:384
	s_wait_loadcnt 0x5
	v_fmac_f64_e32 v[168:169], v[134:135], v[148:149]
	s_wait_dscnt 0x0
	s_delay_alu instid0(VALU_DEP_1)
	v_fmac_f64_e32 v[168:169], v[136:137], v[150:151]
	scratch_load_b128 v[134:137], off, off offset:400
	s_wait_loadcnt 0x5
	v_fmac_f64_e32 v[168:169], v[160:161], v[152:153]
	ds_load_2addr_b64 v[146:149], v2 offset0:105 offset1:106
	ds_load_2addr_b64 v[150:153], v2 offset0:107 offset1:108
	scratch_load_b128 v[158:161], off, off offset:416
	s_wait_dscnt 0x1
	v_fmac_f64_e32 v[168:169], v[162:163], v[146:147]
	s_wait_loadcnt 0x5
	s_delay_alu instid0(VALU_DEP_1) | instskip(SKIP_1) | instid1(VALU_DEP_1)
	v_fmac_f64_e32 v[168:169], v[138:139], v[148:149]
	s_wait_dscnt 0x0
	v_fmac_f64_e32 v[168:169], v[140:141], v[150:151]
	scratch_load_b128 v[138:141], off, off offset:432
	s_wait_loadcnt 0x5
	v_fmac_f64_e32 v[168:169], v[154:155], v[152:153]
	ds_load_2addr_b64 v[146:149], v2 offset0:109 offset1:110
	ds_load_2addr_b64 v[150:153], v2 offset0:111 offset1:112
	s_wait_dscnt 0x1
	v_fmac_f64_e32 v[168:169], v[156:157], v[146:147]
	s_wait_loadcnt 0x4
	s_delay_alu instid0(VALU_DEP_1)
	v_fmac_f64_e32 v[168:169], v[142:143], v[148:149]
	scratch_load_b128 v[146:149], off, off offset:448
	s_wait_dscnt 0x0
	v_fmac_f64_e32 v[168:169], v[144:145], v[150:151]
	scratch_load_b128 v[142:145], off, off offset:464
	s_wait_loadcnt 0x5
	v_fmac_f64_e32 v[168:169], v[164:165], v[152:153]
	ds_load_2addr_b64 v[150:153], v2 offset0:113 offset1:114
	ds_load_2addr_b64 v[154:157], v2 offset0:115 offset1:116
	s_wait_dscnt 0x1
	v_fmac_f64_e32 v[168:169], v[166:167], v[150:151]
	s_wait_loadcnt 0x4
	s_delay_alu instid0(VALU_DEP_1)
	v_fmac_f64_e32 v[168:169], v[134:135], v[152:153]
	scratch_load_b128 v[150:153], off, off offset:480
	s_wait_dscnt 0x0
	v_fmac_f64_e32 v[168:169], v[136:137], v[154:155]
	scratch_load_b128 v[134:137], off, off offset:496
	s_wait_loadcnt 0x5
	v_fmac_f64_e32 v[168:169], v[158:159], v[156:157]
	ds_load_2addr_b64 v[154:157], v2 offset0:117 offset1:118
	ds_load_2addr_b64 v[162:165], v2 offset0:119 offset1:120
	s_wait_dscnt 0x1
	v_fmac_f64_e32 v[168:169], v[160:161], v[154:155]
	s_wait_loadcnt 0x4
	s_delay_alu instid0(VALU_DEP_1) | instskip(SKIP_1) | instid1(VALU_DEP_1)
	v_fmac_f64_e32 v[168:169], v[138:139], v[156:157]
	s_wait_dscnt 0x0
	v_fmac_f64_e32 v[168:169], v[140:141], v[162:163]
	ds_load_2addr_b64 v[138:141], v2 offset0:121 offset1:122
	ds_load_2addr_b64 v[154:157], v2 offset0:123 offset1:124
	s_wait_loadcnt 0x3
	v_fmac_f64_e32 v[168:169], v[146:147], v[164:165]
	s_wait_dscnt 0x1
	s_delay_alu instid0(VALU_DEP_1) | instskip(SKIP_1) | instid1(VALU_DEP_1)
	v_fmac_f64_e32 v[168:169], v[148:149], v[138:139]
	s_wait_loadcnt 0x2
	v_fmac_f64_e32 v[168:169], v[142:143], v[140:141]
	ds_load_2addr_b64 v[138:141], v2 offset0:125 offset1:126
	ds_load_b64 v[142:143], v2 offset:1016
	s_wait_dscnt 0x2
	v_fmac_f64_e32 v[168:169], v[144:145], v[154:155]
	s_wait_loadcnt 0x1
	s_delay_alu instid0(VALU_DEP_1) | instskip(SKIP_1) | instid1(VALU_DEP_1)
	v_fmac_f64_e32 v[168:169], v[150:151], v[156:157]
	s_wait_dscnt 0x1
	v_fmac_f64_e32 v[168:169], v[152:153], v[138:139]
	s_wait_loadcnt 0x0
	s_delay_alu instid0(VALU_DEP_1) | instskip(SKIP_1) | instid1(VALU_DEP_1)
	v_fmac_f64_e32 v[168:169], v[134:135], v[140:141]
	s_wait_dscnt 0x0
	v_fmac_f64_e32 v[168:169], v[136:137], v[142:143]
	s_delay_alu instid0(VALU_DEP_1)
	v_add_f64_e64 v[132:133], v[132:133], -v[168:169]
	scratch_store_b64 off, v[132:133], off offset:96
	s_wait_xcnt 0x0
	v_cmpx_lt_u32_e32 11, v0
	s_cbranch_execz .LBB63_371
; %bb.370:
	scratch_load_b64 v[132:133], off, off offset:88
	v_mov_b64_e32 v[134:135], 0
	scratch_store_b64 off, v[134:135], off offset:88
	s_wait_loadcnt 0x0
	ds_store_b64 v1, v[132:133]
.LBB63_371:
	s_wait_xcnt 0x0
	s_or_b32 exec_lo, exec_lo, s0
	s_wait_storecnt_dscnt 0x0
	s_barrier_signal -1
	s_barrier_wait -1
	s_clause 0x5
	scratch_load_b128 v[132:135], off, off offset:88
	scratch_load_b128 v[136:139], off, off offset:104
	;; [unrolled: 1-line block ×6, first 2 shown]
	ds_load_b128 v[156:159], v2 offset:608
	ds_load_b128 v[160:163], v2 offset:624
	scratch_load_b128 v[164:167], off, off offset:184
	s_mov_b32 s0, exec_lo
	s_wait_loadcnt_dscnt 0x601
	v_fma_f64 v[168:169], v[134:135], v[156:157], 0
	s_wait_loadcnt 0x5
	s_delay_alu instid0(VALU_DEP_1) | instskip(SKIP_4) | instid1(VALU_DEP_1)
	v_fmac_f64_e32 v[168:169], v[136:137], v[158:159]
	scratch_load_b128 v[134:137], off, off offset:200
	s_wait_dscnt 0x0
	v_fmac_f64_e32 v[168:169], v[138:139], v[160:161]
	s_wait_loadcnt 0x5
	v_fmac_f64_e32 v[168:169], v[140:141], v[162:163]
	ds_load_b128 v[138:141], v2 offset:640
	ds_load_b128 v[156:159], v2 offset:656
	scratch_load_b128 v[160:163], off, off offset:216
	s_wait_dscnt 0x1
	v_fmac_f64_e32 v[168:169], v[142:143], v[138:139]
	s_wait_loadcnt 0x5
	s_delay_alu instid0(VALU_DEP_1) | instskip(SKIP_4) | instid1(VALU_DEP_1)
	v_fmac_f64_e32 v[168:169], v[144:145], v[140:141]
	scratch_load_b128 v[138:141], off, off offset:232
	s_wait_dscnt 0x0
	v_fmac_f64_e32 v[168:169], v[146:147], v[156:157]
	s_wait_loadcnt 0x5
	v_fmac_f64_e32 v[168:169], v[148:149], v[158:159]
	ds_load_b128 v[142:145], v2 offset:672
	ds_load_b128 v[146:149], v2 offset:688
	scratch_load_b128 v[156:159], off, off offset:248
	s_wait_dscnt 0x1
	v_fmac_f64_e32 v[168:169], v[150:151], v[142:143]
	s_wait_loadcnt 0x5
	s_delay_alu instid0(VALU_DEP_1) | instskip(SKIP_4) | instid1(VALU_DEP_1)
	v_fmac_f64_e32 v[168:169], v[152:153], v[144:145]
	scratch_load_b128 v[142:145], off, off offset:264
	s_wait_dscnt 0x0
	v_fmac_f64_e32 v[168:169], v[154:155], v[146:147]
	s_wait_loadcnt 0x5
	v_fmac_f64_e32 v[168:169], v[164:165], v[148:149]
	ds_load_b128 v[146:149], v2 offset:704
	ds_load_b128 v[150:153], v2 offset:720
	s_wait_dscnt 0x1
	v_fmac_f64_e32 v[168:169], v[166:167], v[146:147]
	scratch_load_b128 v[164:167], off, off offset:280
	s_wait_loadcnt 0x5
	v_fmac_f64_e32 v[168:169], v[134:135], v[148:149]
	s_wait_dscnt 0x0
	s_delay_alu instid0(VALU_DEP_1)
	v_fmac_f64_e32 v[168:169], v[136:137], v[150:151]
	scratch_load_b128 v[134:137], off, off offset:296
	s_wait_loadcnt 0x5
	v_fmac_f64_e32 v[168:169], v[160:161], v[152:153]
	ds_load_b128 v[146:149], v2 offset:736
	ds_load_b128 v[150:153], v2 offset:752
	s_wait_dscnt 0x1
	v_fmac_f64_e32 v[168:169], v[162:163], v[146:147]
	scratch_load_b128 v[160:163], off, off offset:312
	s_wait_loadcnt 0x5
	v_fmac_f64_e32 v[168:169], v[138:139], v[148:149]
	s_wait_dscnt 0x0
	s_delay_alu instid0(VALU_DEP_1)
	v_fmac_f64_e32 v[168:169], v[140:141], v[150:151]
	scratch_load_b128 v[138:141], off, off offset:328
	s_wait_loadcnt 0x5
	v_fmac_f64_e32 v[168:169], v[156:157], v[152:153]
	ds_load_b128 v[146:149], v2 offset:768
	ds_load_b128 v[150:153], v2 offset:784
	scratch_load_b128 v[154:157], off, off offset:344
	s_wait_dscnt 0x1
	v_fmac_f64_e32 v[168:169], v[158:159], v[146:147]
	s_wait_loadcnt 0x5
	s_delay_alu instid0(VALU_DEP_1) | instskip(SKIP_1) | instid1(VALU_DEP_1)
	v_fmac_f64_e32 v[168:169], v[142:143], v[148:149]
	s_wait_dscnt 0x0
	v_fmac_f64_e32 v[168:169], v[144:145], v[150:151]
	scratch_load_b128 v[142:145], off, off offset:360
	s_wait_loadcnt 0x5
	v_fmac_f64_e32 v[168:169], v[164:165], v[152:153]
	ds_load_b128 v[146:149], v2 offset:800
	ds_load_b128 v[150:153], v2 offset:816
	s_wait_dscnt 0x1
	v_fmac_f64_e32 v[168:169], v[166:167], v[146:147]
	scratch_load_b128 v[164:167], off, off offset:376
	s_wait_loadcnt 0x5
	v_fmac_f64_e32 v[168:169], v[134:135], v[148:149]
	s_wait_dscnt 0x0
	s_delay_alu instid0(VALU_DEP_1)
	v_fmac_f64_e32 v[168:169], v[136:137], v[150:151]
	scratch_load_b128 v[134:137], off, off offset:392
	s_wait_loadcnt 0x5
	v_fmac_f64_e32 v[168:169], v[160:161], v[152:153]
	ds_load_b128 v[146:149], v2 offset:832
	ds_load_b128 v[150:153], v2 offset:848
	scratch_load_b128 v[158:161], off, off offset:408
	s_wait_dscnt 0x1
	v_fmac_f64_e32 v[168:169], v[162:163], v[146:147]
	s_wait_loadcnt 0x5
	s_delay_alu instid0(VALU_DEP_1) | instskip(SKIP_1) | instid1(VALU_DEP_1)
	v_fmac_f64_e32 v[168:169], v[138:139], v[148:149]
	s_wait_dscnt 0x0
	v_fmac_f64_e32 v[168:169], v[140:141], v[150:151]
	scratch_load_b128 v[138:141], off, off offset:424
	s_wait_loadcnt 0x5
	v_fmac_f64_e32 v[168:169], v[154:155], v[152:153]
	ds_load_b128 v[146:149], v2 offset:864
	ds_load_b128 v[150:153], v2 offset:880
	s_wait_dscnt 0x1
	v_fmac_f64_e32 v[168:169], v[156:157], v[146:147]
	s_wait_loadcnt 0x4
	s_delay_alu instid0(VALU_DEP_1)
	v_fmac_f64_e32 v[168:169], v[142:143], v[148:149]
	scratch_load_b128 v[146:149], off, off offset:440
	s_wait_dscnt 0x0
	v_fmac_f64_e32 v[168:169], v[144:145], v[150:151]
	scratch_load_b128 v[142:145], off, off offset:456
	s_wait_loadcnt 0x5
	v_fmac_f64_e32 v[168:169], v[164:165], v[152:153]
	ds_load_b128 v[150:153], v2 offset:896
	ds_load_b128 v[154:157], v2 offset:912
	s_wait_dscnt 0x1
	v_fmac_f64_e32 v[168:169], v[166:167], v[150:151]
	s_wait_loadcnt 0x4
	s_delay_alu instid0(VALU_DEP_1)
	v_fmac_f64_e32 v[168:169], v[134:135], v[152:153]
	scratch_load_b128 v[150:153], off, off offset:472
	s_wait_dscnt 0x0
	v_fmac_f64_e32 v[168:169], v[136:137], v[154:155]
	scratch_load_b128 v[134:137], off, off offset:488
	s_wait_loadcnt 0x5
	v_fmac_f64_e32 v[168:169], v[158:159], v[156:157]
	ds_load_b128 v[154:157], v2 offset:928
	ds_load_b128 v[162:165], v2 offset:944
	scratch_load_b64 v[158:159], off, off offset:504
	s_wait_dscnt 0x1
	v_fmac_f64_e32 v[168:169], v[160:161], v[154:155]
	s_wait_loadcnt 0x5
	s_delay_alu instid0(VALU_DEP_1) | instskip(SKIP_1) | instid1(VALU_DEP_1)
	v_fmac_f64_e32 v[168:169], v[138:139], v[156:157]
	s_wait_dscnt 0x0
	v_fmac_f64_e32 v[168:169], v[140:141], v[162:163]
	ds_load_b128 v[138:141], v2 offset:960
	ds_load_b128 v[154:157], v2 offset:976
	s_wait_loadcnt 0x4
	v_fmac_f64_e32 v[168:169], v[146:147], v[164:165]
	s_wait_dscnt 0x1
	s_delay_alu instid0(VALU_DEP_1) | instskip(SKIP_1) | instid1(VALU_DEP_1)
	v_fmac_f64_e32 v[168:169], v[148:149], v[138:139]
	s_wait_loadcnt 0x3
	v_fmac_f64_e32 v[168:169], v[142:143], v[140:141]
	s_wait_dscnt 0x0
	s_delay_alu instid0(VALU_DEP_1)
	v_fmac_f64_e32 v[168:169], v[144:145], v[154:155]
	ds_load_b128 v[138:141], v2 offset:992
	ds_load_b128 v[142:145], v2 offset:1008
	s_wait_loadcnt 0x2
	v_fmac_f64_e32 v[168:169], v[150:151], v[156:157]
	s_wait_dscnt 0x1
	s_delay_alu instid0(VALU_DEP_1) | instskip(SKIP_1) | instid1(VALU_DEP_1)
	v_fmac_f64_e32 v[168:169], v[152:153], v[138:139]
	s_wait_loadcnt 0x1
	v_fmac_f64_e32 v[168:169], v[134:135], v[140:141]
	s_wait_dscnt 0x0
	s_delay_alu instid0(VALU_DEP_1) | instskip(SKIP_1) | instid1(VALU_DEP_1)
	v_fmac_f64_e32 v[168:169], v[136:137], v[142:143]
	s_wait_loadcnt 0x0
	v_fmac_f64_e32 v[168:169], v[158:159], v[144:145]
	s_delay_alu instid0(VALU_DEP_1)
	v_add_f64_e64 v[2:3], v[132:133], -v[168:169]
	scratch_store_b64 off, v[2:3], off offset:88
	s_wait_xcnt 0x0
	v_cmpx_lt_u32_e32 10, v0
	s_cbranch_execz .LBB63_373
; %bb.372:
	scratch_load_b64 v[2:3], off, off offset:80
	v_mov_b64_e32 v[132:133], 0
	scratch_store_b64 off, v[132:133], off offset:80
	s_wait_loadcnt 0x0
	ds_store_b64 v1, v[2:3]
.LBB63_373:
	s_wait_xcnt 0x0
	s_or_b32 exec_lo, exec_lo, s0
	s_wait_storecnt_dscnt 0x0
	s_barrier_signal -1
	s_barrier_wait -1
	s_clause 0x5
	scratch_load_b128 v[132:135], off, off offset:80
	scratch_load_b128 v[136:139], off, off offset:96
	;; [unrolled: 1-line block ×6, first 2 shown]
	v_mov_b32_e32 v2, 0
	ds_load_2addr_b64 v[156:159], v2 offset0:75 offset1:76
	ds_load_2addr_b64 v[160:163], v2 offset0:77 offset1:78
	scratch_load_b128 v[164:167], off, off offset:176
	s_mov_b32 s0, exec_lo
	s_wait_loadcnt_dscnt 0x601
	v_fma_f64 v[168:169], v[134:135], v[156:157], 0
	s_wait_loadcnt 0x5
	s_delay_alu instid0(VALU_DEP_1) | instskip(SKIP_4) | instid1(VALU_DEP_1)
	v_fmac_f64_e32 v[168:169], v[136:137], v[158:159]
	scratch_load_b128 v[134:137], off, off offset:192
	s_wait_dscnt 0x0
	v_fmac_f64_e32 v[168:169], v[138:139], v[160:161]
	s_wait_loadcnt 0x5
	v_fmac_f64_e32 v[168:169], v[140:141], v[162:163]
	ds_load_2addr_b64 v[138:141], v2 offset0:79 offset1:80
	ds_load_2addr_b64 v[156:159], v2 offset0:81 offset1:82
	scratch_load_b128 v[160:163], off, off offset:208
	s_wait_dscnt 0x1
	v_fmac_f64_e32 v[168:169], v[142:143], v[138:139]
	s_wait_loadcnt 0x5
	s_delay_alu instid0(VALU_DEP_1) | instskip(SKIP_4) | instid1(VALU_DEP_1)
	v_fmac_f64_e32 v[168:169], v[144:145], v[140:141]
	scratch_load_b128 v[138:141], off, off offset:224
	s_wait_dscnt 0x0
	v_fmac_f64_e32 v[168:169], v[146:147], v[156:157]
	s_wait_loadcnt 0x5
	v_fmac_f64_e32 v[168:169], v[148:149], v[158:159]
	ds_load_2addr_b64 v[142:145], v2 offset0:83 offset1:84
	ds_load_2addr_b64 v[146:149], v2 offset0:85 offset1:86
	scratch_load_b128 v[156:159], off, off offset:240
	s_wait_dscnt 0x1
	v_fmac_f64_e32 v[168:169], v[150:151], v[142:143]
	s_wait_loadcnt 0x5
	s_delay_alu instid0(VALU_DEP_1) | instskip(SKIP_4) | instid1(VALU_DEP_1)
	v_fmac_f64_e32 v[168:169], v[152:153], v[144:145]
	scratch_load_b128 v[142:145], off, off offset:256
	s_wait_dscnt 0x0
	v_fmac_f64_e32 v[168:169], v[154:155], v[146:147]
	s_wait_loadcnt 0x5
	v_fmac_f64_e32 v[168:169], v[164:165], v[148:149]
	ds_load_2addr_b64 v[146:149], v2 offset0:87 offset1:88
	ds_load_2addr_b64 v[150:153], v2 offset0:89 offset1:90
	s_wait_dscnt 0x1
	v_fmac_f64_e32 v[168:169], v[166:167], v[146:147]
	scratch_load_b128 v[164:167], off, off offset:272
	s_wait_loadcnt 0x5
	v_fmac_f64_e32 v[168:169], v[134:135], v[148:149]
	s_wait_dscnt 0x0
	s_delay_alu instid0(VALU_DEP_1)
	v_fmac_f64_e32 v[168:169], v[136:137], v[150:151]
	scratch_load_b128 v[134:137], off, off offset:288
	s_wait_loadcnt 0x5
	v_fmac_f64_e32 v[168:169], v[160:161], v[152:153]
	ds_load_2addr_b64 v[146:149], v2 offset0:91 offset1:92
	ds_load_2addr_b64 v[150:153], v2 offset0:93 offset1:94
	s_wait_dscnt 0x1
	v_fmac_f64_e32 v[168:169], v[162:163], v[146:147]
	scratch_load_b128 v[160:163], off, off offset:304
	s_wait_loadcnt 0x5
	v_fmac_f64_e32 v[168:169], v[138:139], v[148:149]
	s_wait_dscnt 0x0
	s_delay_alu instid0(VALU_DEP_1)
	v_fmac_f64_e32 v[168:169], v[140:141], v[150:151]
	scratch_load_b128 v[138:141], off, off offset:320
	s_wait_loadcnt 0x5
	v_fmac_f64_e32 v[168:169], v[156:157], v[152:153]
	ds_load_2addr_b64 v[146:149], v2 offset0:95 offset1:96
	ds_load_2addr_b64 v[150:153], v2 offset0:97 offset1:98
	scratch_load_b128 v[154:157], off, off offset:336
	s_wait_dscnt 0x1
	v_fmac_f64_e32 v[168:169], v[158:159], v[146:147]
	s_wait_loadcnt 0x5
	s_delay_alu instid0(VALU_DEP_1) | instskip(SKIP_1) | instid1(VALU_DEP_1)
	v_fmac_f64_e32 v[168:169], v[142:143], v[148:149]
	s_wait_dscnt 0x0
	v_fmac_f64_e32 v[168:169], v[144:145], v[150:151]
	scratch_load_b128 v[142:145], off, off offset:352
	s_wait_loadcnt 0x5
	v_fmac_f64_e32 v[168:169], v[164:165], v[152:153]
	ds_load_2addr_b64 v[146:149], v2 offset0:99 offset1:100
	ds_load_2addr_b64 v[150:153], v2 offset0:101 offset1:102
	s_wait_dscnt 0x1
	v_fmac_f64_e32 v[168:169], v[166:167], v[146:147]
	scratch_load_b128 v[164:167], off, off offset:368
	s_wait_loadcnt 0x5
	v_fmac_f64_e32 v[168:169], v[134:135], v[148:149]
	s_wait_dscnt 0x0
	s_delay_alu instid0(VALU_DEP_1)
	v_fmac_f64_e32 v[168:169], v[136:137], v[150:151]
	scratch_load_b128 v[134:137], off, off offset:384
	s_wait_loadcnt 0x5
	v_fmac_f64_e32 v[168:169], v[160:161], v[152:153]
	ds_load_2addr_b64 v[146:149], v2 offset0:103 offset1:104
	ds_load_2addr_b64 v[150:153], v2 offset0:105 offset1:106
	scratch_load_b128 v[158:161], off, off offset:400
	s_wait_dscnt 0x1
	v_fmac_f64_e32 v[168:169], v[162:163], v[146:147]
	s_wait_loadcnt 0x5
	s_delay_alu instid0(VALU_DEP_1) | instskip(SKIP_1) | instid1(VALU_DEP_1)
	v_fmac_f64_e32 v[168:169], v[138:139], v[148:149]
	s_wait_dscnt 0x0
	v_fmac_f64_e32 v[168:169], v[140:141], v[150:151]
	scratch_load_b128 v[138:141], off, off offset:416
	s_wait_loadcnt 0x5
	v_fmac_f64_e32 v[168:169], v[154:155], v[152:153]
	ds_load_2addr_b64 v[146:149], v2 offset0:107 offset1:108
	ds_load_2addr_b64 v[150:153], v2 offset0:109 offset1:110
	s_wait_dscnt 0x1
	v_fmac_f64_e32 v[168:169], v[156:157], v[146:147]
	s_wait_loadcnt 0x4
	s_delay_alu instid0(VALU_DEP_1)
	v_fmac_f64_e32 v[168:169], v[142:143], v[148:149]
	scratch_load_b128 v[146:149], off, off offset:432
	s_wait_dscnt 0x0
	v_fmac_f64_e32 v[168:169], v[144:145], v[150:151]
	scratch_load_b128 v[142:145], off, off offset:448
	s_wait_loadcnt 0x5
	v_fmac_f64_e32 v[168:169], v[164:165], v[152:153]
	ds_load_2addr_b64 v[150:153], v2 offset0:111 offset1:112
	ds_load_2addr_b64 v[154:157], v2 offset0:113 offset1:114
	s_wait_dscnt 0x1
	v_fmac_f64_e32 v[168:169], v[166:167], v[150:151]
	s_wait_loadcnt 0x4
	s_delay_alu instid0(VALU_DEP_1)
	v_fmac_f64_e32 v[168:169], v[134:135], v[152:153]
	scratch_load_b128 v[150:153], off, off offset:464
	;; [unrolled: 13-line block ×3, first 2 shown]
	s_wait_dscnt 0x0
	v_fmac_f64_e32 v[168:169], v[140:141], v[162:163]
	ds_load_2addr_b64 v[138:141], v2 offset0:119 offset1:120
	ds_load_2addr_b64 v[158:161], v2 offset0:121 offset1:122
	s_wait_loadcnt 0x4
	v_fmac_f64_e32 v[168:169], v[146:147], v[164:165]
	s_wait_dscnt 0x1
	s_delay_alu instid0(VALU_DEP_1) | instskip(SKIP_1) | instid1(VALU_DEP_1)
	v_fmac_f64_e32 v[168:169], v[148:149], v[138:139]
	s_wait_loadcnt 0x3
	v_fmac_f64_e32 v[168:169], v[142:143], v[140:141]
	s_wait_dscnt 0x0
	s_delay_alu instid0(VALU_DEP_1)
	v_fmac_f64_e32 v[168:169], v[144:145], v[158:159]
	ds_load_2addr_b64 v[138:141], v2 offset0:123 offset1:124
	ds_load_2addr_b64 v[142:145], v2 offset0:125 offset1:126
	s_wait_loadcnt 0x2
	v_fmac_f64_e32 v[168:169], v[150:151], v[160:161]
	s_wait_dscnt 0x1
	s_delay_alu instid0(VALU_DEP_1) | instskip(SKIP_1) | instid1(VALU_DEP_1)
	v_fmac_f64_e32 v[168:169], v[152:153], v[138:139]
	s_wait_loadcnt 0x1
	v_fmac_f64_e32 v[168:169], v[134:135], v[140:141]
	ds_load_b64 v[134:135], v2 offset:1016
	s_wait_dscnt 0x1
	v_fmac_f64_e32 v[168:169], v[136:137], v[142:143]
	s_wait_loadcnt 0x0
	s_delay_alu instid0(VALU_DEP_1) | instskip(SKIP_1) | instid1(VALU_DEP_1)
	v_fmac_f64_e32 v[168:169], v[154:155], v[144:145]
	s_wait_dscnt 0x0
	v_fmac_f64_e32 v[168:169], v[156:157], v[134:135]
	s_delay_alu instid0(VALU_DEP_1)
	v_add_f64_e64 v[132:133], v[132:133], -v[168:169]
	scratch_store_b64 off, v[132:133], off offset:80
	s_wait_xcnt 0x0
	v_cmpx_lt_u32_e32 9, v0
	s_cbranch_execz .LBB63_375
; %bb.374:
	scratch_load_b64 v[132:133], off, off offset:72
	v_mov_b64_e32 v[134:135], 0
	scratch_store_b64 off, v[134:135], off offset:72
	s_wait_loadcnt 0x0
	ds_store_b64 v1, v[132:133]
.LBB63_375:
	s_wait_xcnt 0x0
	s_or_b32 exec_lo, exec_lo, s0
	s_wait_storecnt_dscnt 0x0
	s_barrier_signal -1
	s_barrier_wait -1
	s_clause 0x5
	scratch_load_b128 v[132:135], off, off offset:72
	scratch_load_b128 v[136:139], off, off offset:88
	;; [unrolled: 1-line block ×6, first 2 shown]
	ds_load_b128 v[156:159], v2 offset:592
	ds_load_b128 v[160:163], v2 offset:608
	scratch_load_b128 v[164:167], off, off offset:168
	s_mov_b32 s0, exec_lo
	s_wait_loadcnt_dscnt 0x601
	v_fma_f64 v[168:169], v[134:135], v[156:157], 0
	s_wait_loadcnt 0x5
	s_delay_alu instid0(VALU_DEP_1) | instskip(SKIP_4) | instid1(VALU_DEP_1)
	v_fmac_f64_e32 v[168:169], v[136:137], v[158:159]
	scratch_load_b128 v[134:137], off, off offset:184
	s_wait_dscnt 0x0
	v_fmac_f64_e32 v[168:169], v[138:139], v[160:161]
	s_wait_loadcnt 0x5
	v_fmac_f64_e32 v[168:169], v[140:141], v[162:163]
	ds_load_b128 v[138:141], v2 offset:624
	ds_load_b128 v[156:159], v2 offset:640
	scratch_load_b128 v[160:163], off, off offset:200
	s_wait_dscnt 0x1
	v_fmac_f64_e32 v[168:169], v[142:143], v[138:139]
	s_wait_loadcnt 0x5
	s_delay_alu instid0(VALU_DEP_1) | instskip(SKIP_4) | instid1(VALU_DEP_1)
	v_fmac_f64_e32 v[168:169], v[144:145], v[140:141]
	scratch_load_b128 v[138:141], off, off offset:216
	s_wait_dscnt 0x0
	v_fmac_f64_e32 v[168:169], v[146:147], v[156:157]
	s_wait_loadcnt 0x5
	v_fmac_f64_e32 v[168:169], v[148:149], v[158:159]
	ds_load_b128 v[142:145], v2 offset:656
	ds_load_b128 v[146:149], v2 offset:672
	scratch_load_b128 v[156:159], off, off offset:232
	s_wait_dscnt 0x1
	v_fmac_f64_e32 v[168:169], v[150:151], v[142:143]
	s_wait_loadcnt 0x5
	s_delay_alu instid0(VALU_DEP_1) | instskip(SKIP_4) | instid1(VALU_DEP_1)
	v_fmac_f64_e32 v[168:169], v[152:153], v[144:145]
	scratch_load_b128 v[142:145], off, off offset:248
	s_wait_dscnt 0x0
	v_fmac_f64_e32 v[168:169], v[154:155], v[146:147]
	s_wait_loadcnt 0x5
	v_fmac_f64_e32 v[168:169], v[164:165], v[148:149]
	ds_load_b128 v[146:149], v2 offset:688
	ds_load_b128 v[150:153], v2 offset:704
	s_wait_dscnt 0x1
	v_fmac_f64_e32 v[168:169], v[166:167], v[146:147]
	scratch_load_b128 v[164:167], off, off offset:264
	s_wait_loadcnt 0x5
	v_fmac_f64_e32 v[168:169], v[134:135], v[148:149]
	s_wait_dscnt 0x0
	s_delay_alu instid0(VALU_DEP_1)
	v_fmac_f64_e32 v[168:169], v[136:137], v[150:151]
	scratch_load_b128 v[134:137], off, off offset:280
	s_wait_loadcnt 0x5
	v_fmac_f64_e32 v[168:169], v[160:161], v[152:153]
	ds_load_b128 v[146:149], v2 offset:720
	ds_load_b128 v[150:153], v2 offset:736
	s_wait_dscnt 0x1
	v_fmac_f64_e32 v[168:169], v[162:163], v[146:147]
	scratch_load_b128 v[160:163], off, off offset:296
	s_wait_loadcnt 0x5
	v_fmac_f64_e32 v[168:169], v[138:139], v[148:149]
	s_wait_dscnt 0x0
	s_delay_alu instid0(VALU_DEP_1)
	v_fmac_f64_e32 v[168:169], v[140:141], v[150:151]
	scratch_load_b128 v[138:141], off, off offset:312
	s_wait_loadcnt 0x5
	v_fmac_f64_e32 v[168:169], v[156:157], v[152:153]
	ds_load_b128 v[146:149], v2 offset:752
	ds_load_b128 v[150:153], v2 offset:768
	scratch_load_b128 v[154:157], off, off offset:328
	s_wait_dscnt 0x1
	v_fmac_f64_e32 v[168:169], v[158:159], v[146:147]
	s_wait_loadcnt 0x5
	s_delay_alu instid0(VALU_DEP_1) | instskip(SKIP_1) | instid1(VALU_DEP_1)
	v_fmac_f64_e32 v[168:169], v[142:143], v[148:149]
	s_wait_dscnt 0x0
	v_fmac_f64_e32 v[168:169], v[144:145], v[150:151]
	scratch_load_b128 v[142:145], off, off offset:344
	s_wait_loadcnt 0x5
	v_fmac_f64_e32 v[168:169], v[164:165], v[152:153]
	ds_load_b128 v[146:149], v2 offset:784
	ds_load_b128 v[150:153], v2 offset:800
	s_wait_dscnt 0x1
	v_fmac_f64_e32 v[168:169], v[166:167], v[146:147]
	scratch_load_b128 v[164:167], off, off offset:360
	s_wait_loadcnt 0x5
	v_fmac_f64_e32 v[168:169], v[134:135], v[148:149]
	s_wait_dscnt 0x0
	s_delay_alu instid0(VALU_DEP_1)
	v_fmac_f64_e32 v[168:169], v[136:137], v[150:151]
	scratch_load_b128 v[134:137], off, off offset:376
	s_wait_loadcnt 0x5
	v_fmac_f64_e32 v[168:169], v[160:161], v[152:153]
	ds_load_b128 v[146:149], v2 offset:816
	ds_load_b128 v[150:153], v2 offset:832
	scratch_load_b128 v[158:161], off, off offset:392
	s_wait_dscnt 0x1
	v_fmac_f64_e32 v[168:169], v[162:163], v[146:147]
	s_wait_loadcnt 0x5
	s_delay_alu instid0(VALU_DEP_1) | instskip(SKIP_1) | instid1(VALU_DEP_1)
	v_fmac_f64_e32 v[168:169], v[138:139], v[148:149]
	s_wait_dscnt 0x0
	v_fmac_f64_e32 v[168:169], v[140:141], v[150:151]
	scratch_load_b128 v[138:141], off, off offset:408
	s_wait_loadcnt 0x5
	v_fmac_f64_e32 v[168:169], v[154:155], v[152:153]
	ds_load_b128 v[146:149], v2 offset:848
	ds_load_b128 v[150:153], v2 offset:864
	s_wait_dscnt 0x1
	v_fmac_f64_e32 v[168:169], v[156:157], v[146:147]
	scratch_load_b128 v[154:157], off, off offset:424
	s_wait_loadcnt 0x5
	v_fmac_f64_e32 v[168:169], v[142:143], v[148:149]
	s_wait_dscnt 0x0
	s_delay_alu instid0(VALU_DEP_1)
	v_fmac_f64_e32 v[168:169], v[144:145], v[150:151]
	scratch_load_b128 v[142:145], off, off offset:440
	s_wait_loadcnt 0x5
	v_fmac_f64_e32 v[168:169], v[164:165], v[152:153]
	ds_load_b128 v[146:149], v2 offset:880
	ds_load_b128 v[150:153], v2 offset:896
	s_wait_dscnt 0x1
	v_fmac_f64_e32 v[168:169], v[166:167], v[146:147]
	s_wait_loadcnt 0x4
	s_delay_alu instid0(VALU_DEP_1)
	v_fmac_f64_e32 v[168:169], v[134:135], v[148:149]
	scratch_load_b128 v[146:149], off, off offset:456
	s_wait_dscnt 0x0
	v_fmac_f64_e32 v[168:169], v[136:137], v[150:151]
	scratch_load_b128 v[134:137], off, off offset:472
	s_wait_loadcnt 0x5
	v_fmac_f64_e32 v[168:169], v[158:159], v[152:153]
	ds_load_b128 v[150:153], v2 offset:912
	ds_load_b128 v[162:165], v2 offset:928
	s_wait_dscnt 0x1
	v_fmac_f64_e32 v[168:169], v[160:161], v[150:151]
	s_wait_loadcnt 0x4
	s_delay_alu instid0(VALU_DEP_1) | instskip(SKIP_4) | instid1(VALU_DEP_1)
	v_fmac_f64_e32 v[168:169], v[138:139], v[152:153]
	scratch_load_b128 v[150:153], off, off offset:488
	s_wait_dscnt 0x0
	v_fmac_f64_e32 v[168:169], v[140:141], v[162:163]
	s_wait_loadcnt 0x4
	v_fmac_f64_e32 v[168:169], v[154:155], v[164:165]
	scratch_load_b64 v[154:155], off, off offset:504
	ds_load_b128 v[138:141], v2 offset:944
	ds_load_b128 v[158:161], v2 offset:960
	s_wait_dscnt 0x1
	v_fmac_f64_e32 v[168:169], v[156:157], v[138:139]
	s_wait_loadcnt 0x4
	s_delay_alu instid0(VALU_DEP_1) | instskip(SKIP_1) | instid1(VALU_DEP_1)
	v_fmac_f64_e32 v[168:169], v[142:143], v[140:141]
	s_wait_dscnt 0x0
	v_fmac_f64_e32 v[168:169], v[144:145], v[158:159]
	ds_load_b128 v[138:141], v2 offset:976
	ds_load_b128 v[142:145], v2 offset:992
	s_wait_loadcnt 0x3
	v_fmac_f64_e32 v[168:169], v[146:147], v[160:161]
	s_wait_dscnt 0x1
	s_delay_alu instid0(VALU_DEP_1) | instskip(SKIP_1) | instid1(VALU_DEP_1)
	v_fmac_f64_e32 v[168:169], v[148:149], v[138:139]
	s_wait_loadcnt 0x2
	v_fmac_f64_e32 v[168:169], v[134:135], v[140:141]
	s_wait_dscnt 0x0
	s_delay_alu instid0(VALU_DEP_1) | instskip(SKIP_4) | instid1(VALU_DEP_1)
	v_fmac_f64_e32 v[168:169], v[136:137], v[142:143]
	ds_load_b128 v[134:137], v2 offset:1008
	s_wait_loadcnt 0x1
	v_fmac_f64_e32 v[168:169], v[150:151], v[144:145]
	s_wait_dscnt 0x0
	v_fmac_f64_e32 v[168:169], v[152:153], v[134:135]
	s_wait_loadcnt 0x0
	s_delay_alu instid0(VALU_DEP_1) | instskip(NEXT) | instid1(VALU_DEP_1)
	v_fmac_f64_e32 v[168:169], v[154:155], v[136:137]
	v_add_f64_e64 v[2:3], v[132:133], -v[168:169]
	scratch_store_b64 off, v[2:3], off offset:72
	s_wait_xcnt 0x0
	v_cmpx_lt_u32_e32 8, v0
	s_cbranch_execz .LBB63_377
; %bb.376:
	scratch_load_b64 v[2:3], off, off offset:64
	v_mov_b64_e32 v[132:133], 0
	scratch_store_b64 off, v[132:133], off offset:64
	s_wait_loadcnt 0x0
	ds_store_b64 v1, v[2:3]
.LBB63_377:
	s_wait_xcnt 0x0
	s_or_b32 exec_lo, exec_lo, s0
	s_wait_storecnt_dscnt 0x0
	s_barrier_signal -1
	s_barrier_wait -1
	s_clause 0x5
	scratch_load_b128 v[132:135], off, off offset:64
	scratch_load_b128 v[136:139], off, off offset:80
	;; [unrolled: 1-line block ×6, first 2 shown]
	v_mov_b32_e32 v2, 0
	ds_load_2addr_b64 v[156:159], v2 offset0:73 offset1:74
	ds_load_2addr_b64 v[160:163], v2 offset0:75 offset1:76
	scratch_load_b128 v[164:167], off, off offset:160
	s_mov_b32 s0, exec_lo
	s_wait_loadcnt_dscnt 0x601
	v_fma_f64 v[168:169], v[134:135], v[156:157], 0
	s_wait_loadcnt 0x5
	s_delay_alu instid0(VALU_DEP_1) | instskip(SKIP_4) | instid1(VALU_DEP_1)
	v_fmac_f64_e32 v[168:169], v[136:137], v[158:159]
	scratch_load_b128 v[134:137], off, off offset:176
	s_wait_dscnt 0x0
	v_fmac_f64_e32 v[168:169], v[138:139], v[160:161]
	s_wait_loadcnt 0x5
	v_fmac_f64_e32 v[168:169], v[140:141], v[162:163]
	ds_load_2addr_b64 v[138:141], v2 offset0:77 offset1:78
	ds_load_2addr_b64 v[156:159], v2 offset0:79 offset1:80
	scratch_load_b128 v[160:163], off, off offset:192
	s_wait_dscnt 0x1
	v_fmac_f64_e32 v[168:169], v[142:143], v[138:139]
	s_wait_loadcnt 0x5
	s_delay_alu instid0(VALU_DEP_1) | instskip(SKIP_4) | instid1(VALU_DEP_1)
	v_fmac_f64_e32 v[168:169], v[144:145], v[140:141]
	scratch_load_b128 v[138:141], off, off offset:208
	s_wait_dscnt 0x0
	v_fmac_f64_e32 v[168:169], v[146:147], v[156:157]
	s_wait_loadcnt 0x5
	v_fmac_f64_e32 v[168:169], v[148:149], v[158:159]
	ds_load_2addr_b64 v[142:145], v2 offset0:81 offset1:82
	ds_load_2addr_b64 v[146:149], v2 offset0:83 offset1:84
	scratch_load_b128 v[156:159], off, off offset:224
	s_wait_dscnt 0x1
	v_fmac_f64_e32 v[168:169], v[150:151], v[142:143]
	s_wait_loadcnt 0x5
	s_delay_alu instid0(VALU_DEP_1) | instskip(SKIP_4) | instid1(VALU_DEP_1)
	v_fmac_f64_e32 v[168:169], v[152:153], v[144:145]
	scratch_load_b128 v[142:145], off, off offset:240
	s_wait_dscnt 0x0
	v_fmac_f64_e32 v[168:169], v[154:155], v[146:147]
	s_wait_loadcnt 0x5
	v_fmac_f64_e32 v[168:169], v[164:165], v[148:149]
	ds_load_2addr_b64 v[146:149], v2 offset0:85 offset1:86
	ds_load_2addr_b64 v[150:153], v2 offset0:87 offset1:88
	s_wait_dscnt 0x1
	v_fmac_f64_e32 v[168:169], v[166:167], v[146:147]
	scratch_load_b128 v[164:167], off, off offset:256
	s_wait_loadcnt 0x5
	v_fmac_f64_e32 v[168:169], v[134:135], v[148:149]
	s_wait_dscnt 0x0
	s_delay_alu instid0(VALU_DEP_1)
	v_fmac_f64_e32 v[168:169], v[136:137], v[150:151]
	scratch_load_b128 v[134:137], off, off offset:272
	s_wait_loadcnt 0x5
	v_fmac_f64_e32 v[168:169], v[160:161], v[152:153]
	ds_load_2addr_b64 v[146:149], v2 offset0:89 offset1:90
	ds_load_2addr_b64 v[150:153], v2 offset0:91 offset1:92
	s_wait_dscnt 0x1
	v_fmac_f64_e32 v[168:169], v[162:163], v[146:147]
	scratch_load_b128 v[160:163], off, off offset:288
	s_wait_loadcnt 0x5
	v_fmac_f64_e32 v[168:169], v[138:139], v[148:149]
	s_wait_dscnt 0x0
	s_delay_alu instid0(VALU_DEP_1)
	v_fmac_f64_e32 v[168:169], v[140:141], v[150:151]
	scratch_load_b128 v[138:141], off, off offset:304
	s_wait_loadcnt 0x5
	v_fmac_f64_e32 v[168:169], v[156:157], v[152:153]
	ds_load_2addr_b64 v[146:149], v2 offset0:93 offset1:94
	ds_load_2addr_b64 v[150:153], v2 offset0:95 offset1:96
	scratch_load_b128 v[154:157], off, off offset:320
	s_wait_dscnt 0x1
	v_fmac_f64_e32 v[168:169], v[158:159], v[146:147]
	s_wait_loadcnt 0x5
	s_delay_alu instid0(VALU_DEP_1) | instskip(SKIP_1) | instid1(VALU_DEP_1)
	v_fmac_f64_e32 v[168:169], v[142:143], v[148:149]
	s_wait_dscnt 0x0
	v_fmac_f64_e32 v[168:169], v[144:145], v[150:151]
	scratch_load_b128 v[142:145], off, off offset:336
	s_wait_loadcnt 0x5
	v_fmac_f64_e32 v[168:169], v[164:165], v[152:153]
	ds_load_2addr_b64 v[146:149], v2 offset0:97 offset1:98
	ds_load_2addr_b64 v[150:153], v2 offset0:99 offset1:100
	s_wait_dscnt 0x1
	v_fmac_f64_e32 v[168:169], v[166:167], v[146:147]
	scratch_load_b128 v[164:167], off, off offset:352
	s_wait_loadcnt 0x5
	v_fmac_f64_e32 v[168:169], v[134:135], v[148:149]
	s_wait_dscnt 0x0
	s_delay_alu instid0(VALU_DEP_1)
	v_fmac_f64_e32 v[168:169], v[136:137], v[150:151]
	scratch_load_b128 v[134:137], off, off offset:368
	s_wait_loadcnt 0x5
	v_fmac_f64_e32 v[168:169], v[160:161], v[152:153]
	ds_load_2addr_b64 v[146:149], v2 offset0:101 offset1:102
	ds_load_2addr_b64 v[150:153], v2 offset0:103 offset1:104
	scratch_load_b128 v[158:161], off, off offset:384
	s_wait_dscnt 0x1
	v_fmac_f64_e32 v[168:169], v[162:163], v[146:147]
	s_wait_loadcnt 0x5
	s_delay_alu instid0(VALU_DEP_1) | instskip(SKIP_1) | instid1(VALU_DEP_1)
	v_fmac_f64_e32 v[168:169], v[138:139], v[148:149]
	s_wait_dscnt 0x0
	v_fmac_f64_e32 v[168:169], v[140:141], v[150:151]
	scratch_load_b128 v[138:141], off, off offset:400
	s_wait_loadcnt 0x5
	v_fmac_f64_e32 v[168:169], v[154:155], v[152:153]
	ds_load_2addr_b64 v[146:149], v2 offset0:105 offset1:106
	ds_load_2addr_b64 v[150:153], v2 offset0:107 offset1:108
	s_wait_dscnt 0x1
	v_fmac_f64_e32 v[168:169], v[156:157], v[146:147]
	scratch_load_b128 v[154:157], off, off offset:416
	s_wait_loadcnt 0x5
	v_fmac_f64_e32 v[168:169], v[142:143], v[148:149]
	s_wait_dscnt 0x0
	s_delay_alu instid0(VALU_DEP_1)
	v_fmac_f64_e32 v[168:169], v[144:145], v[150:151]
	scratch_load_b128 v[142:145], off, off offset:432
	s_wait_loadcnt 0x5
	v_fmac_f64_e32 v[168:169], v[164:165], v[152:153]
	ds_load_2addr_b64 v[146:149], v2 offset0:109 offset1:110
	ds_load_2addr_b64 v[150:153], v2 offset0:111 offset1:112
	s_wait_dscnt 0x1
	v_fmac_f64_e32 v[168:169], v[166:167], v[146:147]
	s_wait_loadcnt 0x4
	s_delay_alu instid0(VALU_DEP_1)
	v_fmac_f64_e32 v[168:169], v[134:135], v[148:149]
	scratch_load_b128 v[146:149], off, off offset:448
	s_wait_dscnt 0x0
	v_fmac_f64_e32 v[168:169], v[136:137], v[150:151]
	scratch_load_b128 v[134:137], off, off offset:464
	s_wait_loadcnt 0x5
	v_fmac_f64_e32 v[168:169], v[158:159], v[152:153]
	ds_load_2addr_b64 v[150:153], v2 offset0:113 offset1:114
	ds_load_2addr_b64 v[162:165], v2 offset0:115 offset1:116
	s_wait_dscnt 0x1
	v_fmac_f64_e32 v[168:169], v[160:161], v[150:151]
	s_wait_loadcnt 0x4
	s_delay_alu instid0(VALU_DEP_1)
	v_fmac_f64_e32 v[168:169], v[138:139], v[152:153]
	scratch_load_b128 v[150:153], off, off offset:480
	s_wait_dscnt 0x0
	v_fmac_f64_e32 v[168:169], v[140:141], v[162:163]
	scratch_load_b128 v[138:141], off, off offset:496
	s_wait_loadcnt 0x5
	v_fmac_f64_e32 v[168:169], v[154:155], v[164:165]
	ds_load_2addr_b64 v[158:161], v2 offset0:117 offset1:118
	ds_load_2addr_b64 v[162:165], v2 offset0:119 offset1:120
	s_wait_dscnt 0x1
	v_fmac_f64_e32 v[168:169], v[156:157], v[158:159]
	s_wait_loadcnt 0x4
	s_delay_alu instid0(VALU_DEP_1) | instskip(SKIP_1) | instid1(VALU_DEP_1)
	v_fmac_f64_e32 v[168:169], v[142:143], v[160:161]
	s_wait_dscnt 0x0
	v_fmac_f64_e32 v[168:169], v[144:145], v[162:163]
	ds_load_2addr_b64 v[142:145], v2 offset0:121 offset1:122
	ds_load_2addr_b64 v[154:157], v2 offset0:123 offset1:124
	s_wait_loadcnt 0x3
	v_fmac_f64_e32 v[168:169], v[146:147], v[164:165]
	s_wait_dscnt 0x1
	s_delay_alu instid0(VALU_DEP_1) | instskip(SKIP_1) | instid1(VALU_DEP_1)
	v_fmac_f64_e32 v[168:169], v[148:149], v[142:143]
	s_wait_loadcnt 0x2
	v_fmac_f64_e32 v[168:169], v[134:135], v[144:145]
	s_wait_dscnt 0x0
	s_delay_alu instid0(VALU_DEP_1)
	v_fmac_f64_e32 v[168:169], v[136:137], v[154:155]
	ds_load_2addr_b64 v[134:137], v2 offset0:125 offset1:126
	ds_load_b64 v[142:143], v2 offset:1016
	s_wait_loadcnt 0x1
	v_fmac_f64_e32 v[168:169], v[150:151], v[156:157]
	s_wait_dscnt 0x1
	s_delay_alu instid0(VALU_DEP_1) | instskip(SKIP_1) | instid1(VALU_DEP_1)
	v_fmac_f64_e32 v[168:169], v[152:153], v[134:135]
	s_wait_loadcnt 0x0
	v_fmac_f64_e32 v[168:169], v[138:139], v[136:137]
	s_wait_dscnt 0x0
	s_delay_alu instid0(VALU_DEP_1) | instskip(NEXT) | instid1(VALU_DEP_1)
	v_fmac_f64_e32 v[168:169], v[140:141], v[142:143]
	v_add_f64_e64 v[132:133], v[132:133], -v[168:169]
	scratch_store_b64 off, v[132:133], off offset:64
	s_wait_xcnt 0x0
	v_cmpx_lt_u32_e32 7, v0
	s_cbranch_execz .LBB63_379
; %bb.378:
	scratch_load_b64 v[132:133], off, off offset:56
	v_mov_b64_e32 v[134:135], 0
	scratch_store_b64 off, v[134:135], off offset:56
	s_wait_loadcnt 0x0
	ds_store_b64 v1, v[132:133]
.LBB63_379:
	s_wait_xcnt 0x0
	s_or_b32 exec_lo, exec_lo, s0
	s_wait_storecnt_dscnt 0x0
	s_barrier_signal -1
	s_barrier_wait -1
	s_clause 0x5
	scratch_load_b128 v[132:135], off, off offset:56
	scratch_load_b128 v[136:139], off, off offset:72
	;; [unrolled: 1-line block ×6, first 2 shown]
	ds_load_b128 v[156:159], v2 offset:576
	ds_load_b128 v[160:163], v2 offset:592
	scratch_load_b128 v[164:167], off, off offset:152
	s_mov_b32 s0, exec_lo
	s_wait_loadcnt_dscnt 0x601
	v_fma_f64 v[168:169], v[134:135], v[156:157], 0
	s_wait_loadcnt 0x5
	s_delay_alu instid0(VALU_DEP_1) | instskip(SKIP_4) | instid1(VALU_DEP_1)
	v_fmac_f64_e32 v[168:169], v[136:137], v[158:159]
	scratch_load_b128 v[134:137], off, off offset:168
	s_wait_dscnt 0x0
	v_fmac_f64_e32 v[168:169], v[138:139], v[160:161]
	s_wait_loadcnt 0x5
	v_fmac_f64_e32 v[168:169], v[140:141], v[162:163]
	ds_load_b128 v[138:141], v2 offset:608
	ds_load_b128 v[156:159], v2 offset:624
	scratch_load_b128 v[160:163], off, off offset:184
	s_wait_dscnt 0x1
	v_fmac_f64_e32 v[168:169], v[142:143], v[138:139]
	s_wait_loadcnt 0x5
	s_delay_alu instid0(VALU_DEP_1) | instskip(SKIP_4) | instid1(VALU_DEP_1)
	v_fmac_f64_e32 v[168:169], v[144:145], v[140:141]
	scratch_load_b128 v[138:141], off, off offset:200
	s_wait_dscnt 0x0
	v_fmac_f64_e32 v[168:169], v[146:147], v[156:157]
	s_wait_loadcnt 0x5
	v_fmac_f64_e32 v[168:169], v[148:149], v[158:159]
	ds_load_b128 v[142:145], v2 offset:640
	ds_load_b128 v[146:149], v2 offset:656
	scratch_load_b128 v[156:159], off, off offset:216
	s_wait_dscnt 0x1
	v_fmac_f64_e32 v[168:169], v[150:151], v[142:143]
	s_wait_loadcnt 0x5
	s_delay_alu instid0(VALU_DEP_1) | instskip(SKIP_4) | instid1(VALU_DEP_1)
	v_fmac_f64_e32 v[168:169], v[152:153], v[144:145]
	scratch_load_b128 v[142:145], off, off offset:232
	s_wait_dscnt 0x0
	v_fmac_f64_e32 v[168:169], v[154:155], v[146:147]
	s_wait_loadcnt 0x5
	v_fmac_f64_e32 v[168:169], v[164:165], v[148:149]
	ds_load_b128 v[146:149], v2 offset:672
	ds_load_b128 v[150:153], v2 offset:688
	s_wait_dscnt 0x1
	v_fmac_f64_e32 v[168:169], v[166:167], v[146:147]
	scratch_load_b128 v[164:167], off, off offset:248
	s_wait_loadcnt 0x5
	v_fmac_f64_e32 v[168:169], v[134:135], v[148:149]
	s_wait_dscnt 0x0
	s_delay_alu instid0(VALU_DEP_1)
	v_fmac_f64_e32 v[168:169], v[136:137], v[150:151]
	scratch_load_b128 v[134:137], off, off offset:264
	s_wait_loadcnt 0x5
	v_fmac_f64_e32 v[168:169], v[160:161], v[152:153]
	ds_load_b128 v[146:149], v2 offset:704
	ds_load_b128 v[150:153], v2 offset:720
	s_wait_dscnt 0x1
	v_fmac_f64_e32 v[168:169], v[162:163], v[146:147]
	scratch_load_b128 v[160:163], off, off offset:280
	s_wait_loadcnt 0x5
	v_fmac_f64_e32 v[168:169], v[138:139], v[148:149]
	s_wait_dscnt 0x0
	s_delay_alu instid0(VALU_DEP_1)
	v_fmac_f64_e32 v[168:169], v[140:141], v[150:151]
	scratch_load_b128 v[138:141], off, off offset:296
	s_wait_loadcnt 0x5
	v_fmac_f64_e32 v[168:169], v[156:157], v[152:153]
	ds_load_b128 v[146:149], v2 offset:736
	ds_load_b128 v[150:153], v2 offset:752
	scratch_load_b128 v[154:157], off, off offset:312
	s_wait_dscnt 0x1
	v_fmac_f64_e32 v[168:169], v[158:159], v[146:147]
	s_wait_loadcnt 0x5
	s_delay_alu instid0(VALU_DEP_1) | instskip(SKIP_1) | instid1(VALU_DEP_1)
	v_fmac_f64_e32 v[168:169], v[142:143], v[148:149]
	s_wait_dscnt 0x0
	v_fmac_f64_e32 v[168:169], v[144:145], v[150:151]
	scratch_load_b128 v[142:145], off, off offset:328
	s_wait_loadcnt 0x5
	v_fmac_f64_e32 v[168:169], v[164:165], v[152:153]
	ds_load_b128 v[146:149], v2 offset:768
	ds_load_b128 v[150:153], v2 offset:784
	s_wait_dscnt 0x1
	v_fmac_f64_e32 v[168:169], v[166:167], v[146:147]
	scratch_load_b128 v[164:167], off, off offset:344
	s_wait_loadcnt 0x5
	v_fmac_f64_e32 v[168:169], v[134:135], v[148:149]
	s_wait_dscnt 0x0
	s_delay_alu instid0(VALU_DEP_1)
	v_fmac_f64_e32 v[168:169], v[136:137], v[150:151]
	scratch_load_b128 v[134:137], off, off offset:360
	s_wait_loadcnt 0x5
	v_fmac_f64_e32 v[168:169], v[160:161], v[152:153]
	ds_load_b128 v[146:149], v2 offset:800
	ds_load_b128 v[150:153], v2 offset:816
	scratch_load_b128 v[158:161], off, off offset:376
	s_wait_dscnt 0x1
	v_fmac_f64_e32 v[168:169], v[162:163], v[146:147]
	s_wait_loadcnt 0x5
	s_delay_alu instid0(VALU_DEP_1) | instskip(SKIP_1) | instid1(VALU_DEP_1)
	v_fmac_f64_e32 v[168:169], v[138:139], v[148:149]
	s_wait_dscnt 0x0
	v_fmac_f64_e32 v[168:169], v[140:141], v[150:151]
	scratch_load_b128 v[138:141], off, off offset:392
	s_wait_loadcnt 0x5
	v_fmac_f64_e32 v[168:169], v[154:155], v[152:153]
	ds_load_b128 v[146:149], v2 offset:832
	ds_load_b128 v[150:153], v2 offset:848
	s_wait_dscnt 0x1
	v_fmac_f64_e32 v[168:169], v[156:157], v[146:147]
	scratch_load_b128 v[154:157], off, off offset:408
	s_wait_loadcnt 0x5
	v_fmac_f64_e32 v[168:169], v[142:143], v[148:149]
	s_wait_dscnt 0x0
	s_delay_alu instid0(VALU_DEP_1)
	v_fmac_f64_e32 v[168:169], v[144:145], v[150:151]
	scratch_load_b128 v[142:145], off, off offset:424
	s_wait_loadcnt 0x5
	v_fmac_f64_e32 v[168:169], v[164:165], v[152:153]
	ds_load_b128 v[146:149], v2 offset:864
	ds_load_b128 v[150:153], v2 offset:880
	s_wait_dscnt 0x1
	v_fmac_f64_e32 v[168:169], v[166:167], v[146:147]
	s_wait_loadcnt 0x4
	s_delay_alu instid0(VALU_DEP_1)
	v_fmac_f64_e32 v[168:169], v[134:135], v[148:149]
	scratch_load_b128 v[146:149], off, off offset:440
	s_wait_dscnt 0x0
	v_fmac_f64_e32 v[168:169], v[136:137], v[150:151]
	scratch_load_b128 v[134:137], off, off offset:456
	s_wait_loadcnt 0x5
	v_fmac_f64_e32 v[168:169], v[158:159], v[152:153]
	ds_load_b128 v[150:153], v2 offset:896
	ds_load_b128 v[162:165], v2 offset:912
	s_wait_dscnt 0x1
	v_fmac_f64_e32 v[168:169], v[160:161], v[150:151]
	s_wait_loadcnt 0x4
	s_delay_alu instid0(VALU_DEP_1)
	v_fmac_f64_e32 v[168:169], v[138:139], v[152:153]
	scratch_load_b128 v[150:153], off, off offset:472
	s_wait_dscnt 0x0
	v_fmac_f64_e32 v[168:169], v[140:141], v[162:163]
	scratch_load_b128 v[138:141], off, off offset:488
	s_wait_loadcnt 0x5
	v_fmac_f64_e32 v[168:169], v[154:155], v[164:165]
	ds_load_b128 v[158:161], v2 offset:928
	ds_load_b128 v[162:165], v2 offset:944
	s_wait_dscnt 0x1
	v_fmac_f64_e32 v[168:169], v[156:157], v[158:159]
	scratch_load_b64 v[158:159], off, off offset:504
	s_wait_loadcnt 0x5
	v_fmac_f64_e32 v[168:169], v[142:143], v[160:161]
	s_wait_dscnt 0x0
	s_delay_alu instid0(VALU_DEP_1)
	v_fmac_f64_e32 v[168:169], v[144:145], v[162:163]
	ds_load_b128 v[142:145], v2 offset:960
	ds_load_b128 v[154:157], v2 offset:976
	s_wait_loadcnt 0x4
	v_fmac_f64_e32 v[168:169], v[146:147], v[164:165]
	s_wait_dscnt 0x1
	s_delay_alu instid0(VALU_DEP_1) | instskip(SKIP_1) | instid1(VALU_DEP_1)
	v_fmac_f64_e32 v[168:169], v[148:149], v[142:143]
	s_wait_loadcnt 0x3
	v_fmac_f64_e32 v[168:169], v[134:135], v[144:145]
	s_wait_dscnt 0x0
	s_delay_alu instid0(VALU_DEP_1)
	v_fmac_f64_e32 v[168:169], v[136:137], v[154:155]
	ds_load_b128 v[134:137], v2 offset:992
	ds_load_b128 v[142:145], v2 offset:1008
	s_wait_loadcnt 0x2
	v_fmac_f64_e32 v[168:169], v[150:151], v[156:157]
	s_wait_dscnt 0x1
	s_delay_alu instid0(VALU_DEP_1) | instskip(SKIP_1) | instid1(VALU_DEP_1)
	v_fmac_f64_e32 v[168:169], v[152:153], v[134:135]
	s_wait_loadcnt 0x1
	v_fmac_f64_e32 v[168:169], v[138:139], v[136:137]
	s_wait_dscnt 0x0
	s_delay_alu instid0(VALU_DEP_1) | instskip(SKIP_1) | instid1(VALU_DEP_1)
	v_fmac_f64_e32 v[168:169], v[140:141], v[142:143]
	s_wait_loadcnt 0x0
	v_fmac_f64_e32 v[168:169], v[158:159], v[144:145]
	s_delay_alu instid0(VALU_DEP_1)
	v_add_f64_e64 v[2:3], v[132:133], -v[168:169]
	scratch_store_b64 off, v[2:3], off offset:56
	s_wait_xcnt 0x0
	v_cmpx_lt_u32_e32 6, v0
	s_cbranch_execz .LBB63_381
; %bb.380:
	scratch_load_b64 v[2:3], off, off offset:48
	v_mov_b64_e32 v[132:133], 0
	scratch_store_b64 off, v[132:133], off offset:48
	s_wait_loadcnt 0x0
	ds_store_b64 v1, v[2:3]
.LBB63_381:
	s_wait_xcnt 0x0
	s_or_b32 exec_lo, exec_lo, s0
	s_wait_storecnt_dscnt 0x0
	s_barrier_signal -1
	s_barrier_wait -1
	s_clause 0x5
	scratch_load_b128 v[132:135], off, off offset:48
	scratch_load_b128 v[136:139], off, off offset:64
	scratch_load_b128 v[140:143], off, off offset:80
	scratch_load_b128 v[144:147], off, off offset:96
	scratch_load_b128 v[148:151], off, off offset:112
	scratch_load_b128 v[152:155], off, off offset:128
	v_mov_b32_e32 v2, 0
	ds_load_2addr_b64 v[156:159], v2 offset0:71 offset1:72
	ds_load_2addr_b64 v[160:163], v2 offset0:73 offset1:74
	scratch_load_b128 v[164:167], off, off offset:144
	s_mov_b32 s0, exec_lo
	s_wait_loadcnt_dscnt 0x601
	v_fma_f64 v[168:169], v[134:135], v[156:157], 0
	s_wait_loadcnt 0x5
	s_delay_alu instid0(VALU_DEP_1) | instskip(SKIP_4) | instid1(VALU_DEP_1)
	v_fmac_f64_e32 v[168:169], v[136:137], v[158:159]
	scratch_load_b128 v[134:137], off, off offset:160
	s_wait_dscnt 0x0
	v_fmac_f64_e32 v[168:169], v[138:139], v[160:161]
	s_wait_loadcnt 0x5
	v_fmac_f64_e32 v[168:169], v[140:141], v[162:163]
	ds_load_2addr_b64 v[138:141], v2 offset0:75 offset1:76
	ds_load_2addr_b64 v[156:159], v2 offset0:77 offset1:78
	scratch_load_b128 v[160:163], off, off offset:176
	s_wait_dscnt 0x1
	v_fmac_f64_e32 v[168:169], v[142:143], v[138:139]
	s_wait_loadcnt 0x5
	s_delay_alu instid0(VALU_DEP_1) | instskip(SKIP_4) | instid1(VALU_DEP_1)
	v_fmac_f64_e32 v[168:169], v[144:145], v[140:141]
	scratch_load_b128 v[138:141], off, off offset:192
	s_wait_dscnt 0x0
	v_fmac_f64_e32 v[168:169], v[146:147], v[156:157]
	s_wait_loadcnt 0x5
	v_fmac_f64_e32 v[168:169], v[148:149], v[158:159]
	ds_load_2addr_b64 v[142:145], v2 offset0:79 offset1:80
	ds_load_2addr_b64 v[146:149], v2 offset0:81 offset1:82
	scratch_load_b128 v[156:159], off, off offset:208
	s_wait_dscnt 0x1
	v_fmac_f64_e32 v[168:169], v[150:151], v[142:143]
	s_wait_loadcnt 0x5
	s_delay_alu instid0(VALU_DEP_1) | instskip(SKIP_4) | instid1(VALU_DEP_1)
	v_fmac_f64_e32 v[168:169], v[152:153], v[144:145]
	scratch_load_b128 v[142:145], off, off offset:224
	s_wait_dscnt 0x0
	v_fmac_f64_e32 v[168:169], v[154:155], v[146:147]
	s_wait_loadcnt 0x5
	v_fmac_f64_e32 v[168:169], v[164:165], v[148:149]
	ds_load_2addr_b64 v[146:149], v2 offset0:83 offset1:84
	ds_load_2addr_b64 v[150:153], v2 offset0:85 offset1:86
	s_wait_dscnt 0x1
	v_fmac_f64_e32 v[168:169], v[166:167], v[146:147]
	scratch_load_b128 v[164:167], off, off offset:240
	s_wait_loadcnt 0x5
	v_fmac_f64_e32 v[168:169], v[134:135], v[148:149]
	s_wait_dscnt 0x0
	s_delay_alu instid0(VALU_DEP_1)
	v_fmac_f64_e32 v[168:169], v[136:137], v[150:151]
	scratch_load_b128 v[134:137], off, off offset:256
	s_wait_loadcnt 0x5
	v_fmac_f64_e32 v[168:169], v[160:161], v[152:153]
	ds_load_2addr_b64 v[146:149], v2 offset0:87 offset1:88
	ds_load_2addr_b64 v[150:153], v2 offset0:89 offset1:90
	s_wait_dscnt 0x1
	v_fmac_f64_e32 v[168:169], v[162:163], v[146:147]
	scratch_load_b128 v[160:163], off, off offset:272
	s_wait_loadcnt 0x5
	v_fmac_f64_e32 v[168:169], v[138:139], v[148:149]
	s_wait_dscnt 0x0
	s_delay_alu instid0(VALU_DEP_1)
	v_fmac_f64_e32 v[168:169], v[140:141], v[150:151]
	scratch_load_b128 v[138:141], off, off offset:288
	s_wait_loadcnt 0x5
	v_fmac_f64_e32 v[168:169], v[156:157], v[152:153]
	ds_load_2addr_b64 v[146:149], v2 offset0:91 offset1:92
	ds_load_2addr_b64 v[150:153], v2 offset0:93 offset1:94
	scratch_load_b128 v[154:157], off, off offset:304
	s_wait_dscnt 0x1
	v_fmac_f64_e32 v[168:169], v[158:159], v[146:147]
	s_wait_loadcnt 0x5
	s_delay_alu instid0(VALU_DEP_1) | instskip(SKIP_1) | instid1(VALU_DEP_1)
	v_fmac_f64_e32 v[168:169], v[142:143], v[148:149]
	s_wait_dscnt 0x0
	v_fmac_f64_e32 v[168:169], v[144:145], v[150:151]
	scratch_load_b128 v[142:145], off, off offset:320
	s_wait_loadcnt 0x5
	v_fmac_f64_e32 v[168:169], v[164:165], v[152:153]
	ds_load_2addr_b64 v[146:149], v2 offset0:95 offset1:96
	ds_load_2addr_b64 v[150:153], v2 offset0:97 offset1:98
	s_wait_dscnt 0x1
	v_fmac_f64_e32 v[168:169], v[166:167], v[146:147]
	scratch_load_b128 v[164:167], off, off offset:336
	s_wait_loadcnt 0x5
	v_fmac_f64_e32 v[168:169], v[134:135], v[148:149]
	s_wait_dscnt 0x0
	s_delay_alu instid0(VALU_DEP_1)
	v_fmac_f64_e32 v[168:169], v[136:137], v[150:151]
	scratch_load_b128 v[134:137], off, off offset:352
	s_wait_loadcnt 0x5
	v_fmac_f64_e32 v[168:169], v[160:161], v[152:153]
	ds_load_2addr_b64 v[146:149], v2 offset0:99 offset1:100
	ds_load_2addr_b64 v[150:153], v2 offset0:101 offset1:102
	scratch_load_b128 v[158:161], off, off offset:368
	s_wait_dscnt 0x1
	v_fmac_f64_e32 v[168:169], v[162:163], v[146:147]
	s_wait_loadcnt 0x5
	s_delay_alu instid0(VALU_DEP_1) | instskip(SKIP_1) | instid1(VALU_DEP_1)
	v_fmac_f64_e32 v[168:169], v[138:139], v[148:149]
	s_wait_dscnt 0x0
	v_fmac_f64_e32 v[168:169], v[140:141], v[150:151]
	scratch_load_b128 v[138:141], off, off offset:384
	s_wait_loadcnt 0x5
	v_fmac_f64_e32 v[168:169], v[154:155], v[152:153]
	ds_load_2addr_b64 v[146:149], v2 offset0:103 offset1:104
	ds_load_2addr_b64 v[150:153], v2 offset0:105 offset1:106
	s_wait_dscnt 0x1
	v_fmac_f64_e32 v[168:169], v[156:157], v[146:147]
	scratch_load_b128 v[154:157], off, off offset:400
	s_wait_loadcnt 0x5
	v_fmac_f64_e32 v[168:169], v[142:143], v[148:149]
	s_wait_dscnt 0x0
	s_delay_alu instid0(VALU_DEP_1)
	v_fmac_f64_e32 v[168:169], v[144:145], v[150:151]
	scratch_load_b128 v[142:145], off, off offset:416
	s_wait_loadcnt 0x5
	v_fmac_f64_e32 v[168:169], v[164:165], v[152:153]
	ds_load_2addr_b64 v[146:149], v2 offset0:107 offset1:108
	ds_load_2addr_b64 v[150:153], v2 offset0:109 offset1:110
	s_wait_dscnt 0x1
	v_fmac_f64_e32 v[168:169], v[166:167], v[146:147]
	s_wait_loadcnt 0x4
	s_delay_alu instid0(VALU_DEP_1)
	v_fmac_f64_e32 v[168:169], v[134:135], v[148:149]
	scratch_load_b128 v[146:149], off, off offset:432
	s_wait_dscnt 0x0
	v_fmac_f64_e32 v[168:169], v[136:137], v[150:151]
	scratch_load_b128 v[134:137], off, off offset:448
	s_wait_loadcnt 0x5
	v_fmac_f64_e32 v[168:169], v[158:159], v[152:153]
	ds_load_2addr_b64 v[150:153], v2 offset0:111 offset1:112
	ds_load_2addr_b64 v[162:165], v2 offset0:113 offset1:114
	s_wait_dscnt 0x1
	v_fmac_f64_e32 v[168:169], v[160:161], v[150:151]
	s_wait_loadcnt 0x4
	s_delay_alu instid0(VALU_DEP_1)
	v_fmac_f64_e32 v[168:169], v[138:139], v[152:153]
	scratch_load_b128 v[150:153], off, off offset:464
	s_wait_dscnt 0x0
	v_fmac_f64_e32 v[168:169], v[140:141], v[162:163]
	scratch_load_b128 v[138:141], off, off offset:480
	s_wait_loadcnt 0x5
	v_fmac_f64_e32 v[168:169], v[154:155], v[164:165]
	ds_load_2addr_b64 v[158:161], v2 offset0:115 offset1:116
	ds_load_2addr_b64 v[162:165], v2 offset0:117 offset1:118
	s_wait_dscnt 0x1
	v_fmac_f64_e32 v[168:169], v[156:157], v[158:159]
	scratch_load_b128 v[154:157], off, off offset:496
	s_wait_loadcnt 0x5
	v_fmac_f64_e32 v[168:169], v[142:143], v[160:161]
	s_wait_dscnt 0x0
	s_delay_alu instid0(VALU_DEP_1)
	v_fmac_f64_e32 v[168:169], v[144:145], v[162:163]
	ds_load_2addr_b64 v[142:145], v2 offset0:119 offset1:120
	ds_load_2addr_b64 v[158:161], v2 offset0:121 offset1:122
	s_wait_loadcnt 0x4
	v_fmac_f64_e32 v[168:169], v[146:147], v[164:165]
	s_wait_dscnt 0x1
	s_delay_alu instid0(VALU_DEP_1) | instskip(SKIP_1) | instid1(VALU_DEP_1)
	v_fmac_f64_e32 v[168:169], v[148:149], v[142:143]
	s_wait_loadcnt 0x3
	v_fmac_f64_e32 v[168:169], v[134:135], v[144:145]
	s_wait_dscnt 0x0
	s_delay_alu instid0(VALU_DEP_1)
	v_fmac_f64_e32 v[168:169], v[136:137], v[158:159]
	ds_load_2addr_b64 v[134:137], v2 offset0:123 offset1:124
	ds_load_2addr_b64 v[142:145], v2 offset0:125 offset1:126
	s_wait_loadcnt 0x2
	v_fmac_f64_e32 v[168:169], v[150:151], v[160:161]
	s_wait_dscnt 0x1
	s_delay_alu instid0(VALU_DEP_1) | instskip(SKIP_4) | instid1(VALU_DEP_1)
	v_fmac_f64_e32 v[168:169], v[152:153], v[134:135]
	ds_load_b64 v[134:135], v2 offset:1016
	s_wait_loadcnt 0x1
	v_fmac_f64_e32 v[168:169], v[138:139], v[136:137]
	s_wait_dscnt 0x1
	v_fmac_f64_e32 v[168:169], v[140:141], v[142:143]
	s_wait_loadcnt 0x0
	s_delay_alu instid0(VALU_DEP_1) | instskip(SKIP_1) | instid1(VALU_DEP_1)
	v_fmac_f64_e32 v[168:169], v[154:155], v[144:145]
	s_wait_dscnt 0x0
	v_fmac_f64_e32 v[168:169], v[156:157], v[134:135]
	s_delay_alu instid0(VALU_DEP_1)
	v_add_f64_e64 v[132:133], v[132:133], -v[168:169]
	scratch_store_b64 off, v[132:133], off offset:48
	s_wait_xcnt 0x0
	v_cmpx_lt_u32_e32 5, v0
	s_cbranch_execz .LBB63_383
; %bb.382:
	scratch_load_b64 v[132:133], off, off offset:40
	v_mov_b64_e32 v[134:135], 0
	scratch_store_b64 off, v[134:135], off offset:40
	s_wait_loadcnt 0x0
	ds_store_b64 v1, v[132:133]
.LBB63_383:
	s_wait_xcnt 0x0
	s_or_b32 exec_lo, exec_lo, s0
	s_wait_storecnt_dscnt 0x0
	s_barrier_signal -1
	s_barrier_wait -1
	s_clause 0x5
	scratch_load_b128 v[132:135], off, off offset:40
	scratch_load_b128 v[136:139], off, off offset:56
	scratch_load_b128 v[140:143], off, off offset:72
	scratch_load_b128 v[144:147], off, off offset:88
	scratch_load_b128 v[148:151], off, off offset:104
	scratch_load_b128 v[152:155], off, off offset:120
	ds_load_b128 v[156:159], v2 offset:560
	ds_load_b128 v[160:163], v2 offset:576
	scratch_load_b128 v[164:167], off, off offset:136
	s_mov_b32 s0, exec_lo
	s_wait_loadcnt_dscnt 0x601
	v_fma_f64 v[168:169], v[134:135], v[156:157], 0
	s_wait_loadcnt 0x5
	s_delay_alu instid0(VALU_DEP_1) | instskip(SKIP_4) | instid1(VALU_DEP_1)
	v_fmac_f64_e32 v[168:169], v[136:137], v[158:159]
	scratch_load_b128 v[134:137], off, off offset:152
	s_wait_dscnt 0x0
	v_fmac_f64_e32 v[168:169], v[138:139], v[160:161]
	s_wait_loadcnt 0x5
	v_fmac_f64_e32 v[168:169], v[140:141], v[162:163]
	ds_load_b128 v[138:141], v2 offset:592
	ds_load_b128 v[156:159], v2 offset:608
	scratch_load_b128 v[160:163], off, off offset:168
	s_wait_dscnt 0x1
	v_fmac_f64_e32 v[168:169], v[142:143], v[138:139]
	s_wait_loadcnt 0x5
	s_delay_alu instid0(VALU_DEP_1) | instskip(SKIP_4) | instid1(VALU_DEP_1)
	v_fmac_f64_e32 v[168:169], v[144:145], v[140:141]
	scratch_load_b128 v[138:141], off, off offset:184
	s_wait_dscnt 0x0
	v_fmac_f64_e32 v[168:169], v[146:147], v[156:157]
	s_wait_loadcnt 0x5
	v_fmac_f64_e32 v[168:169], v[148:149], v[158:159]
	ds_load_b128 v[142:145], v2 offset:624
	ds_load_b128 v[146:149], v2 offset:640
	scratch_load_b128 v[156:159], off, off offset:200
	s_wait_dscnt 0x1
	v_fmac_f64_e32 v[168:169], v[150:151], v[142:143]
	s_wait_loadcnt 0x5
	s_delay_alu instid0(VALU_DEP_1) | instskip(SKIP_4) | instid1(VALU_DEP_1)
	v_fmac_f64_e32 v[168:169], v[152:153], v[144:145]
	scratch_load_b128 v[142:145], off, off offset:216
	s_wait_dscnt 0x0
	v_fmac_f64_e32 v[168:169], v[154:155], v[146:147]
	s_wait_loadcnt 0x5
	v_fmac_f64_e32 v[168:169], v[164:165], v[148:149]
	ds_load_b128 v[146:149], v2 offset:656
	ds_load_b128 v[150:153], v2 offset:672
	s_wait_dscnt 0x1
	v_fmac_f64_e32 v[168:169], v[166:167], v[146:147]
	scratch_load_b128 v[164:167], off, off offset:232
	s_wait_loadcnt 0x5
	v_fmac_f64_e32 v[168:169], v[134:135], v[148:149]
	s_wait_dscnt 0x0
	s_delay_alu instid0(VALU_DEP_1)
	v_fmac_f64_e32 v[168:169], v[136:137], v[150:151]
	scratch_load_b128 v[134:137], off, off offset:248
	s_wait_loadcnt 0x5
	v_fmac_f64_e32 v[168:169], v[160:161], v[152:153]
	ds_load_b128 v[146:149], v2 offset:688
	ds_load_b128 v[150:153], v2 offset:704
	s_wait_dscnt 0x1
	v_fmac_f64_e32 v[168:169], v[162:163], v[146:147]
	scratch_load_b128 v[160:163], off, off offset:264
	s_wait_loadcnt 0x5
	v_fmac_f64_e32 v[168:169], v[138:139], v[148:149]
	s_wait_dscnt 0x0
	s_delay_alu instid0(VALU_DEP_1)
	v_fmac_f64_e32 v[168:169], v[140:141], v[150:151]
	scratch_load_b128 v[138:141], off, off offset:280
	s_wait_loadcnt 0x5
	v_fmac_f64_e32 v[168:169], v[156:157], v[152:153]
	ds_load_b128 v[146:149], v2 offset:720
	ds_load_b128 v[150:153], v2 offset:736
	scratch_load_b128 v[154:157], off, off offset:296
	s_wait_dscnt 0x1
	v_fmac_f64_e32 v[168:169], v[158:159], v[146:147]
	s_wait_loadcnt 0x5
	s_delay_alu instid0(VALU_DEP_1) | instskip(SKIP_1) | instid1(VALU_DEP_1)
	v_fmac_f64_e32 v[168:169], v[142:143], v[148:149]
	s_wait_dscnt 0x0
	v_fmac_f64_e32 v[168:169], v[144:145], v[150:151]
	scratch_load_b128 v[142:145], off, off offset:312
	s_wait_loadcnt 0x5
	v_fmac_f64_e32 v[168:169], v[164:165], v[152:153]
	ds_load_b128 v[146:149], v2 offset:752
	ds_load_b128 v[150:153], v2 offset:768
	s_wait_dscnt 0x1
	v_fmac_f64_e32 v[168:169], v[166:167], v[146:147]
	scratch_load_b128 v[164:167], off, off offset:328
	s_wait_loadcnt 0x5
	v_fmac_f64_e32 v[168:169], v[134:135], v[148:149]
	s_wait_dscnt 0x0
	s_delay_alu instid0(VALU_DEP_1)
	v_fmac_f64_e32 v[168:169], v[136:137], v[150:151]
	scratch_load_b128 v[134:137], off, off offset:344
	s_wait_loadcnt 0x5
	v_fmac_f64_e32 v[168:169], v[160:161], v[152:153]
	ds_load_b128 v[146:149], v2 offset:784
	ds_load_b128 v[150:153], v2 offset:800
	scratch_load_b128 v[158:161], off, off offset:360
	s_wait_dscnt 0x1
	v_fmac_f64_e32 v[168:169], v[162:163], v[146:147]
	s_wait_loadcnt 0x5
	s_delay_alu instid0(VALU_DEP_1) | instskip(SKIP_1) | instid1(VALU_DEP_1)
	v_fmac_f64_e32 v[168:169], v[138:139], v[148:149]
	s_wait_dscnt 0x0
	;; [unrolled: 26-line block ×3, first 2 shown]
	v_fmac_f64_e32 v[168:169], v[136:137], v[150:151]
	scratch_load_b128 v[134:137], off, off offset:440
	s_wait_loadcnt 0x5
	v_fmac_f64_e32 v[168:169], v[158:159], v[152:153]
	ds_load_b128 v[146:149], v2 offset:880
	ds_load_b128 v[150:153], v2 offset:896
	s_wait_dscnt 0x1
	v_fmac_f64_e32 v[168:169], v[160:161], v[146:147]
	s_wait_loadcnt 0x4
	s_delay_alu instid0(VALU_DEP_1)
	v_fmac_f64_e32 v[168:169], v[138:139], v[148:149]
	scratch_load_b128 v[146:149], off, off offset:456
	s_wait_dscnt 0x0
	v_fmac_f64_e32 v[168:169], v[140:141], v[150:151]
	scratch_load_b128 v[138:141], off, off offset:472
	s_wait_loadcnt 0x5
	v_fmac_f64_e32 v[168:169], v[154:155], v[152:153]
	ds_load_b128 v[150:153], v2 offset:912
	ds_load_b128 v[158:161], v2 offset:928
	s_wait_dscnt 0x1
	v_fmac_f64_e32 v[168:169], v[156:157], v[150:151]
	s_wait_loadcnt 0x4
	s_delay_alu instid0(VALU_DEP_1)
	v_fmac_f64_e32 v[168:169], v[142:143], v[152:153]
	scratch_load_b128 v[150:153], off, off offset:488
	s_wait_dscnt 0x0
	v_fmac_f64_e32 v[168:169], v[144:145], v[158:159]
	scratch_load_b64 v[158:159], off, off offset:504
	ds_load_b128 v[142:145], v2 offset:944
	ds_load_b128 v[154:157], v2 offset:960
	s_wait_loadcnt 0x5
	v_fmac_f64_e32 v[168:169], v[162:163], v[160:161]
	s_wait_dscnt 0x1
	s_delay_alu instid0(VALU_DEP_1) | instskip(SKIP_1) | instid1(VALU_DEP_1)
	v_fmac_f64_e32 v[168:169], v[164:165], v[142:143]
	s_wait_loadcnt 0x4
	v_fmac_f64_e32 v[168:169], v[134:135], v[144:145]
	s_wait_dscnt 0x0
	s_delay_alu instid0(VALU_DEP_1)
	v_fmac_f64_e32 v[168:169], v[136:137], v[154:155]
	ds_load_b128 v[134:137], v2 offset:976
	ds_load_b128 v[142:145], v2 offset:992
	s_wait_loadcnt 0x3
	v_fmac_f64_e32 v[168:169], v[146:147], v[156:157]
	s_wait_dscnt 0x1
	s_delay_alu instid0(VALU_DEP_1) | instskip(SKIP_1) | instid1(VALU_DEP_1)
	v_fmac_f64_e32 v[168:169], v[148:149], v[134:135]
	s_wait_loadcnt 0x2
	v_fmac_f64_e32 v[168:169], v[138:139], v[136:137]
	ds_load_b128 v[134:137], v2 offset:1008
	s_wait_dscnt 0x1
	v_fmac_f64_e32 v[168:169], v[140:141], v[142:143]
	s_wait_loadcnt 0x1
	s_delay_alu instid0(VALU_DEP_1) | instskip(SKIP_1) | instid1(VALU_DEP_1)
	v_fmac_f64_e32 v[168:169], v[150:151], v[144:145]
	s_wait_dscnt 0x0
	v_fmac_f64_e32 v[168:169], v[152:153], v[134:135]
	s_wait_loadcnt 0x0
	s_delay_alu instid0(VALU_DEP_1) | instskip(NEXT) | instid1(VALU_DEP_1)
	v_fmac_f64_e32 v[168:169], v[158:159], v[136:137]
	v_add_f64_e64 v[2:3], v[132:133], -v[168:169]
	scratch_store_b64 off, v[2:3], off offset:40
	s_wait_xcnt 0x0
	v_cmpx_lt_u32_e32 4, v0
	s_cbranch_execz .LBB63_385
; %bb.384:
	scratch_load_b64 v[2:3], off, off offset:32
	v_mov_b64_e32 v[132:133], 0
	scratch_store_b64 off, v[132:133], off offset:32
	s_wait_loadcnt 0x0
	ds_store_b64 v1, v[2:3]
.LBB63_385:
	s_wait_xcnt 0x0
	s_or_b32 exec_lo, exec_lo, s0
	s_wait_storecnt_dscnt 0x0
	s_barrier_signal -1
	s_barrier_wait -1
	s_clause 0x5
	scratch_load_b128 v[132:135], off, off offset:32
	scratch_load_b128 v[136:139], off, off offset:48
	;; [unrolled: 1-line block ×6, first 2 shown]
	v_mov_b32_e32 v2, 0
	ds_load_2addr_b64 v[156:159], v2 offset0:69 offset1:70
	ds_load_2addr_b64 v[160:163], v2 offset0:71 offset1:72
	scratch_load_b128 v[164:167], off, off offset:128
	s_mov_b32 s0, exec_lo
	s_wait_loadcnt_dscnt 0x601
	v_fma_f64 v[168:169], v[134:135], v[156:157], 0
	s_wait_loadcnt 0x5
	s_delay_alu instid0(VALU_DEP_1) | instskip(SKIP_4) | instid1(VALU_DEP_1)
	v_fmac_f64_e32 v[168:169], v[136:137], v[158:159]
	scratch_load_b128 v[134:137], off, off offset:144
	s_wait_dscnt 0x0
	v_fmac_f64_e32 v[168:169], v[138:139], v[160:161]
	s_wait_loadcnt 0x5
	v_fmac_f64_e32 v[168:169], v[140:141], v[162:163]
	ds_load_2addr_b64 v[138:141], v2 offset0:73 offset1:74
	ds_load_2addr_b64 v[156:159], v2 offset0:75 offset1:76
	scratch_load_b128 v[160:163], off, off offset:160
	s_wait_dscnt 0x1
	v_fmac_f64_e32 v[168:169], v[142:143], v[138:139]
	s_wait_loadcnt 0x5
	s_delay_alu instid0(VALU_DEP_1) | instskip(SKIP_4) | instid1(VALU_DEP_1)
	v_fmac_f64_e32 v[168:169], v[144:145], v[140:141]
	scratch_load_b128 v[138:141], off, off offset:176
	s_wait_dscnt 0x0
	v_fmac_f64_e32 v[168:169], v[146:147], v[156:157]
	s_wait_loadcnt 0x5
	v_fmac_f64_e32 v[168:169], v[148:149], v[158:159]
	ds_load_2addr_b64 v[142:145], v2 offset0:77 offset1:78
	ds_load_2addr_b64 v[146:149], v2 offset0:79 offset1:80
	scratch_load_b128 v[156:159], off, off offset:192
	s_wait_dscnt 0x1
	v_fmac_f64_e32 v[168:169], v[150:151], v[142:143]
	s_wait_loadcnt 0x5
	s_delay_alu instid0(VALU_DEP_1) | instskip(SKIP_4) | instid1(VALU_DEP_1)
	v_fmac_f64_e32 v[168:169], v[152:153], v[144:145]
	scratch_load_b128 v[142:145], off, off offset:208
	s_wait_dscnt 0x0
	v_fmac_f64_e32 v[168:169], v[154:155], v[146:147]
	s_wait_loadcnt 0x5
	v_fmac_f64_e32 v[168:169], v[164:165], v[148:149]
	ds_load_2addr_b64 v[146:149], v2 offset0:81 offset1:82
	ds_load_2addr_b64 v[150:153], v2 offset0:83 offset1:84
	s_wait_dscnt 0x1
	v_fmac_f64_e32 v[168:169], v[166:167], v[146:147]
	scratch_load_b128 v[164:167], off, off offset:224
	s_wait_loadcnt 0x5
	v_fmac_f64_e32 v[168:169], v[134:135], v[148:149]
	s_wait_dscnt 0x0
	s_delay_alu instid0(VALU_DEP_1)
	v_fmac_f64_e32 v[168:169], v[136:137], v[150:151]
	scratch_load_b128 v[134:137], off, off offset:240
	s_wait_loadcnt 0x5
	v_fmac_f64_e32 v[168:169], v[160:161], v[152:153]
	ds_load_2addr_b64 v[146:149], v2 offset0:85 offset1:86
	ds_load_2addr_b64 v[150:153], v2 offset0:87 offset1:88
	s_wait_dscnt 0x1
	v_fmac_f64_e32 v[168:169], v[162:163], v[146:147]
	scratch_load_b128 v[160:163], off, off offset:256
	s_wait_loadcnt 0x5
	v_fmac_f64_e32 v[168:169], v[138:139], v[148:149]
	s_wait_dscnt 0x0
	s_delay_alu instid0(VALU_DEP_1)
	v_fmac_f64_e32 v[168:169], v[140:141], v[150:151]
	scratch_load_b128 v[138:141], off, off offset:272
	s_wait_loadcnt 0x5
	v_fmac_f64_e32 v[168:169], v[156:157], v[152:153]
	ds_load_2addr_b64 v[146:149], v2 offset0:89 offset1:90
	ds_load_2addr_b64 v[150:153], v2 offset0:91 offset1:92
	scratch_load_b128 v[154:157], off, off offset:288
	s_wait_dscnt 0x1
	v_fmac_f64_e32 v[168:169], v[158:159], v[146:147]
	s_wait_loadcnt 0x5
	s_delay_alu instid0(VALU_DEP_1) | instskip(SKIP_1) | instid1(VALU_DEP_1)
	v_fmac_f64_e32 v[168:169], v[142:143], v[148:149]
	s_wait_dscnt 0x0
	v_fmac_f64_e32 v[168:169], v[144:145], v[150:151]
	scratch_load_b128 v[142:145], off, off offset:304
	s_wait_loadcnt 0x5
	v_fmac_f64_e32 v[168:169], v[164:165], v[152:153]
	ds_load_2addr_b64 v[146:149], v2 offset0:93 offset1:94
	ds_load_2addr_b64 v[150:153], v2 offset0:95 offset1:96
	s_wait_dscnt 0x1
	v_fmac_f64_e32 v[168:169], v[166:167], v[146:147]
	scratch_load_b128 v[164:167], off, off offset:320
	s_wait_loadcnt 0x5
	v_fmac_f64_e32 v[168:169], v[134:135], v[148:149]
	s_wait_dscnt 0x0
	s_delay_alu instid0(VALU_DEP_1)
	v_fmac_f64_e32 v[168:169], v[136:137], v[150:151]
	scratch_load_b128 v[134:137], off, off offset:336
	s_wait_loadcnt 0x5
	v_fmac_f64_e32 v[168:169], v[160:161], v[152:153]
	ds_load_2addr_b64 v[146:149], v2 offset0:97 offset1:98
	ds_load_2addr_b64 v[150:153], v2 offset0:99 offset1:100
	scratch_load_b128 v[158:161], off, off offset:352
	s_wait_dscnt 0x1
	v_fmac_f64_e32 v[168:169], v[162:163], v[146:147]
	s_wait_loadcnt 0x5
	s_delay_alu instid0(VALU_DEP_1) | instskip(SKIP_1) | instid1(VALU_DEP_1)
	v_fmac_f64_e32 v[168:169], v[138:139], v[148:149]
	s_wait_dscnt 0x0
	;; [unrolled: 26-line block ×3, first 2 shown]
	v_fmac_f64_e32 v[168:169], v[136:137], v[150:151]
	scratch_load_b128 v[134:137], off, off offset:432
	s_wait_loadcnt 0x5
	v_fmac_f64_e32 v[168:169], v[158:159], v[152:153]
	ds_load_2addr_b64 v[146:149], v2 offset0:109 offset1:110
	ds_load_2addr_b64 v[150:153], v2 offset0:111 offset1:112
	s_wait_dscnt 0x1
	v_fmac_f64_e32 v[168:169], v[160:161], v[146:147]
	s_wait_loadcnt 0x4
	s_delay_alu instid0(VALU_DEP_1)
	v_fmac_f64_e32 v[168:169], v[138:139], v[148:149]
	scratch_load_b128 v[146:149], off, off offset:448
	s_wait_dscnt 0x0
	v_fmac_f64_e32 v[168:169], v[140:141], v[150:151]
	scratch_load_b128 v[138:141], off, off offset:464
	s_wait_loadcnt 0x5
	v_fmac_f64_e32 v[168:169], v[154:155], v[152:153]
	ds_load_2addr_b64 v[150:153], v2 offset0:113 offset1:114
	ds_load_2addr_b64 v[158:161], v2 offset0:115 offset1:116
	s_wait_dscnt 0x1
	v_fmac_f64_e32 v[168:169], v[156:157], v[150:151]
	s_wait_loadcnt 0x4
	s_delay_alu instid0(VALU_DEP_1)
	v_fmac_f64_e32 v[168:169], v[142:143], v[152:153]
	scratch_load_b128 v[150:153], off, off offset:480
	s_wait_dscnt 0x0
	v_fmac_f64_e32 v[168:169], v[144:145], v[158:159]
	scratch_load_b128 v[142:145], off, off offset:496
	s_wait_loadcnt 0x5
	v_fmac_f64_e32 v[168:169], v[162:163], v[160:161]
	ds_load_2addr_b64 v[154:157], v2 offset0:117 offset1:118
	ds_load_2addr_b64 v[158:161], v2 offset0:119 offset1:120
	s_wait_dscnt 0x1
	v_fmac_f64_e32 v[168:169], v[164:165], v[154:155]
	s_wait_loadcnt 0x4
	s_delay_alu instid0(VALU_DEP_1) | instskip(SKIP_1) | instid1(VALU_DEP_1)
	v_fmac_f64_e32 v[168:169], v[134:135], v[156:157]
	s_wait_dscnt 0x0
	v_fmac_f64_e32 v[168:169], v[136:137], v[158:159]
	ds_load_2addr_b64 v[134:137], v2 offset0:121 offset1:122
	ds_load_2addr_b64 v[154:157], v2 offset0:123 offset1:124
	s_wait_loadcnt 0x3
	v_fmac_f64_e32 v[168:169], v[146:147], v[160:161]
	s_wait_dscnt 0x1
	s_delay_alu instid0(VALU_DEP_1) | instskip(SKIP_1) | instid1(VALU_DEP_1)
	v_fmac_f64_e32 v[168:169], v[148:149], v[134:135]
	s_wait_loadcnt 0x2
	v_fmac_f64_e32 v[168:169], v[138:139], v[136:137]
	ds_load_2addr_b64 v[134:137], v2 offset0:125 offset1:126
	ds_load_b64 v[138:139], v2 offset:1016
	s_wait_dscnt 0x2
	v_fmac_f64_e32 v[168:169], v[140:141], v[154:155]
	s_wait_loadcnt 0x1
	s_delay_alu instid0(VALU_DEP_1) | instskip(SKIP_1) | instid1(VALU_DEP_1)
	v_fmac_f64_e32 v[168:169], v[150:151], v[156:157]
	s_wait_dscnt 0x1
	v_fmac_f64_e32 v[168:169], v[152:153], v[134:135]
	s_wait_loadcnt 0x0
	s_delay_alu instid0(VALU_DEP_1) | instskip(SKIP_1) | instid1(VALU_DEP_1)
	v_fmac_f64_e32 v[168:169], v[142:143], v[136:137]
	s_wait_dscnt 0x0
	v_fmac_f64_e32 v[168:169], v[144:145], v[138:139]
	s_delay_alu instid0(VALU_DEP_1)
	v_add_f64_e64 v[132:133], v[132:133], -v[168:169]
	scratch_store_b64 off, v[132:133], off offset:32
	s_wait_xcnt 0x0
	v_cmpx_lt_u32_e32 3, v0
	s_cbranch_execz .LBB63_387
; %bb.386:
	scratch_load_b64 v[132:133], off, off offset:24
	v_mov_b64_e32 v[134:135], 0
	scratch_store_b64 off, v[134:135], off offset:24
	s_wait_loadcnt 0x0
	ds_store_b64 v1, v[132:133]
.LBB63_387:
	s_wait_xcnt 0x0
	s_or_b32 exec_lo, exec_lo, s0
	s_wait_storecnt_dscnt 0x0
	s_barrier_signal -1
	s_barrier_wait -1
	s_clause 0x5
	scratch_load_b128 v[132:135], off, off offset:24
	scratch_load_b128 v[136:139], off, off offset:40
	;; [unrolled: 1-line block ×6, first 2 shown]
	ds_load_b128 v[156:159], v2 offset:544
	ds_load_b128 v[160:163], v2 offset:560
	scratch_load_b128 v[164:167], off, off offset:120
	s_mov_b32 s0, exec_lo
	s_wait_loadcnt_dscnt 0x601
	v_fma_f64 v[168:169], v[134:135], v[156:157], 0
	s_wait_loadcnt 0x5
	s_delay_alu instid0(VALU_DEP_1) | instskip(SKIP_4) | instid1(VALU_DEP_1)
	v_fmac_f64_e32 v[168:169], v[136:137], v[158:159]
	scratch_load_b128 v[134:137], off, off offset:136
	s_wait_dscnt 0x0
	v_fmac_f64_e32 v[168:169], v[138:139], v[160:161]
	s_wait_loadcnt 0x5
	v_fmac_f64_e32 v[168:169], v[140:141], v[162:163]
	ds_load_b128 v[138:141], v2 offset:576
	ds_load_b128 v[156:159], v2 offset:592
	scratch_load_b128 v[160:163], off, off offset:152
	s_wait_dscnt 0x1
	v_fmac_f64_e32 v[168:169], v[142:143], v[138:139]
	s_wait_loadcnt 0x5
	s_delay_alu instid0(VALU_DEP_1) | instskip(SKIP_4) | instid1(VALU_DEP_1)
	v_fmac_f64_e32 v[168:169], v[144:145], v[140:141]
	scratch_load_b128 v[138:141], off, off offset:168
	s_wait_dscnt 0x0
	v_fmac_f64_e32 v[168:169], v[146:147], v[156:157]
	s_wait_loadcnt 0x5
	v_fmac_f64_e32 v[168:169], v[148:149], v[158:159]
	ds_load_b128 v[142:145], v2 offset:608
	ds_load_b128 v[146:149], v2 offset:624
	scratch_load_b128 v[156:159], off, off offset:184
	s_wait_dscnt 0x1
	v_fmac_f64_e32 v[168:169], v[150:151], v[142:143]
	s_wait_loadcnt 0x5
	s_delay_alu instid0(VALU_DEP_1) | instskip(SKIP_4) | instid1(VALU_DEP_1)
	v_fmac_f64_e32 v[168:169], v[152:153], v[144:145]
	scratch_load_b128 v[142:145], off, off offset:200
	s_wait_dscnt 0x0
	v_fmac_f64_e32 v[168:169], v[154:155], v[146:147]
	s_wait_loadcnt 0x5
	v_fmac_f64_e32 v[168:169], v[164:165], v[148:149]
	ds_load_b128 v[146:149], v2 offset:640
	ds_load_b128 v[150:153], v2 offset:656
	s_wait_dscnt 0x1
	v_fmac_f64_e32 v[168:169], v[166:167], v[146:147]
	scratch_load_b128 v[164:167], off, off offset:216
	s_wait_loadcnt 0x5
	v_fmac_f64_e32 v[168:169], v[134:135], v[148:149]
	s_wait_dscnt 0x0
	s_delay_alu instid0(VALU_DEP_1)
	v_fmac_f64_e32 v[168:169], v[136:137], v[150:151]
	scratch_load_b128 v[134:137], off, off offset:232
	s_wait_loadcnt 0x5
	v_fmac_f64_e32 v[168:169], v[160:161], v[152:153]
	ds_load_b128 v[146:149], v2 offset:672
	ds_load_b128 v[150:153], v2 offset:688
	s_wait_dscnt 0x1
	v_fmac_f64_e32 v[168:169], v[162:163], v[146:147]
	scratch_load_b128 v[160:163], off, off offset:248
	s_wait_loadcnt 0x5
	v_fmac_f64_e32 v[168:169], v[138:139], v[148:149]
	s_wait_dscnt 0x0
	s_delay_alu instid0(VALU_DEP_1)
	v_fmac_f64_e32 v[168:169], v[140:141], v[150:151]
	scratch_load_b128 v[138:141], off, off offset:264
	s_wait_loadcnt 0x5
	v_fmac_f64_e32 v[168:169], v[156:157], v[152:153]
	ds_load_b128 v[146:149], v2 offset:704
	ds_load_b128 v[150:153], v2 offset:720
	scratch_load_b128 v[154:157], off, off offset:280
	s_wait_dscnt 0x1
	v_fmac_f64_e32 v[168:169], v[158:159], v[146:147]
	s_wait_loadcnt 0x5
	s_delay_alu instid0(VALU_DEP_1) | instskip(SKIP_1) | instid1(VALU_DEP_1)
	v_fmac_f64_e32 v[168:169], v[142:143], v[148:149]
	s_wait_dscnt 0x0
	v_fmac_f64_e32 v[168:169], v[144:145], v[150:151]
	scratch_load_b128 v[142:145], off, off offset:296
	s_wait_loadcnt 0x5
	v_fmac_f64_e32 v[168:169], v[164:165], v[152:153]
	ds_load_b128 v[146:149], v2 offset:736
	ds_load_b128 v[150:153], v2 offset:752
	s_wait_dscnt 0x1
	v_fmac_f64_e32 v[168:169], v[166:167], v[146:147]
	scratch_load_b128 v[164:167], off, off offset:312
	s_wait_loadcnt 0x5
	v_fmac_f64_e32 v[168:169], v[134:135], v[148:149]
	s_wait_dscnt 0x0
	s_delay_alu instid0(VALU_DEP_1)
	v_fmac_f64_e32 v[168:169], v[136:137], v[150:151]
	scratch_load_b128 v[134:137], off, off offset:328
	s_wait_loadcnt 0x5
	v_fmac_f64_e32 v[168:169], v[160:161], v[152:153]
	ds_load_b128 v[146:149], v2 offset:768
	ds_load_b128 v[150:153], v2 offset:784
	scratch_load_b128 v[158:161], off, off offset:344
	s_wait_dscnt 0x1
	v_fmac_f64_e32 v[168:169], v[162:163], v[146:147]
	s_wait_loadcnt 0x5
	s_delay_alu instid0(VALU_DEP_1) | instskip(SKIP_1) | instid1(VALU_DEP_1)
	v_fmac_f64_e32 v[168:169], v[138:139], v[148:149]
	s_wait_dscnt 0x0
	v_fmac_f64_e32 v[168:169], v[140:141], v[150:151]
	scratch_load_b128 v[138:141], off, off offset:360
	s_wait_loadcnt 0x5
	v_fmac_f64_e32 v[168:169], v[154:155], v[152:153]
	ds_load_b128 v[146:149], v2 offset:800
	ds_load_b128 v[150:153], v2 offset:816
	s_wait_dscnt 0x1
	v_fmac_f64_e32 v[168:169], v[156:157], v[146:147]
	scratch_load_b128 v[154:157], off, off offset:376
	s_wait_loadcnt 0x5
	v_fmac_f64_e32 v[168:169], v[142:143], v[148:149]
	s_wait_dscnt 0x0
	s_delay_alu instid0(VALU_DEP_1)
	v_fmac_f64_e32 v[168:169], v[144:145], v[150:151]
	scratch_load_b128 v[142:145], off, off offset:392
	s_wait_loadcnt 0x5
	v_fmac_f64_e32 v[168:169], v[164:165], v[152:153]
	ds_load_b128 v[146:149], v2 offset:832
	ds_load_b128 v[150:153], v2 offset:848
	scratch_load_b128 v[162:165], off, off offset:408
	s_wait_dscnt 0x1
	v_fmac_f64_e32 v[168:169], v[166:167], v[146:147]
	s_wait_loadcnt 0x5
	s_delay_alu instid0(VALU_DEP_1) | instskip(SKIP_1) | instid1(VALU_DEP_1)
	v_fmac_f64_e32 v[168:169], v[134:135], v[148:149]
	s_wait_dscnt 0x0
	v_fmac_f64_e32 v[168:169], v[136:137], v[150:151]
	scratch_load_b128 v[134:137], off, off offset:424
	s_wait_loadcnt 0x5
	v_fmac_f64_e32 v[168:169], v[158:159], v[152:153]
	ds_load_b128 v[146:149], v2 offset:864
	ds_load_b128 v[150:153], v2 offset:880
	s_wait_dscnt 0x1
	v_fmac_f64_e32 v[168:169], v[160:161], v[146:147]
	s_wait_loadcnt 0x4
	s_delay_alu instid0(VALU_DEP_1)
	v_fmac_f64_e32 v[168:169], v[138:139], v[148:149]
	scratch_load_b128 v[146:149], off, off offset:440
	s_wait_dscnt 0x0
	v_fmac_f64_e32 v[168:169], v[140:141], v[150:151]
	scratch_load_b128 v[138:141], off, off offset:456
	s_wait_loadcnt 0x5
	v_fmac_f64_e32 v[168:169], v[154:155], v[152:153]
	ds_load_b128 v[150:153], v2 offset:896
	ds_load_b128 v[158:161], v2 offset:912
	s_wait_dscnt 0x1
	v_fmac_f64_e32 v[168:169], v[156:157], v[150:151]
	s_wait_loadcnt 0x4
	s_delay_alu instid0(VALU_DEP_1)
	v_fmac_f64_e32 v[168:169], v[142:143], v[152:153]
	scratch_load_b128 v[150:153], off, off offset:472
	s_wait_dscnt 0x0
	v_fmac_f64_e32 v[168:169], v[144:145], v[158:159]
	scratch_load_b128 v[142:145], off, off offset:488
	s_wait_loadcnt 0x5
	v_fmac_f64_e32 v[168:169], v[162:163], v[160:161]
	ds_load_b128 v[154:157], v2 offset:928
	ds_load_b128 v[158:161], v2 offset:944
	scratch_load_b64 v[162:163], off, off offset:504
	s_wait_dscnt 0x1
	v_fmac_f64_e32 v[168:169], v[164:165], v[154:155]
	s_wait_loadcnt 0x5
	s_delay_alu instid0(VALU_DEP_1) | instskip(SKIP_1) | instid1(VALU_DEP_1)
	v_fmac_f64_e32 v[168:169], v[134:135], v[156:157]
	s_wait_dscnt 0x0
	v_fmac_f64_e32 v[168:169], v[136:137], v[158:159]
	ds_load_b128 v[134:137], v2 offset:960
	ds_load_b128 v[154:157], v2 offset:976
	s_wait_loadcnt 0x4
	v_fmac_f64_e32 v[168:169], v[146:147], v[160:161]
	s_wait_dscnt 0x1
	s_delay_alu instid0(VALU_DEP_1) | instskip(SKIP_1) | instid1(VALU_DEP_1)
	v_fmac_f64_e32 v[168:169], v[148:149], v[134:135]
	s_wait_loadcnt 0x3
	v_fmac_f64_e32 v[168:169], v[138:139], v[136:137]
	s_wait_dscnt 0x0
	s_delay_alu instid0(VALU_DEP_1)
	v_fmac_f64_e32 v[168:169], v[140:141], v[154:155]
	ds_load_b128 v[134:137], v2 offset:992
	ds_load_b128 v[138:141], v2 offset:1008
	s_wait_loadcnt 0x2
	v_fmac_f64_e32 v[168:169], v[150:151], v[156:157]
	s_wait_dscnt 0x1
	s_delay_alu instid0(VALU_DEP_1) | instskip(SKIP_1) | instid1(VALU_DEP_1)
	v_fmac_f64_e32 v[168:169], v[152:153], v[134:135]
	s_wait_loadcnt 0x1
	v_fmac_f64_e32 v[168:169], v[142:143], v[136:137]
	s_wait_dscnt 0x0
	s_delay_alu instid0(VALU_DEP_1) | instskip(SKIP_1) | instid1(VALU_DEP_1)
	v_fmac_f64_e32 v[168:169], v[144:145], v[138:139]
	s_wait_loadcnt 0x0
	v_fmac_f64_e32 v[168:169], v[162:163], v[140:141]
	s_delay_alu instid0(VALU_DEP_1)
	v_add_f64_e64 v[2:3], v[132:133], -v[168:169]
	scratch_store_b64 off, v[2:3], off offset:24
	s_wait_xcnt 0x0
	v_cmpx_lt_u32_e32 2, v0
	s_cbranch_execz .LBB63_389
; %bb.388:
	scratch_load_b64 v[2:3], off, off offset:16
	v_mov_b64_e32 v[132:133], 0
	scratch_store_b64 off, v[132:133], off offset:16
	s_wait_loadcnt 0x0
	ds_store_b64 v1, v[2:3]
.LBB63_389:
	s_wait_xcnt 0x0
	s_or_b32 exec_lo, exec_lo, s0
	s_wait_storecnt_dscnt 0x0
	s_barrier_signal -1
	s_barrier_wait -1
	s_clause 0x5
	scratch_load_b128 v[132:135], off, off offset:16
	scratch_load_b128 v[136:139], off, off offset:32
	;; [unrolled: 1-line block ×6, first 2 shown]
	v_mov_b32_e32 v2, 0
	ds_load_2addr_b64 v[156:159], v2 offset0:67 offset1:68
	ds_load_2addr_b64 v[160:163], v2 offset0:69 offset1:70
	scratch_load_b128 v[164:167], off, off offset:112
	s_mov_b32 s0, exec_lo
	s_wait_loadcnt_dscnt 0x601
	v_fma_f64 v[168:169], v[134:135], v[156:157], 0
	s_wait_loadcnt 0x5
	s_delay_alu instid0(VALU_DEP_1) | instskip(SKIP_4) | instid1(VALU_DEP_1)
	v_fmac_f64_e32 v[168:169], v[136:137], v[158:159]
	scratch_load_b128 v[134:137], off, off offset:128
	s_wait_dscnt 0x0
	v_fmac_f64_e32 v[168:169], v[138:139], v[160:161]
	s_wait_loadcnt 0x5
	v_fmac_f64_e32 v[168:169], v[140:141], v[162:163]
	ds_load_2addr_b64 v[138:141], v2 offset0:71 offset1:72
	ds_load_2addr_b64 v[156:159], v2 offset0:73 offset1:74
	scratch_load_b128 v[160:163], off, off offset:144
	s_wait_dscnt 0x1
	v_fmac_f64_e32 v[168:169], v[142:143], v[138:139]
	s_wait_loadcnt 0x5
	s_delay_alu instid0(VALU_DEP_1) | instskip(SKIP_4) | instid1(VALU_DEP_1)
	v_fmac_f64_e32 v[168:169], v[144:145], v[140:141]
	scratch_load_b128 v[138:141], off, off offset:160
	s_wait_dscnt 0x0
	v_fmac_f64_e32 v[168:169], v[146:147], v[156:157]
	s_wait_loadcnt 0x5
	v_fmac_f64_e32 v[168:169], v[148:149], v[158:159]
	ds_load_2addr_b64 v[142:145], v2 offset0:75 offset1:76
	ds_load_2addr_b64 v[146:149], v2 offset0:77 offset1:78
	scratch_load_b128 v[156:159], off, off offset:176
	s_wait_dscnt 0x1
	v_fmac_f64_e32 v[168:169], v[150:151], v[142:143]
	s_wait_loadcnt 0x5
	s_delay_alu instid0(VALU_DEP_1) | instskip(SKIP_4) | instid1(VALU_DEP_1)
	v_fmac_f64_e32 v[168:169], v[152:153], v[144:145]
	scratch_load_b128 v[142:145], off, off offset:192
	s_wait_dscnt 0x0
	v_fmac_f64_e32 v[168:169], v[154:155], v[146:147]
	s_wait_loadcnt 0x5
	v_fmac_f64_e32 v[168:169], v[164:165], v[148:149]
	ds_load_2addr_b64 v[146:149], v2 offset0:79 offset1:80
	ds_load_2addr_b64 v[150:153], v2 offset0:81 offset1:82
	s_wait_dscnt 0x1
	v_fmac_f64_e32 v[168:169], v[166:167], v[146:147]
	scratch_load_b128 v[164:167], off, off offset:208
	s_wait_loadcnt 0x5
	v_fmac_f64_e32 v[168:169], v[134:135], v[148:149]
	s_wait_dscnt 0x0
	s_delay_alu instid0(VALU_DEP_1)
	v_fmac_f64_e32 v[168:169], v[136:137], v[150:151]
	scratch_load_b128 v[134:137], off, off offset:224
	s_wait_loadcnt 0x5
	v_fmac_f64_e32 v[168:169], v[160:161], v[152:153]
	ds_load_2addr_b64 v[146:149], v2 offset0:83 offset1:84
	ds_load_2addr_b64 v[150:153], v2 offset0:85 offset1:86
	s_wait_dscnt 0x1
	v_fmac_f64_e32 v[168:169], v[162:163], v[146:147]
	scratch_load_b128 v[160:163], off, off offset:240
	s_wait_loadcnt 0x5
	v_fmac_f64_e32 v[168:169], v[138:139], v[148:149]
	s_wait_dscnt 0x0
	s_delay_alu instid0(VALU_DEP_1)
	v_fmac_f64_e32 v[168:169], v[140:141], v[150:151]
	scratch_load_b128 v[138:141], off, off offset:256
	s_wait_loadcnt 0x5
	v_fmac_f64_e32 v[168:169], v[156:157], v[152:153]
	ds_load_2addr_b64 v[146:149], v2 offset0:87 offset1:88
	ds_load_2addr_b64 v[150:153], v2 offset0:89 offset1:90
	scratch_load_b128 v[154:157], off, off offset:272
	s_wait_dscnt 0x1
	v_fmac_f64_e32 v[168:169], v[158:159], v[146:147]
	s_wait_loadcnt 0x5
	s_delay_alu instid0(VALU_DEP_1) | instskip(SKIP_1) | instid1(VALU_DEP_1)
	v_fmac_f64_e32 v[168:169], v[142:143], v[148:149]
	s_wait_dscnt 0x0
	v_fmac_f64_e32 v[168:169], v[144:145], v[150:151]
	scratch_load_b128 v[142:145], off, off offset:288
	s_wait_loadcnt 0x5
	v_fmac_f64_e32 v[168:169], v[164:165], v[152:153]
	ds_load_2addr_b64 v[146:149], v2 offset0:91 offset1:92
	ds_load_2addr_b64 v[150:153], v2 offset0:93 offset1:94
	s_wait_dscnt 0x1
	v_fmac_f64_e32 v[168:169], v[166:167], v[146:147]
	scratch_load_b128 v[164:167], off, off offset:304
	s_wait_loadcnt 0x5
	v_fmac_f64_e32 v[168:169], v[134:135], v[148:149]
	s_wait_dscnt 0x0
	s_delay_alu instid0(VALU_DEP_1)
	v_fmac_f64_e32 v[168:169], v[136:137], v[150:151]
	scratch_load_b128 v[134:137], off, off offset:320
	s_wait_loadcnt 0x5
	v_fmac_f64_e32 v[168:169], v[160:161], v[152:153]
	ds_load_2addr_b64 v[146:149], v2 offset0:95 offset1:96
	ds_load_2addr_b64 v[150:153], v2 offset0:97 offset1:98
	scratch_load_b128 v[158:161], off, off offset:336
	s_wait_dscnt 0x1
	v_fmac_f64_e32 v[168:169], v[162:163], v[146:147]
	s_wait_loadcnt 0x5
	s_delay_alu instid0(VALU_DEP_1) | instskip(SKIP_1) | instid1(VALU_DEP_1)
	v_fmac_f64_e32 v[168:169], v[138:139], v[148:149]
	s_wait_dscnt 0x0
	;; [unrolled: 26-line block ×3, first 2 shown]
	v_fmac_f64_e32 v[168:169], v[136:137], v[150:151]
	scratch_load_b128 v[134:137], off, off offset:416
	s_wait_loadcnt 0x5
	v_fmac_f64_e32 v[168:169], v[158:159], v[152:153]
	ds_load_2addr_b64 v[146:149], v2 offset0:107 offset1:108
	ds_load_2addr_b64 v[150:153], v2 offset0:109 offset1:110
	s_wait_dscnt 0x1
	v_fmac_f64_e32 v[168:169], v[160:161], v[146:147]
	s_wait_loadcnt 0x4
	s_delay_alu instid0(VALU_DEP_1)
	v_fmac_f64_e32 v[168:169], v[138:139], v[148:149]
	scratch_load_b128 v[146:149], off, off offset:432
	s_wait_dscnt 0x0
	v_fmac_f64_e32 v[168:169], v[140:141], v[150:151]
	scratch_load_b128 v[138:141], off, off offset:448
	s_wait_loadcnt 0x5
	v_fmac_f64_e32 v[168:169], v[154:155], v[152:153]
	ds_load_2addr_b64 v[150:153], v2 offset0:111 offset1:112
	ds_load_2addr_b64 v[158:161], v2 offset0:113 offset1:114
	s_wait_dscnt 0x1
	v_fmac_f64_e32 v[168:169], v[156:157], v[150:151]
	s_wait_loadcnt 0x4
	s_delay_alu instid0(VALU_DEP_1)
	v_fmac_f64_e32 v[168:169], v[142:143], v[152:153]
	scratch_load_b128 v[150:153], off, off offset:464
	s_wait_dscnt 0x0
	v_fmac_f64_e32 v[168:169], v[144:145], v[158:159]
	scratch_load_b128 v[142:145], off, off offset:480
	s_wait_loadcnt 0x5
	v_fmac_f64_e32 v[168:169], v[162:163], v[160:161]
	ds_load_2addr_b64 v[154:157], v2 offset0:115 offset1:116
	ds_load_2addr_b64 v[158:161], v2 offset0:117 offset1:118
	s_wait_dscnt 0x1
	v_fmac_f64_e32 v[168:169], v[164:165], v[154:155]
	s_wait_loadcnt 0x4
	s_delay_alu instid0(VALU_DEP_1) | instskip(SKIP_4) | instid1(VALU_DEP_1)
	v_fmac_f64_e32 v[168:169], v[134:135], v[156:157]
	scratch_load_b128 v[154:157], off, off offset:496
	s_wait_dscnt 0x0
	v_fmac_f64_e32 v[168:169], v[136:137], v[158:159]
	s_wait_loadcnt 0x4
	v_fmac_f64_e32 v[168:169], v[146:147], v[160:161]
	ds_load_2addr_b64 v[134:137], v2 offset0:119 offset1:120
	ds_load_2addr_b64 v[158:161], v2 offset0:121 offset1:122
	s_wait_dscnt 0x1
	v_fmac_f64_e32 v[168:169], v[148:149], v[134:135]
	s_wait_loadcnt 0x3
	s_delay_alu instid0(VALU_DEP_1) | instskip(SKIP_1) | instid1(VALU_DEP_1)
	v_fmac_f64_e32 v[168:169], v[138:139], v[136:137]
	s_wait_dscnt 0x0
	v_fmac_f64_e32 v[168:169], v[140:141], v[158:159]
	ds_load_2addr_b64 v[134:137], v2 offset0:123 offset1:124
	ds_load_2addr_b64 v[138:141], v2 offset0:125 offset1:126
	s_wait_loadcnt 0x2
	v_fmac_f64_e32 v[168:169], v[150:151], v[160:161]
	s_wait_dscnt 0x1
	s_delay_alu instid0(VALU_DEP_1) | instskip(SKIP_4) | instid1(VALU_DEP_1)
	v_fmac_f64_e32 v[168:169], v[152:153], v[134:135]
	ds_load_b64 v[134:135], v2 offset:1016
	s_wait_loadcnt 0x1
	v_fmac_f64_e32 v[168:169], v[142:143], v[136:137]
	s_wait_dscnt 0x1
	v_fmac_f64_e32 v[168:169], v[144:145], v[138:139]
	s_wait_loadcnt 0x0
	s_delay_alu instid0(VALU_DEP_1) | instskip(SKIP_1) | instid1(VALU_DEP_1)
	v_fmac_f64_e32 v[168:169], v[154:155], v[140:141]
	s_wait_dscnt 0x0
	v_fmac_f64_e32 v[168:169], v[156:157], v[134:135]
	s_delay_alu instid0(VALU_DEP_1)
	v_add_f64_e64 v[132:133], v[132:133], -v[168:169]
	scratch_store_b64 off, v[132:133], off offset:16
	s_wait_xcnt 0x0
	v_cmpx_lt_u32_e32 1, v0
	s_cbranch_execz .LBB63_391
; %bb.390:
	scratch_load_b64 v[132:133], off, off offset:8
	v_mov_b64_e32 v[134:135], 0
	scratch_store_b64 off, v[134:135], off offset:8
	s_wait_loadcnt 0x0
	ds_store_b64 v1, v[132:133]
.LBB63_391:
	s_wait_xcnt 0x0
	s_or_b32 exec_lo, exec_lo, s0
	s_wait_storecnt_dscnt 0x0
	s_barrier_signal -1
	s_barrier_wait -1
	s_clause 0x3
	scratch_load_b128 v[132:135], off, off offset:8
	scratch_load_b128 v[136:139], off, off offset:24
	;; [unrolled: 1-line block ×4, first 2 shown]
	ds_load_b128 v[148:151], v2 offset:528
	ds_load_b128 v[152:155], v2 offset:544
	scratch_load_b128 v[156:159], off, off offset:72
	v_dual_ashrrev_i32 v9, 31, v8 :: v_dual_ashrrev_i32 v11, 31, v10
	v_dual_ashrrev_i32 v13, 31, v12 :: v_dual_ashrrev_i32 v15, 31, v14
	v_dual_ashrrev_i32 v17, 31, v16 :: v_dual_ashrrev_i32 v19, 31, v18
	v_dual_ashrrev_i32 v21, 31, v20 :: v_dual_ashrrev_i32 v23, 31, v22
	v_dual_ashrrev_i32 v25, 31, v24 :: v_dual_ashrrev_i32 v27, 31, v26
	v_dual_ashrrev_i32 v29, 31, v28 :: v_dual_ashrrev_i32 v31, 31, v30
	v_dual_ashrrev_i32 v33, 31, v32 :: v_dual_ashrrev_i32 v35, 31, v34
	v_dual_ashrrev_i32 v37, 31, v36 :: v_dual_ashrrev_i32 v39, 31, v38
	v_dual_ashrrev_i32 v41, 31, v40 :: v_dual_ashrrev_i32 v43, 31, v42
	v_dual_ashrrev_i32 v45, 31, v44 :: v_dual_ashrrev_i32 v47, 31, v46
	v_dual_ashrrev_i32 v49, 31, v48 :: v_dual_ashrrev_i32 v51, 31, v50
	v_dual_ashrrev_i32 v53, 31, v52 :: v_dual_ashrrev_i32 v55, 31, v54
	v_dual_ashrrev_i32 v57, 31, v56 :: v_dual_ashrrev_i32 v59, 31, v58
	v_dual_ashrrev_i32 v61, 31, v60 :: v_dual_ashrrev_i32 v63, 31, v62
	v_dual_ashrrev_i32 v65, 31, v64 :: v_dual_ashrrev_i32 v67, 31, v66
	v_dual_ashrrev_i32 v69, 31, v68 :: v_dual_ashrrev_i32 v71, 31, v70
	v_dual_ashrrev_i32 v73, 31, v72 :: v_dual_ashrrev_i32 v75, 31, v74
	v_dual_ashrrev_i32 v77, 31, v76 :: v_dual_ashrrev_i32 v79, 31, v78
	v_dual_ashrrev_i32 v81, 31, v80 :: v_dual_ashrrev_i32 v87, 31, v86
	v_dual_ashrrev_i32 v85, 31, v84 :: v_dual_ashrrev_i32 v91, 31, v90
	v_dual_ashrrev_i32 v89, 31, v88 :: v_dual_ashrrev_i32 v95, 31, v94
	v_dual_ashrrev_i32 v93, 31, v92 :: v_dual_ashrrev_i32 v99, 31, v98
	v_dual_ashrrev_i32 v97, 31, v96 :: v_dual_ashrrev_i32 v103, 31, v102
	v_dual_ashrrev_i32 v101, 31, v100 :: v_dual_ashrrev_i32 v107, 31, v106
	v_dual_ashrrev_i32 v105, 31, v104 :: v_dual_ashrrev_i32 v111, 31, v110
	v_dual_ashrrev_i32 v109, 31, v108 :: v_dual_ashrrev_i32 v115, 31, v114
	v_dual_ashrrev_i32 v113, 31, v112 :: v_dual_ashrrev_i32 v119, 31, v118
	v_dual_ashrrev_i32 v117, 31, v116 :: v_dual_ashrrev_i32 v123, 31, v122
	v_dual_ashrrev_i32 v121, 31, v120 :: v_dual_ashrrev_i32 v127, 31, v126
	v_dual_ashrrev_i32 v125, 31, v124 :: v_dual_ashrrev_i32 v131, 31, v130
	v_ashrrev_i32_e32 v129, 31, v128
	s_mov_b32 s0, exec_lo
	v_ashrrev_i32_e32 v83, 31, v82
	s_wait_loadcnt_dscnt 0x401
	v_fma_f64 v[160:161], v[134:135], v[148:149], 0
	s_wait_loadcnt 0x3
	s_delay_alu instid0(VALU_DEP_1) | instskip(SKIP_4) | instid1(VALU_DEP_1)
	v_fmac_f64_e32 v[160:161], v[136:137], v[150:151]
	scratch_load_b128 v[134:137], off, off offset:88
	s_wait_dscnt 0x0
	v_fmac_f64_e32 v[160:161], v[138:139], v[152:153]
	s_wait_loadcnt 0x3
	v_fmac_f64_e32 v[160:161], v[140:141], v[154:155]
	ds_load_b128 v[138:141], v2 offset:560
	ds_load_b128 v[148:151], v2 offset:576
	scratch_load_b128 v[152:155], off, off offset:104
	s_wait_dscnt 0x1
	v_fmac_f64_e32 v[160:161], v[142:143], v[138:139]
	s_wait_loadcnt 0x3
	s_delay_alu instid0(VALU_DEP_1)
	v_fmac_f64_e32 v[160:161], v[144:145], v[140:141]
	scratch_load_b128 v[138:141], off, off offset:120
	s_wait_dscnt 0x0
	v_fmac_f64_e32 v[160:161], v[146:147], v[148:149]
	ds_load_b128 v[142:145], v2 offset:592
	ds_load_b128 v[146:149], v2 offset:608
	s_wait_loadcnt 0x3
	v_fmac_f64_e32 v[160:161], v[156:157], v[150:151]
	s_wait_dscnt 0x1
	s_delay_alu instid0(VALU_DEP_1) | instskip(SKIP_4) | instid1(VALU_DEP_1)
	v_fmac_f64_e32 v[160:161], v[158:159], v[142:143]
	scratch_load_b128 v[156:159], off, off offset:136
	s_wait_loadcnt 0x3
	v_fmac_f64_e32 v[160:161], v[134:135], v[144:145]
	s_wait_dscnt 0x0
	v_fmac_f64_e32 v[160:161], v[136:137], v[146:147]
	scratch_load_b128 v[134:137], off, off offset:152
	s_wait_loadcnt 0x3
	v_fmac_f64_e32 v[160:161], v[152:153], v[148:149]
	ds_load_b128 v[142:145], v2 offset:624
	ds_load_b128 v[146:149], v2 offset:640
	scratch_load_b128 v[150:153], off, off offset:168
	s_wait_dscnt 0x1
	v_fmac_f64_e32 v[160:161], v[154:155], v[142:143]
	s_wait_loadcnt 0x3
	s_delay_alu instid0(VALU_DEP_1) | instskip(SKIP_1) | instid1(VALU_DEP_1)
	v_fmac_f64_e32 v[160:161], v[138:139], v[144:145]
	s_wait_dscnt 0x0
	v_fmac_f64_e32 v[160:161], v[140:141], v[146:147]
	scratch_load_b128 v[138:141], off, off offset:184
	s_wait_loadcnt 0x3
	v_fmac_f64_e32 v[160:161], v[156:157], v[148:149]
	ds_load_b128 v[142:145], v2 offset:656
	ds_load_b128 v[146:149], v2 offset:672
	scratch_load_b128 v[154:157], off, off offset:200
	s_wait_dscnt 0x1
	v_fmac_f64_e32 v[160:161], v[158:159], v[142:143]
	s_wait_loadcnt 0x3
	s_delay_alu instid0(VALU_DEP_1) | instskip(SKIP_1) | instid1(VALU_DEP_1)
	v_fmac_f64_e32 v[160:161], v[134:135], v[144:145]
	s_wait_dscnt 0x0
	v_fmac_f64_e32 v[160:161], v[136:137], v[146:147]
	scratch_load_b128 v[134:137], off, off offset:216
	s_wait_loadcnt 0x3
	v_fmac_f64_e32 v[160:161], v[150:151], v[148:149]
	ds_load_b128 v[142:145], v2 offset:688
	ds_load_b128 v[146:149], v2 offset:704
	s_wait_dscnt 0x1
	v_fmac_f64_e32 v[160:161], v[152:153], v[142:143]
	scratch_load_b128 v[150:153], off, off offset:232
	s_wait_loadcnt 0x3
	v_fmac_f64_e32 v[160:161], v[138:139], v[144:145]
	s_wait_dscnt 0x0
	s_delay_alu instid0(VALU_DEP_1)
	v_fmac_f64_e32 v[160:161], v[140:141], v[146:147]
	scratch_load_b128 v[138:141], off, off offset:248
	s_wait_loadcnt 0x3
	v_fmac_f64_e32 v[160:161], v[154:155], v[148:149]
	ds_load_b128 v[142:145], v2 offset:720
	ds_load_b128 v[146:149], v2 offset:736
	s_wait_dscnt 0x1
	v_fmac_f64_e32 v[160:161], v[156:157], v[142:143]
	scratch_load_b128 v[154:157], off, off offset:264
	s_wait_loadcnt 0x3
	v_fmac_f64_e32 v[160:161], v[134:135], v[144:145]
	s_wait_dscnt 0x0
	s_delay_alu instid0(VALU_DEP_1)
	v_fmac_f64_e32 v[160:161], v[136:137], v[146:147]
	scratch_load_b128 v[134:137], off, off offset:280
	s_wait_loadcnt 0x3
	v_fmac_f64_e32 v[160:161], v[150:151], v[148:149]
	ds_load_b128 v[142:145], v2 offset:752
	ds_load_b128 v[146:149], v2 offset:768
	s_wait_dscnt 0x1
	v_fmac_f64_e32 v[160:161], v[152:153], v[142:143]
	scratch_load_b128 v[150:153], off, off offset:296
	s_wait_loadcnt 0x3
	v_fmac_f64_e32 v[160:161], v[138:139], v[144:145]
	scratch_load_b128 v[142:145], off, off offset:312
	s_wait_dscnt 0x0
	v_fmac_f64_e32 v[160:161], v[140:141], v[146:147]
	s_wait_loadcnt 0x3
	s_delay_alu instid0(VALU_DEP_1)
	v_fmac_f64_e32 v[160:161], v[154:155], v[148:149]
	ds_load_b128 v[138:141], v2 offset:784
	ds_load_b128 v[146:149], v2 offset:800
	s_wait_dscnt 0x1
	v_fmac_f64_e32 v[160:161], v[156:157], v[138:139]
	scratch_load_b128 v[154:157], off, off offset:328
	s_wait_loadcnt 0x3
	v_fmac_f64_e32 v[160:161], v[134:135], v[140:141]
	s_wait_dscnt 0x0
	s_delay_alu instid0(VALU_DEP_1)
	v_fmac_f64_e32 v[160:161], v[136:137], v[146:147]
	scratch_load_b128 v[134:137], off, off offset:344
	s_wait_loadcnt 0x3
	v_fmac_f64_e32 v[160:161], v[150:151], v[148:149]
	ds_load_b128 v[138:141], v2 offset:816
	ds_load_b128 v[146:149], v2 offset:832
	s_wait_dscnt 0x1
	v_fmac_f64_e32 v[160:161], v[152:153], v[138:139]
	scratch_load_b128 v[150:153], off, off offset:360
	s_wait_loadcnt 0x3
	v_fmac_f64_e32 v[160:161], v[142:143], v[140:141]
	scratch_load_b128 v[138:141], off, off offset:376
	s_wait_dscnt 0x0
	v_fmac_f64_e32 v[160:161], v[144:145], v[146:147]
	s_wait_loadcnt 0x3
	s_delay_alu instid0(VALU_DEP_1)
	;; [unrolled: 26-line block ×3, first 2 shown]
	v_fmac_f64_e32 v[160:161], v[154:155], v[148:149]
	ds_load_b128 v[138:141], v2 offset:912
	ds_load_b128 v[146:149], v2 offset:928
	s_wait_dscnt 0x1
	v_fmac_f64_e32 v[160:161], v[156:157], v[138:139]
	scratch_load_b128 v[154:157], off, off offset:456
	s_wait_loadcnt 0x3
	v_fmac_f64_e32 v[160:161], v[134:135], v[140:141]
	s_wait_dscnt 0x0
	s_delay_alu instid0(VALU_DEP_1)
	v_fmac_f64_e32 v[160:161], v[136:137], v[146:147]
	scratch_load_b128 v[134:137], off, off offset:472
	s_wait_loadcnt 0x3
	v_fmac_f64_e32 v[160:161], v[150:151], v[148:149]
	ds_load_b128 v[138:141], v2 offset:944
	ds_load_b128 v[146:149], v2 offset:960
	scratch_load_b64 v[158:159], off, off offset:504
	s_wait_dscnt 0x1
	v_fmac_f64_e32 v[160:161], v[152:153], v[138:139]
	scratch_load_b128 v[150:153], off, off offset:488
	s_wait_loadcnt 0x4
	v_fmac_f64_e32 v[160:161], v[142:143], v[140:141]
	s_wait_dscnt 0x0
	s_delay_alu instid0(VALU_DEP_1)
	v_fmac_f64_e32 v[160:161], v[144:145], v[146:147]
	ds_load_b128 v[138:141], v2 offset:976
	ds_load_b128 v[142:145], v2 offset:992
	s_wait_loadcnt 0x3
	v_fmac_f64_e32 v[160:161], v[154:155], v[148:149]
	s_wait_dscnt 0x1
	s_delay_alu instid0(VALU_DEP_1) | instskip(SKIP_1) | instid1(VALU_DEP_1)
	v_fmac_f64_e32 v[160:161], v[156:157], v[138:139]
	s_wait_loadcnt 0x2
	v_fmac_f64_e32 v[160:161], v[134:135], v[140:141]
	s_wait_dscnt 0x0
	s_delay_alu instid0(VALU_DEP_1) | instskip(SKIP_4) | instid1(VALU_DEP_1)
	v_fmac_f64_e32 v[160:161], v[136:137], v[142:143]
	ds_load_b128 v[134:137], v2 offset:1008
	s_wait_loadcnt 0x0
	v_fmac_f64_e32 v[160:161], v[150:151], v[144:145]
	s_wait_dscnt 0x0
	v_fmac_f64_e32 v[160:161], v[152:153], v[134:135]
	s_delay_alu instid0(VALU_DEP_1) | instskip(NEXT) | instid1(VALU_DEP_1)
	v_fmac_f64_e32 v[160:161], v[158:159], v[136:137]
	v_add_f64_e64 v[2:3], v[132:133], -v[160:161]
	scratch_store_b64 off, v[2:3], off offset:8
	s_wait_xcnt 0x0
	v_cmpx_ne_u32_e32 0, v0
	s_cbranch_execz .LBB63_393
; %bb.392:
	scratch_load_b64 v[2:3], off, off
	v_mov_b64_e32 v[132:133], 0
	scratch_store_b64 off, v[132:133], off
	s_wait_loadcnt 0x0
	ds_store_b64 v1, v[2:3]
.LBB63_393:
	s_wait_xcnt 0x0
	s_or_b32 exec_lo, exec_lo, s0
	s_wait_storecnt_dscnt 0x0
	s_barrier_signal -1
	s_barrier_wait -1
	s_clause 0x5
	scratch_load_b128 v[134:137], off, off
	scratch_load_b128 v[0:3], off, off offset:16
	scratch_load_b128 v[138:141], off, off offset:32
	;; [unrolled: 1-line block ×5, first 2 shown]
	v_mov_b32_e32 v132, 0
	scratch_load_b128 v[158:161], off, off offset:96
	s_and_b32 vcc_lo, exec_lo, s18
	ds_load_2addr_b64 v[154:157], v132 offset0:65 offset1:66
	s_wait_loadcnt_dscnt 0x600
	v_fma_f64 v[162:163], v[136:137], v[154:155], 0
	s_wait_loadcnt 0x5
	s_delay_alu instid0(VALU_DEP_1)
	v_fmac_f64_e32 v[162:163], v[0:1], v[156:157]
	ds_load_2addr_b64 v[154:157], v132 offset0:67 offset1:68
	s_wait_dscnt 0x0
	v_fmac_f64_e32 v[162:163], v[2:3], v[154:155]
	scratch_load_b128 v[0:3], off, off offset:112
	s_wait_loadcnt 0x5
	v_fmac_f64_e32 v[162:163], v[138:139], v[156:157]
	ds_load_2addr_b64 v[136:139], v132 offset0:69 offset1:70
	scratch_load_b128 v[154:157], off, off offset:128
	s_wait_dscnt 0x0
	v_fmac_f64_e32 v[162:163], v[140:141], v[136:137]
	s_wait_loadcnt 0x5
	s_delay_alu instid0(VALU_DEP_1)
	v_fmac_f64_e32 v[162:163], v[142:143], v[138:139]
	ds_load_2addr_b64 v[136:139], v132 offset0:71 offset1:72
	scratch_load_b128 v[140:143], off, off offset:144
	s_wait_dscnt 0x0
	v_fmac_f64_e32 v[162:163], v[144:145], v[136:137]
	s_wait_loadcnt 0x5
	s_delay_alu instid0(VALU_DEP_1)
	;; [unrolled: 7-line block ×4, first 2 shown]
	v_fmac_f64_e32 v[162:163], v[158:159], v[138:139]
	ds_load_2addr_b64 v[136:139], v132 offset0:77 offset1:78
	s_wait_dscnt 0x0
	v_fmac_f64_e32 v[162:163], v[160:161], v[136:137]
	scratch_load_b128 v[158:161], off, off offset:192
	s_wait_loadcnt 0x5
	v_fmac_f64_e32 v[162:163], v[0:1], v[138:139]
	ds_load_2addr_b64 v[136:139], v132 offset0:79 offset1:80
	s_wait_dscnt 0x0
	v_fmac_f64_e32 v[162:163], v[2:3], v[136:137]
	scratch_load_b128 v[0:3], off, off offset:208
	s_wait_loadcnt 0x5
	v_fmac_f64_e32 v[162:163], v[154:155], v[138:139]
	ds_load_2addr_b64 v[136:139], v132 offset0:81 offset1:82
	scratch_load_b128 v[152:155], off, off offset:224
	s_wait_dscnt 0x0
	v_fmac_f64_e32 v[162:163], v[156:157], v[136:137]
	s_wait_loadcnt 0x5
	s_delay_alu instid0(VALU_DEP_1)
	v_fmac_f64_e32 v[162:163], v[140:141], v[138:139]
	ds_load_2addr_b64 v[136:139], v132 offset0:83 offset1:84
	s_wait_dscnt 0x0
	v_fmac_f64_e32 v[162:163], v[142:143], v[136:137]
	scratch_load_b128 v[140:143], off, off offset:240
	s_wait_loadcnt 0x5
	v_fmac_f64_e32 v[162:163], v[144:145], v[138:139]
	ds_load_2addr_b64 v[136:139], v132 offset0:85 offset1:86
	s_wait_dscnt 0x0
	v_fmac_f64_e32 v[162:163], v[146:147], v[136:137]
	scratch_load_b128 v[144:147], off, off offset:256
	s_wait_loadcnt 0x5
	;; [unrolled: 6-line block ×3, first 2 shown]
	v_fmac_f64_e32 v[162:163], v[158:159], v[138:139]
	ds_load_2addr_b64 v[136:139], v132 offset0:89 offset1:90
	scratch_load_b128 v[156:159], off, off offset:288
	s_wait_dscnt 0x0
	v_fmac_f64_e32 v[162:163], v[160:161], v[136:137]
	s_wait_loadcnt 0x5
	s_delay_alu instid0(VALU_DEP_1)
	v_fmac_f64_e32 v[162:163], v[0:1], v[138:139]
	ds_load_2addr_b64 v[136:139], v132 offset0:91 offset1:92
	s_wait_dscnt 0x0
	v_fmac_f64_e32 v[162:163], v[2:3], v[136:137]
	scratch_load_b128 v[0:3], off, off offset:304
	s_wait_loadcnt 0x5
	v_fmac_f64_e32 v[162:163], v[152:153], v[138:139]
	ds_load_2addr_b64 v[136:139], v132 offset0:93 offset1:94
	s_wait_dscnt 0x0
	v_fmac_f64_e32 v[162:163], v[154:155], v[136:137]
	scratch_load_b128 v[152:155], off, off offset:320
	s_wait_loadcnt 0x5
	;; [unrolled: 6-line block ×13, first 2 shown]
	v_fmac_f64_e32 v[162:163], v[152:153], v[138:139]
	ds_load_2addr_b64 v[136:139], v132 offset0:117 offset1:118
	s_wait_dscnt 0x0
	v_fmac_f64_e32 v[162:163], v[154:155], v[136:137]
	s_wait_loadcnt 0x4
	s_delay_alu instid0(VALU_DEP_1) | instskip(SKIP_4) | instid1(VALU_DEP_1)
	v_fmac_f64_e32 v[162:163], v[140:141], v[138:139]
	ds_load_2addr_b64 v[136:139], v132 offset0:119 offset1:120
	s_wait_dscnt 0x0
	v_fmac_f64_e32 v[162:163], v[142:143], v[136:137]
	s_wait_loadcnt 0x3
	v_fmac_f64_e32 v[162:163], v[144:145], v[138:139]
	ds_load_2addr_b64 v[136:139], v132 offset0:121 offset1:122
	s_wait_dscnt 0x0
	v_fmac_f64_e32 v[162:163], v[146:147], v[136:137]
	s_wait_loadcnt 0x2
	s_delay_alu instid0(VALU_DEP_1) | instskip(SKIP_4) | instid1(VALU_DEP_1)
	v_fmac_f64_e32 v[162:163], v[148:149], v[138:139]
	ds_load_2addr_b64 v[136:139], v132 offset0:123 offset1:124
	s_wait_dscnt 0x0
	v_fmac_f64_e32 v[162:163], v[150:151], v[136:137]
	s_wait_loadcnt 0x1
	v_fmac_f64_e32 v[162:163], v[156:157], v[138:139]
	ds_load_2addr_b64 v[136:139], v132 offset0:125 offset1:126
	s_wait_dscnt 0x0
	v_fmac_f64_e32 v[162:163], v[158:159], v[136:137]
	ds_load_b64 v[136:137], v132 offset:1016
	s_wait_loadcnt 0x0
	v_fmac_f64_e32 v[162:163], v[0:1], v[138:139]
	s_wait_dscnt 0x0
	s_delay_alu instid0(VALU_DEP_1) | instskip(NEXT) | instid1(VALU_DEP_1)
	v_fmac_f64_e32 v[162:163], v[2:3], v[136:137]
	v_add_f64_e64 v[176:177], v[134:135], -v[162:163]
	scratch_store_b64 off, v[176:177], off
	s_cbranch_vccz .LBB63_520
; %bb.394:
	global_load_b32 v2, v132, s[2:3] offset:248
	s_wait_loadcnt 0x0
	v_cmp_ne_u32_e32 vcc_lo, 63, v2
	s_cbranch_vccz .LBB63_396
; %bb.395:
	v_lshlrev_b32_e32 v2, 3, v2
	s_wait_xcnt 0x0
	s_delay_alu instid0(VALU_DEP_1)
	v_mov_b32_e32 v132, v2
	scratch_load_b64 v[2:3], v132, off offset:-8
	s_wait_loadcnt 0x0
	scratch_store_b64 off, v[2:3], off offset:496
	scratch_store_b64 v132, v[0:1], off offset:-8
.LBB63_396:
	s_wait_xcnt 0x0
	v_mov_b32_e32 v0, 0
	global_load_b32 v1, v0, s[2:3] offset:244
	s_wait_loadcnt 0x0
	v_cmp_eq_u32_e32 vcc_lo, 62, v1
	s_cbranch_vccnz .LBB63_398
; %bb.397:
	v_lshlrev_b32_e32 v1, 3, v1
	scratch_load_b64 v[2:3], v1, off offset:-8
	scratch_load_b64 v[132:133], off, off offset:488
	s_wait_loadcnt 0x1
	scratch_store_b64 off, v[2:3], off offset:488
	s_wait_loadcnt 0x0
	scratch_store_b64 v1, v[132:133], off offset:-8
.LBB63_398:
	global_load_b32 v0, v0, s[2:3] offset:240
	s_wait_loadcnt 0x0
	v_cmp_eq_u32_e32 vcc_lo, 61, v0
	s_cbranch_vccnz .LBB63_400
; %bb.399:
	s_wait_xcnt 0x0
	v_lshlrev_b32_e32 v0, 3, v0
	s_delay_alu instid0(VALU_DEP_1)
	v_mov_b32_e32 v132, v0
	scratch_load_b64 v[0:1], v132, off offset:-8
	scratch_load_b64 v[2:3], off, off offset:480
	s_wait_loadcnt 0x1
	scratch_store_b64 off, v[0:1], off offset:480
	s_wait_loadcnt 0x0
	scratch_store_b64 v132, v[2:3], off offset:-8
.LBB63_400:
	s_wait_xcnt 0x0
	v_mov_b32_e32 v0, 0
	global_load_b32 v1, v0, s[2:3] offset:236
	s_wait_loadcnt 0x0
	v_cmp_eq_u32_e32 vcc_lo, 60, v1
	s_cbranch_vccnz .LBB63_402
; %bb.401:
	v_lshlrev_b32_e32 v1, 3, v1
	scratch_load_b64 v[2:3], v1, off offset:-8
	scratch_load_b64 v[132:133], off, off offset:472
	s_wait_loadcnt 0x1
	scratch_store_b64 off, v[2:3], off offset:472
	s_wait_loadcnt 0x0
	scratch_store_b64 v1, v[132:133], off offset:-8
.LBB63_402:
	global_load_b32 v0, v0, s[2:3] offset:232
	s_wait_loadcnt 0x0
	v_cmp_eq_u32_e32 vcc_lo, 59, v0
	s_cbranch_vccnz .LBB63_404
; %bb.403:
	s_wait_xcnt 0x0
	v_lshlrev_b32_e32 v0, 3, v0
	s_delay_alu instid0(VALU_DEP_1)
	v_mov_b32_e32 v132, v0
	scratch_load_b64 v[0:1], v132, off offset:-8
	scratch_load_b64 v[2:3], off, off offset:464
	s_wait_loadcnt 0x1
	scratch_store_b64 off, v[0:1], off offset:464
	s_wait_loadcnt 0x0
	scratch_store_b64 v132, v[2:3], off offset:-8
.LBB63_404:
	s_wait_xcnt 0x0
	v_mov_b32_e32 v0, 0
	global_load_b32 v1, v0, s[2:3] offset:228
	s_wait_loadcnt 0x0
	v_cmp_eq_u32_e32 vcc_lo, 58, v1
	s_cbranch_vccnz .LBB63_406
; %bb.405:
	v_lshlrev_b32_e32 v1, 3, v1
	scratch_load_b64 v[2:3], v1, off offset:-8
	scratch_load_b64 v[132:133], off, off offset:456
	s_wait_loadcnt 0x1
	scratch_store_b64 off, v[2:3], off offset:456
	s_wait_loadcnt 0x0
	scratch_store_b64 v1, v[132:133], off offset:-8
.LBB63_406:
	global_load_b32 v0, v0, s[2:3] offset:224
	s_wait_loadcnt 0x0
	v_cmp_eq_u32_e32 vcc_lo, 57, v0
	s_cbranch_vccnz .LBB63_408
; %bb.407:
	s_wait_xcnt 0x0
	v_lshlrev_b32_e32 v0, 3, v0
	s_delay_alu instid0(VALU_DEP_1)
	v_mov_b32_e32 v132, v0
	scratch_load_b64 v[0:1], v132, off offset:-8
	scratch_load_b64 v[2:3], off, off offset:448
	s_wait_loadcnt 0x1
	scratch_store_b64 off, v[0:1], off offset:448
	s_wait_loadcnt 0x0
	scratch_store_b64 v132, v[2:3], off offset:-8
.LBB63_408:
	s_wait_xcnt 0x0
	v_mov_b32_e32 v0, 0
	global_load_b32 v1, v0, s[2:3] offset:220
	s_wait_loadcnt 0x0
	v_cmp_eq_u32_e32 vcc_lo, 56, v1
	s_cbranch_vccnz .LBB63_410
; %bb.409:
	v_lshlrev_b32_e32 v1, 3, v1
	scratch_load_b64 v[2:3], v1, off offset:-8
	scratch_load_b64 v[132:133], off, off offset:440
	s_wait_loadcnt 0x1
	scratch_store_b64 off, v[2:3], off offset:440
	s_wait_loadcnt 0x0
	scratch_store_b64 v1, v[132:133], off offset:-8
.LBB63_410:
	global_load_b32 v0, v0, s[2:3] offset:216
	s_wait_loadcnt 0x0
	v_cmp_eq_u32_e32 vcc_lo, 55, v0
	s_cbranch_vccnz .LBB63_412
; %bb.411:
	s_wait_xcnt 0x0
	v_lshlrev_b32_e32 v0, 3, v0
	s_delay_alu instid0(VALU_DEP_1)
	v_mov_b32_e32 v132, v0
	scratch_load_b64 v[0:1], v132, off offset:-8
	scratch_load_b64 v[2:3], off, off offset:432
	s_wait_loadcnt 0x1
	scratch_store_b64 off, v[0:1], off offset:432
	s_wait_loadcnt 0x0
	scratch_store_b64 v132, v[2:3], off offset:-8
.LBB63_412:
	s_wait_xcnt 0x0
	v_mov_b32_e32 v0, 0
	global_load_b32 v1, v0, s[2:3] offset:212
	s_wait_loadcnt 0x0
	v_cmp_eq_u32_e32 vcc_lo, 54, v1
	s_cbranch_vccnz .LBB63_414
; %bb.413:
	v_lshlrev_b32_e32 v1, 3, v1
	scratch_load_b64 v[2:3], v1, off offset:-8
	scratch_load_b64 v[132:133], off, off offset:424
	s_wait_loadcnt 0x1
	scratch_store_b64 off, v[2:3], off offset:424
	s_wait_loadcnt 0x0
	scratch_store_b64 v1, v[132:133], off offset:-8
.LBB63_414:
	global_load_b32 v0, v0, s[2:3] offset:208
	s_wait_loadcnt 0x0
	v_cmp_eq_u32_e32 vcc_lo, 53, v0
	s_cbranch_vccnz .LBB63_416
; %bb.415:
	s_wait_xcnt 0x0
	v_lshlrev_b32_e32 v0, 3, v0
	s_delay_alu instid0(VALU_DEP_1)
	v_mov_b32_e32 v132, v0
	scratch_load_b64 v[0:1], v132, off offset:-8
	scratch_load_b64 v[2:3], off, off offset:416
	s_wait_loadcnt 0x1
	scratch_store_b64 off, v[0:1], off offset:416
	s_wait_loadcnt 0x0
	scratch_store_b64 v132, v[2:3], off offset:-8
.LBB63_416:
	s_wait_xcnt 0x0
	v_mov_b32_e32 v0, 0
	global_load_b32 v1, v0, s[2:3] offset:204
	s_wait_loadcnt 0x0
	v_cmp_eq_u32_e32 vcc_lo, 52, v1
	s_cbranch_vccnz .LBB63_418
; %bb.417:
	v_lshlrev_b32_e32 v1, 3, v1
	scratch_load_b64 v[2:3], v1, off offset:-8
	scratch_load_b64 v[132:133], off, off offset:408
	s_wait_loadcnt 0x1
	scratch_store_b64 off, v[2:3], off offset:408
	s_wait_loadcnt 0x0
	scratch_store_b64 v1, v[132:133], off offset:-8
.LBB63_418:
	global_load_b32 v0, v0, s[2:3] offset:200
	s_wait_loadcnt 0x0
	v_cmp_eq_u32_e32 vcc_lo, 51, v0
	s_cbranch_vccnz .LBB63_420
; %bb.419:
	s_wait_xcnt 0x0
	v_lshlrev_b32_e32 v0, 3, v0
	s_delay_alu instid0(VALU_DEP_1)
	v_mov_b32_e32 v132, v0
	scratch_load_b64 v[0:1], v132, off offset:-8
	scratch_load_b64 v[2:3], off, off offset:400
	s_wait_loadcnt 0x1
	scratch_store_b64 off, v[0:1], off offset:400
	s_wait_loadcnt 0x0
	scratch_store_b64 v132, v[2:3], off offset:-8
.LBB63_420:
	s_wait_xcnt 0x0
	v_mov_b32_e32 v0, 0
	global_load_b32 v1, v0, s[2:3] offset:196
	s_wait_loadcnt 0x0
	v_cmp_eq_u32_e32 vcc_lo, 50, v1
	s_cbranch_vccnz .LBB63_422
; %bb.421:
	v_lshlrev_b32_e32 v1, 3, v1
	scratch_load_b64 v[2:3], v1, off offset:-8
	scratch_load_b64 v[132:133], off, off offset:392
	s_wait_loadcnt 0x1
	scratch_store_b64 off, v[2:3], off offset:392
	s_wait_loadcnt 0x0
	scratch_store_b64 v1, v[132:133], off offset:-8
.LBB63_422:
	global_load_b32 v0, v0, s[2:3] offset:192
	s_wait_loadcnt 0x0
	v_cmp_eq_u32_e32 vcc_lo, 49, v0
	s_cbranch_vccnz .LBB63_424
; %bb.423:
	s_wait_xcnt 0x0
	v_lshlrev_b32_e32 v0, 3, v0
	s_delay_alu instid0(VALU_DEP_1)
	v_mov_b32_e32 v132, v0
	scratch_load_b64 v[0:1], v132, off offset:-8
	scratch_load_b64 v[2:3], off, off offset:384
	s_wait_loadcnt 0x1
	scratch_store_b64 off, v[0:1], off offset:384
	s_wait_loadcnt 0x0
	scratch_store_b64 v132, v[2:3], off offset:-8
.LBB63_424:
	s_wait_xcnt 0x0
	v_mov_b32_e32 v0, 0
	global_load_b32 v1, v0, s[2:3] offset:188
	s_wait_loadcnt 0x0
	v_cmp_eq_u32_e32 vcc_lo, 48, v1
	s_cbranch_vccnz .LBB63_426
; %bb.425:
	v_lshlrev_b32_e32 v1, 3, v1
	scratch_load_b64 v[2:3], v1, off offset:-8
	scratch_load_b64 v[132:133], off, off offset:376
	s_wait_loadcnt 0x1
	scratch_store_b64 off, v[2:3], off offset:376
	s_wait_loadcnt 0x0
	scratch_store_b64 v1, v[132:133], off offset:-8
.LBB63_426:
	global_load_b32 v0, v0, s[2:3] offset:184
	s_wait_loadcnt 0x0
	v_cmp_eq_u32_e32 vcc_lo, 47, v0
	s_cbranch_vccnz .LBB63_428
; %bb.427:
	s_wait_xcnt 0x0
	v_lshlrev_b32_e32 v0, 3, v0
	s_delay_alu instid0(VALU_DEP_1)
	v_mov_b32_e32 v132, v0
	scratch_load_b64 v[0:1], v132, off offset:-8
	scratch_load_b64 v[2:3], off, off offset:368
	s_wait_loadcnt 0x1
	scratch_store_b64 off, v[0:1], off offset:368
	s_wait_loadcnt 0x0
	scratch_store_b64 v132, v[2:3], off offset:-8
.LBB63_428:
	s_wait_xcnt 0x0
	v_mov_b32_e32 v0, 0
	global_load_b32 v1, v0, s[2:3] offset:180
	s_wait_loadcnt 0x0
	v_cmp_eq_u32_e32 vcc_lo, 46, v1
	s_cbranch_vccnz .LBB63_430
; %bb.429:
	v_lshlrev_b32_e32 v1, 3, v1
	scratch_load_b64 v[2:3], v1, off offset:-8
	scratch_load_b64 v[132:133], off, off offset:360
	s_wait_loadcnt 0x1
	scratch_store_b64 off, v[2:3], off offset:360
	s_wait_loadcnt 0x0
	scratch_store_b64 v1, v[132:133], off offset:-8
.LBB63_430:
	global_load_b32 v0, v0, s[2:3] offset:176
	s_wait_loadcnt 0x0
	v_cmp_eq_u32_e32 vcc_lo, 45, v0
	s_cbranch_vccnz .LBB63_432
; %bb.431:
	s_wait_xcnt 0x0
	v_lshlrev_b32_e32 v0, 3, v0
	s_delay_alu instid0(VALU_DEP_1)
	v_mov_b32_e32 v132, v0
	scratch_load_b64 v[0:1], v132, off offset:-8
	scratch_load_b64 v[2:3], off, off offset:352
	s_wait_loadcnt 0x1
	scratch_store_b64 off, v[0:1], off offset:352
	s_wait_loadcnt 0x0
	scratch_store_b64 v132, v[2:3], off offset:-8
.LBB63_432:
	s_wait_xcnt 0x0
	v_mov_b32_e32 v0, 0
	global_load_b32 v1, v0, s[2:3] offset:172
	s_wait_loadcnt 0x0
	v_cmp_eq_u32_e32 vcc_lo, 44, v1
	s_cbranch_vccnz .LBB63_434
; %bb.433:
	v_lshlrev_b32_e32 v1, 3, v1
	scratch_load_b64 v[2:3], v1, off offset:-8
	scratch_load_b64 v[132:133], off, off offset:344
	s_wait_loadcnt 0x1
	scratch_store_b64 off, v[2:3], off offset:344
	s_wait_loadcnt 0x0
	scratch_store_b64 v1, v[132:133], off offset:-8
.LBB63_434:
	global_load_b32 v0, v0, s[2:3] offset:168
	s_wait_loadcnt 0x0
	v_cmp_eq_u32_e32 vcc_lo, 43, v0
	s_cbranch_vccnz .LBB63_436
; %bb.435:
	s_wait_xcnt 0x0
	v_lshlrev_b32_e32 v0, 3, v0
	s_delay_alu instid0(VALU_DEP_1)
	v_mov_b32_e32 v132, v0
	scratch_load_b64 v[0:1], v132, off offset:-8
	scratch_load_b64 v[2:3], off, off offset:336
	s_wait_loadcnt 0x1
	scratch_store_b64 off, v[0:1], off offset:336
	s_wait_loadcnt 0x0
	scratch_store_b64 v132, v[2:3], off offset:-8
.LBB63_436:
	s_wait_xcnt 0x0
	v_mov_b32_e32 v0, 0
	global_load_b32 v1, v0, s[2:3] offset:164
	s_wait_loadcnt 0x0
	v_cmp_eq_u32_e32 vcc_lo, 42, v1
	s_cbranch_vccnz .LBB63_438
; %bb.437:
	v_lshlrev_b32_e32 v1, 3, v1
	scratch_load_b64 v[2:3], v1, off offset:-8
	scratch_load_b64 v[132:133], off, off offset:328
	s_wait_loadcnt 0x1
	scratch_store_b64 off, v[2:3], off offset:328
	s_wait_loadcnt 0x0
	scratch_store_b64 v1, v[132:133], off offset:-8
.LBB63_438:
	global_load_b32 v0, v0, s[2:3] offset:160
	s_wait_loadcnt 0x0
	v_cmp_eq_u32_e32 vcc_lo, 41, v0
	s_cbranch_vccnz .LBB63_440
; %bb.439:
	s_wait_xcnt 0x0
	v_lshlrev_b32_e32 v0, 3, v0
	s_delay_alu instid0(VALU_DEP_1)
	v_mov_b32_e32 v132, v0
	scratch_load_b64 v[0:1], v132, off offset:-8
	scratch_load_b64 v[2:3], off, off offset:320
	s_wait_loadcnt 0x1
	scratch_store_b64 off, v[0:1], off offset:320
	s_wait_loadcnt 0x0
	scratch_store_b64 v132, v[2:3], off offset:-8
.LBB63_440:
	s_wait_xcnt 0x0
	v_mov_b32_e32 v0, 0
	global_load_b32 v1, v0, s[2:3] offset:156
	s_wait_loadcnt 0x0
	v_cmp_eq_u32_e32 vcc_lo, 40, v1
	s_cbranch_vccnz .LBB63_442
; %bb.441:
	v_lshlrev_b32_e32 v1, 3, v1
	scratch_load_b64 v[2:3], v1, off offset:-8
	scratch_load_b64 v[132:133], off, off offset:312
	s_wait_loadcnt 0x1
	scratch_store_b64 off, v[2:3], off offset:312
	s_wait_loadcnt 0x0
	scratch_store_b64 v1, v[132:133], off offset:-8
.LBB63_442:
	global_load_b32 v0, v0, s[2:3] offset:152
	s_wait_loadcnt 0x0
	v_cmp_eq_u32_e32 vcc_lo, 39, v0
	s_cbranch_vccnz .LBB63_444
; %bb.443:
	s_wait_xcnt 0x0
	v_lshlrev_b32_e32 v0, 3, v0
	s_delay_alu instid0(VALU_DEP_1)
	v_mov_b32_e32 v132, v0
	scratch_load_b64 v[0:1], v132, off offset:-8
	scratch_load_b64 v[2:3], off, off offset:304
	s_wait_loadcnt 0x1
	scratch_store_b64 off, v[0:1], off offset:304
	s_wait_loadcnt 0x0
	scratch_store_b64 v132, v[2:3], off offset:-8
.LBB63_444:
	s_wait_xcnt 0x0
	v_mov_b32_e32 v0, 0
	global_load_b32 v1, v0, s[2:3] offset:148
	s_wait_loadcnt 0x0
	v_cmp_eq_u32_e32 vcc_lo, 38, v1
	s_cbranch_vccnz .LBB63_446
; %bb.445:
	v_lshlrev_b32_e32 v1, 3, v1
	scratch_load_b64 v[2:3], v1, off offset:-8
	scratch_load_b64 v[132:133], off, off offset:296
	s_wait_loadcnt 0x1
	scratch_store_b64 off, v[2:3], off offset:296
	s_wait_loadcnt 0x0
	scratch_store_b64 v1, v[132:133], off offset:-8
.LBB63_446:
	global_load_b32 v0, v0, s[2:3] offset:144
	s_wait_loadcnt 0x0
	v_cmp_eq_u32_e32 vcc_lo, 37, v0
	s_cbranch_vccnz .LBB63_448
; %bb.447:
	s_wait_xcnt 0x0
	v_lshlrev_b32_e32 v0, 3, v0
	s_delay_alu instid0(VALU_DEP_1)
	v_mov_b32_e32 v132, v0
	scratch_load_b64 v[0:1], v132, off offset:-8
	scratch_load_b64 v[2:3], off, off offset:288
	s_wait_loadcnt 0x1
	scratch_store_b64 off, v[0:1], off offset:288
	s_wait_loadcnt 0x0
	scratch_store_b64 v132, v[2:3], off offset:-8
.LBB63_448:
	s_wait_xcnt 0x0
	v_mov_b32_e32 v0, 0
	global_load_b32 v1, v0, s[2:3] offset:140
	s_wait_loadcnt 0x0
	v_cmp_eq_u32_e32 vcc_lo, 36, v1
	s_cbranch_vccnz .LBB63_450
; %bb.449:
	v_lshlrev_b32_e32 v1, 3, v1
	scratch_load_b64 v[2:3], v1, off offset:-8
	scratch_load_b64 v[132:133], off, off offset:280
	s_wait_loadcnt 0x1
	scratch_store_b64 off, v[2:3], off offset:280
	s_wait_loadcnt 0x0
	scratch_store_b64 v1, v[132:133], off offset:-8
.LBB63_450:
	global_load_b32 v0, v0, s[2:3] offset:136
	s_wait_loadcnt 0x0
	v_cmp_eq_u32_e32 vcc_lo, 35, v0
	s_cbranch_vccnz .LBB63_452
; %bb.451:
	s_wait_xcnt 0x0
	v_lshlrev_b32_e32 v0, 3, v0
	s_delay_alu instid0(VALU_DEP_1)
	v_mov_b32_e32 v132, v0
	scratch_load_b64 v[0:1], v132, off offset:-8
	scratch_load_b64 v[2:3], off, off offset:272
	s_wait_loadcnt 0x1
	scratch_store_b64 off, v[0:1], off offset:272
	s_wait_loadcnt 0x0
	scratch_store_b64 v132, v[2:3], off offset:-8
.LBB63_452:
	s_wait_xcnt 0x0
	v_mov_b32_e32 v0, 0
	global_load_b32 v1, v0, s[2:3] offset:132
	s_wait_loadcnt 0x0
	v_cmp_eq_u32_e32 vcc_lo, 34, v1
	s_cbranch_vccnz .LBB63_454
; %bb.453:
	v_lshlrev_b32_e32 v1, 3, v1
	scratch_load_b64 v[2:3], v1, off offset:-8
	scratch_load_b64 v[132:133], off, off offset:264
	s_wait_loadcnt 0x1
	scratch_store_b64 off, v[2:3], off offset:264
	s_wait_loadcnt 0x0
	scratch_store_b64 v1, v[132:133], off offset:-8
.LBB63_454:
	global_load_b32 v0, v0, s[2:3] offset:128
	s_wait_loadcnt 0x0
	v_cmp_eq_u32_e32 vcc_lo, 33, v0
	s_cbranch_vccnz .LBB63_456
; %bb.455:
	s_wait_xcnt 0x0
	v_lshlrev_b32_e32 v0, 3, v0
	s_delay_alu instid0(VALU_DEP_1)
	v_mov_b32_e32 v132, v0
	scratch_load_b64 v[0:1], v132, off offset:-8
	scratch_load_b64 v[2:3], off, off offset:256
	s_wait_loadcnt 0x1
	scratch_store_b64 off, v[0:1], off offset:256
	s_wait_loadcnt 0x0
	scratch_store_b64 v132, v[2:3], off offset:-8
.LBB63_456:
	s_wait_xcnt 0x0
	v_mov_b32_e32 v0, 0
	global_load_b32 v1, v0, s[2:3] offset:124
	s_wait_loadcnt 0x0
	v_cmp_eq_u32_e32 vcc_lo, 32, v1
	s_cbranch_vccnz .LBB63_458
; %bb.457:
	v_lshlrev_b32_e32 v1, 3, v1
	scratch_load_b64 v[2:3], v1, off offset:-8
	scratch_load_b64 v[132:133], off, off offset:248
	s_wait_loadcnt 0x1
	scratch_store_b64 off, v[2:3], off offset:248
	s_wait_loadcnt 0x0
	scratch_store_b64 v1, v[132:133], off offset:-8
.LBB63_458:
	global_load_b32 v0, v0, s[2:3] offset:120
	s_wait_loadcnt 0x0
	v_cmp_eq_u32_e32 vcc_lo, 31, v0
	s_cbranch_vccnz .LBB63_460
; %bb.459:
	s_wait_xcnt 0x0
	v_lshlrev_b32_e32 v0, 3, v0
	s_delay_alu instid0(VALU_DEP_1)
	v_mov_b32_e32 v132, v0
	scratch_load_b64 v[0:1], v132, off offset:-8
	scratch_load_b64 v[2:3], off, off offset:240
	s_wait_loadcnt 0x1
	scratch_store_b64 off, v[0:1], off offset:240
	s_wait_loadcnt 0x0
	scratch_store_b64 v132, v[2:3], off offset:-8
.LBB63_460:
	s_wait_xcnt 0x0
	v_mov_b32_e32 v0, 0
	global_load_b32 v1, v0, s[2:3] offset:116
	s_wait_loadcnt 0x0
	v_cmp_eq_u32_e32 vcc_lo, 30, v1
	s_cbranch_vccnz .LBB63_462
; %bb.461:
	v_lshlrev_b32_e32 v1, 3, v1
	scratch_load_b64 v[2:3], v1, off offset:-8
	scratch_load_b64 v[132:133], off, off offset:232
	s_wait_loadcnt 0x1
	scratch_store_b64 off, v[2:3], off offset:232
	s_wait_loadcnt 0x0
	scratch_store_b64 v1, v[132:133], off offset:-8
.LBB63_462:
	global_load_b32 v0, v0, s[2:3] offset:112
	s_wait_loadcnt 0x0
	v_cmp_eq_u32_e32 vcc_lo, 29, v0
	s_cbranch_vccnz .LBB63_464
; %bb.463:
	s_wait_xcnt 0x0
	v_lshlrev_b32_e32 v0, 3, v0
	s_delay_alu instid0(VALU_DEP_1)
	v_mov_b32_e32 v132, v0
	scratch_load_b64 v[0:1], v132, off offset:-8
	scratch_load_b64 v[2:3], off, off offset:224
	s_wait_loadcnt 0x1
	scratch_store_b64 off, v[0:1], off offset:224
	s_wait_loadcnt 0x0
	scratch_store_b64 v132, v[2:3], off offset:-8
.LBB63_464:
	s_wait_xcnt 0x0
	v_mov_b32_e32 v0, 0
	global_load_b32 v1, v0, s[2:3] offset:108
	s_wait_loadcnt 0x0
	v_cmp_eq_u32_e32 vcc_lo, 28, v1
	s_cbranch_vccnz .LBB63_466
; %bb.465:
	v_lshlrev_b32_e32 v1, 3, v1
	scratch_load_b64 v[2:3], v1, off offset:-8
	scratch_load_b64 v[132:133], off, off offset:216
	s_wait_loadcnt 0x1
	scratch_store_b64 off, v[2:3], off offset:216
	s_wait_loadcnt 0x0
	scratch_store_b64 v1, v[132:133], off offset:-8
.LBB63_466:
	global_load_b32 v0, v0, s[2:3] offset:104
	s_wait_loadcnt 0x0
	v_cmp_eq_u32_e32 vcc_lo, 27, v0
	s_cbranch_vccnz .LBB63_468
; %bb.467:
	s_wait_xcnt 0x0
	v_lshlrev_b32_e32 v0, 3, v0
	s_delay_alu instid0(VALU_DEP_1)
	v_mov_b32_e32 v132, v0
	scratch_load_b64 v[0:1], v132, off offset:-8
	scratch_load_b64 v[2:3], off, off offset:208
	s_wait_loadcnt 0x1
	scratch_store_b64 off, v[0:1], off offset:208
	s_wait_loadcnt 0x0
	scratch_store_b64 v132, v[2:3], off offset:-8
.LBB63_468:
	s_wait_xcnt 0x0
	v_mov_b32_e32 v0, 0
	global_load_b32 v1, v0, s[2:3] offset:100
	s_wait_loadcnt 0x0
	v_cmp_eq_u32_e32 vcc_lo, 26, v1
	s_cbranch_vccnz .LBB63_470
; %bb.469:
	v_lshlrev_b32_e32 v1, 3, v1
	scratch_load_b64 v[2:3], v1, off offset:-8
	scratch_load_b64 v[132:133], off, off offset:200
	s_wait_loadcnt 0x1
	scratch_store_b64 off, v[2:3], off offset:200
	s_wait_loadcnt 0x0
	scratch_store_b64 v1, v[132:133], off offset:-8
.LBB63_470:
	global_load_b32 v0, v0, s[2:3] offset:96
	s_wait_loadcnt 0x0
	v_cmp_eq_u32_e32 vcc_lo, 25, v0
	s_cbranch_vccnz .LBB63_472
; %bb.471:
	s_wait_xcnt 0x0
	v_lshlrev_b32_e32 v0, 3, v0
	s_delay_alu instid0(VALU_DEP_1)
	v_mov_b32_e32 v132, v0
	scratch_load_b64 v[0:1], v132, off offset:-8
	scratch_load_b64 v[2:3], off, off offset:192
	s_wait_loadcnt 0x1
	scratch_store_b64 off, v[0:1], off offset:192
	s_wait_loadcnt 0x0
	scratch_store_b64 v132, v[2:3], off offset:-8
.LBB63_472:
	s_wait_xcnt 0x0
	v_mov_b32_e32 v0, 0
	global_load_b32 v1, v0, s[2:3] offset:92
	s_wait_loadcnt 0x0
	v_cmp_eq_u32_e32 vcc_lo, 24, v1
	s_cbranch_vccnz .LBB63_474
; %bb.473:
	v_lshlrev_b32_e32 v1, 3, v1
	scratch_load_b64 v[2:3], v1, off offset:-8
	scratch_load_b64 v[132:133], off, off offset:184
	s_wait_loadcnt 0x1
	scratch_store_b64 off, v[2:3], off offset:184
	s_wait_loadcnt 0x0
	scratch_store_b64 v1, v[132:133], off offset:-8
.LBB63_474:
	global_load_b32 v0, v0, s[2:3] offset:88
	s_wait_loadcnt 0x0
	v_cmp_eq_u32_e32 vcc_lo, 23, v0
	s_cbranch_vccnz .LBB63_476
; %bb.475:
	s_wait_xcnt 0x0
	v_lshlrev_b32_e32 v0, 3, v0
	s_delay_alu instid0(VALU_DEP_1)
	v_mov_b32_e32 v132, v0
	scratch_load_b64 v[0:1], v132, off offset:-8
	scratch_load_b64 v[2:3], off, off offset:176
	s_wait_loadcnt 0x1
	scratch_store_b64 off, v[0:1], off offset:176
	s_wait_loadcnt 0x0
	scratch_store_b64 v132, v[2:3], off offset:-8
.LBB63_476:
	s_wait_xcnt 0x0
	v_mov_b32_e32 v0, 0
	global_load_b32 v1, v0, s[2:3] offset:84
	s_wait_loadcnt 0x0
	v_cmp_eq_u32_e32 vcc_lo, 22, v1
	s_cbranch_vccnz .LBB63_478
; %bb.477:
	v_lshlrev_b32_e32 v1, 3, v1
	scratch_load_b64 v[2:3], v1, off offset:-8
	scratch_load_b64 v[132:133], off, off offset:168
	s_wait_loadcnt 0x1
	scratch_store_b64 off, v[2:3], off offset:168
	s_wait_loadcnt 0x0
	scratch_store_b64 v1, v[132:133], off offset:-8
.LBB63_478:
	global_load_b32 v0, v0, s[2:3] offset:80
	s_wait_loadcnt 0x0
	v_cmp_eq_u32_e32 vcc_lo, 21, v0
	s_cbranch_vccnz .LBB63_480
; %bb.479:
	s_wait_xcnt 0x0
	v_lshlrev_b32_e32 v0, 3, v0
	s_delay_alu instid0(VALU_DEP_1)
	v_mov_b32_e32 v132, v0
	scratch_load_b64 v[0:1], v132, off offset:-8
	scratch_load_b64 v[2:3], off, off offset:160
	s_wait_loadcnt 0x1
	scratch_store_b64 off, v[0:1], off offset:160
	s_wait_loadcnt 0x0
	scratch_store_b64 v132, v[2:3], off offset:-8
.LBB63_480:
	s_wait_xcnt 0x0
	v_mov_b32_e32 v0, 0
	global_load_b32 v1, v0, s[2:3] offset:76
	s_wait_loadcnt 0x0
	v_cmp_eq_u32_e32 vcc_lo, 20, v1
	s_cbranch_vccnz .LBB63_482
; %bb.481:
	v_lshlrev_b32_e32 v1, 3, v1
	scratch_load_b64 v[2:3], v1, off offset:-8
	scratch_load_b64 v[132:133], off, off offset:152
	s_wait_loadcnt 0x1
	scratch_store_b64 off, v[2:3], off offset:152
	s_wait_loadcnt 0x0
	scratch_store_b64 v1, v[132:133], off offset:-8
.LBB63_482:
	global_load_b32 v0, v0, s[2:3] offset:72
	s_wait_loadcnt 0x0
	v_cmp_eq_u32_e32 vcc_lo, 19, v0
	s_cbranch_vccnz .LBB63_484
; %bb.483:
	s_wait_xcnt 0x0
	v_lshlrev_b32_e32 v0, 3, v0
	s_delay_alu instid0(VALU_DEP_1)
	v_mov_b32_e32 v132, v0
	scratch_load_b64 v[0:1], v132, off offset:-8
	scratch_load_b64 v[2:3], off, off offset:144
	s_wait_loadcnt 0x1
	scratch_store_b64 off, v[0:1], off offset:144
	s_wait_loadcnt 0x0
	scratch_store_b64 v132, v[2:3], off offset:-8
.LBB63_484:
	s_wait_xcnt 0x0
	v_mov_b32_e32 v0, 0
	global_load_b32 v1, v0, s[2:3] offset:68
	s_wait_loadcnt 0x0
	v_cmp_eq_u32_e32 vcc_lo, 18, v1
	s_cbranch_vccnz .LBB63_486
; %bb.485:
	v_lshlrev_b32_e32 v1, 3, v1
	scratch_load_b64 v[2:3], v1, off offset:-8
	scratch_load_b64 v[132:133], off, off offset:136
	s_wait_loadcnt 0x1
	scratch_store_b64 off, v[2:3], off offset:136
	s_wait_loadcnt 0x0
	scratch_store_b64 v1, v[132:133], off offset:-8
.LBB63_486:
	global_load_b32 v0, v0, s[2:3] offset:64
	s_wait_loadcnt 0x0
	v_cmp_eq_u32_e32 vcc_lo, 17, v0
	s_cbranch_vccnz .LBB63_488
; %bb.487:
	s_wait_xcnt 0x0
	v_lshlrev_b32_e32 v0, 3, v0
	s_delay_alu instid0(VALU_DEP_1)
	v_mov_b32_e32 v132, v0
	scratch_load_b64 v[0:1], v132, off offset:-8
	scratch_load_b64 v[2:3], off, off offset:128
	s_wait_loadcnt 0x1
	scratch_store_b64 off, v[0:1], off offset:128
	s_wait_loadcnt 0x0
	scratch_store_b64 v132, v[2:3], off offset:-8
.LBB63_488:
	s_wait_xcnt 0x0
	v_mov_b32_e32 v0, 0
	global_load_b32 v1, v0, s[2:3] offset:60
	s_wait_loadcnt 0x0
	v_cmp_eq_u32_e32 vcc_lo, 16, v1
	s_cbranch_vccnz .LBB63_490
; %bb.489:
	v_lshlrev_b32_e32 v1, 3, v1
	scratch_load_b64 v[2:3], v1, off offset:-8
	scratch_load_b64 v[132:133], off, off offset:120
	s_wait_loadcnt 0x1
	scratch_store_b64 off, v[2:3], off offset:120
	s_wait_loadcnt 0x0
	scratch_store_b64 v1, v[132:133], off offset:-8
.LBB63_490:
	global_load_b32 v0, v0, s[2:3] offset:56
	s_wait_loadcnt 0x0
	v_cmp_eq_u32_e32 vcc_lo, 15, v0
	s_cbranch_vccnz .LBB63_492
; %bb.491:
	s_wait_xcnt 0x0
	v_lshlrev_b32_e32 v0, 3, v0
	s_delay_alu instid0(VALU_DEP_1)
	v_mov_b32_e32 v132, v0
	scratch_load_b64 v[0:1], v132, off offset:-8
	scratch_load_b64 v[2:3], off, off offset:112
	s_wait_loadcnt 0x1
	scratch_store_b64 off, v[0:1], off offset:112
	s_wait_loadcnt 0x0
	scratch_store_b64 v132, v[2:3], off offset:-8
.LBB63_492:
	s_wait_xcnt 0x0
	v_mov_b32_e32 v0, 0
	global_load_b32 v1, v0, s[2:3] offset:52
	s_wait_loadcnt 0x0
	v_cmp_eq_u32_e32 vcc_lo, 14, v1
	s_cbranch_vccnz .LBB63_494
; %bb.493:
	v_lshlrev_b32_e32 v1, 3, v1
	scratch_load_b64 v[2:3], v1, off offset:-8
	scratch_load_b64 v[132:133], off, off offset:104
	s_wait_loadcnt 0x1
	scratch_store_b64 off, v[2:3], off offset:104
	s_wait_loadcnt 0x0
	scratch_store_b64 v1, v[132:133], off offset:-8
.LBB63_494:
	global_load_b32 v0, v0, s[2:3] offset:48
	s_wait_loadcnt 0x0
	v_cmp_eq_u32_e32 vcc_lo, 13, v0
	s_cbranch_vccnz .LBB63_496
; %bb.495:
	s_wait_xcnt 0x0
	v_lshlrev_b32_e32 v0, 3, v0
	s_delay_alu instid0(VALU_DEP_1)
	v_mov_b32_e32 v132, v0
	scratch_load_b64 v[0:1], v132, off offset:-8
	scratch_load_b64 v[2:3], off, off offset:96
	s_wait_loadcnt 0x1
	scratch_store_b64 off, v[0:1], off offset:96
	s_wait_loadcnt 0x0
	scratch_store_b64 v132, v[2:3], off offset:-8
.LBB63_496:
	s_wait_xcnt 0x0
	v_mov_b32_e32 v0, 0
	global_load_b32 v1, v0, s[2:3] offset:44
	s_wait_loadcnt 0x0
	v_cmp_eq_u32_e32 vcc_lo, 12, v1
	s_cbranch_vccnz .LBB63_498
; %bb.497:
	v_lshlrev_b32_e32 v1, 3, v1
	scratch_load_b64 v[2:3], v1, off offset:-8
	scratch_load_b64 v[132:133], off, off offset:88
	s_wait_loadcnt 0x1
	scratch_store_b64 off, v[2:3], off offset:88
	s_wait_loadcnt 0x0
	scratch_store_b64 v1, v[132:133], off offset:-8
.LBB63_498:
	global_load_b32 v0, v0, s[2:3] offset:40
	s_wait_loadcnt 0x0
	v_cmp_eq_u32_e32 vcc_lo, 11, v0
	s_cbranch_vccnz .LBB63_500
; %bb.499:
	s_wait_xcnt 0x0
	v_lshlrev_b32_e32 v0, 3, v0
	s_delay_alu instid0(VALU_DEP_1)
	v_mov_b32_e32 v132, v0
	scratch_load_b64 v[0:1], v132, off offset:-8
	scratch_load_b64 v[2:3], off, off offset:80
	s_wait_loadcnt 0x1
	scratch_store_b64 off, v[0:1], off offset:80
	s_wait_loadcnt 0x0
	scratch_store_b64 v132, v[2:3], off offset:-8
.LBB63_500:
	s_wait_xcnt 0x0
	v_mov_b32_e32 v0, 0
	global_load_b32 v1, v0, s[2:3] offset:36
	s_wait_loadcnt 0x0
	v_cmp_eq_u32_e32 vcc_lo, 10, v1
	s_cbranch_vccnz .LBB63_502
; %bb.501:
	v_lshlrev_b32_e32 v1, 3, v1
	scratch_load_b64 v[2:3], v1, off offset:-8
	scratch_load_b64 v[132:133], off, off offset:72
	s_wait_loadcnt 0x1
	scratch_store_b64 off, v[2:3], off offset:72
	s_wait_loadcnt 0x0
	scratch_store_b64 v1, v[132:133], off offset:-8
.LBB63_502:
	global_load_b32 v0, v0, s[2:3] offset:32
	s_wait_loadcnt 0x0
	v_cmp_eq_u32_e32 vcc_lo, 9, v0
	s_cbranch_vccnz .LBB63_504
; %bb.503:
	s_wait_xcnt 0x0
	v_lshlrev_b32_e32 v0, 3, v0
	s_delay_alu instid0(VALU_DEP_1)
	v_mov_b32_e32 v132, v0
	scratch_load_b64 v[0:1], v132, off offset:-8
	scratch_load_b64 v[2:3], off, off offset:64
	s_wait_loadcnt 0x1
	scratch_store_b64 off, v[0:1], off offset:64
	s_wait_loadcnt 0x0
	scratch_store_b64 v132, v[2:3], off offset:-8
.LBB63_504:
	s_wait_xcnt 0x0
	v_mov_b32_e32 v0, 0
	global_load_b32 v1, v0, s[2:3] offset:28
	s_wait_loadcnt 0x0
	v_cmp_eq_u32_e32 vcc_lo, 8, v1
	s_cbranch_vccnz .LBB63_506
; %bb.505:
	v_lshlrev_b32_e32 v1, 3, v1
	scratch_load_b64 v[2:3], v1, off offset:-8
	scratch_load_b64 v[132:133], off, off offset:56
	s_wait_loadcnt 0x1
	scratch_store_b64 off, v[2:3], off offset:56
	s_wait_loadcnt 0x0
	scratch_store_b64 v1, v[132:133], off offset:-8
.LBB63_506:
	global_load_b32 v0, v0, s[2:3] offset:24
	s_wait_loadcnt 0x0
	v_cmp_eq_u32_e32 vcc_lo, 7, v0
	s_cbranch_vccnz .LBB63_508
; %bb.507:
	s_wait_xcnt 0x0
	v_lshlrev_b32_e32 v0, 3, v0
	s_delay_alu instid0(VALU_DEP_1)
	v_mov_b32_e32 v132, v0
	scratch_load_b64 v[0:1], v132, off offset:-8
	scratch_load_b64 v[2:3], off, off offset:48
	s_wait_loadcnt 0x1
	scratch_store_b64 off, v[0:1], off offset:48
	s_wait_loadcnt 0x0
	scratch_store_b64 v132, v[2:3], off offset:-8
.LBB63_508:
	s_wait_xcnt 0x0
	v_mov_b32_e32 v0, 0
	global_load_b32 v1, v0, s[2:3] offset:20
	s_wait_loadcnt 0x0
	v_cmp_eq_u32_e32 vcc_lo, 6, v1
	s_cbranch_vccnz .LBB63_510
; %bb.509:
	v_lshlrev_b32_e32 v1, 3, v1
	scratch_load_b64 v[2:3], v1, off offset:-8
	scratch_load_b64 v[132:133], off, off offset:40
	s_wait_loadcnt 0x1
	scratch_store_b64 off, v[2:3], off offset:40
	s_wait_loadcnt 0x0
	scratch_store_b64 v1, v[132:133], off offset:-8
.LBB63_510:
	global_load_b32 v0, v0, s[2:3] offset:16
	s_wait_loadcnt 0x0
	v_cmp_eq_u32_e32 vcc_lo, 5, v0
	s_cbranch_vccnz .LBB63_512
; %bb.511:
	s_wait_xcnt 0x0
	v_lshlrev_b32_e32 v0, 3, v0
	s_delay_alu instid0(VALU_DEP_1)
	v_mov_b32_e32 v132, v0
	scratch_load_b64 v[0:1], v132, off offset:-8
	scratch_load_b64 v[2:3], off, off offset:32
	s_wait_loadcnt 0x1
	scratch_store_b64 off, v[0:1], off offset:32
	s_wait_loadcnt 0x0
	scratch_store_b64 v132, v[2:3], off offset:-8
.LBB63_512:
	s_wait_xcnt 0x0
	v_mov_b32_e32 v0, 0
	global_load_b32 v1, v0, s[2:3] offset:12
	s_wait_loadcnt 0x0
	v_cmp_eq_u32_e32 vcc_lo, 4, v1
	s_cbranch_vccnz .LBB63_514
; %bb.513:
	v_lshlrev_b32_e32 v1, 3, v1
	scratch_load_b64 v[2:3], v1, off offset:-8
	scratch_load_b64 v[132:133], off, off offset:24
	s_wait_loadcnt 0x1
	scratch_store_b64 off, v[2:3], off offset:24
	s_wait_loadcnt 0x0
	scratch_store_b64 v1, v[132:133], off offset:-8
.LBB63_514:
	global_load_b32 v0, v0, s[2:3] offset:8
	s_wait_loadcnt 0x0
	v_cmp_eq_u32_e32 vcc_lo, 3, v0
	s_cbranch_vccnz .LBB63_516
; %bb.515:
	s_wait_xcnt 0x0
	v_lshlrev_b32_e32 v0, 3, v0
	s_delay_alu instid0(VALU_DEP_1)
	v_mov_b32_e32 v132, v0
	scratch_load_b64 v[0:1], v132, off offset:-8
	scratch_load_b64 v[2:3], off, off offset:16
	s_wait_loadcnt 0x1
	scratch_store_b64 off, v[0:1], off offset:16
	s_wait_loadcnt 0x0
	scratch_store_b64 v132, v[2:3], off offset:-8
.LBB63_516:
	s_wait_xcnt 0x0
	v_mov_b32_e32 v0, 0
	global_load_b32 v1, v0, s[2:3] offset:4
	s_wait_loadcnt 0x0
	v_cmp_eq_u32_e32 vcc_lo, 2, v1
	s_cbranch_vccnz .LBB63_518
; %bb.517:
	v_lshlrev_b32_e32 v1, 3, v1
	scratch_load_b64 v[2:3], v1, off offset:-8
	scratch_load_b64 v[132:133], off, off offset:8
	s_wait_loadcnt 0x1
	scratch_store_b64 off, v[2:3], off offset:8
	s_wait_loadcnt 0x0
	scratch_store_b64 v1, v[132:133], off offset:-8
.LBB63_518:
	global_load_b32 v0, v0, s[2:3]
	scratch_load_b64 v[176:177], off, off
	s_wait_loadcnt 0x1
	v_cmp_eq_u32_e32 vcc_lo, 1, v0
	s_cbranch_vccnz .LBB63_520
; %bb.519:
	s_wait_xcnt 0x1
	v_lshlrev_b32_e32 v0, 3, v0
	s_delay_alu instid0(VALU_DEP_1)
	v_mov_b32_e32 v2, v0
	scratch_load_b64 v[0:1], v2, off offset:-8
	s_wait_loadcnt 0x0
	scratch_store_b64 off, v[0:1], off
	scratch_store_b64 v2, v[176:177], off offset:-8
	scratch_load_b64 v[176:177], off, off
.LBB63_520:
	v_lshl_add_u64 v[152:153], v[32:33], 3, s[4:5]
	v_lshl_add_u64 v[150:151], v[34:35], 3, s[4:5]
	;; [unrolled: 1-line block ×11, first 2 shown]
	s_wait_xcnt 0x1
	v_lshl_add_u64 v[0:1], v[54:55], 3, s[4:5]
	v_lshl_add_u64 v[32:33], v[82:83], 3, s[4:5]
	;; [unrolled: 1-line block ×13, first 2 shown]
	s_clause 0x5
	scratch_load_b128 v[82:85], off, off offset:8
	scratch_load_b128 v[86:89], off, off offset:24
	;; [unrolled: 1-line block ×6, first 2 shown]
	v_lshl_add_u64 v[178:179], v[8:9], 3, s[4:5]
	v_lshl_add_u64 v[174:175], v[10:11], 3, s[4:5]
	;; [unrolled: 1-line block ×17, first 2 shown]
	s_wait_loadcnt 0x6
	global_store_b64 v[4:5], v[176:177], off
	scratch_load_b128 v[106:109], off, off offset:104
	v_lshl_add_u64 v[166:167], v[18:19], 3, s[4:5]
	v_lshl_add_u64 v[164:165], v[20:21], 3, s[4:5]
	;; [unrolled: 1-line block ×21, first 2 shown]
	s_clause 0x4
	scratch_load_b128 v[110:113], off, off offset:152
	scratch_load_b128 v[114:117], off, off offset:184
	;; [unrolled: 1-line block ×5, first 2 shown]
	s_wait_loadcnt 0xb
	global_store_b64 v[6:7], v[82:83], off
	scratch_load_b128 v[4:7], off, off offset:120
	global_store_b64 v[178:179], v[84:85], off
	scratch_load_b128 v[82:85], off, off offset:136
	s_wait_loadcnt 0xc
	s_clause 0x1
	global_store_b64 v[174:175], v[86:87], off
	global_store_b64 v[172:173], v[88:89], off
	scratch_load_b128 v[86:89], off, off offset:168
	s_wait_loadcnt 0xc
	s_clause 0x1
	global_store_b64 v[170:171], v[90:91], off
	global_store_b64 v[168:169], v[92:93], off
	s_wait_loadcnt 0xb
	s_clause 0x1
	global_store_b64 v[166:167], v[94:95], off
	global_store_b64 v[164:165], v[96:97], off
	s_wait_loadcnt 0xa
	s_clause 0x1
	global_store_b64 v[162:163], v[98:99], off
	global_store_b64 v[160:161], v[100:101], off
	s_wait_loadcnt 0x9
	s_clause 0x1
	global_store_b64 v[158:159], v[102:103], off
	global_store_b64 v[156:157], v[104:105], off
	s_clause 0x3
	scratch_load_b128 v[90:93], off, off offset:200
	scratch_load_b128 v[94:97], off, off offset:232
	scratch_load_b128 v[98:101], off, off offset:264
	scratch_load_b128 v[102:105], off, off offset:296
	s_wait_loadcnt 0xc
	s_clause 0x1
	global_store_b64 v[154:155], v[106:107], off
	global_store_b64 v[152:153], v[108:109], off
	s_clause 0x1
	scratch_load_b128 v[154:157], off, off offset:312
	scratch_load_b128 v[106:109], off, off offset:328
	s_wait_loadcnt 0x8
	s_clause 0x1
	global_store_b64 v[150:151], v[4:5], off
	global_store_b64 v[148:149], v[6:7], off
	s_wait_loadcnt 0x7
	s_clause 0x3
	global_store_b64 v[146:147], v[82:83], off
	global_store_b64 v[144:145], v[84:85], off
	;; [unrolled: 1-line block ×4, first 2 shown]
	s_wait_loadcnt 0x6
	s_clause 0x3
	global_store_b64 v[138:139], v[86:87], off
	global_store_b64 v[136:137], v[88:89], off
	;; [unrolled: 1-line block ×4, first 2 shown]
	s_clause 0xa
	scratch_load_b128 v[150:153], off, off offset:344
	scratch_load_b128 v[4:7], off, off offset:360
	;; [unrolled: 1-line block ×10, first 2 shown]
	scratch_load_b64 v[130:131], off, off offset:504
	s_wait_loadcnt 0x10
	s_clause 0x3
	global_store_b64 v[0:1], v[90:91], off
	global_store_b64 v[2:3], v[92:93], off
	global_store_b64 v[8:9], v[118:119], off
	global_store_b64 v[10:11], v[120:121], off
	s_wait_loadcnt 0xf
	s_clause 0x3
	global_store_b64 v[12:13], v[94:95], off
	global_store_b64 v[14:15], v[96:97], off
	global_store_b64 v[16:17], v[122:123], off
	global_store_b64 v[18:19], v[124:125], off
	;; [unrolled: 6-line block ×3, first 2 shown]
	s_wait_loadcnt 0xd
	s_clause 0x1
	global_store_b64 v[28:29], v[102:103], off
	global_store_b64 v[30:31], v[104:105], off
	s_wait_loadcnt 0xc
	s_clause 0x1
	global_store_b64 v[32:33], v[154:155], off
	global_store_b64 v[34:35], v[156:157], off
	;; [unrolled: 4-line block ×13, first 2 shown]
	s_wait_loadcnt 0x0
	global_store_b64 v[80:81], v[130:131], off
	s_sendmsg sendmsg(MSG_DEALLOC_VGPRS)
	s_endpgm
	.section	.rodata,"a",@progbits
	.p2align	6, 0x0
	.amdhsa_kernel _ZN9rocsolver6v33100L18getri_kernel_smallILi64EdPdEEvT1_iilPiilS4_bb
		.amdhsa_group_segment_fixed_size 1032
		.amdhsa_private_segment_fixed_size 528
		.amdhsa_kernarg_size 60
		.amdhsa_user_sgpr_count 2
		.amdhsa_user_sgpr_dispatch_ptr 0
		.amdhsa_user_sgpr_queue_ptr 0
		.amdhsa_user_sgpr_kernarg_segment_ptr 1
		.amdhsa_user_sgpr_dispatch_id 0
		.amdhsa_user_sgpr_kernarg_preload_length 0
		.amdhsa_user_sgpr_kernarg_preload_offset 0
		.amdhsa_user_sgpr_private_segment_size 0
		.amdhsa_wavefront_size32 1
		.amdhsa_uses_dynamic_stack 0
		.amdhsa_enable_private_segment 1
		.amdhsa_system_sgpr_workgroup_id_x 1
		.amdhsa_system_sgpr_workgroup_id_y 0
		.amdhsa_system_sgpr_workgroup_id_z 0
		.amdhsa_system_sgpr_workgroup_info 0
		.amdhsa_system_vgpr_workitem_id 0
		.amdhsa_next_free_vgpr 184
		.amdhsa_next_free_sgpr 19
		.amdhsa_named_barrier_count 0
		.amdhsa_reserve_vcc 1
		.amdhsa_float_round_mode_32 0
		.amdhsa_float_round_mode_16_64 0
		.amdhsa_float_denorm_mode_32 3
		.amdhsa_float_denorm_mode_16_64 3
		.amdhsa_fp16_overflow 0
		.amdhsa_memory_ordered 1
		.amdhsa_forward_progress 1
		.amdhsa_inst_pref_size 255
		.amdhsa_round_robin_scheduling 0
		.amdhsa_exception_fp_ieee_invalid_op 0
		.amdhsa_exception_fp_denorm_src 0
		.amdhsa_exception_fp_ieee_div_zero 0
		.amdhsa_exception_fp_ieee_overflow 0
		.amdhsa_exception_fp_ieee_underflow 0
		.amdhsa_exception_fp_ieee_inexact 0
		.amdhsa_exception_int_div_zero 0
	.end_amdhsa_kernel
	.section	.text._ZN9rocsolver6v33100L18getri_kernel_smallILi64EdPdEEvT1_iilPiilS4_bb,"axG",@progbits,_ZN9rocsolver6v33100L18getri_kernel_smallILi64EdPdEEvT1_iilPiilS4_bb,comdat
.Lfunc_end63:
	.size	_ZN9rocsolver6v33100L18getri_kernel_smallILi64EdPdEEvT1_iilPiilS4_bb, .Lfunc_end63-_ZN9rocsolver6v33100L18getri_kernel_smallILi64EdPdEEvT1_iilPiilS4_bb
                                        ; -- End function
	.set _ZN9rocsolver6v33100L18getri_kernel_smallILi64EdPdEEvT1_iilPiilS4_bb.num_vgpr, 184
	.set _ZN9rocsolver6v33100L18getri_kernel_smallILi64EdPdEEvT1_iilPiilS4_bb.num_agpr, 0
	.set _ZN9rocsolver6v33100L18getri_kernel_smallILi64EdPdEEvT1_iilPiilS4_bb.numbered_sgpr, 19
	.set _ZN9rocsolver6v33100L18getri_kernel_smallILi64EdPdEEvT1_iilPiilS4_bb.num_named_barrier, 0
	.set _ZN9rocsolver6v33100L18getri_kernel_smallILi64EdPdEEvT1_iilPiilS4_bb.private_seg_size, 528
	.set _ZN9rocsolver6v33100L18getri_kernel_smallILi64EdPdEEvT1_iilPiilS4_bb.uses_vcc, 1
	.set _ZN9rocsolver6v33100L18getri_kernel_smallILi64EdPdEEvT1_iilPiilS4_bb.uses_flat_scratch, 1
	.set _ZN9rocsolver6v33100L18getri_kernel_smallILi64EdPdEEvT1_iilPiilS4_bb.has_dyn_sized_stack, 0
	.set _ZN9rocsolver6v33100L18getri_kernel_smallILi64EdPdEEvT1_iilPiilS4_bb.has_recursion, 0
	.set _ZN9rocsolver6v33100L18getri_kernel_smallILi64EdPdEEvT1_iilPiilS4_bb.has_indirect_call, 0
	.section	.AMDGPU.csdata,"",@progbits
; Kernel info:
; codeLenInByte = 69360
; TotalNumSgprs: 21
; NumVgprs: 184
; ScratchSize: 528
; MemoryBound: 0
; FloatMode: 240
; IeeeMode: 1
; LDSByteSize: 1032 bytes/workgroup (compile time only)
; SGPRBlocks: 0
; VGPRBlocks: 11
; NumSGPRsForWavesPerEU: 21
; NumVGPRsForWavesPerEU: 184
; NamedBarCnt: 0
; Occupancy: 5
; WaveLimiterHint : 1
; COMPUTE_PGM_RSRC2:SCRATCH_EN: 1
; COMPUTE_PGM_RSRC2:USER_SGPR: 2
; COMPUTE_PGM_RSRC2:TRAP_HANDLER: 0
; COMPUTE_PGM_RSRC2:TGID_X_EN: 1
; COMPUTE_PGM_RSRC2:TGID_Y_EN: 0
; COMPUTE_PGM_RSRC2:TGID_Z_EN: 0
; COMPUTE_PGM_RSRC2:TIDIG_COMP_CNT: 0
	.section	.text._ZN9rocsolver6v33100L18getri_kernel_smallILi1EdPKPdEEvT1_iilPiilS6_bb,"axG",@progbits,_ZN9rocsolver6v33100L18getri_kernel_smallILi1EdPKPdEEvT1_iilPiilS6_bb,comdat
	.globl	_ZN9rocsolver6v33100L18getri_kernel_smallILi1EdPKPdEEvT1_iilPiilS6_bb ; -- Begin function _ZN9rocsolver6v33100L18getri_kernel_smallILi1EdPKPdEEvT1_iilPiilS6_bb
	.p2align	8
	.type	_ZN9rocsolver6v33100L18getri_kernel_smallILi1EdPKPdEEvT1_iilPiilS6_bb,@function
_ZN9rocsolver6v33100L18getri_kernel_smallILi1EdPKPdEEvT1_iilPiilS6_bb: ; @_ZN9rocsolver6v33100L18getri_kernel_smallILi1EdPKPdEEvT1_iilPiilS6_bb
; %bb.0:
	s_mov_b32 s7, 0
	s_mov_b32 s2, exec_lo
	v_cmpx_eq_u32_e32 0, v0
	s_cbranch_execz .LBB64_14
; %bb.1:
	s_clause 0x1
	s_load_b96 s[8:10], s[0:1], 0x30
	s_load_b96 s[4:6], s[0:1], 0x0
	s_getreg_b32 s2, hwreg(HW_REG_IB_STS2, 6, 4)
	s_wait_kmcnt 0x0
	s_bitcmp1_b32 s10, 0
	v_mov_b32_e32 v0, s6
	s_cselect_b32 s12, -1, 0
	s_bfe_u32 s0, ttmp6, 0x4000c
	s_and_b32 s1, ttmp6, 15
	s_add_co_i32 s0, s0, 1
	s_delay_alu instid0(SALU_CYCLE_1) | instskip(NEXT) | instid1(SALU_CYCLE_1)
	s_mul_i32 s0, ttmp9, s0
	s_add_co_i32 s1, s1, s0
	s_cmp_eq_u32 s2, 0
	s_cselect_b32 s10, ttmp9, s1
	s_and_b32 vcc_lo, exec_lo, s12
	s_ashr_i32 s11, s10, 31
	s_delay_alu instid0(SALU_CYCLE_1) | instskip(NEXT) | instid1(SALU_CYCLE_1)
	s_lshl_b64 s[0:1], s[10:11], 3
	s_add_nc_u64 s[0:1], s[4:5], s[0:1]
	s_load_b64 s[2:3], s[0:1], 0x0
	s_wait_kmcnt 0x0
	flat_load_b64 v[0:1], v0, s[2:3] scale_offset
	s_cbranch_vccnz .LBB64_3
; %bb.2:
	s_lshl_b64 s[0:1], s[10:11], 2
	s_mov_b32 s7, -1
	s_add_nc_u64 s[0:1], s[8:9], s[0:1]
	s_load_b32 s0, s[0:1], 0x0
	s_wait_xcnt 0x0
	s_wait_kmcnt 0x0
	s_cmp_eq_u32 s0, 0
	s_cselect_b32 s0, -1, 0
	s_cbranch_execz .LBB64_4
	s_branch .LBB64_11
.LBB64_3:
                                        ; implicit-def: $sgpr0
.LBB64_4:
	v_mov_b32_e32 v2, 0
	s_mov_b32 s1, exec_lo
	ds_store_b32 v2, v2
	s_wait_loadcnt_dscnt 0x0
	s_barrier_signal -1
	s_barrier_wait -1
	v_cmpx_eq_f64_e32 0, v[0:1]
	s_cbranch_execz .LBB64_8
; %bb.5:
	ds_load_b32 v3, v2
	s_mov_b32 s4, 0
	s_wait_dscnt 0x0
	v_cmp_ne_u32_e32 vcc_lo, 0, v3
	v_cmp_gt_i32_e64 s0, 2, v3
	s_and_b32 s0, vcc_lo, s0
	s_delay_alu instid0(SALU_CYCLE_1)
	s_and_b32 vcc_lo, exec_lo, s0
	s_cbranch_vccnz .LBB64_8
; %bb.6:
	v_dual_mov_b32 v4, 1 :: v_dual_mov_b32 v5, 0
.LBB64_7:                               ; =>This Inner Loop Header: Depth=1
	ds_cmpstore_rtn_b32 v3, v5, v4, v3
	s_wait_dscnt 0x0
	v_cmp_ne_u32_e32 vcc_lo, 0, v3
	v_cmp_gt_i32_e64 s0, 2, v3
	s_and_b32 s0, vcc_lo, s0
	s_delay_alu instid0(SALU_CYCLE_1) | instskip(NEXT) | instid1(SALU_CYCLE_1)
	s_and_b32 s0, exec_lo, s0
	s_or_b32 s4, s0, s4
	s_delay_alu instid0(SALU_CYCLE_1)
	s_and_not1_b32 exec_lo, exec_lo, s4
	s_cbranch_execnz .LBB64_7
.LBB64_8:
	s_or_b32 exec_lo, exec_lo, s1
	s_barrier_signal -1
	s_barrier_wait -1
	ds_load_b32 v3, v2
	s_lshl_b64 s[0:1], s[10:11], 2
	s_delay_alu instid0(SALU_CYCLE_1)
	s_add_nc_u64 s[0:1], s[8:9], s[0:1]
	s_wait_dscnt 0x0
	v_cmp_ne_u32_e32 vcc_lo, 0, v3
	global_store_b32 v2, v3, s[0:1]
	s_cbranch_vccnz .LBB64_10
; %bb.9:
	s_wait_xcnt 0x0
	v_div_scale_f64 v[2:3], null, v[0:1], v[0:1], 1.0
	s_mov_b32 s7, -1
	v_rcp_f64_e32 v[4:5], v[2:3]
	v_nop
	s_delay_alu instid0(TRANS32_DEP_1) | instskip(NEXT) | instid1(VALU_DEP_1)
	v_fma_f64 v[6:7], -v[2:3], v[4:5], 1.0
	v_fmac_f64_e32 v[4:5], v[4:5], v[6:7]
	s_delay_alu instid0(VALU_DEP_1) | instskip(NEXT) | instid1(VALU_DEP_1)
	v_fma_f64 v[6:7], -v[2:3], v[4:5], 1.0
	v_fmac_f64_e32 v[4:5], v[4:5], v[6:7]
	v_div_scale_f64 v[6:7], vcc_lo, 1.0, v[0:1], 1.0
	s_delay_alu instid0(VALU_DEP_1) | instskip(NEXT) | instid1(VALU_DEP_1)
	v_mul_f64_e32 v[8:9], v[6:7], v[4:5]
	v_fma_f64 v[2:3], -v[2:3], v[8:9], v[6:7]
	s_delay_alu instid0(VALU_DEP_1) | instskip(NEXT) | instid1(VALU_DEP_1)
	v_div_fmas_f64 v[2:3], v[2:3], v[4:5], v[8:9]
	v_div_fixup_f64 v[0:1], v[2:3], v[0:1], 1.0
.LBB64_10:
	s_wait_xcnt 0x0
	s_mov_b32 s0, -1
.LBB64_11:
	s_and_b32 vcc_lo, exec_lo, s7
	s_cbranch_vccz .LBB64_14
; %bb.12:
	s_and_not1_b32 vcc_lo, exec_lo, s0
	s_cbranch_vccnz .LBB64_14
; %bb.13:
	s_ashr_i32 s1, s6, 31
	s_mov_b32 s0, s6
	v_mov_b32_e32 v2, 0
	s_lshl_b64 s[0:1], s[0:1], 3
	s_delay_alu instid0(SALU_CYCLE_1)
	s_add_nc_u64 s[0:1], s[2:3], s[0:1]
	s_wait_loadcnt_dscnt 0x0
	flat_store_b64 v2, v[0:1], s[0:1]
.LBB64_14:
	s_endpgm
	.section	.rodata,"a",@progbits
	.p2align	6, 0x0
	.amdhsa_kernel _ZN9rocsolver6v33100L18getri_kernel_smallILi1EdPKPdEEvT1_iilPiilS6_bb
		.amdhsa_group_segment_fixed_size 4
		.amdhsa_private_segment_fixed_size 0
		.amdhsa_kernarg_size 60
		.amdhsa_user_sgpr_count 2
		.amdhsa_user_sgpr_dispatch_ptr 0
		.amdhsa_user_sgpr_queue_ptr 0
		.amdhsa_user_sgpr_kernarg_segment_ptr 1
		.amdhsa_user_sgpr_dispatch_id 0
		.amdhsa_user_sgpr_kernarg_preload_length 0
		.amdhsa_user_sgpr_kernarg_preload_offset 0
		.amdhsa_user_sgpr_private_segment_size 0
		.amdhsa_wavefront_size32 1
		.amdhsa_uses_dynamic_stack 0
		.amdhsa_enable_private_segment 0
		.amdhsa_system_sgpr_workgroup_id_x 1
		.amdhsa_system_sgpr_workgroup_id_y 0
		.amdhsa_system_sgpr_workgroup_id_z 0
		.amdhsa_system_sgpr_workgroup_info 0
		.amdhsa_system_vgpr_workitem_id 0
		.amdhsa_next_free_vgpr 10
		.amdhsa_next_free_sgpr 13
		.amdhsa_named_barrier_count 0
		.amdhsa_reserve_vcc 1
		.amdhsa_float_round_mode_32 0
		.amdhsa_float_round_mode_16_64 0
		.amdhsa_float_denorm_mode_32 3
		.amdhsa_float_denorm_mode_16_64 3
		.amdhsa_fp16_overflow 0
		.amdhsa_memory_ordered 1
		.amdhsa_forward_progress 1
		.amdhsa_inst_pref_size 5
		.amdhsa_round_robin_scheduling 0
		.amdhsa_exception_fp_ieee_invalid_op 0
		.amdhsa_exception_fp_denorm_src 0
		.amdhsa_exception_fp_ieee_div_zero 0
		.amdhsa_exception_fp_ieee_overflow 0
		.amdhsa_exception_fp_ieee_underflow 0
		.amdhsa_exception_fp_ieee_inexact 0
		.amdhsa_exception_int_div_zero 0
	.end_amdhsa_kernel
	.section	.text._ZN9rocsolver6v33100L18getri_kernel_smallILi1EdPKPdEEvT1_iilPiilS6_bb,"axG",@progbits,_ZN9rocsolver6v33100L18getri_kernel_smallILi1EdPKPdEEvT1_iilPiilS6_bb,comdat
.Lfunc_end64:
	.size	_ZN9rocsolver6v33100L18getri_kernel_smallILi1EdPKPdEEvT1_iilPiilS6_bb, .Lfunc_end64-_ZN9rocsolver6v33100L18getri_kernel_smallILi1EdPKPdEEvT1_iilPiilS6_bb
                                        ; -- End function
	.set _ZN9rocsolver6v33100L18getri_kernel_smallILi1EdPKPdEEvT1_iilPiilS6_bb.num_vgpr, 10
	.set _ZN9rocsolver6v33100L18getri_kernel_smallILi1EdPKPdEEvT1_iilPiilS6_bb.num_agpr, 0
	.set _ZN9rocsolver6v33100L18getri_kernel_smallILi1EdPKPdEEvT1_iilPiilS6_bb.numbered_sgpr, 13
	.set _ZN9rocsolver6v33100L18getri_kernel_smallILi1EdPKPdEEvT1_iilPiilS6_bb.num_named_barrier, 0
	.set _ZN9rocsolver6v33100L18getri_kernel_smallILi1EdPKPdEEvT1_iilPiilS6_bb.private_seg_size, 0
	.set _ZN9rocsolver6v33100L18getri_kernel_smallILi1EdPKPdEEvT1_iilPiilS6_bb.uses_vcc, 1
	.set _ZN9rocsolver6v33100L18getri_kernel_smallILi1EdPKPdEEvT1_iilPiilS6_bb.uses_flat_scratch, 0
	.set _ZN9rocsolver6v33100L18getri_kernel_smallILi1EdPKPdEEvT1_iilPiilS6_bb.has_dyn_sized_stack, 0
	.set _ZN9rocsolver6v33100L18getri_kernel_smallILi1EdPKPdEEvT1_iilPiilS6_bb.has_recursion, 0
	.set _ZN9rocsolver6v33100L18getri_kernel_smallILi1EdPKPdEEvT1_iilPiilS6_bb.has_indirect_call, 0
	.section	.AMDGPU.csdata,"",@progbits
; Kernel info:
; codeLenInByte = 548
; TotalNumSgprs: 15
; NumVgprs: 10
; ScratchSize: 0
; MemoryBound: 0
; FloatMode: 240
; IeeeMode: 1
; LDSByteSize: 4 bytes/workgroup (compile time only)
; SGPRBlocks: 0
; VGPRBlocks: 0
; NumSGPRsForWavesPerEU: 15
; NumVGPRsForWavesPerEU: 10
; NamedBarCnt: 0
; Occupancy: 16
; WaveLimiterHint : 1
; COMPUTE_PGM_RSRC2:SCRATCH_EN: 0
; COMPUTE_PGM_RSRC2:USER_SGPR: 2
; COMPUTE_PGM_RSRC2:TRAP_HANDLER: 0
; COMPUTE_PGM_RSRC2:TGID_X_EN: 1
; COMPUTE_PGM_RSRC2:TGID_Y_EN: 0
; COMPUTE_PGM_RSRC2:TGID_Z_EN: 0
; COMPUTE_PGM_RSRC2:TIDIG_COMP_CNT: 0
	.section	.text._ZN9rocsolver6v33100L18getri_kernel_smallILi2EdPKPdEEvT1_iilPiilS6_bb,"axG",@progbits,_ZN9rocsolver6v33100L18getri_kernel_smallILi2EdPKPdEEvT1_iilPiilS6_bb,comdat
	.globl	_ZN9rocsolver6v33100L18getri_kernel_smallILi2EdPKPdEEvT1_iilPiilS6_bb ; -- Begin function _ZN9rocsolver6v33100L18getri_kernel_smallILi2EdPKPdEEvT1_iilPiilS6_bb
	.p2align	8
	.type	_ZN9rocsolver6v33100L18getri_kernel_smallILi2EdPKPdEEvT1_iilPiilS6_bb,@function
_ZN9rocsolver6v33100L18getri_kernel_smallILi2EdPKPdEEvT1_iilPiilS6_bb: ; @_ZN9rocsolver6v33100L18getri_kernel_smallILi2EdPKPdEEvT1_iilPiilS6_bb
; %bb.0:
	s_mov_b32 s2, exec_lo
	v_cmpx_gt_u32_e32 2, v0
	s_cbranch_execz .LBB65_16
; %bb.1:
	s_clause 0x1
	s_load_b32 s13, s[0:1], 0x38
	s_load_b64 s[2:3], s[0:1], 0x0
	s_getreg_b32 s6, hwreg(HW_REG_IB_STS2, 6, 4)
	s_wait_kmcnt 0x0
	s_bitcmp1_b32 s13, 8
	s_cselect_b32 s12, -1, 0
	s_bfe_u32 s4, ttmp6, 0x4000c
	s_and_b32 s5, ttmp6, 15
	s_add_co_i32 s4, s4, 1
	s_delay_alu instid0(SALU_CYCLE_1) | instskip(NEXT) | instid1(SALU_CYCLE_1)
	s_mul_i32 s4, ttmp9, s4
	s_add_co_i32 s5, s5, s4
	s_cmp_eq_u32 s6, 0
	s_cselect_b32 s8, ttmp9, s5
	s_load_b128 s[4:7], s[0:1], 0x28
	s_ashr_i32 s9, s8, 31
	s_delay_alu instid0(SALU_CYCLE_1) | instskip(NEXT) | instid1(SALU_CYCLE_1)
	s_lshl_b64 s[10:11], s[8:9], 3
	s_add_nc_u64 s[2:3], s[2:3], s[10:11]
	s_load_b64 s[10:11], s[2:3], 0x0
	s_wait_xcnt 0x0
	s_bfe_u32 s2, s13, 0x10008
	s_delay_alu instid0(SALU_CYCLE_1)
	s_cmp_eq_u32 s2, 0
                                        ; implicit-def: $sgpr2_sgpr3
	s_cbranch_scc1 .LBB65_3
; %bb.2:
	s_load_b96 s[16:18], s[0:1], 0x18
	s_wait_kmcnt 0x0
	s_mul_u64 s[2:3], s[4:5], s[8:9]
	s_delay_alu instid0(SALU_CYCLE_1) | instskip(SKIP_4) | instid1(SALU_CYCLE_1)
	s_lshl_b64 s[2:3], s[2:3], 2
	s_ashr_i32 s5, s18, 31
	s_mov_b32 s4, s18
	s_add_nc_u64 s[2:3], s[16:17], s[2:3]
	s_lshl_b64 s[4:5], s[4:5], 2
	s_add_nc_u64 s[2:3], s[2:3], s[4:5]
.LBB65_3:
	s_wait_kmcnt 0x0
	s_clause 0x1
	s_load_b64 s[4:5], s[0:1], 0x8
	s_load_b32 s13, s[0:1], 0x38
	v_dual_mov_b32 v11, 0 :: v_dual_lshlrev_b32 v10, 3, v0
	s_wait_kmcnt 0x0
	s_ashr_i32 s1, s4, 31
	s_mov_b32 s0, s4
	s_delay_alu instid0(SALU_CYCLE_1) | instskip(NEXT) | instid1(SALU_CYCLE_1)
	s_lshl_b64 s[0:1], s[0:1], 3
	s_add_nc_u64 s[0:1], s[10:11], s[0:1]
	s_ashr_i32 s11, s5, 31
	v_add_nc_u64_e32 v[6:7], s[0:1], v[10:11]
	s_mov_b32 s10, s5
	s_bitcmp0_b32 s13, 0
	s_delay_alu instid0(VALU_DEP_1)
	v_lshl_add_u64 v[8:9], s[10:11], 3, v[6:7]
	s_clause 0x1
	flat_load_b64 v[2:3], v0, s[0:1] scale_offset
	flat_load_b64 v[4:5], v[8:9]
	s_wait_xcnt 0x1
	s_mov_b32 s0, -1
	s_cbranch_scc1 .LBB65_14
; %bb.4:
	v_cmp_eq_u32_e64 s0, 0, v0
	s_wait_xcnt 0x0
	s_and_saveexec_b32 s1, s0
; %bb.5:
	v_mov_b32_e32 v1, 0
	ds_store_b32 v1, v1 offset:32
; %bb.6:
	s_or_b32 exec_lo, exec_lo, s1
	v_cmp_eq_u32_e32 vcc_lo, 1, v0
	s_mov_b32 s4, exec_lo
	s_wait_loadcnt_dscnt 0x0
	s_barrier_signal -1
	s_barrier_wait -1
	v_dual_cndmask_b32 v13, v3, v5 :: v_dual_cndmask_b32 v12, v2, v4
	s_delay_alu instid0(VALU_DEP_1)
	v_cmpx_eq_f64_e32 0, v[12:13]
	s_cbranch_execz .LBB65_10
; %bb.7:
	v_mov_b32_e32 v1, 0
	s_mov_b32 s5, 0
	ds_load_b32 v11, v1 offset:32
	s_wait_dscnt 0x0
	v_readfirstlane_b32 s1, v11
	v_add_nc_u32_e32 v11, 1, v0
	s_cmp_eq_u32 s1, 0
	s_delay_alu instid0(VALU_DEP_1) | instskip(SKIP_1) | instid1(SALU_CYCLE_1)
	v_cmp_gt_i32_e32 vcc_lo, s1, v11
	s_cselect_b32 s10, -1, 0
	s_or_b32 s10, s10, vcc_lo
	s_delay_alu instid0(SALU_CYCLE_1)
	s_and_b32 exec_lo, exec_lo, s10
	s_cbranch_execz .LBB65_10
; %bb.8:
	v_mov_b32_e32 v14, s1
.LBB65_9:                               ; =>This Inner Loop Header: Depth=1
	ds_cmpstore_rtn_b32 v14, v1, v11, v14 offset:32
	s_wait_dscnt 0x0
	v_cmp_ne_u32_e32 vcc_lo, 0, v14
	v_cmp_le_i32_e64 s1, v14, v11
	s_and_b32 s1, vcc_lo, s1
	s_delay_alu instid0(SALU_CYCLE_1) | instskip(NEXT) | instid1(SALU_CYCLE_1)
	s_and_b32 s1, exec_lo, s1
	s_or_b32 s5, s1, s5
	s_delay_alu instid0(SALU_CYCLE_1)
	s_and_not1_b32 exec_lo, exec_lo, s5
	s_cbranch_execnz .LBB65_9
.LBB65_10:
	s_or_b32 exec_lo, exec_lo, s4
	v_mov_b32_e32 v1, 0
	s_barrier_signal -1
	s_barrier_wait -1
	ds_load_b32 v11, v1 offset:32
	s_and_saveexec_b32 s1, s0
	s_cbranch_execz .LBB65_12
; %bb.11:
	s_lshl_b64 s[4:5], s[8:9], 2
	s_delay_alu instid0(SALU_CYCLE_1)
	s_add_nc_u64 s[4:5], s[6:7], s[4:5]
	s_wait_dscnt 0x0
	global_store_b32 v1, v11, s[4:5]
.LBB65_12:
	s_wait_xcnt 0x0
	s_or_b32 exec_lo, exec_lo, s1
	s_wait_dscnt 0x0
	v_cmp_ne_u32_e32 vcc_lo, 0, v11
	s_cbranch_vccz .LBB65_17
; %bb.13:
	s_mov_b32 s0, 0
                                        ; implicit-def: $vgpr2_vgpr3_vgpr4_vgpr5
.LBB65_14:
	s_delay_alu instid0(SALU_CYCLE_1)
	s_and_b32 vcc_lo, exec_lo, s0
	s_cbranch_vccz .LBB65_16
.LBB65_15:
	v_mov_b32_e32 v1, 0
	s_lshl_b64 s[0:1], s[8:9], 2
	s_delay_alu instid0(SALU_CYCLE_1)
	s_add_nc_u64 s[0:1], s[6:7], s[0:1]
	global_load_b32 v1, v1, s[0:1]
	s_wait_loadcnt 0x0
	v_cmp_ne_u32_e32 vcc_lo, 0, v1
	s_cbranch_vccz .LBB65_20
.LBB65_16:
	s_endpgm
.LBB65_17:
	v_div_scale_f64 v[14:15], null, v[12:13], v[12:13], 1.0
	v_div_scale_f64 v[20:21], vcc_lo, 1.0, v[12:13], 1.0
	s_delay_alu instid0(VALU_DEP_2) | instskip(SKIP_1) | instid1(TRANS32_DEP_1)
	v_rcp_f64_e32 v[16:17], v[14:15]
	v_nop
	v_fma_f64 v[18:19], -v[14:15], v[16:17], 1.0
	s_delay_alu instid0(VALU_DEP_1) | instskip(NEXT) | instid1(VALU_DEP_1)
	v_fmac_f64_e32 v[16:17], v[16:17], v[18:19]
	v_fma_f64 v[18:19], -v[14:15], v[16:17], 1.0
	s_delay_alu instid0(VALU_DEP_1) | instskip(NEXT) | instid1(VALU_DEP_1)
	v_fmac_f64_e32 v[16:17], v[16:17], v[18:19]
	v_mul_f64_e32 v[18:19], v[20:21], v[16:17]
	s_delay_alu instid0(VALU_DEP_1) | instskip(NEXT) | instid1(VALU_DEP_1)
	v_fma_f64 v[14:15], -v[14:15], v[18:19], v[20:21]
	v_div_fmas_f64 v[14:15], v[14:15], v[16:17], v[18:19]
	v_cmp_eq_u32_e32 vcc_lo, 1, v0
	s_delay_alu instid0(VALU_DEP_2) | instskip(NEXT) | instid1(VALU_DEP_1)
	v_div_fixup_f64 v[12:13], v[14:15], v[12:13], 1.0
	v_dual_cndmask_b32 v5, v5, v13 :: v_dual_cndmask_b32 v4, v4, v12
	v_cmp_eq_u32_e32 vcc_lo, 0, v0
	v_cndmask_b32_e32 v3, v3, v13, vcc_lo
	v_xor_b32_e32 v13, 0x80000000, v13
	v_cndmask_b32_e32 v2, v2, v12, vcc_lo
	ds_store_2addr_b64 v10, v[12:13], v[4:5] offset1:2
	s_wait_storecnt_dscnt 0x0
	s_barrier_signal -1
	s_barrier_wait -1
	s_and_saveexec_b32 s1, s0
	s_cbranch_execz .LBB65_19
; %bb.18:
	v_mov_b32_e32 v1, 0
	ds_load_2addr_b64 v[10:13], v1 offset0:1 offset1:2
	s_wait_dscnt 0x0
	v_fma_f64 v[4:5], v[2:3], v[12:13], 0
	s_delay_alu instid0(VALU_DEP_1)
	v_mul_f64_e32 v[4:5], v[4:5], v[10:11]
.LBB65_19:
	s_or_b32 exec_lo, exec_lo, s1
	s_barrier_signal -1
	s_barrier_wait -1
	s_cbranch_execnz .LBB65_15
	s_branch .LBB65_16
.LBB65_20:
	s_wait_xcnt 0x0
	s_mov_b32 s0, exec_lo
	v_cmpx_eq_u32_e32 1, v0
	s_cbranch_execz .LBB65_22
; %bb.21:
	s_mov_b32 s1, 0
	s_wait_dscnt 0x0
	v_mov_b64_e32 v[12:13], v[4:5]
	v_mov_b64_e32 v[10:11], v[2:3]
	v_dual_mov_b32 v10, s1 :: v_dual_mov_b32 v0, 0
	v_mov_b32_e32 v11, s1
	ds_store_b64 v0, v[2:3] offset:24
	v_mov_b64_e32 v[2:3], v[10:11]
	v_mov_b64_e32 v[4:5], v[12:13]
.LBB65_22:
	s_or_b32 exec_lo, exec_lo, s0
	v_mov_b32_e32 v0, 0
	s_wait_storecnt_dscnt 0x0
	s_barrier_signal -1
	s_barrier_wait -1
	ds_load_b64 v[10:11], v0 offset:24
	s_and_b32 vcc_lo, exec_lo, s12
	s_wait_dscnt 0x0
	v_fma_f64 v[10:11], v[4:5], v[10:11], 0
	s_delay_alu instid0(VALU_DEP_1)
	v_add_f64_e64 v[2:3], v[2:3], -v[10:11]
	s_cbranch_vccz .LBB65_24
; %bb.23:
	global_load_b32 v0, v0, s[2:3]
	s_wait_loadcnt 0x0
	v_add_nc_u32_e32 v0, -1, v0
	s_delay_alu instid0(VALU_DEP_1) | instskip(SKIP_3) | instid1(VALU_DEP_2)
	v_cmp_eq_u32_e32 vcc_lo, 1, v0
	v_dual_cndmask_b32 v1, v3, v5 :: v_dual_cndmask_b32 v10, v2, v4
	v_cmp_eq_u32_e64 s0, 0, v0
	v_dual_cndmask_b32 v0, v4, v2 :: v_dual_cndmask_b32 v11, v5, v3
	v_dual_cndmask_b32 v10, v10, v2, s0 :: v_dual_cndmask_b32 v1, v1, v3, s0
	s_delay_alu instid0(VALU_DEP_2) | instskip(NEXT) | instid1(VALU_DEP_2)
	v_dual_cndmask_b32 v5, v11, v5, s0 :: v_dual_cndmask_b32 v4, v0, v4, s0
	v_dual_cndmask_b32 v2, v10, v2, s0 :: v_dual_cndmask_b32 v3, v1, v3, s0
.LBB65_24:
	s_clause 0x1
	flat_store_b64 v[6:7], v[2:3]
	flat_store_b64 v[8:9], v[4:5]
	s_endpgm
	.section	.rodata,"a",@progbits
	.p2align	6, 0x0
	.amdhsa_kernel _ZN9rocsolver6v33100L18getri_kernel_smallILi2EdPKPdEEvT1_iilPiilS6_bb
		.amdhsa_group_segment_fixed_size 40
		.amdhsa_private_segment_fixed_size 0
		.amdhsa_kernarg_size 60
		.amdhsa_user_sgpr_count 2
		.amdhsa_user_sgpr_dispatch_ptr 0
		.amdhsa_user_sgpr_queue_ptr 0
		.amdhsa_user_sgpr_kernarg_segment_ptr 1
		.amdhsa_user_sgpr_dispatch_id 0
		.amdhsa_user_sgpr_kernarg_preload_length 0
		.amdhsa_user_sgpr_kernarg_preload_offset 0
		.amdhsa_user_sgpr_private_segment_size 0
		.amdhsa_wavefront_size32 1
		.amdhsa_uses_dynamic_stack 0
		.amdhsa_enable_private_segment 0
		.amdhsa_system_sgpr_workgroup_id_x 1
		.amdhsa_system_sgpr_workgroup_id_y 0
		.amdhsa_system_sgpr_workgroup_id_z 0
		.amdhsa_system_sgpr_workgroup_info 0
		.amdhsa_system_vgpr_workitem_id 0
		.amdhsa_next_free_vgpr 22
		.amdhsa_next_free_sgpr 19
		.amdhsa_named_barrier_count 0
		.amdhsa_reserve_vcc 1
		.amdhsa_float_round_mode_32 0
		.amdhsa_float_round_mode_16_64 0
		.amdhsa_float_denorm_mode_32 3
		.amdhsa_float_denorm_mode_16_64 3
		.amdhsa_fp16_overflow 0
		.amdhsa_memory_ordered 1
		.amdhsa_forward_progress 1
		.amdhsa_inst_pref_size 9
		.amdhsa_round_robin_scheduling 0
		.amdhsa_exception_fp_ieee_invalid_op 0
		.amdhsa_exception_fp_denorm_src 0
		.amdhsa_exception_fp_ieee_div_zero 0
		.amdhsa_exception_fp_ieee_overflow 0
		.amdhsa_exception_fp_ieee_underflow 0
		.amdhsa_exception_fp_ieee_inexact 0
		.amdhsa_exception_int_div_zero 0
	.end_amdhsa_kernel
	.section	.text._ZN9rocsolver6v33100L18getri_kernel_smallILi2EdPKPdEEvT1_iilPiilS6_bb,"axG",@progbits,_ZN9rocsolver6v33100L18getri_kernel_smallILi2EdPKPdEEvT1_iilPiilS6_bb,comdat
.Lfunc_end65:
	.size	_ZN9rocsolver6v33100L18getri_kernel_smallILi2EdPKPdEEvT1_iilPiilS6_bb, .Lfunc_end65-_ZN9rocsolver6v33100L18getri_kernel_smallILi2EdPKPdEEvT1_iilPiilS6_bb
                                        ; -- End function
	.set _ZN9rocsolver6v33100L18getri_kernel_smallILi2EdPKPdEEvT1_iilPiilS6_bb.num_vgpr, 22
	.set _ZN9rocsolver6v33100L18getri_kernel_smallILi2EdPKPdEEvT1_iilPiilS6_bb.num_agpr, 0
	.set _ZN9rocsolver6v33100L18getri_kernel_smallILi2EdPKPdEEvT1_iilPiilS6_bb.numbered_sgpr, 19
	.set _ZN9rocsolver6v33100L18getri_kernel_smallILi2EdPKPdEEvT1_iilPiilS6_bb.num_named_barrier, 0
	.set _ZN9rocsolver6v33100L18getri_kernel_smallILi2EdPKPdEEvT1_iilPiilS6_bb.private_seg_size, 0
	.set _ZN9rocsolver6v33100L18getri_kernel_smallILi2EdPKPdEEvT1_iilPiilS6_bb.uses_vcc, 1
	.set _ZN9rocsolver6v33100L18getri_kernel_smallILi2EdPKPdEEvT1_iilPiilS6_bb.uses_flat_scratch, 1
	.set _ZN9rocsolver6v33100L18getri_kernel_smallILi2EdPKPdEEvT1_iilPiilS6_bb.has_dyn_sized_stack, 0
	.set _ZN9rocsolver6v33100L18getri_kernel_smallILi2EdPKPdEEvT1_iilPiilS6_bb.has_recursion, 0
	.set _ZN9rocsolver6v33100L18getri_kernel_smallILi2EdPKPdEEvT1_iilPiilS6_bb.has_indirect_call, 0
	.section	.AMDGPU.csdata,"",@progbits
; Kernel info:
; codeLenInByte = 1092
; TotalNumSgprs: 21
; NumVgprs: 22
; ScratchSize: 0
; MemoryBound: 0
; FloatMode: 240
; IeeeMode: 1
; LDSByteSize: 40 bytes/workgroup (compile time only)
; SGPRBlocks: 0
; VGPRBlocks: 1
; NumSGPRsForWavesPerEU: 21
; NumVGPRsForWavesPerEU: 22
; NamedBarCnt: 0
; Occupancy: 16
; WaveLimiterHint : 1
; COMPUTE_PGM_RSRC2:SCRATCH_EN: 0
; COMPUTE_PGM_RSRC2:USER_SGPR: 2
; COMPUTE_PGM_RSRC2:TRAP_HANDLER: 0
; COMPUTE_PGM_RSRC2:TGID_X_EN: 1
; COMPUTE_PGM_RSRC2:TGID_Y_EN: 0
; COMPUTE_PGM_RSRC2:TGID_Z_EN: 0
; COMPUTE_PGM_RSRC2:TIDIG_COMP_CNT: 0
	.section	.text._ZN9rocsolver6v33100L18getri_kernel_smallILi3EdPKPdEEvT1_iilPiilS6_bb,"axG",@progbits,_ZN9rocsolver6v33100L18getri_kernel_smallILi3EdPKPdEEvT1_iilPiilS6_bb,comdat
	.globl	_ZN9rocsolver6v33100L18getri_kernel_smallILi3EdPKPdEEvT1_iilPiilS6_bb ; -- Begin function _ZN9rocsolver6v33100L18getri_kernel_smallILi3EdPKPdEEvT1_iilPiilS6_bb
	.p2align	8
	.type	_ZN9rocsolver6v33100L18getri_kernel_smallILi3EdPKPdEEvT1_iilPiilS6_bb,@function
_ZN9rocsolver6v33100L18getri_kernel_smallILi3EdPKPdEEvT1_iilPiilS6_bb: ; @_ZN9rocsolver6v33100L18getri_kernel_smallILi3EdPKPdEEvT1_iilPiilS6_bb
; %bb.0:
	s_mov_b32 s2, exec_lo
	v_cmpx_gt_u32_e32 3, v0
	s_cbranch_execz .LBB66_16
; %bb.1:
	s_clause 0x1
	s_load_b32 s13, s[0:1], 0x38
	s_load_b64 s[2:3], s[0:1], 0x0
	s_getreg_b32 s6, hwreg(HW_REG_IB_STS2, 6, 4)
	s_wait_kmcnt 0x0
	s_bitcmp1_b32 s13, 8
	s_cselect_b32 s12, -1, 0
	s_bfe_u32 s4, ttmp6, 0x4000c
	s_and_b32 s5, ttmp6, 15
	s_add_co_i32 s4, s4, 1
	s_delay_alu instid0(SALU_CYCLE_1) | instskip(NEXT) | instid1(SALU_CYCLE_1)
	s_mul_i32 s4, ttmp9, s4
	s_add_co_i32 s5, s5, s4
	s_cmp_eq_u32 s6, 0
	s_cselect_b32 s10, ttmp9, s5
	s_load_b128 s[4:7], s[0:1], 0x28
	s_ashr_i32 s11, s10, 31
	s_delay_alu instid0(SALU_CYCLE_1) | instskip(NEXT) | instid1(SALU_CYCLE_1)
	s_lshl_b64 s[8:9], s[10:11], 3
	s_add_nc_u64 s[2:3], s[2:3], s[8:9]
	s_bfe_u32 s8, s13, 0x10008
	s_load_b64 s[2:3], s[2:3], 0x0
	s_cmp_eq_u32 s8, 0
                                        ; implicit-def: $sgpr8_sgpr9
	s_cbranch_scc1 .LBB66_3
; %bb.2:
	s_load_b96 s[16:18], s[0:1], 0x18
	s_wait_kmcnt 0x0
	s_mul_u64 s[4:5], s[4:5], s[10:11]
	s_delay_alu instid0(SALU_CYCLE_1) | instskip(SKIP_4) | instid1(SALU_CYCLE_1)
	s_lshl_b64 s[4:5], s[4:5], 2
	s_ashr_i32 s9, s18, 31
	s_mov_b32 s8, s18
	s_add_nc_u64 s[4:5], s[16:17], s[4:5]
	s_lshl_b64 s[8:9], s[8:9], 2
	s_add_nc_u64 s[8:9], s[4:5], s[8:9]
.LBB66_3:
	s_clause 0x1
	s_load_b64 s[14:15], s[0:1], 0x8
	s_load_b32 s13, s[0:1], 0x38
	v_dual_mov_b32 v15, 0 :: v_dual_lshlrev_b32 v14, 3, v0
	s_wait_kmcnt 0x0
	s_ashr_i32 s1, s14, 31
	s_mov_b32 s0, s14
	v_add3_u32 v12, s15, s15, v0
	s_lshl_b64 s[0:1], s[0:1], 3
	s_delay_alu instid0(SALU_CYCLE_1) | instskip(SKIP_4) | instid1(VALU_DEP_1)
	s_add_nc_u64 s[4:5], s[2:3], s[0:1]
	s_ashr_i32 s1, s15, 31
	v_add_nc_u64_e32 v[8:9], s[4:5], v[14:15]
	s_mov_b32 s0, s15
	s_bitcmp0_b32 s13, 0
	v_lshl_add_u64 v[10:11], s[0:1], 3, v[8:9]
	s_mov_b32 s0, -1
	s_clause 0x2
	flat_load_b64 v[4:5], v[10:11]
	flat_load_b64 v[2:3], v0, s[4:5] scale_offset
	flat_load_b64 v[6:7], v12, s[4:5] scale_offset
	s_cbranch_scc1 .LBB66_14
; %bb.4:
	v_cmp_eq_u32_e64 s0, 0, v0
	s_wait_xcnt 0x0
	s_and_saveexec_b32 s1, s0
; %bb.5:
	v_mov_b32_e32 v1, 0
	ds_store_b32 v1, v1 offset:24
; %bb.6:
	s_or_b32 exec_lo, exec_lo, s1
	v_cmp_eq_u32_e32 vcc_lo, 1, v0
	s_mov_b32 s2, exec_lo
	s_wait_loadcnt_dscnt 0x0
	s_barrier_signal -1
	s_barrier_wait -1
	v_dual_cndmask_b32 v1, v3, v5, vcc_lo :: v_dual_cndmask_b32 v13, v2, v4, vcc_lo
	v_cmp_eq_u32_e32 vcc_lo, 2, v0
	s_delay_alu instid0(VALU_DEP_2) | instskip(NEXT) | instid1(VALU_DEP_3)
	v_cndmask_b32_e32 v17, v1, v7, vcc_lo
	v_cndmask_b32_e32 v16, v13, v6, vcc_lo
	s_delay_alu instid0(VALU_DEP_1)
	v_cmpx_eq_f64_e32 0, v[16:17]
	s_cbranch_execz .LBB66_10
; %bb.7:
	v_mov_b32_e32 v1, 0
	s_mov_b32 s3, 0
	ds_load_b32 v13, v1 offset:24
	s_wait_dscnt 0x0
	v_readfirstlane_b32 s1, v13
	v_add_nc_u32_e32 v13, 1, v0
	s_cmp_eq_u32 s1, 0
	s_delay_alu instid0(VALU_DEP_1) | instskip(SKIP_1) | instid1(SALU_CYCLE_1)
	v_cmp_gt_i32_e32 vcc_lo, s1, v13
	s_cselect_b32 s13, -1, 0
	s_or_b32 s13, s13, vcc_lo
	s_delay_alu instid0(SALU_CYCLE_1)
	s_and_b32 exec_lo, exec_lo, s13
	s_cbranch_execz .LBB66_10
; %bb.8:
	v_mov_b32_e32 v15, s1
.LBB66_9:                               ; =>This Inner Loop Header: Depth=1
	ds_cmpstore_rtn_b32 v15, v1, v13, v15 offset:24
	s_wait_dscnt 0x0
	v_cmp_ne_u32_e32 vcc_lo, 0, v15
	v_cmp_le_i32_e64 s1, v15, v13
	s_and_b32 s1, vcc_lo, s1
	s_delay_alu instid0(SALU_CYCLE_1) | instskip(NEXT) | instid1(SALU_CYCLE_1)
	s_and_b32 s1, exec_lo, s1
	s_or_b32 s3, s1, s3
	s_delay_alu instid0(SALU_CYCLE_1)
	s_and_not1_b32 exec_lo, exec_lo, s3
	s_cbranch_execnz .LBB66_9
.LBB66_10:
	s_or_b32 exec_lo, exec_lo, s2
	v_mov_b32_e32 v1, 0
	s_barrier_signal -1
	s_barrier_wait -1
	ds_load_b32 v13, v1 offset:24
	s_and_saveexec_b32 s1, s0
	s_cbranch_execz .LBB66_12
; %bb.11:
	s_lshl_b64 s[2:3], s[10:11], 2
	s_delay_alu instid0(SALU_CYCLE_1)
	s_add_nc_u64 s[2:3], s[6:7], s[2:3]
	s_wait_dscnt 0x0
	global_store_b32 v1, v13, s[2:3]
.LBB66_12:
	s_wait_xcnt 0x0
	s_or_b32 exec_lo, exec_lo, s1
	s_wait_dscnt 0x0
	v_cmp_ne_u32_e32 vcc_lo, 0, v13
	s_cbranch_vccz .LBB66_17
; %bb.13:
	s_mov_b32 s0, 0
                                        ; implicit-def: $vgpr2_vgpr3_vgpr4_vgpr5_vgpr6_vgpr7
.LBB66_14:
	s_delay_alu instid0(SALU_CYCLE_1)
	s_and_b32 vcc_lo, exec_lo, s0
	s_cbranch_vccz .LBB66_16
.LBB66_15:
	v_mov_b32_e32 v1, 0
	s_lshl_b64 s[0:1], s[10:11], 2
	s_delay_alu instid0(SALU_CYCLE_1)
	s_add_nc_u64 s[0:1], s[6:7], s[0:1]
	global_load_b32 v1, v1, s[0:1]
	s_wait_loadcnt 0x0
	v_cmp_ne_u32_e32 vcc_lo, 0, v1
	s_cbranch_vccz .LBB66_24
.LBB66_16:
	s_endpgm
.LBB66_17:
	v_div_scale_f64 v[18:19], null, v[16:17], v[16:17], 1.0
	v_div_scale_f64 v[24:25], vcc_lo, 1.0, v[16:17], 1.0
	v_cmp_eq_u32_e64 s1, 2, v0
	v_cmp_eq_u32_e64 s2, 0, v0
	v_add_nc_u32_e32 v1, 32, v14
	v_rcp_f64_e32 v[20:21], v[18:19]
	v_nop
	s_delay_alu instid0(TRANS32_DEP_1) | instskip(NEXT) | instid1(VALU_DEP_1)
	v_fma_f64 v[22:23], -v[18:19], v[20:21], 1.0
	v_fmac_f64_e32 v[20:21], v[20:21], v[22:23]
	s_delay_alu instid0(VALU_DEP_1) | instskip(NEXT) | instid1(VALU_DEP_1)
	v_fma_f64 v[22:23], -v[18:19], v[20:21], 1.0
	v_fmac_f64_e32 v[20:21], v[20:21], v[22:23]
	s_delay_alu instid0(VALU_DEP_1) | instskip(NEXT) | instid1(VALU_DEP_1)
	v_mul_f64_e32 v[22:23], v[24:25], v[20:21]
	v_fma_f64 v[18:19], -v[18:19], v[22:23], v[24:25]
	s_delay_alu instid0(VALU_DEP_1) | instskip(SKIP_1) | instid1(VALU_DEP_2)
	v_div_fmas_f64 v[18:19], v[18:19], v[20:21], v[22:23]
	v_cmp_eq_u32_e32 vcc_lo, 1, v0
	v_div_fixup_f64 v[16:17], v[18:19], v[16:17], 1.0
	s_delay_alu instid0(VALU_DEP_1)
	v_dual_cndmask_b32 v5, v5, v17 :: v_dual_cndmask_b32 v4, v4, v16
	v_cndmask_b32_e64 v7, v7, v17, s1
	v_xor_b32_e32 v19, 0x80000000, v17
	v_dual_mov_b32 v18, v16 :: v_dual_cndmask_b32 v6, v6, v16, s1
	v_dual_cndmask_b32 v3, v3, v17, s2 :: v_dual_cndmask_b32 v2, v2, v16, s2
	ds_store_2addr_b64 v14, v[18:19], v[4:5] offset1:4
	s_wait_storecnt_dscnt 0x0
	s_barrier_signal -1
	s_barrier_wait -1
	s_and_saveexec_b32 s1, s0
	s_cbranch_execz .LBB66_19
; %bb.18:
	ds_load_b64 v[4:5], v1
	v_mov_b32_e32 v13, 0
	ds_load_b64 v[14:15], v13 offset:8
	s_wait_dscnt 0x1
	v_fma_f64 v[4:5], v[16:17], v[4:5], 0
	s_wait_dscnt 0x0
	s_delay_alu instid0(VALU_DEP_1)
	v_mul_f64_e32 v[4:5], v[4:5], v[14:15]
.LBB66_19:
	s_or_b32 exec_lo, exec_lo, s1
	s_delay_alu instid0(SALU_CYCLE_1)
	s_mov_b32 s1, exec_lo
	s_barrier_signal -1
	s_barrier_wait -1
	ds_store_b64 v1, v[6:7]
	s_wait_dscnt 0x0
	s_barrier_signal -1
	s_barrier_wait -1
	v_cmpx_ne_u32_e32 2, v0
	s_cbranch_execz .LBB66_23
; %bb.20:
	ds_load_b64 v[14:15], v1
	v_cmp_eq_u32_e32 vcc_lo, 1, v0
	v_dual_cndmask_b32 v1, v3, v5, vcc_lo :: v_dual_cndmask_b32 v13, v2, v4, vcc_lo
	v_cmp_eq_u32_e32 vcc_lo, 2, v0
	s_delay_alu instid0(VALU_DEP_2) | instskip(NEXT) | instid1(VALU_DEP_3)
	v_cndmask_b32_e32 v7, v1, v7, vcc_lo
	v_cndmask_b32_e32 v6, v13, v6, vcc_lo
	s_wait_dscnt 0x0
	s_delay_alu instid0(VALU_DEP_1)
	v_fma_f64 v[6:7], v[6:7], v[14:15], 0
	s_and_saveexec_b32 s2, s0
	s_cbranch_execz .LBB66_22
; %bb.21:
	v_mov_b32_e32 v1, 0
	ds_load_b64 v[14:15], v1 offset:40
	s_wait_dscnt 0x0
	v_fmac_f64_e32 v[6:7], v[4:5], v[14:15]
.LBB66_22:
	s_or_b32 exec_lo, exec_lo, s2
	v_mov_b32_e32 v1, 0
	ds_load_b64 v[14:15], v1 offset:16
	s_wait_dscnt 0x0
	v_mul_f64_e32 v[6:7], v[6:7], v[14:15]
.LBB66_23:
	s_or_b32 exec_lo, exec_lo, s1
	s_barrier_signal -1
	s_barrier_wait -1
	s_cbranch_execnz .LBB66_15
	s_branch .LBB66_16
.LBB66_24:
	s_wait_xcnt 0x0
	v_lshl_add_u32 v1, v0, 3, 32
	s_mov_b32 s0, exec_lo
	v_cmpx_eq_u32_e32 2, v0
	s_cbranch_execz .LBB66_26
; %bb.25:
	s_wait_dscnt 0x0
	v_mov_b64_e32 v[18:19], v[6:7]
	v_mov_b64_e32 v[14:15], v[2:3]
	s_mov_b32 s1, 0
	v_mov_b64_e32 v[16:17], v[4:5]
	v_dual_mov_b32 v16, s1 :: v_dual_mov_b32 v17, s1
	ds_store_b64 v1, v[4:5]
	v_mov_b64_e32 v[2:3], v[14:15]
	v_mov_b64_e32 v[6:7], v[18:19]
	;; [unrolled: 1-line block ×3, first 2 shown]
.LBB66_26:
	s_or_b32 exec_lo, exec_lo, s0
	v_mov_b32_e32 v14, 0
	s_wait_storecnt_dscnt 0x0
	s_barrier_signal -1
	s_barrier_wait -1
	ds_load_b64 v[16:17], v14 offset:48
	v_ashrrev_i32_e32 v13, 31, v12
	s_mov_b32 s1, 0
	s_mov_b32 s0, exec_lo
	s_wait_dscnt 0x0
	v_fma_f64 v[16:17], v[6:7], v[16:17], 0
	s_delay_alu instid0(VALU_DEP_1)
	v_add_f64_e64 v[4:5], v[4:5], -v[16:17]
	v_cmpx_ne_u32_e32 0, v0
	s_cbranch_execz .LBB66_28
; %bb.27:
	v_mov_b64_e32 v[20:21], v[6:7]
	s_delay_alu instid0(VALU_DEP_3)
	v_mov_b64_e32 v[18:19], v[4:5]
	v_mov_b64_e32 v[16:17], v[2:3]
	v_dual_mov_b32 v16, s1 :: v_dual_mov_b32 v17, s1
	ds_store_b64 v1, v[2:3]
	v_mov_b64_e32 v[2:3], v[16:17]
	v_mov_b64_e32 v[4:5], v[18:19]
	;; [unrolled: 1-line block ×3, first 2 shown]
.LBB66_28:
	s_or_b32 exec_lo, exec_lo, s0
	s_wait_dscnt 0x0
	s_barrier_signal -1
	s_barrier_wait -1
	ds_load_2addr_b64 v[14:17], v14 offset0:5 offset1:6
	s_and_b32 vcc_lo, exec_lo, s12
	s_wait_dscnt 0x0
	v_fma_f64 v[0:1], v[4:5], v[14:15], 0
	s_delay_alu instid0(VALU_DEP_1) | instskip(NEXT) | instid1(VALU_DEP_1)
	v_fmac_f64_e32 v[0:1], v[6:7], v[16:17]
	v_add_f64_e64 v[2:3], v[2:3], -v[0:1]
	s_cbranch_vccz .LBB66_33
; %bb.29:
	v_mov_b32_e32 v0, 0
	global_load_b32 v1, v0, s[8:9] offset:4
	s_wait_loadcnt 0x0
	v_readfirstlane_b32 s1, v1
	s_add_co_i32 s1, s1, -1
	s_delay_alu instid0(SALU_CYCLE_1)
	s_cmp_lg_u32 s1, 1
	s_cbranch_scc0 .LBB66_31
; %bb.30:
	s_cmp_eq_u32 s1, 1
	s_cselect_b32 vcc_lo, -1, 0
	s_cmp_eq_u32 s1, 2
	v_dual_cndmask_b32 v1, v2, v4 :: v_dual_cndmask_b32 v14, v3, v5
	s_cselect_b32 s0, -1, 0
	s_cmp_eq_u32 s1, 0
	s_delay_alu instid0(VALU_DEP_1) | instskip(NEXT) | instid1(VALU_DEP_2)
	v_dual_cndmask_b32 v18, v6, v4, s0 :: v_dual_cndmask_b32 v1, v1, v6, s0
	v_cndmask_b32_e64 v14, v14, v7, s0
	s_cselect_b32 s1, -1, 0
	v_cndmask_b32_e64 v19, v7, v5, s0
	s_delay_alu instid0(VALU_DEP_3) | instskip(NEXT) | instid1(VALU_DEP_3)
	v_dual_cndmask_b32 v15, v3, v5, s1 :: v_dual_cndmask_b32 v16, v1, v4, vcc_lo
	v_cndmask_b32_e32 v17, v14, v5, vcc_lo
	v_cndmask_b32_e64 v14, v2, v4, s1
	s_delay_alu instid0(VALU_DEP_1) | instskip(NEXT) | instid1(VALU_DEP_3)
	v_mov_b64_e32 v[2:3], v[14:15]
	v_mov_b64_e32 v[4:5], v[16:17]
	;; [unrolled: 1-line block ×3, first 2 shown]
.LBB66_31:
	global_load_b32 v0, v0, s[8:9]
	s_wait_loadcnt 0x0
	v_readfirstlane_b32 s1, v0
	s_add_co_i32 s1, s1, -1
	s_delay_alu instid0(SALU_CYCLE_1)
	s_cmp_eq_u32 s1, 0
	s_cbranch_scc1 .LBB66_33
; %bb.32:
	s_cmp_eq_u32 s1, 1
	s_cselect_b32 vcc_lo, -1, 0
	s_cmp_eq_u32 s1, 2
	v_dual_cndmask_b32 v0, v2, v4 :: v_dual_cndmask_b32 v1, v3, v5
	s_cselect_b32 s0, -1, 0
	s_cmp_eq_u32 s1, 0
	v_dual_cndmask_b32 v17, v5, v3, vcc_lo :: v_dual_cndmask_b32 v19, v7, v3, s0
	s_delay_alu instid0(VALU_DEP_2) | instskip(SKIP_3) | instid1(VALU_DEP_3)
	v_dual_cndmask_b32 v0, v0, v6, s0 :: v_dual_cndmask_b32 v1, v1, v7, s0
	v_cndmask_b32_e64 v18, v6, v2, s0
	s_cselect_b32 s0, -1, 0
	v_cndmask_b32_e32 v16, v4, v2, vcc_lo
	v_dual_cndmask_b32 v14, v0, v2, s0 :: v_dual_cndmask_b32 v15, v1, v3, s0
	s_delay_alu instid0(VALU_DEP_1) | instskip(NEXT) | instid1(VALU_DEP_3)
	v_mov_b64_e32 v[2:3], v[14:15]
	v_mov_b64_e32 v[4:5], v[16:17]
	;; [unrolled: 1-line block ×3, first 2 shown]
.LBB66_33:
	v_lshl_add_u64 v[0:1], v[12:13], 3, s[4:5]
	s_clause 0x2
	flat_store_b64 v[8:9], v[2:3]
	flat_store_b64 v[10:11], v[4:5]
	;; [unrolled: 1-line block ×3, first 2 shown]
	s_endpgm
	.section	.rodata,"a",@progbits
	.p2align	6, 0x0
	.amdhsa_kernel _ZN9rocsolver6v33100L18getri_kernel_smallILi3EdPKPdEEvT1_iilPiilS6_bb
		.amdhsa_group_segment_fixed_size 56
		.amdhsa_private_segment_fixed_size 0
		.amdhsa_kernarg_size 60
		.amdhsa_user_sgpr_count 2
		.amdhsa_user_sgpr_dispatch_ptr 0
		.amdhsa_user_sgpr_queue_ptr 0
		.amdhsa_user_sgpr_kernarg_segment_ptr 1
		.amdhsa_user_sgpr_dispatch_id 0
		.amdhsa_user_sgpr_kernarg_preload_length 0
		.amdhsa_user_sgpr_kernarg_preload_offset 0
		.amdhsa_user_sgpr_private_segment_size 0
		.amdhsa_wavefront_size32 1
		.amdhsa_uses_dynamic_stack 0
		.amdhsa_enable_private_segment 0
		.amdhsa_system_sgpr_workgroup_id_x 1
		.amdhsa_system_sgpr_workgroup_id_y 0
		.amdhsa_system_sgpr_workgroup_id_z 0
		.amdhsa_system_sgpr_workgroup_info 0
		.amdhsa_system_vgpr_workitem_id 0
		.amdhsa_next_free_vgpr 26
		.amdhsa_next_free_sgpr 19
		.amdhsa_named_barrier_count 0
		.amdhsa_reserve_vcc 1
		.amdhsa_float_round_mode_32 0
		.amdhsa_float_round_mode_16_64 0
		.amdhsa_float_denorm_mode_32 3
		.amdhsa_float_denorm_mode_16_64 3
		.amdhsa_fp16_overflow 0
		.amdhsa_memory_ordered 1
		.amdhsa_forward_progress 1
		.amdhsa_inst_pref_size 13
		.amdhsa_round_robin_scheduling 0
		.amdhsa_exception_fp_ieee_invalid_op 0
		.amdhsa_exception_fp_denorm_src 0
		.amdhsa_exception_fp_ieee_div_zero 0
		.amdhsa_exception_fp_ieee_overflow 0
		.amdhsa_exception_fp_ieee_underflow 0
		.amdhsa_exception_fp_ieee_inexact 0
		.amdhsa_exception_int_div_zero 0
	.end_amdhsa_kernel
	.section	.text._ZN9rocsolver6v33100L18getri_kernel_smallILi3EdPKPdEEvT1_iilPiilS6_bb,"axG",@progbits,_ZN9rocsolver6v33100L18getri_kernel_smallILi3EdPKPdEEvT1_iilPiilS6_bb,comdat
.Lfunc_end66:
	.size	_ZN9rocsolver6v33100L18getri_kernel_smallILi3EdPKPdEEvT1_iilPiilS6_bb, .Lfunc_end66-_ZN9rocsolver6v33100L18getri_kernel_smallILi3EdPKPdEEvT1_iilPiilS6_bb
                                        ; -- End function
	.set _ZN9rocsolver6v33100L18getri_kernel_smallILi3EdPKPdEEvT1_iilPiilS6_bb.num_vgpr, 26
	.set _ZN9rocsolver6v33100L18getri_kernel_smallILi3EdPKPdEEvT1_iilPiilS6_bb.num_agpr, 0
	.set _ZN9rocsolver6v33100L18getri_kernel_smallILi3EdPKPdEEvT1_iilPiilS6_bb.numbered_sgpr, 19
	.set _ZN9rocsolver6v33100L18getri_kernel_smallILi3EdPKPdEEvT1_iilPiilS6_bb.num_named_barrier, 0
	.set _ZN9rocsolver6v33100L18getri_kernel_smallILi3EdPKPdEEvT1_iilPiilS6_bb.private_seg_size, 0
	.set _ZN9rocsolver6v33100L18getri_kernel_smallILi3EdPKPdEEvT1_iilPiilS6_bb.uses_vcc, 1
	.set _ZN9rocsolver6v33100L18getri_kernel_smallILi3EdPKPdEEvT1_iilPiilS6_bb.uses_flat_scratch, 1
	.set _ZN9rocsolver6v33100L18getri_kernel_smallILi3EdPKPdEEvT1_iilPiilS6_bb.has_dyn_sized_stack, 0
	.set _ZN9rocsolver6v33100L18getri_kernel_smallILi3EdPKPdEEvT1_iilPiilS6_bb.has_recursion, 0
	.set _ZN9rocsolver6v33100L18getri_kernel_smallILi3EdPKPdEEvT1_iilPiilS6_bb.has_indirect_call, 0
	.section	.AMDGPU.csdata,"",@progbits
; Kernel info:
; codeLenInByte = 1656
; TotalNumSgprs: 21
; NumVgprs: 26
; ScratchSize: 0
; MemoryBound: 0
; FloatMode: 240
; IeeeMode: 1
; LDSByteSize: 56 bytes/workgroup (compile time only)
; SGPRBlocks: 0
; VGPRBlocks: 1
; NumSGPRsForWavesPerEU: 21
; NumVGPRsForWavesPerEU: 26
; NamedBarCnt: 0
; Occupancy: 16
; WaveLimiterHint : 1
; COMPUTE_PGM_RSRC2:SCRATCH_EN: 0
; COMPUTE_PGM_RSRC2:USER_SGPR: 2
; COMPUTE_PGM_RSRC2:TRAP_HANDLER: 0
; COMPUTE_PGM_RSRC2:TGID_X_EN: 1
; COMPUTE_PGM_RSRC2:TGID_Y_EN: 0
; COMPUTE_PGM_RSRC2:TGID_Z_EN: 0
; COMPUTE_PGM_RSRC2:TIDIG_COMP_CNT: 0
	.section	.text._ZN9rocsolver6v33100L18getri_kernel_smallILi4EdPKPdEEvT1_iilPiilS6_bb,"axG",@progbits,_ZN9rocsolver6v33100L18getri_kernel_smallILi4EdPKPdEEvT1_iilPiilS6_bb,comdat
	.globl	_ZN9rocsolver6v33100L18getri_kernel_smallILi4EdPKPdEEvT1_iilPiilS6_bb ; -- Begin function _ZN9rocsolver6v33100L18getri_kernel_smallILi4EdPKPdEEvT1_iilPiilS6_bb
	.p2align	8
	.type	_ZN9rocsolver6v33100L18getri_kernel_smallILi4EdPKPdEEvT1_iilPiilS6_bb,@function
_ZN9rocsolver6v33100L18getri_kernel_smallILi4EdPKPdEEvT1_iilPiilS6_bb: ; @_ZN9rocsolver6v33100L18getri_kernel_smallILi4EdPKPdEEvT1_iilPiilS6_bb
; %bb.0:
	s_mov_b32 s2, exec_lo
	v_cmpx_gt_u32_e32 4, v0
	s_cbranch_execz .LBB67_16
; %bb.1:
	s_clause 0x1
	s_load_b32 s13, s[0:1], 0x38
	s_load_b64 s[2:3], s[0:1], 0x0
	s_getreg_b32 s6, hwreg(HW_REG_IB_STS2, 6, 4)
	s_wait_kmcnt 0x0
	s_bitcmp1_b32 s13, 8
	s_cselect_b32 s12, -1, 0
	s_bfe_u32 s4, ttmp6, 0x4000c
	s_and_b32 s5, ttmp6, 15
	s_add_co_i32 s4, s4, 1
	s_delay_alu instid0(SALU_CYCLE_1) | instskip(NEXT) | instid1(SALU_CYCLE_1)
	s_mul_i32 s4, ttmp9, s4
	s_add_co_i32 s5, s5, s4
	s_cmp_eq_u32 s6, 0
	s_cselect_b32 s10, ttmp9, s5
	s_load_b128 s[4:7], s[0:1], 0x28
	s_ashr_i32 s11, s10, 31
	s_delay_alu instid0(SALU_CYCLE_1) | instskip(NEXT) | instid1(SALU_CYCLE_1)
	s_lshl_b64 s[8:9], s[10:11], 3
	s_add_nc_u64 s[2:3], s[2:3], s[8:9]
	s_bfe_u32 s8, s13, 0x10008
	s_load_b64 s[2:3], s[2:3], 0x0
	s_cmp_eq_u32 s8, 0
                                        ; implicit-def: $sgpr8_sgpr9
	s_cbranch_scc1 .LBB67_3
; %bb.2:
	s_load_b96 s[16:18], s[0:1], 0x18
	s_wait_kmcnt 0x0
	s_mul_u64 s[4:5], s[4:5], s[10:11]
	s_delay_alu instid0(SALU_CYCLE_1) | instskip(SKIP_4) | instid1(SALU_CYCLE_1)
	s_lshl_b64 s[4:5], s[4:5], 2
	s_ashr_i32 s9, s18, 31
	s_mov_b32 s8, s18
	s_add_nc_u64 s[4:5], s[16:17], s[4:5]
	s_lshl_b64 s[8:9], s[8:9], 2
	s_add_nc_u64 s[8:9], s[4:5], s[8:9]
.LBB67_3:
	s_clause 0x1
	s_load_b64 s[14:15], s[0:1], 0x8
	s_load_b32 s13, s[0:1], 0x38
	v_dual_mov_b32 v1, 0 :: v_dual_lshlrev_b32 v18, 3, v0
	s_wait_kmcnt 0x0
	s_ashr_i32 s1, s14, 31
	s_mov_b32 s0, s14
	v_add3_u32 v14, s15, s15, v0
	v_mov_b32_e32 v19, v1
	s_lshl_b64 s[0:1], s[0:1], 3
	s_delay_alu instid0(SALU_CYCLE_1) | instskip(NEXT) | instid1(VALU_DEP_2)
	s_add_nc_u64 s[4:5], s[2:3], s[0:1]
	v_add_nc_u32_e32 v16, s15, v14
	s_delay_alu instid0(VALU_DEP_2) | instskip(SKIP_3) | instid1(VALU_DEP_1)
	v_add_nc_u64_e32 v[10:11], s[4:5], v[18:19]
	s_ashr_i32 s1, s15, 31
	s_mov_b32 s0, s15
	s_bitcmp0_b32 s13, 0
	v_lshl_add_u64 v[12:13], s[0:1], 3, v[10:11]
	s_mov_b32 s0, -1
	s_clause 0x3
	flat_load_b64 v[4:5], v[12:13]
	flat_load_b64 v[2:3], v0, s[4:5] scale_offset
	flat_load_b64 v[6:7], v14, s[4:5] scale_offset
	;; [unrolled: 1-line block ×3, first 2 shown]
	s_cbranch_scc1 .LBB67_14
; %bb.4:
	v_cmp_eq_u32_e64 s0, 0, v0
	s_wait_xcnt 0x0
	s_and_saveexec_b32 s1, s0
; %bb.5:
	v_mov_b32_e32 v15, 0
	ds_store_b32 v15, v15 offset:64
; %bb.6:
	s_or_b32 exec_lo, exec_lo, s1
	v_cmp_eq_u32_e32 vcc_lo, 1, v0
	s_mov_b32 s2, exec_lo
	s_wait_loadcnt_dscnt 0x0
	s_barrier_signal -1
	s_barrier_wait -1
	v_dual_cndmask_b32 v15, v3, v5, vcc_lo :: v_dual_cndmask_b32 v17, v2, v4, vcc_lo
	v_cmp_eq_u32_e32 vcc_lo, 2, v0
	s_delay_alu instid0(VALU_DEP_2) | instskip(SKIP_1) | instid1(VALU_DEP_2)
	v_dual_cndmask_b32 v15, v15, v7, vcc_lo :: v_dual_cndmask_b32 v17, v17, v6, vcc_lo
	v_cmp_eq_u32_e32 vcc_lo, 3, v0
	v_dual_cndmask_b32 v21, v15, v9 :: v_dual_cndmask_b32 v20, v17, v8
	s_delay_alu instid0(VALU_DEP_1)
	v_cmpx_eq_f64_e32 0, v[20:21]
	s_cbranch_execz .LBB67_10
; %bb.7:
	v_mov_b32_e32 v15, 0
	s_mov_b32 s3, 0
	ds_load_b32 v17, v15 offset:64
	s_wait_dscnt 0x0
	v_readfirstlane_b32 s1, v17
	v_add_nc_u32_e32 v17, 1, v0
	s_cmp_eq_u32 s1, 0
	s_delay_alu instid0(VALU_DEP_1) | instskip(SKIP_1) | instid1(SALU_CYCLE_1)
	v_cmp_gt_i32_e32 vcc_lo, s1, v17
	s_cselect_b32 s13, -1, 0
	s_or_b32 s13, s13, vcc_lo
	s_delay_alu instid0(SALU_CYCLE_1)
	s_and_b32 exec_lo, exec_lo, s13
	s_cbranch_execz .LBB67_10
; %bb.8:
	v_mov_b32_e32 v19, s1
.LBB67_9:                               ; =>This Inner Loop Header: Depth=1
	ds_cmpstore_rtn_b32 v19, v15, v17, v19 offset:64
	s_wait_dscnt 0x0
	v_cmp_ne_u32_e32 vcc_lo, 0, v19
	v_cmp_le_i32_e64 s1, v19, v17
	s_and_b32 s1, vcc_lo, s1
	s_delay_alu instid0(SALU_CYCLE_1) | instskip(NEXT) | instid1(SALU_CYCLE_1)
	s_and_b32 s1, exec_lo, s1
	s_or_b32 s3, s1, s3
	s_delay_alu instid0(SALU_CYCLE_1)
	s_and_not1_b32 exec_lo, exec_lo, s3
	s_cbranch_execnz .LBB67_9
.LBB67_10:
	s_or_b32 exec_lo, exec_lo, s2
	v_mov_b32_e32 v15, 0
	s_barrier_signal -1
	s_barrier_wait -1
	ds_load_b32 v17, v15 offset:64
	s_and_saveexec_b32 s1, s0
	s_cbranch_execz .LBB67_12
; %bb.11:
	s_lshl_b64 s[2:3], s[10:11], 2
	s_delay_alu instid0(SALU_CYCLE_1)
	s_add_nc_u64 s[2:3], s[6:7], s[2:3]
	s_wait_dscnt 0x0
	global_store_b32 v15, v17, s[2:3]
.LBB67_12:
	s_wait_xcnt 0x0
	s_or_b32 exec_lo, exec_lo, s1
	s_wait_dscnt 0x0
	v_cmp_ne_u32_e32 vcc_lo, 0, v17
	s_cbranch_vccz .LBB67_17
; %bb.13:
	s_mov_b32 s0, 0
                                        ; implicit-def: $vgpr2_vgpr3_vgpr4_vgpr5_vgpr6_vgpr7_vgpr8_vgpr9
.LBB67_14:
	s_delay_alu instid0(SALU_CYCLE_1)
	s_and_b32 vcc_lo, exec_lo, s0
	s_cbranch_vccz .LBB67_16
.LBB67_15:
	v_mov_b32_e32 v1, 0
	s_lshl_b64 s[0:1], s[10:11], 2
	s_delay_alu instid0(SALU_CYCLE_1)
	s_add_nc_u64 s[0:1], s[6:7], s[0:1]
	global_load_b32 v1, v1, s[0:1]
	s_wait_loadcnt 0x0
	v_cmp_ne_u32_e32 vcc_lo, 0, v1
	s_cbranch_vccz .LBB67_28
.LBB67_16:
	s_endpgm
.LBB67_17:
	v_div_scale_f64 v[22:23], null, v[20:21], v[20:21], 1.0
	v_div_scale_f64 v[28:29], vcc_lo, 1.0, v[20:21], 1.0
	v_cmp_eq_u32_e64 s1, 2, v0
	v_cmp_eq_u32_e64 s2, 1, v0
	;; [unrolled: 1-line block ×3, first 2 shown]
	v_add_nc_u32_e32 v15, 32, v18
	v_rcp_f64_e32 v[24:25], v[22:23]
	v_nop
	s_delay_alu instid0(TRANS32_DEP_1) | instskip(NEXT) | instid1(VALU_DEP_1)
	v_fma_f64 v[26:27], -v[22:23], v[24:25], 1.0
	v_fmac_f64_e32 v[24:25], v[24:25], v[26:27]
	s_delay_alu instid0(VALU_DEP_1) | instskip(NEXT) | instid1(VALU_DEP_1)
	v_fma_f64 v[26:27], -v[22:23], v[24:25], 1.0
	v_fmac_f64_e32 v[24:25], v[24:25], v[26:27]
	s_delay_alu instid0(VALU_DEP_1) | instskip(NEXT) | instid1(VALU_DEP_1)
	v_mul_f64_e32 v[26:27], v[28:29], v[24:25]
	v_fma_f64 v[22:23], -v[22:23], v[26:27], v[28:29]
	s_delay_alu instid0(VALU_DEP_1) | instskip(SKIP_1) | instid1(VALU_DEP_2)
	v_div_fmas_f64 v[22:23], v[22:23], v[24:25], v[26:27]
	v_cmp_eq_u32_e32 vcc_lo, 3, v0
	v_div_fixup_f64 v[20:21], v[22:23], v[20:21], 1.0
	s_delay_alu instid0(VALU_DEP_1)
	v_dual_cndmask_b32 v9, v9, v21 :: v_dual_cndmask_b32 v8, v8, v20
	v_dual_cndmask_b32 v5, v5, v21, s2 :: v_dual_cndmask_b32 v4, v4, v20, s2
	v_cndmask_b32_e64 v7, v7, v21, s1
	v_xor_b32_e32 v23, 0x80000000, v21
	v_dual_mov_b32 v22, v20 :: v_dual_cndmask_b32 v6, v6, v20, s1
	v_dual_cndmask_b32 v3, v3, v21, s3 :: v_dual_cndmask_b32 v2, v2, v20, s3
	ds_store_2addr_b64 v18, v[22:23], v[4:5] offset1:4
	s_wait_storecnt_dscnt 0x0
	s_barrier_signal -1
	s_barrier_wait -1
	s_and_saveexec_b32 s1, s0
	s_cbranch_execz .LBB67_19
; %bb.18:
	ds_load_b64 v[4:5], v15
	v_mov_b32_e32 v17, 0
	ds_load_b64 v[18:19], v17 offset:8
	s_wait_dscnt 0x1
	v_fma_f64 v[4:5], v[20:21], v[4:5], 0
	s_wait_dscnt 0x0
	s_delay_alu instid0(VALU_DEP_1)
	v_mul_f64_e32 v[4:5], v[4:5], v[18:19]
.LBB67_19:
	s_or_b32 exec_lo, exec_lo, s1
	s_delay_alu instid0(SALU_CYCLE_1)
	s_mov_b32 s1, exec_lo
	s_barrier_signal -1
	s_barrier_wait -1
	ds_store_b64 v15, v[6:7]
	s_wait_dscnt 0x0
	s_barrier_signal -1
	s_barrier_wait -1
	v_cmpx_gt_u32_e32 2, v0
	s_cbranch_execz .LBB67_23
; %bb.20:
	v_cmp_eq_u32_e32 vcc_lo, 1, v0
	ds_load_b64 v[18:19], v15
	v_dual_cndmask_b32 v17, v3, v5 :: v_dual_cndmask_b32 v20, v2, v4
	v_cmp_eq_u32_e32 vcc_lo, 2, v0
	s_delay_alu instid0(VALU_DEP_2) | instskip(SKIP_1) | instid1(VALU_DEP_2)
	v_dual_cndmask_b32 v7, v17, v7 :: v_dual_cndmask_b32 v6, v20, v6
	v_cmp_eq_u32_e32 vcc_lo, 3, v0
	v_dual_cndmask_b32 v7, v7, v9 :: v_dual_cndmask_b32 v6, v6, v8
	s_wait_dscnt 0x0
	s_delay_alu instid0(VALU_DEP_1)
	v_fma_f64 v[6:7], v[6:7], v[18:19], 0
	s_and_saveexec_b32 s2, s0
	s_cbranch_execz .LBB67_22
; %bb.21:
	v_mov_b32_e32 v17, 0
	ds_load_b64 v[18:19], v17 offset:40
	s_wait_dscnt 0x0
	v_fmac_f64_e32 v[6:7], v[4:5], v[18:19]
.LBB67_22:
	s_or_b32 exec_lo, exec_lo, s2
	v_mov_b32_e32 v17, 0
	ds_load_b64 v[18:19], v17 offset:16
	s_wait_dscnt 0x0
	v_mul_f64_e32 v[6:7], v[6:7], v[18:19]
.LBB67_23:
	s_or_b32 exec_lo, exec_lo, s1
	s_delay_alu instid0(SALU_CYCLE_1)
	s_mov_b32 s1, exec_lo
	s_barrier_signal -1
	s_barrier_wait -1
	ds_store_b64 v15, v[8:9]
	s_wait_dscnt 0x0
	s_barrier_signal -1
	s_barrier_wait -1
	v_cmpx_ne_u32_e32 3, v0
	s_cbranch_execz .LBB67_27
; %bb.24:
	v_mov_b64_e32 v[18:19], 0
	v_mov_b64_e32 v[20:21], v[0:1]
	v_lshl_add_u32 v15, v0, 3, 32
	s_mov_b32 s2, 0
.LBB67_25:                              ; =>This Inner Loop Header: Depth=1
	ds_load_b64 v[22:23], v15
	v_cmp_eq_u32_e32 vcc_lo, 1, v20
	v_cmp_eq_u32_e64 s0, 2, v20
	v_dual_add_nc_u32 v15, 8, v15 :: v_dual_cndmask_b32 v1, v3, v5, vcc_lo
	v_cndmask_b32_e32 v17, v2, v4, vcc_lo
	v_cmp_eq_u32_e32 vcc_lo, 3, v20
	v_add_nc_u64_e32 v[20:21], 1, v[20:21]
	s_delay_alu instid0(VALU_DEP_4) | instskip(NEXT) | instid1(VALU_DEP_4)
	v_cndmask_b32_e64 v1, v1, v7, s0
	v_cndmask_b32_e64 v17, v17, v6, s0
	s_delay_alu instid0(VALU_DEP_2) | instskip(NEXT) | instid1(VALU_DEP_2)
	v_dual_cndmask_b32 v25, v1, v9, vcc_lo :: v_dual_add_nc_u32 v1, -1, v20
	v_cndmask_b32_e32 v24, v17, v8, vcc_lo
	s_delay_alu instid0(VALU_DEP_2) | instskip(SKIP_1) | instid1(VALU_DEP_2)
	v_cmp_lt_u32_e32 vcc_lo, 1, v1
	s_wait_dscnt 0x0
	v_fmac_f64_e32 v[18:19], v[24:25], v[22:23]
	s_or_b32 s2, vcc_lo, s2
	s_delay_alu instid0(SALU_CYCLE_1)
	s_and_not1_b32 exec_lo, exec_lo, s2
	s_cbranch_execnz .LBB67_25
; %bb.26:
	s_or_b32 exec_lo, exec_lo, s2
	v_mov_b32_e32 v1, 0
	ds_load_b64 v[8:9], v1 offset:24
	s_wait_dscnt 0x0
	v_mul_f64_e32 v[8:9], v[18:19], v[8:9]
.LBB67_27:
	s_or_b32 exec_lo, exec_lo, s1
	s_barrier_signal -1
	s_barrier_wait -1
	s_cbranch_execnz .LBB67_15
	s_branch .LBB67_16
.LBB67_28:
	s_wait_xcnt 0x0
	v_lshl_add_u32 v1, v0, 3, 32
	s_mov_b32 s0, exec_lo
	v_cmpx_eq_u32_e32 3, v0
	s_cbranch_execz .LBB67_30
; %bb.29:
	s_wait_dscnt 0x0
	v_mov_b64_e32 v[24:25], v[8:9]
	v_mov_b64_e32 v[18:19], v[2:3]
	s_mov_b32 s1, 0
	v_mov_b64_e32 v[20:21], v[4:5]
	v_mov_b64_e32 v[22:23], v[6:7]
	v_dual_mov_b32 v22, s1 :: v_dual_mov_b32 v23, s1
	ds_store_b64 v1, v[6:7]
	v_mov_b64_e32 v[2:3], v[18:19]
	v_mov_b64_e32 v[8:9], v[24:25]
	;; [unrolled: 1-line block ×4, first 2 shown]
.LBB67_30:
	s_or_b32 exec_lo, exec_lo, s0
	v_mov_b32_e32 v15, 0
	s_wait_storecnt_dscnt 0x0
	s_barrier_signal -1
	s_barrier_wait -1
	ds_load_b64 v[18:19], v15 offset:56
	s_mov_b32 s0, exec_lo
	s_wait_dscnt 0x0
	v_fma_f64 v[18:19], v[8:9], v[18:19], 0
	s_delay_alu instid0(VALU_DEP_1)
	v_add_f64_e64 v[6:7], v[6:7], -v[18:19]
	v_cmpx_lt_u32_e32 1, v0
	s_cbranch_execz .LBB67_32
; %bb.31:
	v_mov_b64_e32 v[24:25], v[8:9]
	v_mov_b64_e32 v[18:19], v[2:3]
	s_mov_b32 s1, 0
	s_delay_alu instid0(VALU_DEP_4)
	v_mov_b64_e32 v[22:23], v[6:7]
	v_mov_b64_e32 v[20:21], v[4:5]
	v_dual_mov_b32 v20, s1 :: v_dual_mov_b32 v21, s1
	ds_store_b64 v1, v[4:5]
	v_mov_b64_e32 v[2:3], v[18:19]
	v_mov_b64_e32 v[8:9], v[24:25]
	;; [unrolled: 1-line block ×4, first 2 shown]
.LBB67_32:
	s_or_b32 exec_lo, exec_lo, s0
	s_wait_dscnt 0x0
	s_barrier_signal -1
	s_barrier_wait -1
	ds_load_b128 v[18:21], v15 offset:48
	v_ashrrev_i32_e32 v15, 31, v14
	s_mov_b32 s1, 0
	s_mov_b32 s0, exec_lo
	v_ashrrev_i32_e32 v17, 31, v16
	s_wait_dscnt 0x0
	v_fma_f64 v[18:19], v[6:7], v[18:19], 0
	s_delay_alu instid0(VALU_DEP_1) | instskip(NEXT) | instid1(VALU_DEP_1)
	v_fmac_f64_e32 v[18:19], v[8:9], v[20:21]
	v_add_f64_e64 v[4:5], v[4:5], -v[18:19]
	v_cmpx_ne_u32_e32 0, v0
	s_cbranch_execz .LBB67_34
; %bb.33:
	v_mov_b64_e32 v[24:25], v[8:9]
	v_mov_b64_e32 v[22:23], v[6:7]
	s_delay_alu instid0(VALU_DEP_4)
	v_mov_b64_e32 v[20:21], v[4:5]
	v_mov_b64_e32 v[18:19], v[2:3]
	v_dual_mov_b32 v18, s1 :: v_dual_mov_b32 v19, s1
	ds_store_b64 v1, v[2:3]
	v_mov_b64_e32 v[2:3], v[18:19]
	v_mov_b64_e32 v[4:5], v[20:21]
	;; [unrolled: 1-line block ×4, first 2 shown]
.LBB67_34:
	s_or_b32 exec_lo, exec_lo, s0
	v_mov_b32_e32 v0, 0
	s_wait_dscnt 0x0
	s_barrier_signal -1
	s_barrier_wait -1
	ds_load_2addr_b64 v[18:21], v0 offset0:5 offset1:6
	ds_load_b64 v[22:23], v0 offset:56
	s_and_b32 vcc_lo, exec_lo, s12
	s_wait_dscnt 0x1
	v_fma_f64 v[18:19], v[4:5], v[18:19], 0
	s_delay_alu instid0(VALU_DEP_1) | instskip(SKIP_1) | instid1(VALU_DEP_1)
	v_fmac_f64_e32 v[18:19], v[6:7], v[20:21]
	s_wait_dscnt 0x0
	v_fmac_f64_e32 v[18:19], v[8:9], v[22:23]
	s_delay_alu instid0(VALU_DEP_1)
	v_add_f64_e64 v[2:3], v[2:3], -v[18:19]
	s_cbranch_vccz .LBB67_41
; %bb.35:
	global_load_b32 v0, v0, s[8:9] offset:8
	s_wait_loadcnt 0x0
	v_readfirstlane_b32 s1, v0
	s_add_co_i32 s1, s1, -1
	s_delay_alu instid0(SALU_CYCLE_1)
	s_cmp_lg_u32 s1, 2
	s_cbranch_scc0 .LBB67_37
; %bb.36:
	s_cmp_eq_u32 s1, 1
	s_cselect_b32 vcc_lo, -1, 0
	s_cmp_eq_u32 s1, 2
	v_dual_cndmask_b32 v0, v2, v4 :: v_dual_cndmask_b32 v1, v3, v5
	s_cselect_b32 s0, -1, 0
	s_cmp_eq_u32 s1, 3
	v_dual_cndmask_b32 v21, v5, v7 :: v_dual_cndmask_b32 v20, v4, v6
	s_delay_alu instid0(VALU_DEP_2) | instskip(SKIP_3) | instid1(VALU_DEP_2)
	v_dual_cndmask_b32 v0, v0, v6, s0 :: v_dual_cndmask_b32 v1, v1, v7, s0
	s_cselect_b32 vcc_lo, -1, 0
	s_cmp_eq_u32 s1, 0
	v_dual_cndmask_b32 v25, v9, v7 :: v_dual_cndmask_b32 v24, v8, v6
	v_dual_cndmask_b32 v0, v0, v8 :: v_dual_cndmask_b32 v1, v1, v9
	s_cselect_b32 vcc_lo, -1, 0
	v_dual_cndmask_b32 v19, v3, v7 :: v_dual_cndmask_b32 v18, v2, v6
	s_delay_alu instid0(VALU_DEP_2) | instskip(NEXT) | instid1(VALU_DEP_2)
	v_dual_cndmask_b32 v22, v0, v6, s0 :: v_dual_cndmask_b32 v23, v1, v7, s0
	v_mov_b64_e32 v[2:3], v[18:19]
	v_mov_b64_e32 v[4:5], v[20:21]
	s_delay_alu instid0(VALU_DEP_3)
	v_mov_b64_e32 v[6:7], v[22:23]
	v_mov_b64_e32 v[8:9], v[24:25]
.LBB67_37:
	v_mov_b32_e32 v0, 0
	global_load_b32 v1, v0, s[8:9] offset:4
	s_wait_loadcnt 0x0
	v_readfirstlane_b32 s1, v1
	s_add_co_i32 s1, s1, -1
	s_delay_alu instid0(SALU_CYCLE_1)
	s_cmp_eq_u32 s1, 1
	s_cbranch_scc1 .LBB67_39
; %bb.38:
	s_cselect_b32 vcc_lo, -1, 0
	s_cmp_eq_u32 s1, 2
	v_dual_cndmask_b32 v1, v2, v4 :: v_dual_cndmask_b32 v18, v3, v5
	s_cselect_b32 s0, -1, 0
	s_cmp_eq_u32 s1, 3
	v_dual_cndmask_b32 v23, v7, v5, s0 :: v_dual_cndmask_b32 v22, v6, v4, s0
	s_delay_alu instid0(VALU_DEP_2) | instskip(SKIP_3) | instid1(VALU_DEP_2)
	v_dual_cndmask_b32 v1, v1, v6, s0 :: v_dual_cndmask_b32 v18, v18, v7, s0
	s_cselect_b32 s0, -1, 0
	s_cmp_eq_u32 s1, 0
	v_dual_cndmask_b32 v25, v9, v5, s0 :: v_dual_cndmask_b32 v24, v8, v4, s0
	v_dual_cndmask_b32 v1, v1, v8, s0 :: v_dual_cndmask_b32 v6, v18, v9, s0
	s_delay_alu instid0(VALU_DEP_1) | instskip(SKIP_2) | instid1(VALU_DEP_1)
	v_dual_cndmask_b32 v20, v1, v4 :: v_dual_cndmask_b32 v21, v6, v5
	s_cselect_b32 vcc_lo, -1, 0
	v_dual_cndmask_b32 v19, v3, v5 :: v_dual_cndmask_b32 v18, v2, v4
	v_mov_b64_e32 v[2:3], v[18:19]
	s_delay_alu instid0(VALU_DEP_3)
	v_mov_b64_e32 v[4:5], v[20:21]
	v_mov_b64_e32 v[6:7], v[22:23]
	;; [unrolled: 1-line block ×3, first 2 shown]
.LBB67_39:
	global_load_b32 v0, v0, s[8:9]
	s_wait_loadcnt 0x0
	v_readfirstlane_b32 s2, v0
	s_add_co_i32 s2, s2, -1
	s_delay_alu instid0(SALU_CYCLE_1)
	s_cmp_eq_u32 s2, 0
	s_cbranch_scc1 .LBB67_41
; %bb.40:
	s_cmp_eq_u32 s2, 1
	s_cselect_b32 vcc_lo, -1, 0
	s_cmp_eq_u32 s2, 2
	v_dual_cndmask_b32 v0, v2, v4 :: v_dual_cndmask_b32 v1, v3, v5
	s_cselect_b32 s0, -1, 0
	s_cmp_eq_u32 s2, 3
	v_dual_cndmask_b32 v21, v5, v3 :: v_dual_cndmask_b32 v20, v4, v2
	s_delay_alu instid0(VALU_DEP_2) | instskip(SKIP_3) | instid1(VALU_DEP_2)
	v_dual_cndmask_b32 v0, v0, v6, s0 :: v_dual_cndmask_b32 v1, v1, v7, s0
	s_cselect_b32 s1, -1, 0
	v_cndmask_b32_e64 v23, v7, v3, s0
	s_cmp_eq_u32 s2, 0
	v_dual_cndmask_b32 v0, v0, v8, s1 :: v_dual_cndmask_b32 v1, v1, v9, s1
	v_cndmask_b32_e64 v22, v6, v2, s0
	s_cselect_b32 s0, -1, 0
	v_dual_cndmask_b32 v25, v9, v3, s1 :: v_dual_cndmask_b32 v24, v8, v2, s1
	s_delay_alu instid0(VALU_DEP_3) | instskip(NEXT) | instid1(VALU_DEP_1)
	v_dual_cndmask_b32 v19, v1, v3, s0 :: v_dual_cndmask_b32 v18, v0, v2, s0
	v_mov_b64_e32 v[2:3], v[18:19]
	v_mov_b64_e32 v[4:5], v[20:21]
	;; [unrolled: 1-line block ×4, first 2 shown]
.LBB67_41:
	v_lshl_add_u64 v[14:15], v[14:15], 3, s[4:5]
	v_lshl_add_u64 v[0:1], v[16:17], 3, s[4:5]
	s_clause 0x3
	flat_store_b64 v[10:11], v[2:3]
	flat_store_b64 v[12:13], v[4:5]
	;; [unrolled: 1-line block ×4, first 2 shown]
	s_endpgm
	.section	.rodata,"a",@progbits
	.p2align	6, 0x0
	.amdhsa_kernel _ZN9rocsolver6v33100L18getri_kernel_smallILi4EdPKPdEEvT1_iilPiilS6_bb
		.amdhsa_group_segment_fixed_size 72
		.amdhsa_private_segment_fixed_size 0
		.amdhsa_kernarg_size 60
		.amdhsa_user_sgpr_count 2
		.amdhsa_user_sgpr_dispatch_ptr 0
		.amdhsa_user_sgpr_queue_ptr 0
		.amdhsa_user_sgpr_kernarg_segment_ptr 1
		.amdhsa_user_sgpr_dispatch_id 0
		.amdhsa_user_sgpr_kernarg_preload_length 0
		.amdhsa_user_sgpr_kernarg_preload_offset 0
		.amdhsa_user_sgpr_private_segment_size 0
		.amdhsa_wavefront_size32 1
		.amdhsa_uses_dynamic_stack 0
		.amdhsa_enable_private_segment 0
		.amdhsa_system_sgpr_workgroup_id_x 1
		.amdhsa_system_sgpr_workgroup_id_y 0
		.amdhsa_system_sgpr_workgroup_id_z 0
		.amdhsa_system_sgpr_workgroup_info 0
		.amdhsa_system_vgpr_workitem_id 0
		.amdhsa_next_free_vgpr 30
		.amdhsa_next_free_sgpr 19
		.amdhsa_named_barrier_count 0
		.amdhsa_reserve_vcc 1
		.amdhsa_float_round_mode_32 0
		.amdhsa_float_round_mode_16_64 0
		.amdhsa_float_denorm_mode_32 3
		.amdhsa_float_denorm_mode_16_64 3
		.amdhsa_fp16_overflow 0
		.amdhsa_memory_ordered 1
		.amdhsa_forward_progress 1
		.amdhsa_inst_pref_size 19
		.amdhsa_round_robin_scheduling 0
		.amdhsa_exception_fp_ieee_invalid_op 0
		.amdhsa_exception_fp_denorm_src 0
		.amdhsa_exception_fp_ieee_div_zero 0
		.amdhsa_exception_fp_ieee_overflow 0
		.amdhsa_exception_fp_ieee_underflow 0
		.amdhsa_exception_fp_ieee_inexact 0
		.amdhsa_exception_int_div_zero 0
	.end_amdhsa_kernel
	.section	.text._ZN9rocsolver6v33100L18getri_kernel_smallILi4EdPKPdEEvT1_iilPiilS6_bb,"axG",@progbits,_ZN9rocsolver6v33100L18getri_kernel_smallILi4EdPKPdEEvT1_iilPiilS6_bb,comdat
.Lfunc_end67:
	.size	_ZN9rocsolver6v33100L18getri_kernel_smallILi4EdPKPdEEvT1_iilPiilS6_bb, .Lfunc_end67-_ZN9rocsolver6v33100L18getri_kernel_smallILi4EdPKPdEEvT1_iilPiilS6_bb
                                        ; -- End function
	.set _ZN9rocsolver6v33100L18getri_kernel_smallILi4EdPKPdEEvT1_iilPiilS6_bb.num_vgpr, 30
	.set _ZN9rocsolver6v33100L18getri_kernel_smallILi4EdPKPdEEvT1_iilPiilS6_bb.num_agpr, 0
	.set _ZN9rocsolver6v33100L18getri_kernel_smallILi4EdPKPdEEvT1_iilPiilS6_bb.numbered_sgpr, 19
	.set _ZN9rocsolver6v33100L18getri_kernel_smallILi4EdPKPdEEvT1_iilPiilS6_bb.num_named_barrier, 0
	.set _ZN9rocsolver6v33100L18getri_kernel_smallILi4EdPKPdEEvT1_iilPiilS6_bb.private_seg_size, 0
	.set _ZN9rocsolver6v33100L18getri_kernel_smallILi4EdPKPdEEvT1_iilPiilS6_bb.uses_vcc, 1
	.set _ZN9rocsolver6v33100L18getri_kernel_smallILi4EdPKPdEEvT1_iilPiilS6_bb.uses_flat_scratch, 1
	.set _ZN9rocsolver6v33100L18getri_kernel_smallILi4EdPKPdEEvT1_iilPiilS6_bb.has_dyn_sized_stack, 0
	.set _ZN9rocsolver6v33100L18getri_kernel_smallILi4EdPKPdEEvT1_iilPiilS6_bb.has_recursion, 0
	.set _ZN9rocsolver6v33100L18getri_kernel_smallILi4EdPKPdEEvT1_iilPiilS6_bb.has_indirect_call, 0
	.section	.AMDGPU.csdata,"",@progbits
; Kernel info:
; codeLenInByte = 2332
; TotalNumSgprs: 21
; NumVgprs: 30
; ScratchSize: 0
; MemoryBound: 0
; FloatMode: 240
; IeeeMode: 1
; LDSByteSize: 72 bytes/workgroup (compile time only)
; SGPRBlocks: 0
; VGPRBlocks: 1
; NumSGPRsForWavesPerEU: 21
; NumVGPRsForWavesPerEU: 30
; NamedBarCnt: 0
; Occupancy: 16
; WaveLimiterHint : 1
; COMPUTE_PGM_RSRC2:SCRATCH_EN: 0
; COMPUTE_PGM_RSRC2:USER_SGPR: 2
; COMPUTE_PGM_RSRC2:TRAP_HANDLER: 0
; COMPUTE_PGM_RSRC2:TGID_X_EN: 1
; COMPUTE_PGM_RSRC2:TGID_Y_EN: 0
; COMPUTE_PGM_RSRC2:TGID_Z_EN: 0
; COMPUTE_PGM_RSRC2:TIDIG_COMP_CNT: 0
	.section	.text._ZN9rocsolver6v33100L18getri_kernel_smallILi5EdPKPdEEvT1_iilPiilS6_bb,"axG",@progbits,_ZN9rocsolver6v33100L18getri_kernel_smallILi5EdPKPdEEvT1_iilPiilS6_bb,comdat
	.globl	_ZN9rocsolver6v33100L18getri_kernel_smallILi5EdPKPdEEvT1_iilPiilS6_bb ; -- Begin function _ZN9rocsolver6v33100L18getri_kernel_smallILi5EdPKPdEEvT1_iilPiilS6_bb
	.p2align	8
	.type	_ZN9rocsolver6v33100L18getri_kernel_smallILi5EdPKPdEEvT1_iilPiilS6_bb,@function
_ZN9rocsolver6v33100L18getri_kernel_smallILi5EdPKPdEEvT1_iilPiilS6_bb: ; @_ZN9rocsolver6v33100L18getri_kernel_smallILi5EdPKPdEEvT1_iilPiilS6_bb
; %bb.0:
	s_mov_b32 s2, exec_lo
	v_cmpx_gt_u32_e32 5, v0
	s_cbranch_execz .LBB68_16
; %bb.1:
	s_clause 0x1
	s_load_b32 s10, s[0:1], 0x38
	s_load_b64 s[2:3], s[0:1], 0x0
	s_getreg_b32 s6, hwreg(HW_REG_IB_STS2, 6, 4)
	s_wait_kmcnt 0x0
	s_bitcmp1_b32 s10, 8
	s_cselect_b32 s14, -1, 0
	s_bfe_u32 s4, ttmp6, 0x4000c
	s_and_b32 s5, ttmp6, 15
	s_add_co_i32 s4, s4, 1
	s_delay_alu instid0(SALU_CYCLE_1) | instskip(NEXT) | instid1(SALU_CYCLE_1)
	s_mul_i32 s4, ttmp9, s4
	s_add_co_i32 s5, s5, s4
	s_cmp_eq_u32 s6, 0
	s_cselect_b32 s12, ttmp9, s5
	s_load_b128 s[4:7], s[0:1], 0x28
	s_ashr_i32 s13, s12, 31
	s_delay_alu instid0(SALU_CYCLE_1) | instskip(NEXT) | instid1(SALU_CYCLE_1)
	s_lshl_b64 s[8:9], s[12:13], 3
	s_add_nc_u64 s[2:3], s[2:3], s[8:9]
	s_bfe_u32 s8, s10, 0x10008
	s_load_b64 s[2:3], s[2:3], 0x0
	s_cmp_eq_u32 s8, 0
                                        ; implicit-def: $sgpr10_sgpr11
	s_cbranch_scc1 .LBB68_3
; %bb.2:
	s_load_b96 s[8:10], s[0:1], 0x18
	s_wait_kmcnt 0x0
	s_mul_u64 s[4:5], s[4:5], s[12:13]
	s_delay_alu instid0(SALU_CYCLE_1) | instskip(SKIP_3) | instid1(SALU_CYCLE_1)
	s_lshl_b64 s[4:5], s[4:5], 2
	s_ashr_i32 s11, s10, 31
	s_add_nc_u64 s[4:5], s[8:9], s[4:5]
	s_lshl_b64 s[8:9], s[10:11], 2
	s_add_nc_u64 s[10:11], s[4:5], s[8:9]
.LBB68_3:
	s_wait_kmcnt 0x0
	s_clause 0x1
	s_load_b64 s[4:5], s[0:1], 0x8
	s_load_b32 s15, s[0:1], 0x38
	v_dual_mov_b32 v1, 0 :: v_dual_lshlrev_b32 v12, 3, v0
	s_wait_kmcnt 0x0
	s_ashr_i32 s1, s4, 31
	s_mov_b32 s0, s4
	v_add3_u32 v32, s5, s5, v0
	v_mov_b32_e32 v13, v1
	s_lshl_b64 s[0:1], s[0:1], 3
	s_delay_alu instid0(SALU_CYCLE_1) | instskip(NEXT) | instid1(VALU_DEP_2)
	s_add_nc_u64 s[8:9], s[2:3], s[0:1]
	v_add_nc_u32_e32 v34, s5, v32
	s_delay_alu instid0(VALU_DEP_2) | instskip(SKIP_4) | instid1(VALU_DEP_2)
	v_add_nc_u64_e32 v[28:29], s[8:9], v[12:13]
	s_ashr_i32 s1, s5, 31
	s_mov_b32 s0, s5
	s_bitcmp0_b32 s15, 0
	v_add_nc_u32_e32 v36, s5, v34
	v_lshl_add_u64 v[30:31], s[0:1], 3, v[28:29]
	s_mov_b32 s0, -1
	s_clause 0x4
	flat_load_b64 v[4:5], v[30:31]
	flat_load_b64 v[2:3], v0, s[8:9] scale_offset
	flat_load_b64 v[6:7], v32, s[8:9] scale_offset
	;; [unrolled: 1-line block ×4, first 2 shown]
	s_cbranch_scc1 .LBB68_14
; %bb.4:
	v_cmp_eq_u32_e64 s0, 0, v0
	s_wait_xcnt 0x0
	s_and_saveexec_b32 s1, s0
; %bb.5:
	v_mov_b32_e32 v13, 0
	ds_store_b32 v13, v13 offset:40
; %bb.6:
	s_or_b32 exec_lo, exec_lo, s1
	v_cmp_eq_u32_e32 vcc_lo, 1, v0
	s_mov_b32 s2, exec_lo
	s_wait_loadcnt_dscnt 0x0
	s_barrier_signal -1
	s_barrier_wait -1
	v_dual_cndmask_b32 v13, v3, v5 :: v_dual_cndmask_b32 v14, v2, v4
	v_cmp_eq_u32_e32 vcc_lo, 2, v0
	s_delay_alu instid0(VALU_DEP_2) | instskip(SKIP_1) | instid1(VALU_DEP_2)
	v_dual_cndmask_b32 v13, v13, v7 :: v_dual_cndmask_b32 v14, v14, v6
	v_cmp_eq_u32_e32 vcc_lo, 3, v0
	v_dual_cndmask_b32 v13, v13, v9 :: v_dual_cndmask_b32 v14, v14, v8
	v_cmp_eq_u32_e32 vcc_lo, 4, v0
	s_delay_alu instid0(VALU_DEP_2) | instskip(NEXT) | instid1(VALU_DEP_1)
	v_dual_cndmask_b32 v15, v13, v11 :: v_dual_cndmask_b32 v14, v14, v10
	v_cmpx_eq_f64_e32 0, v[14:15]
	s_cbranch_execz .LBB68_10
; %bb.7:
	v_mov_b32_e32 v13, 0
	s_mov_b32 s3, 0
	ds_load_b32 v16, v13 offset:40
	s_wait_dscnt 0x0
	v_readfirstlane_b32 s1, v16
	v_add_nc_u32_e32 v16, 1, v0
	s_cmp_eq_u32 s1, 0
	s_delay_alu instid0(VALU_DEP_1) | instskip(SKIP_1) | instid1(SALU_CYCLE_1)
	v_cmp_gt_i32_e32 vcc_lo, s1, v16
	s_cselect_b32 s4, -1, 0
	s_or_b32 s4, s4, vcc_lo
	s_delay_alu instid0(SALU_CYCLE_1)
	s_and_b32 exec_lo, exec_lo, s4
	s_cbranch_execz .LBB68_10
; %bb.8:
	v_mov_b32_e32 v17, s1
.LBB68_9:                               ; =>This Inner Loop Header: Depth=1
	ds_cmpstore_rtn_b32 v17, v13, v16, v17 offset:40
	s_wait_dscnt 0x0
	v_cmp_ne_u32_e32 vcc_lo, 0, v17
	v_cmp_le_i32_e64 s1, v17, v16
	s_and_b32 s1, vcc_lo, s1
	s_delay_alu instid0(SALU_CYCLE_1) | instskip(NEXT) | instid1(SALU_CYCLE_1)
	s_and_b32 s1, exec_lo, s1
	s_or_b32 s3, s1, s3
	s_delay_alu instid0(SALU_CYCLE_1)
	s_and_not1_b32 exec_lo, exec_lo, s3
	s_cbranch_execnz .LBB68_9
.LBB68_10:
	s_or_b32 exec_lo, exec_lo, s2
	v_mov_b32_e32 v13, 0
	s_barrier_signal -1
	s_barrier_wait -1
	ds_load_b32 v16, v13 offset:40
	s_and_saveexec_b32 s1, s0
	s_cbranch_execz .LBB68_12
; %bb.11:
	s_lshl_b64 s[2:3], s[12:13], 2
	s_delay_alu instid0(SALU_CYCLE_1)
	s_add_nc_u64 s[2:3], s[6:7], s[2:3]
	s_wait_dscnt 0x0
	global_store_b32 v13, v16, s[2:3]
.LBB68_12:
	s_wait_xcnt 0x0
	s_or_b32 exec_lo, exec_lo, s1
	s_wait_dscnt 0x0
	v_cmp_ne_u32_e32 vcc_lo, 0, v16
	s_cbranch_vccz .LBB68_17
; %bb.13:
	s_mov_b32 s0, 0
                                        ; implicit-def: $vgpr2_vgpr3_vgpr4_vgpr5_vgpr6_vgpr7_vgpr8_vgpr9_vgpr10_vgpr11_vgpr12_vgpr13_vgpr14_vgpr15_vgpr16_vgpr17
.LBB68_14:
	s_delay_alu instid0(SALU_CYCLE_1)
	s_and_b32 vcc_lo, exec_lo, s0
	s_cbranch_vccz .LBB68_16
.LBB68_15:
	v_mov_b32_e32 v1, 0
	s_lshl_b64 s[0:1], s[12:13], 2
	s_delay_alu instid0(SALU_CYCLE_1)
	s_add_nc_u64 s[0:1], s[6:7], s[0:1]
	global_load_b32 v1, v1, s[0:1]
	s_wait_loadcnt 0x0
	v_cmp_ne_u32_e32 vcc_lo, 0, v1
	s_cbranch_vccz .LBB68_32
.LBB68_16:
	s_endpgm
.LBB68_17:
	v_div_scale_f64 v[16:17], null, v[14:15], v[14:15], 1.0
	v_div_scale_f64 v[22:23], vcc_lo, 1.0, v[14:15], 1.0
	v_cmp_eq_u32_e64 s1, 3, v0
	v_cmp_eq_u32_e64 s2, 2, v0
	;; [unrolled: 1-line block ×4, first 2 shown]
	v_rcp_f64_e32 v[18:19], v[16:17]
	v_nop
	s_delay_alu instid0(TRANS32_DEP_1) | instskip(NEXT) | instid1(VALU_DEP_1)
	v_fma_f64 v[20:21], -v[16:17], v[18:19], 1.0
	v_fmac_f64_e32 v[18:19], v[18:19], v[20:21]
	s_delay_alu instid0(VALU_DEP_1) | instskip(NEXT) | instid1(VALU_DEP_1)
	v_fma_f64 v[20:21], -v[16:17], v[18:19], 1.0
	v_fmac_f64_e32 v[18:19], v[18:19], v[20:21]
	s_delay_alu instid0(VALU_DEP_1) | instskip(NEXT) | instid1(VALU_DEP_1)
	v_mul_f64_e32 v[20:21], v[22:23], v[18:19]
	v_fma_f64 v[16:17], -v[16:17], v[20:21], v[22:23]
	s_delay_alu instid0(VALU_DEP_1) | instskip(SKIP_1) | instid1(VALU_DEP_2)
	v_div_fmas_f64 v[16:17], v[16:17], v[18:19], v[20:21]
	v_cmp_eq_u32_e32 vcc_lo, 4, v0
	v_div_fixup_f64 v[14:15], v[16:17], v[14:15], 1.0
	s_delay_alu instid0(VALU_DEP_1) | instskip(NEXT) | instid1(VALU_DEP_2)
	v_dual_cndmask_b32 v11, v11, v15 :: v_dual_add_nc_u32 v16, 48, v12
	v_dual_cndmask_b32 v10, v10, v14, vcc_lo :: v_dual_cndmask_b32 v9, v9, v15, s1
	v_dual_cndmask_b32 v8, v8, v14, s1 :: v_dual_cndmask_b32 v5, v5, v15, s3
	v_dual_cndmask_b32 v4, v4, v14, s3 :: v_dual_mov_b32 v18, v14
	v_xor_b32_e32 v19, 0x80000000, v15
	v_dual_cndmask_b32 v7, v7, v15, s2 :: v_dual_cndmask_b32 v6, v6, v14, s2
	v_dual_cndmask_b32 v3, v3, v15, s4 :: v_dual_cndmask_b32 v2, v2, v14, s4
	ds_store_2addr_b64 v12, v[18:19], v[4:5] offset1:6
	s_wait_storecnt_dscnt 0x0
	s_barrier_signal -1
	s_barrier_wait -1
	s_and_saveexec_b32 s1, s0
	s_cbranch_execz .LBB68_19
; %bb.18:
	ds_load_b64 v[4:5], v16
	v_mov_b32_e32 v12, 0
	ds_load_b64 v[12:13], v12 offset:8
	s_wait_dscnt 0x1
	v_fma_f64 v[4:5], v[14:15], v[4:5], 0
	s_wait_dscnt 0x0
	s_delay_alu instid0(VALU_DEP_1)
	v_mul_f64_e32 v[4:5], v[4:5], v[12:13]
.LBB68_19:
	s_or_b32 exec_lo, exec_lo, s1
	s_delay_alu instid0(SALU_CYCLE_1)
	s_mov_b32 s2, exec_lo
	s_barrier_signal -1
	s_barrier_wait -1
	ds_store_b64 v16, v[6:7]
	s_wait_dscnt 0x0
	s_barrier_signal -1
	s_barrier_wait -1
	v_cmpx_gt_u32_e32 2, v0
	s_cbranch_execz .LBB68_23
; %bb.20:
	v_cmp_eq_u32_e32 vcc_lo, 1, v0
	v_cmp_eq_u32_e64 s1, 2, v0
	ds_load_b64 v[12:13], v16
	v_dual_cndmask_b32 v14, v3, v5 :: v_dual_cndmask_b32 v15, v2, v4
	v_cmp_eq_u32_e32 vcc_lo, 3, v0
	s_delay_alu instid0(VALU_DEP_2) | instskip(NEXT) | instid1(VALU_DEP_1)
	v_dual_cndmask_b32 v7, v14, v7, s1 :: v_dual_cndmask_b32 v6, v15, v6, s1
	v_dual_cndmask_b32 v7, v7, v9 :: v_dual_cndmask_b32 v6, v6, v8
	v_cmp_eq_u32_e32 vcc_lo, 4, v0
	s_delay_alu instid0(VALU_DEP_2) | instskip(SKIP_1) | instid1(VALU_DEP_1)
	v_dual_cndmask_b32 v7, v7, v11 :: v_dual_cndmask_b32 v6, v6, v10
	s_wait_dscnt 0x0
	v_fma_f64 v[6:7], v[6:7], v[12:13], 0
	s_and_saveexec_b32 s1, s0
	s_cbranch_execz .LBB68_22
; %bb.21:
	v_mov_b32_e32 v12, 0
	ds_load_b64 v[12:13], v12 offset:56
	s_wait_dscnt 0x0
	v_fmac_f64_e32 v[6:7], v[4:5], v[12:13]
.LBB68_22:
	s_or_b32 exec_lo, exec_lo, s1
	v_mov_b32_e32 v12, 0
	ds_load_b64 v[12:13], v12 offset:16
	s_wait_dscnt 0x0
	v_mul_f64_e32 v[6:7], v[6:7], v[12:13]
.LBB68_23:
	s_or_b32 exec_lo, exec_lo, s2
	s_delay_alu instid0(SALU_CYCLE_1)
	s_mov_b32 s1, exec_lo
	s_barrier_signal -1
	s_barrier_wait -1
	ds_store_b64 v16, v[8:9]
	s_wait_dscnt 0x0
	s_barrier_signal -1
	s_barrier_wait -1
	v_cmpx_gt_u32_e32 3, v0
	s_cbranch_execz .LBB68_27
; %bb.24:
	v_mov_b64_e32 v[12:13], 0
	v_mov_b64_e32 v[14:15], v[0:1]
	v_lshl_add_u32 v17, v0, 3, 48
	s_mov_b32 s2, 0
.LBB68_25:                              ; =>This Inner Loop Header: Depth=1
	s_delay_alu instid0(VALU_DEP_2)
	v_cmp_eq_u32_e32 vcc_lo, 1, v14
	v_cmp_eq_u32_e64 s0, 2, v14
	ds_load_b64 v[18:19], v17
	v_add_nc_u32_e32 v17, 8, v17
	v_dual_cndmask_b32 v20, v3, v5 :: v_dual_cndmask_b32 v21, v2, v4
	v_cmp_eq_u32_e32 vcc_lo, 3, v14
	s_delay_alu instid0(VALU_DEP_2) | instskip(SKIP_2) | instid1(VALU_DEP_3)
	v_dual_cndmask_b32 v20, v20, v7, s0 :: v_dual_cndmask_b32 v21, v21, v6, s0
	v_cmp_eq_u32_e64 s0, 4, v14
	v_add_nc_u64_e32 v[14:15], 1, v[14:15]
	v_dual_cndmask_b32 v20, v20, v9, vcc_lo :: v_dual_cndmask_b32 v22, v21, v8, vcc_lo
	s_delay_alu instid0(VALU_DEP_1) | instskip(SKIP_1) | instid1(VALU_DEP_1)
	v_dual_cndmask_b32 v21, v20, v11, s0 :: v_dual_cndmask_b32 v20, v22, v10, s0
	s_wait_dscnt 0x0
	v_fmac_f64_e32 v[12:13], v[20:21], v[18:19]
	s_delay_alu instid0(VALU_DEP_4) | instskip(NEXT) | instid1(VALU_DEP_1)
	v_add_nc_u32_e32 v18, -1, v14
	v_cmp_lt_u32_e32 vcc_lo, 1, v18
	s_or_b32 s2, vcc_lo, s2
	s_delay_alu instid0(SALU_CYCLE_1)
	s_and_not1_b32 exec_lo, exec_lo, s2
	s_cbranch_execnz .LBB68_25
; %bb.26:
	s_or_b32 exec_lo, exec_lo, s2
	v_mov_b32_e32 v8, 0
	ds_load_b64 v[8:9], v8 offset:24
	s_wait_dscnt 0x0
	v_mul_f64_e32 v[8:9], v[12:13], v[8:9]
.LBB68_27:
	s_or_b32 exec_lo, exec_lo, s1
	s_delay_alu instid0(SALU_CYCLE_1)
	s_mov_b32 s1, exec_lo
	s_barrier_signal -1
	s_barrier_wait -1
	ds_store_b64 v16, v[10:11]
	s_wait_dscnt 0x0
	s_barrier_signal -1
	s_barrier_wait -1
	v_cmpx_ne_u32_e32 4, v0
	s_cbranch_execz .LBB68_31
; %bb.28:
	v_mov_b64_e32 v[12:13], 0
	v_mov_b64_e32 v[14:15], v[0:1]
	v_lshl_add_u32 v16, v0, 3, 48
	s_mov_b32 s2, 0
.LBB68_29:                              ; =>This Inner Loop Header: Depth=1
	s_delay_alu instid0(VALU_DEP_2)
	v_cmp_eq_u32_e32 vcc_lo, 1, v14
	v_cmp_eq_u32_e64 s0, 2, v14
	ds_load_b64 v[18:19], v16
	v_dual_cndmask_b32 v1, v3, v5 :: v_dual_add_nc_u32 v16, 8, v16
	v_cndmask_b32_e32 v17, v2, v4, vcc_lo
	v_cmp_eq_u32_e32 vcc_lo, 3, v14
	s_delay_alu instid0(VALU_DEP_3) | instskip(NEXT) | instid1(VALU_DEP_3)
	v_cndmask_b32_e64 v1, v1, v7, s0
	v_cndmask_b32_e64 v17, v17, v6, s0
	v_cmp_eq_u32_e64 s0, 4, v14
	v_add_nc_u64_e32 v[14:15], 1, v[14:15]
	s_delay_alu instid0(VALU_DEP_4) | instskip(NEXT) | instid1(VALU_DEP_4)
	v_cndmask_b32_e32 v1, v1, v9, vcc_lo
	v_cndmask_b32_e32 v17, v17, v8, vcc_lo
	s_delay_alu instid0(VALU_DEP_2) | instskip(NEXT) | instid1(VALU_DEP_2)
	v_dual_cndmask_b32 v21, v1, v11, s0 :: v_dual_add_nc_u32 v1, -1, v14
	v_cndmask_b32_e64 v20, v17, v10, s0
	s_delay_alu instid0(VALU_DEP_2) | instskip(SKIP_1) | instid1(VALU_DEP_2)
	v_cmp_lt_u32_e32 vcc_lo, 2, v1
	s_wait_dscnt 0x0
	v_fmac_f64_e32 v[12:13], v[20:21], v[18:19]
	s_or_b32 s2, vcc_lo, s2
	s_delay_alu instid0(SALU_CYCLE_1)
	s_and_not1_b32 exec_lo, exec_lo, s2
	s_cbranch_execnz .LBB68_29
; %bb.30:
	s_or_b32 exec_lo, exec_lo, s2
	v_mov_b32_e32 v1, 0
	ds_load_b64 v[10:11], v1 offset:32
	s_wait_dscnt 0x0
	v_mul_f64_e32 v[10:11], v[12:13], v[10:11]
.LBB68_31:
	s_or_b32 exec_lo, exec_lo, s1
	s_barrier_signal -1
	s_barrier_wait -1
	s_cbranch_execnz .LBB68_15
	s_branch .LBB68_16
.LBB68_32:
	s_wait_xcnt 0x0
	v_lshl_add_u32 v1, v0, 3, 48
	s_mov_b32 s0, exec_lo
	v_cmpx_eq_u32_e32 4, v0
	s_cbranch_execz .LBB68_34
; %bb.33:
	s_wait_dscnt 0x3
	v_dual_mov_b32 v18, 0 :: v_dual_mov_b32 v12, v2
	v_dual_mov_b32 v13, v3 :: v_dual_mov_b32 v14, v4
	s_wait_dscnt 0x2
	s_delay_alu instid0(VALU_DEP_2)
	v_dual_mov_b32 v17, v7 :: v_dual_mov_b32 v19, v18
	s_wait_dscnt 0x0
	v_dual_mov_b32 v20, v10 :: v_dual_mov_b32 v21, v11
	v_dual_mov_b32 v15, v5 :: v_dual_mov_b32 v16, v6
	ds_store_b64 v1, v[8:9]
	v_mov_b64_e32 v[2:3], v[12:13]
	v_mov_b64_e32 v[4:5], v[14:15]
	;; [unrolled: 1-line block ×8, first 2 shown]
.LBB68_34:
	s_or_b32 exec_lo, exec_lo, s0
	v_mov_b32_e32 v18, 0
	s_wait_storecnt_dscnt 0x0
	s_barrier_signal -1
	s_barrier_wait -1
	ds_load_b64 v[12:13], v18 offset:80
	s_mov_b32 s0, exec_lo
	s_wait_dscnt 0x0
	v_fma_f64 v[12:13], v[10:11], v[12:13], 0
	s_delay_alu instid0(VALU_DEP_1)
	v_add_f64_e64 v[8:9], v[8:9], -v[12:13]
	v_cmpx_lt_u32_e32 2, v0
	s_cbranch_execz .LBB68_36
; %bb.35:
	v_dual_mov_b32 v14, v2 :: v_dual_mov_b32 v15, v3
	s_delay_alu instid0(VALU_DEP_3) | instskip(NEXT) | instid1(VALU_DEP_4)
	v_dual_mov_b32 v19, v18 :: v_dual_mov_b32 v20, v8
	v_dual_mov_b32 v21, v9 :: v_dual_mov_b32 v22, v10
	;; [unrolled: 1-line block ×3, first 2 shown]
	v_mov_b32_e32 v17, v5
	ds_store_b64 v1, v[6:7]
	v_mov_b64_e32 v[2:3], v[14:15]
	v_mov_b64_e32 v[4:5], v[16:17]
	;; [unrolled: 1-line block ×8, first 2 shown]
.LBB68_36:
	s_or_b32 exec_lo, exec_lo, s0
	s_wait_dscnt 0x0
	s_barrier_signal -1
	s_barrier_wait -1
	ds_load_2addr_b64 v[12:15], v18 offset0:9 offset1:10
	s_mov_b32 s0, exec_lo
	s_wait_dscnt 0x0
	v_fma_f64 v[12:13], v[8:9], v[12:13], 0
	s_delay_alu instid0(VALU_DEP_1) | instskip(NEXT) | instid1(VALU_DEP_1)
	v_fmac_f64_e32 v[12:13], v[10:11], v[14:15]
	v_add_f64_e64 v[6:7], v[6:7], -v[12:13]
	v_cmpx_lt_u32_e32 1, v0
	s_cbranch_execz .LBB68_38
; %bb.37:
	v_dual_mov_b32 v14, 0 :: v_dual_mov_b32 v12, v2
	s_delay_alu instid0(VALU_DEP_3) | instskip(SKIP_2) | instid1(VALU_DEP_4)
	v_dual_mov_b32 v13, v3 :: v_dual_mov_b32 v16, v6
	v_dual_mov_b32 v18, v8 :: v_dual_mov_b32 v19, v9
	;; [unrolled: 1-line block ×4, first 2 shown]
	ds_store_b64 v1, v[4:5]
	v_mov_b64_e32 v[2:3], v[12:13]
	v_mov_b64_e32 v[4:5], v[14:15]
	;; [unrolled: 1-line block ×8, first 2 shown]
.LBB68_38:
	s_or_b32 exec_lo, exec_lo, s0
	v_mov_b32_e32 v18, 0
	s_wait_dscnt 0x0
	s_barrier_signal -1
	s_barrier_wait -1
	ds_load_b128 v[12:15], v18 offset:64
	ds_load_b64 v[16:17], v18 offset:80
	v_dual_ashrrev_i32 v33, 31, v32 :: v_dual_ashrrev_i32 v35, 31, v34
	v_ashrrev_i32_e32 v37, 31, v36
	s_mov_b32 s0, exec_lo
	s_wait_dscnt 0x1
	v_fma_f64 v[12:13], v[6:7], v[12:13], 0
	s_delay_alu instid0(VALU_DEP_1) | instskip(SKIP_1) | instid1(VALU_DEP_1)
	v_fmac_f64_e32 v[12:13], v[8:9], v[14:15]
	s_wait_dscnt 0x0
	v_fmac_f64_e32 v[12:13], v[10:11], v[16:17]
	s_delay_alu instid0(VALU_DEP_1)
	v_add_f64_e64 v[4:5], v[4:5], -v[12:13]
	v_cmpx_ne_u32_e32 0, v0
	s_cbranch_execz .LBB68_40
; %bb.39:
	s_delay_alu instid0(VALU_DEP_2) | instskip(NEXT) | instid1(VALU_DEP_3)
	v_dual_mov_b32 v19, v18 :: v_dual_mov_b32 v20, v4
	v_dual_mov_b32 v21, v5 :: v_dual_mov_b32 v22, v6
	;; [unrolled: 1-line block ×4, first 2 shown]
	v_mov_b32_e32 v27, v11
	ds_store_b64 v1, v[2:3]
	v_mov_b64_e32 v[2:3], v[18:19]
	v_mov_b64_e32 v[4:5], v[20:21]
	;; [unrolled: 1-line block ×8, first 2 shown]
.LBB68_40:
	s_or_b32 exec_lo, exec_lo, s0
	s_wait_dscnt 0x0
	s_barrier_signal -1
	s_barrier_wait -1
	ds_load_2addr_b64 v[12:15], v18 offset0:7 offset1:8
	ds_load_2addr_b64 v[16:19], v18 offset0:9 offset1:10
	s_and_b32 vcc_lo, exec_lo, s14
	s_wait_dscnt 0x1
	v_fma_f64 v[0:1], v[4:5], v[12:13], 0
	s_delay_alu instid0(VALU_DEP_1) | instskip(SKIP_1) | instid1(VALU_DEP_1)
	v_fmac_f64_e32 v[0:1], v[6:7], v[14:15]
	s_wait_dscnt 0x0
	v_fmac_f64_e32 v[0:1], v[8:9], v[16:17]
	s_delay_alu instid0(VALU_DEP_1) | instskip(NEXT) | instid1(VALU_DEP_1)
	v_fmac_f64_e32 v[0:1], v[10:11], v[18:19]
	v_add_f64_e64 v[2:3], v[2:3], -v[0:1]
	s_cbranch_vccz .LBB68_49
; %bb.41:
	v_mov_b32_e32 v0, 0
	global_load_b32 v1, v0, s[10:11] offset:12
	s_wait_loadcnt 0x0
	v_readfirstlane_b32 s1, v1
	s_add_co_i32 s1, s1, -1
	s_delay_alu instid0(SALU_CYCLE_1)
	s_cmp_lg_u32 s1, 3
	s_cbranch_scc0 .LBB68_43
; %bb.42:
	s_cmp_eq_u32 s1, 1
	s_cselect_b32 vcc_lo, -1, 0
	s_cmp_eq_u32 s1, 2
	v_dual_cndmask_b32 v1, v2, v4 :: v_dual_cndmask_b32 v12, v3, v5
	s_cselect_b32 s0, -1, 0
	v_cndmask_b32_e32 v13, v5, v9, vcc_lo
	s_cmp_eq_u32 s1, 3
	s_delay_alu instid0(VALU_DEP_2) | instskip(SKIP_3) | instid1(VALU_DEP_2)
	v_dual_cndmask_b32 v1, v1, v6, s0 :: v_dual_cndmask_b32 v5, v12, v7, s0
	v_cndmask_b32_e32 v12, v4, v8, vcc_lo
	s_cselect_b32 vcc_lo, -1, 0
	s_cmp_eq_u32 s1, 4
	v_dual_cndmask_b32 v1, v1, v8, vcc_lo :: v_dual_cndmask_b32 v15, v7, v9, s0
	v_dual_cndmask_b32 v4, v5, v9, vcc_lo :: v_dual_cndmask_b32 v14, v6, v8, s0
	s_cselect_b32 s0, -1, 0
	s_cmp_eq_u32 s1, 0
	s_delay_alu instid0(VALU_DEP_1) | instskip(SKIP_1) | instid1(VALU_DEP_2)
	v_dual_cndmask_b32 v1, v1, v10, s0 :: v_dual_cndmask_b32 v4, v4, v11, s0
	v_dual_cndmask_b32 v19, v11, v9, s0 :: v_dual_cndmask_b32 v18, v10, v8, s0
	v_dual_cndmask_b32 v16, v1, v8 :: v_dual_cndmask_b32 v17, v4, v9
	s_cselect_b32 vcc_lo, -1, 0
	v_dual_cndmask_b32 v11, v3, v9 :: v_dual_cndmask_b32 v10, v2, v8
	s_delay_alu instid0(VALU_DEP_1)
	v_mov_b64_e32 v[2:3], v[10:11]
	v_mov_b64_e32 v[4:5], v[12:13]
	;; [unrolled: 1-line block ×8, first 2 shown]
.LBB68_43:
	global_load_b32 v0, v0, s[10:11] offset:8
	s_wait_loadcnt 0x0
	v_readfirstlane_b32 s1, v0
	s_add_co_i32 s1, s1, -1
	s_delay_alu instid0(SALU_CYCLE_1)
	s_cmp_eq_u32 s1, 2
	s_cbranch_scc1 .LBB68_45
; %bb.44:
	s_cmp_eq_u32 s1, 1
	s_cselect_b32 vcc_lo, -1, 0
	s_cmp_eq_u32 s1, 2
	v_dual_cndmask_b32 v0, v2, v4 :: v_dual_cndmask_b32 v1, v3, v5
	s_cselect_b32 s0, -1, 0
	v_cndmask_b32_e32 v13, v5, v7, vcc_lo
	s_cmp_eq_u32 s1, 3
	s_delay_alu instid0(VALU_DEP_2) | instskip(SKIP_3) | instid1(VALU_DEP_2)
	v_dual_cndmask_b32 v0, v0, v6, s0 :: v_dual_cndmask_b32 v1, v1, v7, s0
	v_cndmask_b32_e32 v12, v4, v6, vcc_lo
	s_cselect_b32 vcc_lo, -1, 0
	s_cmp_eq_u32 s1, 4
	v_dual_cndmask_b32 v0, v0, v8 :: v_dual_cndmask_b32 v1, v1, v9
	v_dual_cndmask_b32 v17, v9, v7 :: v_dual_cndmask_b32 v16, v8, v6
	s_cselect_b32 vcc_lo, -1, 0
	s_cmp_eq_u32 s1, 0
	s_delay_alu instid0(VALU_DEP_2) | instskip(SKIP_2) | instid1(VALU_DEP_2)
	v_dual_cndmask_b32 v0, v0, v10 :: v_dual_cndmask_b32 v1, v1, v11
	v_dual_cndmask_b32 v19, v11, v7 :: v_dual_cndmask_b32 v18, v10, v6
	s_cselect_b32 vcc_lo, -1, 0
	v_dual_cndmask_b32 v14, v0, v6, s0 :: v_dual_cndmask_b32 v15, v1, v7, s0
	v_dual_cndmask_b32 v11, v3, v7 :: v_dual_cndmask_b32 v10, v2, v6
	s_delay_alu instid0(VALU_DEP_1) | instskip(SKIP_1) | instid1(VALU_DEP_4)
	v_mov_b64_e32 v[2:3], v[10:11]
	v_mov_b64_e32 v[4:5], v[12:13]
	;; [unrolled: 1-line block ×8, first 2 shown]
.LBB68_45:
	v_mov_b32_e32 v0, 0
	global_load_b32 v1, v0, s[10:11] offset:4
	s_wait_loadcnt 0x0
	v_readfirstlane_b32 s2, v1
	s_add_co_i32 s2, s2, -1
	s_delay_alu instid0(SALU_CYCLE_1)
	s_cmp_eq_u32 s2, 1
	s_cbranch_scc1 .LBB68_47
; %bb.46:
	s_cselect_b32 vcc_lo, -1, 0
	s_cmp_eq_u32 s2, 2
	v_dual_cndmask_b32 v1, v2, v4 :: v_dual_cndmask_b32 v12, v3, v5
	s_cselect_b32 s0, -1, 0
	s_cmp_eq_u32 s2, 3
	s_cselect_b32 s1, -1, 0
	s_delay_alu instid0(VALU_DEP_1) | instskip(SKIP_3) | instid1(VALU_DEP_3)
	v_dual_cndmask_b32 v1, v1, v6, s0 :: v_dual_cndmask_b32 v12, v12, v7, s0
	v_cndmask_b32_e64 v13, v7, v5, s0
	s_cmp_eq_u32 s2, 4
	v_dual_cndmask_b32 v15, v9, v5, s1 :: v_dual_cndmask_b32 v14, v8, v4, s1
	v_dual_cndmask_b32 v1, v1, v8, s1 :: v_dual_cndmask_b32 v7, v12, v9, s1
	s_cselect_b32 s1, -1, 0
	s_cmp_eq_u32 s2, 0
	s_delay_alu instid0(VALU_DEP_1) | instskip(NEXT) | instid1(VALU_DEP_2)
	v_dual_cndmask_b32 v16, v10, v4, s1 :: v_dual_cndmask_b32 v1, v1, v10, s1
	v_cndmask_b32_e64 v7, v7, v11, s1
	v_dual_cndmask_b32 v17, v11, v5, s1 :: v_dual_cndmask_b32 v12, v6, v4, s0
	s_delay_alu instid0(VALU_DEP_2) | instskip(SKIP_2) | instid1(VALU_DEP_1)
	v_dual_cndmask_b32 v10, v1, v4 :: v_dual_cndmask_b32 v11, v7, v5
	s_cselect_b32 vcc_lo, -1, 0
	v_dual_cndmask_b32 v9, v3, v5 :: v_dual_cndmask_b32 v8, v2, v4
	v_mov_b64_e32 v[2:3], v[8:9]
	s_delay_alu instid0(VALU_DEP_3)
	v_mov_b64_e32 v[4:5], v[10:11]
	v_mov_b64_e32 v[6:7], v[12:13]
	;; [unrolled: 1-line block ×7, first 2 shown]
.LBB68_47:
	global_load_b32 v0, v0, s[10:11]
	s_wait_loadcnt 0x0
	v_readfirstlane_b32 s3, v0
	s_add_co_i32 s3, s3, -1
	s_delay_alu instid0(SALU_CYCLE_1)
	s_cmp_eq_u32 s3, 0
	s_cbranch_scc1 .LBB68_49
; %bb.48:
	s_cmp_eq_u32 s3, 1
	s_cselect_b32 vcc_lo, -1, 0
	s_cmp_eq_u32 s3, 2
	v_dual_cndmask_b32 v0, v2, v4 :: v_dual_cndmask_b32 v1, v3, v5
	s_cselect_b32 s0, -1, 0
	s_cmp_eq_u32 s3, 3
	v_cndmask_b32_e64 v12, v6, v2, s0
	s_delay_alu instid0(VALU_DEP_2) | instskip(SKIP_2) | instid1(VALU_DEP_1)
	v_dual_cndmask_b32 v0, v0, v6, s0 :: v_dual_cndmask_b32 v1, v1, v7, s0
	s_cselect_b32 s1, -1, 0
	s_cmp_eq_u32 s3, 4
	v_dual_cndmask_b32 v13, v7, v3, s0 :: v_dual_cndmask_b32 v0, v0, v8, s1
	s_cselect_b32 s2, -1, 0
	v_cndmask_b32_e64 v1, v1, v9, s1
	s_cmp_eq_u32 s3, 0
	v_dual_cndmask_b32 v15, v9, v3, s1 :: v_dual_cndmask_b32 v14, v8, v2, s1
	s_delay_alu instid0(VALU_DEP_2)
	v_dual_cndmask_b32 v0, v0, v10, s2 :: v_dual_cndmask_b32 v1, v1, v11, s2
	v_cndmask_b32_e64 v16, v10, v2, s2
	s_cselect_b32 s1, -1, 0
	s_delay_alu instid0(VALU_DEP_2) | instid1(SALU_CYCLE_1)
	v_dual_cndmask_b32 v17, v11, v3, s2 :: v_dual_cndmask_b32 v8, v0, v2, s1
	s_delay_alu instid0(VALU_DEP_3) | instskip(SKIP_1) | instid1(VALU_DEP_2)
	v_cndmask_b32_e64 v9, v1, v3, s1
	v_dual_cndmask_b32 v11, v5, v3 :: v_dual_cndmask_b32 v10, v4, v2
	v_mov_b64_e32 v[2:3], v[8:9]
	s_delay_alu instid0(VALU_DEP_2)
	v_mov_b64_e32 v[4:5], v[10:11]
	v_mov_b64_e32 v[6:7], v[12:13]
	v_mov_b64_e32 v[8:9], v[14:15]
	v_mov_b64_e32 v[10:11], v[16:17]
	v_mov_b64_e32 v[12:13], v[18:19]
	v_mov_b64_e32 v[14:15], v[20:21]
	v_mov_b64_e32 v[16:17], v[22:23]
.LBB68_49:
	v_lshl_add_u64 v[14:15], v[32:33], 3, s[8:9]
	v_lshl_add_u64 v[12:13], v[34:35], 3, s[8:9]
	;; [unrolled: 1-line block ×3, first 2 shown]
	s_clause 0x4
	flat_store_b64 v[28:29], v[2:3]
	flat_store_b64 v[30:31], v[4:5]
	;; [unrolled: 1-line block ×5, first 2 shown]
	s_endpgm
	.section	.rodata,"a",@progbits
	.p2align	6, 0x0
	.amdhsa_kernel _ZN9rocsolver6v33100L18getri_kernel_smallILi5EdPKPdEEvT1_iilPiilS6_bb
		.amdhsa_group_segment_fixed_size 88
		.amdhsa_private_segment_fixed_size 0
		.amdhsa_kernarg_size 60
		.amdhsa_user_sgpr_count 2
		.amdhsa_user_sgpr_dispatch_ptr 0
		.amdhsa_user_sgpr_queue_ptr 0
		.amdhsa_user_sgpr_kernarg_segment_ptr 1
		.amdhsa_user_sgpr_dispatch_id 0
		.amdhsa_user_sgpr_kernarg_preload_length 0
		.amdhsa_user_sgpr_kernarg_preload_offset 0
		.amdhsa_user_sgpr_private_segment_size 0
		.amdhsa_wavefront_size32 1
		.amdhsa_uses_dynamic_stack 0
		.amdhsa_enable_private_segment 0
		.amdhsa_system_sgpr_workgroup_id_x 1
		.amdhsa_system_sgpr_workgroup_id_y 0
		.amdhsa_system_sgpr_workgroup_id_z 0
		.amdhsa_system_sgpr_workgroup_info 0
		.amdhsa_system_vgpr_workitem_id 0
		.amdhsa_next_free_vgpr 38
		.amdhsa_next_free_sgpr 16
		.amdhsa_named_barrier_count 0
		.amdhsa_reserve_vcc 1
		.amdhsa_float_round_mode_32 0
		.amdhsa_float_round_mode_16_64 0
		.amdhsa_float_denorm_mode_32 3
		.amdhsa_float_denorm_mode_16_64 3
		.amdhsa_fp16_overflow 0
		.amdhsa_memory_ordered 1
		.amdhsa_forward_progress 1
		.amdhsa_inst_pref_size 26
		.amdhsa_round_robin_scheduling 0
		.amdhsa_exception_fp_ieee_invalid_op 0
		.amdhsa_exception_fp_denorm_src 0
		.amdhsa_exception_fp_ieee_div_zero 0
		.amdhsa_exception_fp_ieee_overflow 0
		.amdhsa_exception_fp_ieee_underflow 0
		.amdhsa_exception_fp_ieee_inexact 0
		.amdhsa_exception_int_div_zero 0
	.end_amdhsa_kernel
	.section	.text._ZN9rocsolver6v33100L18getri_kernel_smallILi5EdPKPdEEvT1_iilPiilS6_bb,"axG",@progbits,_ZN9rocsolver6v33100L18getri_kernel_smallILi5EdPKPdEEvT1_iilPiilS6_bb,comdat
.Lfunc_end68:
	.size	_ZN9rocsolver6v33100L18getri_kernel_smallILi5EdPKPdEEvT1_iilPiilS6_bb, .Lfunc_end68-_ZN9rocsolver6v33100L18getri_kernel_smallILi5EdPKPdEEvT1_iilPiilS6_bb
                                        ; -- End function
	.set _ZN9rocsolver6v33100L18getri_kernel_smallILi5EdPKPdEEvT1_iilPiilS6_bb.num_vgpr, 38
	.set _ZN9rocsolver6v33100L18getri_kernel_smallILi5EdPKPdEEvT1_iilPiilS6_bb.num_agpr, 0
	.set _ZN9rocsolver6v33100L18getri_kernel_smallILi5EdPKPdEEvT1_iilPiilS6_bb.numbered_sgpr, 16
	.set _ZN9rocsolver6v33100L18getri_kernel_smallILi5EdPKPdEEvT1_iilPiilS6_bb.num_named_barrier, 0
	.set _ZN9rocsolver6v33100L18getri_kernel_smallILi5EdPKPdEEvT1_iilPiilS6_bb.private_seg_size, 0
	.set _ZN9rocsolver6v33100L18getri_kernel_smallILi5EdPKPdEEvT1_iilPiilS6_bb.uses_vcc, 1
	.set _ZN9rocsolver6v33100L18getri_kernel_smallILi5EdPKPdEEvT1_iilPiilS6_bb.uses_flat_scratch, 1
	.set _ZN9rocsolver6v33100L18getri_kernel_smallILi5EdPKPdEEvT1_iilPiilS6_bb.has_dyn_sized_stack, 0
	.set _ZN9rocsolver6v33100L18getri_kernel_smallILi5EdPKPdEEvT1_iilPiilS6_bb.has_recursion, 0
	.set _ZN9rocsolver6v33100L18getri_kernel_smallILi5EdPKPdEEvT1_iilPiilS6_bb.has_indirect_call, 0
	.section	.AMDGPU.csdata,"",@progbits
; Kernel info:
; codeLenInByte = 3320
; TotalNumSgprs: 18
; NumVgprs: 38
; ScratchSize: 0
; MemoryBound: 0
; FloatMode: 240
; IeeeMode: 1
; LDSByteSize: 88 bytes/workgroup (compile time only)
; SGPRBlocks: 0
; VGPRBlocks: 2
; NumSGPRsForWavesPerEU: 18
; NumVGPRsForWavesPerEU: 38
; NamedBarCnt: 0
; Occupancy: 16
; WaveLimiterHint : 1
; COMPUTE_PGM_RSRC2:SCRATCH_EN: 0
; COMPUTE_PGM_RSRC2:USER_SGPR: 2
; COMPUTE_PGM_RSRC2:TRAP_HANDLER: 0
; COMPUTE_PGM_RSRC2:TGID_X_EN: 1
; COMPUTE_PGM_RSRC2:TGID_Y_EN: 0
; COMPUTE_PGM_RSRC2:TGID_Z_EN: 0
; COMPUTE_PGM_RSRC2:TIDIG_COMP_CNT: 0
	.section	.text._ZN9rocsolver6v33100L18getri_kernel_smallILi6EdPKPdEEvT1_iilPiilS6_bb,"axG",@progbits,_ZN9rocsolver6v33100L18getri_kernel_smallILi6EdPKPdEEvT1_iilPiilS6_bb,comdat
	.globl	_ZN9rocsolver6v33100L18getri_kernel_smallILi6EdPKPdEEvT1_iilPiilS6_bb ; -- Begin function _ZN9rocsolver6v33100L18getri_kernel_smallILi6EdPKPdEEvT1_iilPiilS6_bb
	.p2align	8
	.type	_ZN9rocsolver6v33100L18getri_kernel_smallILi6EdPKPdEEvT1_iilPiilS6_bb,@function
_ZN9rocsolver6v33100L18getri_kernel_smallILi6EdPKPdEEvT1_iilPiilS6_bb: ; @_ZN9rocsolver6v33100L18getri_kernel_smallILi6EdPKPdEEvT1_iilPiilS6_bb
; %bb.0:
	s_mov_b32 s2, exec_lo
	v_cmpx_gt_u32_e32 6, v0
	s_cbranch_execz .LBB69_16
; %bb.1:
	s_clause 0x1
	s_load_b32 s10, s[0:1], 0x38
	s_load_b64 s[2:3], s[0:1], 0x0
	s_getreg_b32 s6, hwreg(HW_REG_IB_STS2, 6, 4)
	s_wait_kmcnt 0x0
	s_bitcmp1_b32 s10, 8
	s_cselect_b32 s14, -1, 0
	s_bfe_u32 s4, ttmp6, 0x4000c
	s_and_b32 s5, ttmp6, 15
	s_add_co_i32 s4, s4, 1
	s_delay_alu instid0(SALU_CYCLE_1) | instskip(NEXT) | instid1(SALU_CYCLE_1)
	s_mul_i32 s4, ttmp9, s4
	s_add_co_i32 s5, s5, s4
	s_cmp_eq_u32 s6, 0
	s_cselect_b32 s12, ttmp9, s5
	s_load_b128 s[4:7], s[0:1], 0x28
	s_ashr_i32 s13, s12, 31
	s_delay_alu instid0(SALU_CYCLE_1) | instskip(NEXT) | instid1(SALU_CYCLE_1)
	s_lshl_b64 s[8:9], s[12:13], 3
	s_add_nc_u64 s[2:3], s[2:3], s[8:9]
	s_bfe_u32 s8, s10, 0x10008
	s_load_b64 s[2:3], s[2:3], 0x0
	s_cmp_eq_u32 s8, 0
                                        ; implicit-def: $sgpr10_sgpr11
	s_cbranch_scc1 .LBB69_3
; %bb.2:
	s_load_b96 s[8:10], s[0:1], 0x18
	s_wait_kmcnt 0x0
	s_mul_u64 s[4:5], s[4:5], s[12:13]
	s_delay_alu instid0(SALU_CYCLE_1) | instskip(SKIP_3) | instid1(SALU_CYCLE_1)
	s_lshl_b64 s[4:5], s[4:5], 2
	s_ashr_i32 s11, s10, 31
	s_add_nc_u64 s[4:5], s[8:9], s[4:5]
	s_lshl_b64 s[8:9], s[10:11], 2
	s_add_nc_u64 s[10:11], s[4:5], s[8:9]
.LBB69_3:
	s_wait_kmcnt 0x0
	s_clause 0x1
	s_load_b64 s[4:5], s[0:1], 0x8
	s_load_b32 s15, s[0:1], 0x38
	v_dual_mov_b32 v1, 0 :: v_dual_lshlrev_b32 v14, 3, v0
	s_wait_kmcnt 0x0
	s_ashr_i32 s1, s4, 31
	s_mov_b32 s0, s4
	v_add3_u32 v32, s5, s5, v0
	v_mov_b32_e32 v15, v1
	s_lshl_b64 s[0:1], s[0:1], 3
	s_delay_alu instid0(SALU_CYCLE_1) | instskip(NEXT) | instid1(VALU_DEP_2)
	s_add_nc_u64 s[8:9], s[2:3], s[0:1]
	v_add_nc_u32_e32 v34, s5, v32
	s_delay_alu instid0(VALU_DEP_2)
	v_add_nc_u64_e32 v[28:29], s[8:9], v[14:15]
	s_ashr_i32 s1, s5, 31
	s_mov_b32 s0, s5
	flat_load_b64 v[2:3], v0, s[8:9] scale_offset
	v_add_nc_u32_e32 v36, s5, v34
	s_bitcmp0_b32 s15, 0
	v_lshl_add_u64 v[30:31], s[0:1], 3, v[28:29]
	s_mov_b32 s0, -1
	s_delay_alu instid0(VALU_DEP_2)
	v_add_nc_u32_e32 v38, s5, v36
	s_clause 0x4
	flat_load_b64 v[4:5], v[30:31]
	flat_load_b64 v[6:7], v32, s[8:9] scale_offset
	flat_load_b64 v[8:9], v34, s[8:9] scale_offset
	;; [unrolled: 1-line block ×4, first 2 shown]
	s_cbranch_scc1 .LBB69_14
; %bb.4:
	v_cmp_eq_u32_e64 s0, 0, v0
	s_wait_xcnt 0x0
	s_and_saveexec_b32 s1, s0
; %bb.5:
	v_mov_b32_e32 v15, 0
	ds_store_b32 v15, v15 offset:96
; %bb.6:
	s_or_b32 exec_lo, exec_lo, s1
	v_cmp_eq_u32_e32 vcc_lo, 1, v0
	s_mov_b32 s2, exec_lo
	s_wait_loadcnt_dscnt 0x0
	s_barrier_signal -1
	s_barrier_wait -1
	v_dual_cndmask_b32 v15, v3, v5 :: v_dual_cndmask_b32 v16, v2, v4
	v_cmp_eq_u32_e32 vcc_lo, 2, v0
	s_delay_alu instid0(VALU_DEP_2) | instskip(SKIP_1) | instid1(VALU_DEP_2)
	v_dual_cndmask_b32 v15, v15, v7 :: v_dual_cndmask_b32 v16, v16, v6
	v_cmp_eq_u32_e32 vcc_lo, 3, v0
	v_dual_cndmask_b32 v15, v15, v9 :: v_dual_cndmask_b32 v16, v16, v8
	v_cmp_eq_u32_e32 vcc_lo, 4, v0
	s_delay_alu instid0(VALU_DEP_2) | instskip(SKIP_1) | instid1(VALU_DEP_2)
	v_dual_cndmask_b32 v15, v15, v11 :: v_dual_cndmask_b32 v16, v16, v10
	v_cmp_eq_u32_e32 vcc_lo, 5, v0
	v_dual_cndmask_b32 v17, v15, v13 :: v_dual_cndmask_b32 v16, v16, v12
	s_delay_alu instid0(VALU_DEP_1)
	v_cmpx_eq_f64_e32 0, v[16:17]
	s_cbranch_execz .LBB69_10
; %bb.7:
	v_mov_b32_e32 v15, 0
	s_mov_b32 s3, 0
	ds_load_b32 v18, v15 offset:96
	s_wait_dscnt 0x0
	v_readfirstlane_b32 s1, v18
	v_add_nc_u32_e32 v18, 1, v0
	s_cmp_eq_u32 s1, 0
	s_delay_alu instid0(VALU_DEP_1) | instskip(SKIP_1) | instid1(SALU_CYCLE_1)
	v_cmp_gt_i32_e32 vcc_lo, s1, v18
	s_cselect_b32 s4, -1, 0
	s_or_b32 s4, s4, vcc_lo
	s_delay_alu instid0(SALU_CYCLE_1)
	s_and_b32 exec_lo, exec_lo, s4
	s_cbranch_execz .LBB69_10
; %bb.8:
	v_mov_b32_e32 v19, s1
.LBB69_9:                               ; =>This Inner Loop Header: Depth=1
	ds_cmpstore_rtn_b32 v19, v15, v18, v19 offset:96
	s_wait_dscnt 0x0
	v_cmp_ne_u32_e32 vcc_lo, 0, v19
	v_cmp_le_i32_e64 s1, v19, v18
	s_and_b32 s1, vcc_lo, s1
	s_delay_alu instid0(SALU_CYCLE_1) | instskip(NEXT) | instid1(SALU_CYCLE_1)
	s_and_b32 s1, exec_lo, s1
	s_or_b32 s3, s1, s3
	s_delay_alu instid0(SALU_CYCLE_1)
	s_and_not1_b32 exec_lo, exec_lo, s3
	s_cbranch_execnz .LBB69_9
.LBB69_10:
	s_or_b32 exec_lo, exec_lo, s2
	v_mov_b32_e32 v15, 0
	s_barrier_signal -1
	s_barrier_wait -1
	ds_load_b32 v18, v15 offset:96
	s_and_saveexec_b32 s1, s0
	s_cbranch_execz .LBB69_12
; %bb.11:
	s_lshl_b64 s[2:3], s[12:13], 2
	s_delay_alu instid0(SALU_CYCLE_1)
	s_add_nc_u64 s[2:3], s[6:7], s[2:3]
	s_wait_dscnt 0x0
	global_store_b32 v15, v18, s[2:3]
.LBB69_12:
	s_wait_xcnt 0x0
	s_or_b32 exec_lo, exec_lo, s1
	s_wait_dscnt 0x0
	v_cmp_ne_u32_e32 vcc_lo, 0, v18
	s_cbranch_vccz .LBB69_17
; %bb.13:
	s_mov_b32 s0, 0
                                        ; implicit-def: $vgpr2_vgpr3_vgpr4_vgpr5_vgpr6_vgpr7_vgpr8_vgpr9_vgpr10_vgpr11_vgpr12_vgpr13_vgpr14_vgpr15_vgpr16_vgpr17
.LBB69_14:
	s_delay_alu instid0(SALU_CYCLE_1)
	s_and_b32 vcc_lo, exec_lo, s0
	s_cbranch_vccz .LBB69_16
.LBB69_15:
	v_mov_b32_e32 v1, 0
	s_lshl_b64 s[0:1], s[12:13], 2
	s_delay_alu instid0(SALU_CYCLE_1)
	s_add_nc_u64 s[0:1], s[6:7], s[0:1]
	global_load_b32 v1, v1, s[0:1]
	s_wait_loadcnt 0x0
	v_cmp_ne_u32_e32 vcc_lo, 0, v1
	s_cbranch_vccz .LBB69_36
.LBB69_16:
	s_endpgm
.LBB69_17:
	v_div_scale_f64 v[18:19], null, v[16:17], v[16:17], 1.0
	v_div_scale_f64 v[24:25], vcc_lo, 1.0, v[16:17], 1.0
	v_cmp_eq_u32_e64 s1, 4, v0
	v_cmp_eq_u32_e64 s2, 3, v0
	;; [unrolled: 1-line block ×5, first 2 shown]
	v_rcp_f64_e32 v[20:21], v[18:19]
	v_nop
	s_delay_alu instid0(TRANS32_DEP_1) | instskip(NEXT) | instid1(VALU_DEP_1)
	v_fma_f64 v[22:23], -v[18:19], v[20:21], 1.0
	v_fmac_f64_e32 v[20:21], v[20:21], v[22:23]
	s_delay_alu instid0(VALU_DEP_1) | instskip(NEXT) | instid1(VALU_DEP_1)
	v_fma_f64 v[22:23], -v[18:19], v[20:21], 1.0
	v_fmac_f64_e32 v[20:21], v[20:21], v[22:23]
	s_delay_alu instid0(VALU_DEP_1) | instskip(NEXT) | instid1(VALU_DEP_1)
	v_mul_f64_e32 v[22:23], v[24:25], v[20:21]
	v_fma_f64 v[18:19], -v[18:19], v[22:23], v[24:25]
	s_delay_alu instid0(VALU_DEP_1) | instskip(SKIP_1) | instid1(VALU_DEP_2)
	v_div_fmas_f64 v[18:19], v[18:19], v[20:21], v[22:23]
	v_cmp_eq_u32_e32 vcc_lo, 5, v0
	v_div_fixup_f64 v[16:17], v[18:19], v[16:17], 1.0
	s_delay_alu instid0(VALU_DEP_1) | instskip(NEXT) | instid1(VALU_DEP_2)
	v_dual_cndmask_b32 v13, v13, v17 :: v_dual_add_nc_u32 v18, 48, v14
	v_dual_cndmask_b32 v12, v12, v16, vcc_lo :: v_dual_cndmask_b32 v11, v11, v17, s1
	v_dual_cndmask_b32 v10, v10, v16, s1 :: v_dual_cndmask_b32 v9, v9, v17, s2
	v_dual_cndmask_b32 v8, v8, v16, s2 :: v_dual_cndmask_b32 v5, v5, v17, s4
	;; [unrolled: 1-line block ×3, first 2 shown]
	v_xor_b32_e32 v21, 0x80000000, v17
	v_dual_mov_b32 v20, v16 :: v_dual_cndmask_b32 v6, v6, v16, s3
	v_dual_cndmask_b32 v3, v3, v17, s5 :: v_dual_cndmask_b32 v2, v2, v16, s5
	ds_store_2addr_b64 v14, v[20:21], v[4:5] offset1:6
	s_wait_storecnt_dscnt 0x0
	s_barrier_signal -1
	s_barrier_wait -1
	s_and_saveexec_b32 s1, s0
	s_cbranch_execz .LBB69_19
; %bb.18:
	ds_load_b64 v[4:5], v18
	v_mov_b32_e32 v14, 0
	ds_load_b64 v[14:15], v14 offset:8
	s_wait_dscnt 0x1
	v_fma_f64 v[4:5], v[16:17], v[4:5], 0
	s_wait_dscnt 0x0
	s_delay_alu instid0(VALU_DEP_1)
	v_mul_f64_e32 v[4:5], v[4:5], v[14:15]
.LBB69_19:
	s_or_b32 exec_lo, exec_lo, s1
	s_delay_alu instid0(SALU_CYCLE_1)
	s_mov_b32 s2, exec_lo
	s_barrier_signal -1
	s_barrier_wait -1
	ds_store_b64 v18, v[6:7]
	s_wait_dscnt 0x0
	s_barrier_signal -1
	s_barrier_wait -1
	v_cmpx_gt_u32_e32 2, v0
	s_cbranch_execz .LBB69_23
; %bb.20:
	v_cmp_eq_u32_e32 vcc_lo, 1, v0
	v_cmp_eq_u32_e64 s1, 3, v0
	v_dual_cndmask_b32 v14, v3, v5 :: v_dual_cndmask_b32 v15, v2, v4
	v_cmp_eq_u32_e32 vcc_lo, 2, v0
	s_delay_alu instid0(VALU_DEP_2) | instskip(SKIP_3) | instid1(VALU_DEP_1)
	v_dual_cndmask_b32 v14, v14, v7 :: v_dual_cndmask_b32 v15, v15, v6
	ds_load_b64 v[6:7], v18
	v_cmp_eq_u32_e32 vcc_lo, 4, v0
	v_dual_cndmask_b32 v14, v14, v9, s1 :: v_dual_cndmask_b32 v15, v15, v8, s1
	v_dual_cndmask_b32 v14, v14, v11, vcc_lo :: v_dual_cndmask_b32 v16, v15, v10, vcc_lo
	v_cmp_eq_u32_e32 vcc_lo, 5, v0
	s_delay_alu instid0(VALU_DEP_2) | instskip(SKIP_1) | instid1(VALU_DEP_1)
	v_dual_cndmask_b32 v15, v14, v13 :: v_dual_cndmask_b32 v14, v16, v12
	s_wait_dscnt 0x0
	v_fma_f64 v[6:7], v[14:15], v[6:7], 0
	s_and_saveexec_b32 s1, s0
	s_cbranch_execz .LBB69_22
; %bb.21:
	v_mov_b32_e32 v14, 0
	ds_load_b64 v[14:15], v14 offset:56
	s_wait_dscnt 0x0
	v_fmac_f64_e32 v[6:7], v[4:5], v[14:15]
.LBB69_22:
	s_or_b32 exec_lo, exec_lo, s1
	v_mov_b32_e32 v14, 0
	ds_load_b64 v[14:15], v14 offset:16
	s_wait_dscnt 0x0
	v_mul_f64_e32 v[6:7], v[6:7], v[14:15]
.LBB69_23:
	s_or_b32 exec_lo, exec_lo, s2
	s_delay_alu instid0(SALU_CYCLE_1)
	s_mov_b32 s1, exec_lo
	s_barrier_signal -1
	s_barrier_wait -1
	ds_store_b64 v18, v[8:9]
	s_wait_dscnt 0x0
	s_barrier_signal -1
	s_barrier_wait -1
	v_cmpx_gt_u32_e32 3, v0
	s_cbranch_execz .LBB69_27
; %bb.24:
	v_mov_b64_e32 v[14:15], 0
	v_mov_b64_e32 v[16:17], v[0:1]
	v_lshl_add_u32 v19, v0, 3, 48
	s_mov_b32 s2, 0
.LBB69_25:                              ; =>This Inner Loop Header: Depth=1
	s_delay_alu instid0(VALU_DEP_2)
	v_cmp_eq_u32_e32 vcc_lo, 1, v16
	v_cmp_eq_u32_e64 s0, 2, v16
	ds_load_b64 v[20:21], v19
	v_dual_cndmask_b32 v22, v3, v5 :: v_dual_add_nc_u32 v19, 8, v19
	v_cndmask_b32_e32 v23, v2, v4, vcc_lo
	v_cmp_eq_u32_e32 vcc_lo, 3, v16
	s_delay_alu instid0(VALU_DEP_2) | instskip(SKIP_1) | instid1(VALU_DEP_2)
	v_dual_cndmask_b32 v22, v22, v7, s0 :: v_dual_cndmask_b32 v23, v23, v6, s0
	v_cmp_eq_u32_e64 s0, 4, v16
	v_dual_cndmask_b32 v22, v22, v9 :: v_dual_cndmask_b32 v23, v23, v8
	v_cmp_eq_u32_e32 vcc_lo, 5, v16
	v_add_nc_u64_e32 v[16:17], 1, v[16:17]
	s_delay_alu instid0(VALU_DEP_3) | instskip(NEXT) | instid1(VALU_DEP_1)
	v_dual_cndmask_b32 v22, v22, v11, s0 :: v_dual_cndmask_b32 v24, v23, v10, s0
	v_dual_cndmask_b32 v23, v22, v13 :: v_dual_cndmask_b32 v22, v24, v12
	s_wait_dscnt 0x0
	s_delay_alu instid0(VALU_DEP_1) | instskip(NEXT) | instid1(VALU_DEP_4)
	v_fmac_f64_e32 v[14:15], v[22:23], v[20:21]
	v_add_nc_u32_e32 v20, -1, v16
	s_delay_alu instid0(VALU_DEP_1) | instskip(SKIP_1) | instid1(SALU_CYCLE_1)
	v_cmp_lt_u32_e32 vcc_lo, 1, v20
	s_or_b32 s2, vcc_lo, s2
	s_and_not1_b32 exec_lo, exec_lo, s2
	s_cbranch_execnz .LBB69_25
; %bb.26:
	s_or_b32 exec_lo, exec_lo, s2
	v_mov_b32_e32 v8, 0
	ds_load_b64 v[8:9], v8 offset:24
	s_wait_dscnt 0x0
	v_mul_f64_e32 v[8:9], v[14:15], v[8:9]
.LBB69_27:
	s_or_b32 exec_lo, exec_lo, s1
	s_delay_alu instid0(SALU_CYCLE_1)
	s_mov_b32 s1, exec_lo
	s_barrier_signal -1
	s_barrier_wait -1
	ds_store_b64 v18, v[10:11]
	s_wait_dscnt 0x0
	s_barrier_signal -1
	s_barrier_wait -1
	v_cmpx_gt_u32_e32 4, v0
	s_cbranch_execz .LBB69_31
; %bb.28:
	v_mov_b64_e32 v[14:15], 0
	v_mov_b64_e32 v[16:17], v[0:1]
	v_lshl_add_u32 v19, v0, 3, 48
	s_mov_b32 s2, 0
.LBB69_29:                              ; =>This Inner Loop Header: Depth=1
	s_delay_alu instid0(VALU_DEP_2)
	v_cmp_eq_u32_e32 vcc_lo, 1, v16
	v_cmp_eq_u32_e64 s0, 2, v16
	ds_load_b64 v[20:21], v19
	v_dual_cndmask_b32 v22, v3, v5 :: v_dual_add_nc_u32 v19, 8, v19
	v_cndmask_b32_e32 v23, v2, v4, vcc_lo
	v_cmp_eq_u32_e32 vcc_lo, 3, v16
	s_delay_alu instid0(VALU_DEP_2) | instskip(SKIP_1) | instid1(VALU_DEP_2)
	v_dual_cndmask_b32 v22, v22, v7, s0 :: v_dual_cndmask_b32 v23, v23, v6, s0
	v_cmp_eq_u32_e64 s0, 4, v16
	v_dual_cndmask_b32 v22, v22, v9 :: v_dual_cndmask_b32 v23, v23, v8
	v_cmp_eq_u32_e32 vcc_lo, 5, v16
	v_add_nc_u64_e32 v[16:17], 1, v[16:17]
	s_delay_alu instid0(VALU_DEP_3) | instskip(NEXT) | instid1(VALU_DEP_1)
	v_dual_cndmask_b32 v22, v22, v11, s0 :: v_dual_cndmask_b32 v24, v23, v10, s0
	v_dual_cndmask_b32 v23, v22, v13 :: v_dual_cndmask_b32 v22, v24, v12
	s_wait_dscnt 0x0
	s_delay_alu instid0(VALU_DEP_1) | instskip(NEXT) | instid1(VALU_DEP_4)
	v_fmac_f64_e32 v[14:15], v[22:23], v[20:21]
	v_add_nc_u32_e32 v20, -1, v16
	s_delay_alu instid0(VALU_DEP_1) | instskip(SKIP_1) | instid1(SALU_CYCLE_1)
	v_cmp_lt_u32_e32 vcc_lo, 2, v20
	s_or_b32 s2, vcc_lo, s2
	s_and_not1_b32 exec_lo, exec_lo, s2
	s_cbranch_execnz .LBB69_29
; %bb.30:
	s_or_b32 exec_lo, exec_lo, s2
	v_mov_b32_e32 v10, 0
	ds_load_b64 v[10:11], v10 offset:32
	s_wait_dscnt 0x0
	v_mul_f64_e32 v[10:11], v[14:15], v[10:11]
.LBB69_31:
	s_or_b32 exec_lo, exec_lo, s1
	s_delay_alu instid0(SALU_CYCLE_1)
	s_mov_b32 s1, exec_lo
	s_barrier_signal -1
	s_barrier_wait -1
	ds_store_b64 v18, v[12:13]
	s_wait_dscnt 0x0
	s_barrier_signal -1
	s_barrier_wait -1
	v_cmpx_ne_u32_e32 5, v0
	s_cbranch_execz .LBB69_35
; %bb.32:
	v_mov_b64_e32 v[14:15], 0
	v_mov_b64_e32 v[16:17], v[0:1]
	v_lshl_add_u32 v18, v0, 3, 48
	s_mov_b32 s2, 0
.LBB69_33:                              ; =>This Inner Loop Header: Depth=1
	s_delay_alu instid0(VALU_DEP_2)
	v_cmp_eq_u32_e32 vcc_lo, 1, v16
	v_cmp_eq_u32_e64 s0, 2, v16
	ds_load_b64 v[20:21], v18
	v_dual_cndmask_b32 v1, v3, v5 :: v_dual_add_nc_u32 v18, 8, v18
	v_cndmask_b32_e32 v19, v2, v4, vcc_lo
	v_cmp_eq_u32_e32 vcc_lo, 3, v16
	s_delay_alu instid0(VALU_DEP_2) | instskip(SKIP_1) | instid1(VALU_DEP_2)
	v_dual_cndmask_b32 v1, v1, v7, s0 :: v_dual_cndmask_b32 v19, v19, v6, s0
	v_cmp_eq_u32_e64 s0, 4, v16
	v_dual_cndmask_b32 v1, v1, v9, vcc_lo :: v_dual_cndmask_b32 v19, v19, v8, vcc_lo
	v_cmp_eq_u32_e32 vcc_lo, 5, v16
	v_add_nc_u64_e32 v[16:17], 1, v[16:17]
	s_delay_alu instid0(VALU_DEP_3) | instskip(NEXT) | instid1(VALU_DEP_1)
	v_dual_cndmask_b32 v1, v1, v11, s0 :: v_dual_cndmask_b32 v19, v19, v10, s0
	v_dual_cndmask_b32 v23, v1, v13 :: v_dual_cndmask_b32 v22, v19, v12
	s_delay_alu instid0(VALU_DEP_3) | instskip(SKIP_1) | instid1(VALU_DEP_2)
	v_add_nc_u32_e32 v1, -1, v16
	s_wait_dscnt 0x0
	v_fmac_f64_e32 v[14:15], v[22:23], v[20:21]
	s_delay_alu instid0(VALU_DEP_2) | instskip(SKIP_1) | instid1(SALU_CYCLE_1)
	v_cmp_lt_u32_e32 vcc_lo, 3, v1
	s_or_b32 s2, vcc_lo, s2
	s_and_not1_b32 exec_lo, exec_lo, s2
	s_cbranch_execnz .LBB69_33
; %bb.34:
	s_or_b32 exec_lo, exec_lo, s2
	v_mov_b32_e32 v1, 0
	ds_load_b64 v[12:13], v1 offset:40
	s_wait_dscnt 0x0
	v_mul_f64_e32 v[12:13], v[14:15], v[12:13]
.LBB69_35:
	s_or_b32 exec_lo, exec_lo, s1
	s_barrier_signal -1
	s_barrier_wait -1
	s_cbranch_execnz .LBB69_15
	s_branch .LBB69_16
.LBB69_36:
	s_wait_xcnt 0x0
	v_lshl_add_u32 v1, v0, 3, 48
	s_mov_b32 s0, exec_lo
	v_cmpx_eq_u32_e32 5, v0
	s_cbranch_execz .LBB69_38
; %bb.37:
	s_wait_dscnt 0x5
	v_dual_mov_b32 v22, 0 :: v_dual_mov_b32 v14, v2
	s_wait_dscnt 0x4
	v_dual_mov_b32 v15, v3 :: v_dual_mov_b32 v16, v4
	;; [unrolled: 2-line block ×4, first 2 shown]
	v_dual_mov_b32 v21, v9 :: v_dual_mov_b32 v23, v22
	s_wait_dscnt 0x0
	v_dual_mov_b32 v24, v12 :: v_dual_mov_b32 v25, v13
	ds_store_b64 v1, v[10:11]
	v_mov_b64_e32 v[2:3], v[14:15]
	v_mov_b64_e32 v[4:5], v[16:17]
	v_mov_b64_e32 v[6:7], v[18:19]
	v_mov_b64_e32 v[8:9], v[20:21]
	v_mov_b64_e32 v[10:11], v[22:23]
	v_mov_b64_e32 v[12:13], v[24:25]
	v_mov_b64_e32 v[14:15], v[26:27]
	v_mov_b64_e32 v[16:17], v[28:29]
.LBB69_38:
	s_or_b32 exec_lo, exec_lo, s0
	v_mov_b32_e32 v20, 0
	s_wait_storecnt_dscnt 0x0
	s_barrier_signal -1
	s_barrier_wait -1
	ds_load_b64 v[14:15], v20 offset:88
	s_mov_b32 s0, exec_lo
	s_wait_dscnt 0x0
	v_fma_f64 v[14:15], v[12:13], v[14:15], 0
	s_delay_alu instid0(VALU_DEP_1)
	v_add_f64_e64 v[10:11], v[10:11], -v[14:15]
	v_cmpx_lt_u32_e32 3, v0
	s_cbranch_execz .LBB69_40
; %bb.39:
	v_dual_mov_b32 v14, v2 :: v_dual_mov_b32 v15, v3
	v_dual_mov_b32 v18, v6 :: v_dual_mov_b32 v19, v7
	s_delay_alu instid0(VALU_DEP_4)
	v_dual_mov_b32 v21, v20 :: v_dual_mov_b32 v22, v10
	v_dual_mov_b32 v23, v11 :: v_dual_mov_b32 v24, v12
	v_dual_mov_b32 v25, v13 :: v_dual_mov_b32 v16, v4
	v_mov_b32_e32 v17, v5
	ds_store_b64 v1, v[8:9]
	v_mov_b64_e32 v[2:3], v[14:15]
	v_mov_b64_e32 v[4:5], v[16:17]
	;; [unrolled: 1-line block ×8, first 2 shown]
.LBB69_40:
	s_or_b32 exec_lo, exec_lo, s0
	s_wait_dscnt 0x0
	s_barrier_signal -1
	s_barrier_wait -1
	ds_load_b128 v[14:17], v20 offset:80
	s_mov_b32 s0, exec_lo
	s_wait_dscnt 0x0
	v_fma_f64 v[14:15], v[10:11], v[14:15], 0
	s_delay_alu instid0(VALU_DEP_1) | instskip(NEXT) | instid1(VALU_DEP_1)
	v_fmac_f64_e32 v[14:15], v[12:13], v[16:17]
	v_add_f64_e64 v[8:9], v[8:9], -v[14:15]
	v_cmpx_lt_u32_e32 2, v0
	s_cbranch_execz .LBB69_42
; %bb.41:
	v_dual_mov_b32 v18, 0 :: v_dual_mov_b32 v14, v2
	v_dual_mov_b32 v15, v3 :: v_dual_mov_b32 v16, v4
	s_delay_alu instid0(VALU_DEP_2)
	v_dual_mov_b32 v17, v5 :: v_dual_mov_b32 v19, v18
	v_dual_mov_b32 v20, v8 :: v_dual_mov_b32 v21, v9
	;; [unrolled: 1-line block ×4, first 2 shown]
	ds_store_b64 v1, v[6:7]
	v_mov_b64_e32 v[2:3], v[14:15]
	v_mov_b64_e32 v[4:5], v[16:17]
	;; [unrolled: 1-line block ×8, first 2 shown]
.LBB69_42:
	s_or_b32 exec_lo, exec_lo, s0
	v_mov_b32_e32 v18, 0
	s_wait_dscnt 0x0
	s_barrier_signal -1
	s_barrier_wait -1
	ds_load_2addr_b64 v[14:17], v18 offset0:9 offset1:10
	ds_load_b64 v[20:21], v18 offset:88
	s_mov_b32 s0, exec_lo
	s_wait_dscnt 0x1
	v_fma_f64 v[14:15], v[8:9], v[14:15], 0
	s_delay_alu instid0(VALU_DEP_1) | instskip(SKIP_1) | instid1(VALU_DEP_1)
	v_fmac_f64_e32 v[14:15], v[10:11], v[16:17]
	s_wait_dscnt 0x0
	v_fmac_f64_e32 v[14:15], v[12:13], v[20:21]
	s_delay_alu instid0(VALU_DEP_1)
	v_add_f64_e64 v[6:7], v[6:7], -v[14:15]
	v_cmpx_lt_u32_e32 1, v0
	s_cbranch_execz .LBB69_44
; %bb.43:
	v_dual_mov_b32 v16, v2 :: v_dual_mov_b32 v17, v3
	s_delay_alu instid0(VALU_DEP_3) | instskip(NEXT) | instid1(VALU_DEP_4)
	v_dual_mov_b32 v19, v18 :: v_dual_mov_b32 v20, v6
	v_dual_mov_b32 v21, v7 :: v_dual_mov_b32 v22, v8
	;; [unrolled: 1-line block ×4, first 2 shown]
	v_mov_b32_e32 v27, v13
	ds_store_b64 v1, v[4:5]
	v_mov_b64_e32 v[2:3], v[16:17]
	v_mov_b64_e32 v[4:5], v[18:19]
	;; [unrolled: 1-line block ×8, first 2 shown]
.LBB69_44:
	s_or_b32 exec_lo, exec_lo, s0
	s_wait_dscnt 0x0
	s_barrier_signal -1
	s_barrier_wait -1
	ds_load_b128 v[14:17], v18 offset:64
	ds_load_b128 v[18:21], v18 offset:80
	v_dual_ashrrev_i32 v35, 31, v34 :: v_dual_ashrrev_i32 v37, 31, v36
	v_ashrrev_i32_e32 v39, 31, v38
	s_mov_b32 s0, exec_lo
	v_ashrrev_i32_e32 v33, 31, v32
	s_wait_dscnt 0x1
	v_fma_f64 v[14:15], v[6:7], v[14:15], 0
	s_delay_alu instid0(VALU_DEP_1) | instskip(SKIP_1) | instid1(VALU_DEP_1)
	v_fmac_f64_e32 v[14:15], v[8:9], v[16:17]
	s_wait_dscnt 0x0
	v_fmac_f64_e32 v[14:15], v[10:11], v[18:19]
	s_delay_alu instid0(VALU_DEP_1) | instskip(NEXT) | instid1(VALU_DEP_1)
	v_fmac_f64_e32 v[14:15], v[12:13], v[20:21]
	v_add_f64_e64 v[4:5], v[4:5], -v[14:15]
	v_cmpx_ne_u32_e32 0, v0
	s_cbranch_execz .LBB69_46
; %bb.45:
	s_delay_alu instid0(VALU_DEP_2) | instskip(NEXT) | instid1(VALU_DEP_3)
	v_dual_mov_b32 v14, 0 :: v_dual_mov_b32 v16, v4
	v_dual_mov_b32 v19, v7 :: v_dual_mov_b32 v17, v5
	s_delay_alu instid0(VALU_DEP_2)
	v_dual_mov_b32 v18, v6 :: v_dual_mov_b32 v15, v14
	v_dual_mov_b32 v20, v8 :: v_dual_mov_b32 v21, v9
	v_dual_mov_b32 v22, v10 :: v_dual_mov_b32 v23, v11
	v_dual_mov_b32 v24, v12 :: v_dual_mov_b32 v25, v13
	ds_store_b64 v1, v[2:3]
	v_mov_b64_e32 v[2:3], v[14:15]
	v_mov_b64_e32 v[4:5], v[16:17]
	;; [unrolled: 1-line block ×8, first 2 shown]
.LBB69_46:
	s_or_b32 exec_lo, exec_lo, s0
	v_mov_b32_e32 v0, 0
	s_wait_dscnt 0x0
	s_barrier_signal -1
	s_barrier_wait -1
	ds_load_2addr_b64 v[14:17], v0 offset0:7 offset1:8
	ds_load_2addr_b64 v[18:21], v0 offset0:9 offset1:10
	s_and_b32 vcc_lo, exec_lo, s14
	s_wait_dscnt 0x1
	v_fma_f64 v[14:15], v[4:5], v[14:15], 0
	s_delay_alu instid0(VALU_DEP_1) | instskip(SKIP_3) | instid1(VALU_DEP_1)
	v_fmac_f64_e32 v[14:15], v[6:7], v[16:17]
	ds_load_b64 v[16:17], v0 offset:88
	s_wait_dscnt 0x1
	v_fmac_f64_e32 v[14:15], v[8:9], v[18:19]
	v_fmac_f64_e32 v[14:15], v[10:11], v[20:21]
	s_wait_dscnt 0x0
	s_delay_alu instid0(VALU_DEP_1) | instskip(NEXT) | instid1(VALU_DEP_1)
	v_fmac_f64_e32 v[14:15], v[12:13], v[16:17]
	v_add_f64_e64 v[2:3], v[2:3], -v[14:15]
	s_cbranch_vccz .LBB69_57
; %bb.47:
	global_load_b32 v0, v0, s[10:11] offset:16
	s_wait_loadcnt 0x0
	v_readfirstlane_b32 s0, v0
	s_add_co_i32 s0, s0, -1
	s_delay_alu instid0(SALU_CYCLE_1)
	s_cmp_lg_u32 s0, 4
	s_cbranch_scc0 .LBB69_49
; %bb.48:
	s_lshl_b32 m0, s0, 1
	v_movrels_b32_e32 v0, v2
	v_movrels_b32_e32 v1, v3
	v_mov_b64_e32 v[26:27], v[16:17]
	v_mov_b64_e32 v[24:25], v[14:15]
	;; [unrolled: 1-line block ×8, first 2 shown]
	v_dual_mov_b32 v20, v0 :: v_dual_mov_b32 v21, v1
	s_delay_alu instid0(VALU_DEP_2) | instskip(NEXT) | instid1(VALU_DEP_3)
	v_movreld_b32_e32 v12, v10
	v_movreld_b32_e32 v13, v11
	v_mov_b64_e32 v[2:3], v[12:13]
	v_mov_b64_e32 v[4:5], v[14:15]
	;; [unrolled: 1-line block ×8, first 2 shown]
.LBB69_49:
	v_mov_b32_e32 v0, 0
	global_load_b32 v1, v0, s[10:11] offset:12
	s_wait_loadcnt 0x0
	v_readfirstlane_b32 s0, v1
	s_add_co_i32 s0, s0, -1
	s_delay_alu instid0(SALU_CYCLE_1)
	s_cmp_eq_u32 s0, 3
	s_cbranch_scc1 .LBB69_51
; %bb.50:
	s_lshl_b32 m0, s0, 1
	v_movrels_b32_e32 v1, v2
	v_movrels_b32_e32 v26, v3
	v_mov_b64_e32 v[24:25], v[16:17]
	v_mov_b64_e32 v[22:23], v[14:15]
	;; [unrolled: 1-line block ×8, first 2 shown]
	v_dual_mov_b32 v16, v1 :: v_dual_mov_b32 v17, v26
	s_delay_alu instid0(VALU_DEP_2) | instskip(NEXT) | instid1(VALU_DEP_3)
	v_movreld_b32_e32 v10, v8
	v_movreld_b32_e32 v11, v9
	v_mov_b64_e32 v[2:3], v[10:11]
	v_mov_b64_e32 v[4:5], v[12:13]
	;; [unrolled: 1-line block ×8, first 2 shown]
.LBB69_51:
	global_load_b32 v0, v0, s[10:11] offset:8
	s_wait_loadcnt 0x0
	v_readfirstlane_b32 s0, v0
	s_add_co_i32 s0, s0, -1
	s_delay_alu instid0(SALU_CYCLE_1)
	s_cmp_eq_u32 s0, 2
	s_cbranch_scc1 .LBB69_53
; %bb.52:
	s_lshl_b32 m0, s0, 1
	v_movrels_b32_e32 v0, v2
	v_movrels_b32_e32 v1, v3
	v_mov_b64_e32 v[22:23], v[16:17]
	v_mov_b64_e32 v[20:21], v[14:15]
	;; [unrolled: 1-line block ×8, first 2 shown]
	v_dual_mov_b32 v12, v0 :: v_dual_mov_b32 v13, v1
	s_delay_alu instid0(VALU_DEP_2) | instskip(NEXT) | instid1(VALU_DEP_3)
	v_movreld_b32_e32 v8, v6
	v_movreld_b32_e32 v9, v7
	v_mov_b64_e32 v[2:3], v[8:9]
	v_mov_b64_e32 v[4:5], v[10:11]
	;; [unrolled: 1-line block ×8, first 2 shown]
.LBB69_53:
	v_mov_b32_e32 v0, 0
	global_load_b32 v1, v0, s[10:11] offset:4
	s_wait_loadcnt 0x0
	v_readfirstlane_b32 s0, v1
	s_add_co_i32 s0, s0, -1
	s_delay_alu instid0(SALU_CYCLE_1)
	s_cmp_eq_u32 s0, 1
	s_cbranch_scc1 .LBB69_55
; %bb.54:
	s_lshl_b32 m0, s0, 1
	v_movrels_b32_e32 v1, v2
	v_movrels_b32_e32 v22, v3
	v_mov_b64_e32 v[20:21], v[16:17]
	v_mov_b64_e32 v[18:19], v[14:15]
	;; [unrolled: 1-line block ×8, first 2 shown]
	v_dual_mov_b32 v8, v1 :: v_dual_mov_b32 v9, v22
	s_delay_alu instid0(VALU_DEP_2) | instskip(NEXT) | instid1(VALU_DEP_3)
	v_movreld_b32_e32 v6, v4
	v_movreld_b32_e32 v7, v5
	v_mov_b64_e32 v[2:3], v[6:7]
	s_delay_alu instid0(VALU_DEP_4)
	v_mov_b64_e32 v[4:5], v[8:9]
	v_mov_b64_e32 v[6:7], v[10:11]
	;; [unrolled: 1-line block ×7, first 2 shown]
.LBB69_55:
	global_load_b32 v0, v0, s[10:11]
	s_wait_loadcnt 0x0
	v_readfirstlane_b32 s0, v0
	s_add_co_i32 s0, s0, -1
	s_delay_alu instid0(SALU_CYCLE_1)
	s_cmp_eq_u32 s0, 0
	s_cbranch_scc1 .LBB69_57
; %bb.56:
	s_lshl_b32 m0, s0, 1
	v_movrels_b32_e32 v0, v2
	v_movrels_b32_e32 v1, v3
	v_mov_b64_e32 v[18:19], v[16:17]
	v_mov_b64_e32 v[16:17], v[14:15]
	;; [unrolled: 1-line block ×8, first 2 shown]
	v_dual_mov_b32 v4, v0 :: v_dual_mov_b32 v5, v1
	s_delay_alu instid0(VALU_DEP_1) | instskip(NEXT) | instid1(VALU_DEP_2)
	v_movreld_b32_e32 v4, v2
	v_movreld_b32_e32 v5, v3
	v_mov_b64_e32 v[2:3], v[4:5]
	v_mov_b64_e32 v[4:5], v[6:7]
	;; [unrolled: 1-line block ×8, first 2 shown]
.LBB69_57:
	v_lshl_add_u64 v[18:19], v[32:33], 3, s[8:9]
	v_lshl_add_u64 v[16:17], v[34:35], 3, s[8:9]
	;; [unrolled: 1-line block ×4, first 2 shown]
	s_clause 0x5
	flat_store_b64 v[28:29], v[2:3]
	flat_store_b64 v[30:31], v[4:5]
	;; [unrolled: 1-line block ×6, first 2 shown]
	s_endpgm
	.section	.rodata,"a",@progbits
	.p2align	6, 0x0
	.amdhsa_kernel _ZN9rocsolver6v33100L18getri_kernel_smallILi6EdPKPdEEvT1_iilPiilS6_bb
		.amdhsa_group_segment_fixed_size 104
		.amdhsa_private_segment_fixed_size 0
		.amdhsa_kernarg_size 60
		.amdhsa_user_sgpr_count 2
		.amdhsa_user_sgpr_dispatch_ptr 0
		.amdhsa_user_sgpr_queue_ptr 0
		.amdhsa_user_sgpr_kernarg_segment_ptr 1
		.amdhsa_user_sgpr_dispatch_id 0
		.amdhsa_user_sgpr_kernarg_preload_length 0
		.amdhsa_user_sgpr_kernarg_preload_offset 0
		.amdhsa_user_sgpr_private_segment_size 0
		.amdhsa_wavefront_size32 1
		.amdhsa_uses_dynamic_stack 0
		.amdhsa_enable_private_segment 0
		.amdhsa_system_sgpr_workgroup_id_x 1
		.amdhsa_system_sgpr_workgroup_id_y 0
		.amdhsa_system_sgpr_workgroup_id_z 0
		.amdhsa_system_sgpr_workgroup_info 0
		.amdhsa_system_vgpr_workitem_id 0
		.amdhsa_next_free_vgpr 40
		.amdhsa_next_free_sgpr 16
		.amdhsa_named_barrier_count 0
		.amdhsa_reserve_vcc 1
		.amdhsa_float_round_mode_32 0
		.amdhsa_float_round_mode_16_64 0
		.amdhsa_float_denorm_mode_32 3
		.amdhsa_float_denorm_mode_16_64 3
		.amdhsa_fp16_overflow 0
		.amdhsa_memory_ordered 1
		.amdhsa_forward_progress 1
		.amdhsa_inst_pref_size 29
		.amdhsa_round_robin_scheduling 0
		.amdhsa_exception_fp_ieee_invalid_op 0
		.amdhsa_exception_fp_denorm_src 0
		.amdhsa_exception_fp_ieee_div_zero 0
		.amdhsa_exception_fp_ieee_overflow 0
		.amdhsa_exception_fp_ieee_underflow 0
		.amdhsa_exception_fp_ieee_inexact 0
		.amdhsa_exception_int_div_zero 0
	.end_amdhsa_kernel
	.section	.text._ZN9rocsolver6v33100L18getri_kernel_smallILi6EdPKPdEEvT1_iilPiilS6_bb,"axG",@progbits,_ZN9rocsolver6v33100L18getri_kernel_smallILi6EdPKPdEEvT1_iilPiilS6_bb,comdat
.Lfunc_end69:
	.size	_ZN9rocsolver6v33100L18getri_kernel_smallILi6EdPKPdEEvT1_iilPiilS6_bb, .Lfunc_end69-_ZN9rocsolver6v33100L18getri_kernel_smallILi6EdPKPdEEvT1_iilPiilS6_bb
                                        ; -- End function
	.set _ZN9rocsolver6v33100L18getri_kernel_smallILi6EdPKPdEEvT1_iilPiilS6_bb.num_vgpr, 40
	.set _ZN9rocsolver6v33100L18getri_kernel_smallILi6EdPKPdEEvT1_iilPiilS6_bb.num_agpr, 0
	.set _ZN9rocsolver6v33100L18getri_kernel_smallILi6EdPKPdEEvT1_iilPiilS6_bb.numbered_sgpr, 16
	.set _ZN9rocsolver6v33100L18getri_kernel_smallILi6EdPKPdEEvT1_iilPiilS6_bb.num_named_barrier, 0
	.set _ZN9rocsolver6v33100L18getri_kernel_smallILi6EdPKPdEEvT1_iilPiilS6_bb.private_seg_size, 0
	.set _ZN9rocsolver6v33100L18getri_kernel_smallILi6EdPKPdEEvT1_iilPiilS6_bb.uses_vcc, 1
	.set _ZN9rocsolver6v33100L18getri_kernel_smallILi6EdPKPdEEvT1_iilPiilS6_bb.uses_flat_scratch, 1
	.set _ZN9rocsolver6v33100L18getri_kernel_smallILi6EdPKPdEEvT1_iilPiilS6_bb.has_dyn_sized_stack, 0
	.set _ZN9rocsolver6v33100L18getri_kernel_smallILi6EdPKPdEEvT1_iilPiilS6_bb.has_recursion, 0
	.set _ZN9rocsolver6v33100L18getri_kernel_smallILi6EdPKPdEEvT1_iilPiilS6_bb.has_indirect_call, 0
	.section	.AMDGPU.csdata,"",@progbits
; Kernel info:
; codeLenInByte = 3704
; TotalNumSgprs: 18
; NumVgprs: 40
; ScratchSize: 0
; MemoryBound: 0
; FloatMode: 240
; IeeeMode: 1
; LDSByteSize: 104 bytes/workgroup (compile time only)
; SGPRBlocks: 0
; VGPRBlocks: 2
; NumSGPRsForWavesPerEU: 18
; NumVGPRsForWavesPerEU: 40
; NamedBarCnt: 0
; Occupancy: 16
; WaveLimiterHint : 1
; COMPUTE_PGM_RSRC2:SCRATCH_EN: 0
; COMPUTE_PGM_RSRC2:USER_SGPR: 2
; COMPUTE_PGM_RSRC2:TRAP_HANDLER: 0
; COMPUTE_PGM_RSRC2:TGID_X_EN: 1
; COMPUTE_PGM_RSRC2:TGID_Y_EN: 0
; COMPUTE_PGM_RSRC2:TGID_Z_EN: 0
; COMPUTE_PGM_RSRC2:TIDIG_COMP_CNT: 0
	.section	.text._ZN9rocsolver6v33100L18getri_kernel_smallILi7EdPKPdEEvT1_iilPiilS6_bb,"axG",@progbits,_ZN9rocsolver6v33100L18getri_kernel_smallILi7EdPKPdEEvT1_iilPiilS6_bb,comdat
	.globl	_ZN9rocsolver6v33100L18getri_kernel_smallILi7EdPKPdEEvT1_iilPiilS6_bb ; -- Begin function _ZN9rocsolver6v33100L18getri_kernel_smallILi7EdPKPdEEvT1_iilPiilS6_bb
	.p2align	8
	.type	_ZN9rocsolver6v33100L18getri_kernel_smallILi7EdPKPdEEvT1_iilPiilS6_bb,@function
_ZN9rocsolver6v33100L18getri_kernel_smallILi7EdPKPdEEvT1_iilPiilS6_bb: ; @_ZN9rocsolver6v33100L18getri_kernel_smallILi7EdPKPdEEvT1_iilPiilS6_bb
; %bb.0:
	s_mov_b32 s2, exec_lo
	v_cmpx_gt_u32_e32 7, v0
	s_cbranch_execz .LBB70_16
; %bb.1:
	s_clause 0x1
	s_load_b32 s6, s[0:1], 0x38
	s_load_b64 s[2:3], s[0:1], 0x0
	s_getreg_b32 s8, hwreg(HW_REG_IB_STS2, 6, 4)
                                        ; implicit-def: $sgpr12_sgpr13
	s_wait_kmcnt 0x0
	s_bitcmp1_b32 s6, 8
	s_cselect_b32 s7, -1, 0
	s_bfe_u32 s4, ttmp6, 0x4000c
	s_and_b32 s5, ttmp6, 15
	s_add_co_i32 s4, s4, 1
	s_delay_alu instid0(SALU_CYCLE_1) | instskip(NEXT) | instid1(SALU_CYCLE_1)
	s_mul_i32 s4, ttmp9, s4
	s_add_co_i32 s5, s5, s4
	s_cmp_eq_u32 s8, 0
	s_load_b128 s[8:11], s[0:1], 0x28
	s_cselect_b32 s14, ttmp9, s5
	s_delay_alu instid0(SALU_CYCLE_1) | instskip(NEXT) | instid1(SALU_CYCLE_1)
	s_ashr_i32 s15, s14, 31
	s_lshl_b64 s[4:5], s[14:15], 3
	s_delay_alu instid0(SALU_CYCLE_1)
	s_add_nc_u64 s[2:3], s[2:3], s[4:5]
	s_bfe_u32 s4, s6, 0x10008
	s_load_b64 s[2:3], s[2:3], 0x0
	s_cmp_eq_u32 s4, 0
	s_cbranch_scc1 .LBB70_3
; %bb.2:
	s_load_b96 s[4:6], s[0:1], 0x18
	s_wait_kmcnt 0x0
	s_mul_u64 s[8:9], s[8:9], s[14:15]
	s_delay_alu instid0(SALU_CYCLE_1) | instskip(SKIP_4) | instid1(SALU_CYCLE_1)
	s_lshl_b64 s[8:9], s[8:9], 2
	s_ashr_i32 s13, s6, 31
	s_mov_b32 s12, s6
	s_add_nc_u64 s[4:5], s[4:5], s[8:9]
	s_lshl_b64 s[8:9], s[12:13], 2
	s_add_nc_u64 s[12:13], s[4:5], s[8:9]
.LBB70_3:
	s_clause 0x1
	s_load_b64 s[4:5], s[0:1], 0x8
	s_load_b32 s6, s[0:1], 0x38
	v_dual_mov_b32 v1, 0 :: v_dual_lshlrev_b32 v16, 3, v0
	s_wait_kmcnt 0x0
	v_add3_u32 v36, s5, s5, v0
	s_ashr_i32 s1, s4, 31
	s_mov_b32 s0, s4
	v_mov_b32_e32 v17, v1
	s_lshl_b64 s[0:1], s[0:1], 3
	v_add_nc_u32_e32 v38, s5, v36
	s_add_nc_u64 s[8:9], s[2:3], s[0:1]
	s_ashr_i32 s1, s5, 31
	v_add_nc_u64_e32 v[32:33], s[8:9], v[16:17]
	s_mov_b32 s0, s5
	v_add_nc_u32_e32 v40, s5, v38
	s_bitcmp0_b32 s6, 0
	s_delay_alu instid0(VALU_DEP_2) | instskip(NEXT) | instid1(VALU_DEP_2)
	v_lshl_add_u64 v[34:35], s[0:1], 3, v[32:33]
	v_add_nc_u32_e32 v42, s5, v40
	s_mov_b32 s0, -1
	flat_load_b64 v[4:5], v[34:35]
	v_add_nc_u32_e32 v44, s5, v42
	s_clause 0x5
	flat_load_b64 v[6:7], v36, s[8:9] scale_offset
	flat_load_b64 v[8:9], v38, s[8:9] scale_offset
	;; [unrolled: 1-line block ×6, first 2 shown]
	s_cbranch_scc1 .LBB70_14
; %bb.4:
	v_cmp_eq_u32_e64 s0, 0, v0
	s_wait_xcnt 0x0
	s_and_saveexec_b32 s1, s0
; %bb.5:
	v_mov_b32_e32 v17, 0
	ds_store_b32 v17, v17 offset:56
; %bb.6:
	s_or_b32 exec_lo, exec_lo, s1
	v_cmp_eq_u32_e32 vcc_lo, 1, v0
	s_mov_b32 s2, exec_lo
	s_wait_loadcnt_dscnt 0x0
	s_barrier_signal -1
	s_barrier_wait -1
	v_dual_cndmask_b32 v17, v3, v5 :: v_dual_cndmask_b32 v18, v2, v4
	v_cmp_eq_u32_e32 vcc_lo, 2, v0
	s_delay_alu instid0(VALU_DEP_2) | instskip(SKIP_1) | instid1(VALU_DEP_2)
	v_dual_cndmask_b32 v17, v17, v7 :: v_dual_cndmask_b32 v18, v18, v6
	v_cmp_eq_u32_e32 vcc_lo, 3, v0
	v_dual_cndmask_b32 v17, v17, v9 :: v_dual_cndmask_b32 v18, v18, v8
	v_cmp_eq_u32_e32 vcc_lo, 4, v0
	s_delay_alu instid0(VALU_DEP_2) | instskip(SKIP_1) | instid1(VALU_DEP_2)
	v_dual_cndmask_b32 v17, v17, v11 :: v_dual_cndmask_b32 v18, v18, v10
	v_cmp_eq_u32_e32 vcc_lo, 5, v0
	v_dual_cndmask_b32 v17, v17, v13 :: v_dual_cndmask_b32 v18, v18, v12
	v_cmp_eq_u32_e32 vcc_lo, 6, v0
	s_delay_alu instid0(VALU_DEP_2) | instskip(NEXT) | instid1(VALU_DEP_1)
	v_dual_cndmask_b32 v19, v17, v15 :: v_dual_cndmask_b32 v18, v18, v14
	v_cmpx_eq_f64_e32 0, v[18:19]
	s_cbranch_execz .LBB70_10
; %bb.7:
	v_mov_b32_e32 v17, 0
	s_mov_b32 s3, 0
	ds_load_b32 v20, v17 offset:56
	s_wait_dscnt 0x0
	v_readfirstlane_b32 s1, v20
	v_add_nc_u32_e32 v20, 1, v0
	s_cmp_eq_u32 s1, 0
	s_delay_alu instid0(VALU_DEP_1) | instskip(SKIP_1) | instid1(SALU_CYCLE_1)
	v_cmp_gt_i32_e32 vcc_lo, s1, v20
	s_cselect_b32 s4, -1, 0
	s_or_b32 s4, s4, vcc_lo
	s_delay_alu instid0(SALU_CYCLE_1)
	s_and_b32 exec_lo, exec_lo, s4
	s_cbranch_execz .LBB70_10
; %bb.8:
	v_mov_b32_e32 v21, s1
.LBB70_9:                               ; =>This Inner Loop Header: Depth=1
	ds_cmpstore_rtn_b32 v21, v17, v20, v21 offset:56
	s_wait_dscnt 0x0
	v_cmp_ne_u32_e32 vcc_lo, 0, v21
	v_cmp_le_i32_e64 s1, v21, v20
	s_and_b32 s1, vcc_lo, s1
	s_delay_alu instid0(SALU_CYCLE_1) | instskip(NEXT) | instid1(SALU_CYCLE_1)
	s_and_b32 s1, exec_lo, s1
	s_or_b32 s3, s1, s3
	s_delay_alu instid0(SALU_CYCLE_1)
	s_and_not1_b32 exec_lo, exec_lo, s3
	s_cbranch_execnz .LBB70_9
.LBB70_10:
	s_or_b32 exec_lo, exec_lo, s2
	v_mov_b32_e32 v17, 0
	s_barrier_signal -1
	s_barrier_wait -1
	ds_load_b32 v20, v17 offset:56
	s_and_saveexec_b32 s1, s0
	s_cbranch_execz .LBB70_12
; %bb.11:
	s_lshl_b64 s[2:3], s[14:15], 2
	s_delay_alu instid0(SALU_CYCLE_1)
	s_add_nc_u64 s[2:3], s[10:11], s[2:3]
	s_wait_dscnt 0x0
	global_store_b32 v17, v20, s[2:3]
.LBB70_12:
	s_wait_xcnt 0x0
	s_or_b32 exec_lo, exec_lo, s1
	s_wait_dscnt 0x0
	v_cmp_ne_u32_e32 vcc_lo, 0, v20
	s_cbranch_vccz .LBB70_17
; %bb.13:
	s_mov_b32 s0, 0
                                        ; implicit-def: $vgpr2_vgpr3_vgpr4_vgpr5_vgpr6_vgpr7_vgpr8_vgpr9_vgpr10_vgpr11_vgpr12_vgpr13_vgpr14_vgpr15_vgpr16_vgpr17
.LBB70_14:
	s_delay_alu instid0(SALU_CYCLE_1)
	s_and_b32 vcc_lo, exec_lo, s0
	s_cbranch_vccz .LBB70_16
.LBB70_15:
	v_mov_b32_e32 v1, 0
	s_lshl_b64 s[0:1], s[14:15], 2
	s_delay_alu instid0(SALU_CYCLE_1)
	s_add_nc_u64 s[0:1], s[10:11], s[0:1]
	global_load_b32 v1, v1, s[0:1]
	s_wait_loadcnt 0x0
	v_cmp_ne_u32_e32 vcc_lo, 0, v1
	s_cbranch_vccz .LBB70_40
.LBB70_16:
	s_endpgm
.LBB70_17:
	v_div_scale_f64 v[20:21], null, v[18:19], v[18:19], 1.0
	v_div_scale_f64 v[26:27], vcc_lo, 1.0, v[18:19], 1.0
	v_cmp_eq_u32_e64 s1, 5, v0
	v_cmp_eq_u32_e64 s2, 4, v0
	;; [unrolled: 1-line block ×6, first 2 shown]
	v_rcp_f64_e32 v[22:23], v[20:21]
	v_nop
	s_delay_alu instid0(TRANS32_DEP_1) | instskip(NEXT) | instid1(VALU_DEP_1)
	v_fma_f64 v[24:25], -v[20:21], v[22:23], 1.0
	v_fmac_f64_e32 v[22:23], v[22:23], v[24:25]
	s_delay_alu instid0(VALU_DEP_1) | instskip(NEXT) | instid1(VALU_DEP_1)
	v_fma_f64 v[24:25], -v[20:21], v[22:23], 1.0
	v_fmac_f64_e32 v[22:23], v[22:23], v[24:25]
	s_delay_alu instid0(VALU_DEP_1) | instskip(NEXT) | instid1(VALU_DEP_1)
	v_mul_f64_e32 v[24:25], v[26:27], v[22:23]
	v_fma_f64 v[20:21], -v[20:21], v[24:25], v[26:27]
	s_delay_alu instid0(VALU_DEP_1) | instskip(SKIP_1) | instid1(VALU_DEP_2)
	v_div_fmas_f64 v[20:21], v[20:21], v[22:23], v[24:25]
	v_cmp_eq_u32_e32 vcc_lo, 6, v0
	v_div_fixup_f64 v[18:19], v[20:21], v[18:19], 1.0
	s_delay_alu instid0(VALU_DEP_1) | instskip(NEXT) | instid1(VALU_DEP_2)
	v_dual_cndmask_b32 v15, v15, v19 :: v_dual_add_nc_u32 v20, 64, v16
	v_dual_cndmask_b32 v14, v14, v18, vcc_lo :: v_dual_cndmask_b32 v13, v13, v19, s1
	v_dual_cndmask_b32 v12, v12, v18, s1 :: v_dual_cndmask_b32 v11, v11, v19, s2
	v_dual_cndmask_b32 v10, v10, v18, s2 :: v_dual_cndmask_b32 v9, v9, v19, s3
	;; [unrolled: 1-line block ×3, first 2 shown]
	v_dual_cndmask_b32 v4, v4, v18, s5 :: v_dual_mov_b32 v22, v18
	v_xor_b32_e32 v23, 0x80000000, v19
	v_dual_cndmask_b32 v7, v7, v19, s4 :: v_dual_cndmask_b32 v6, v6, v18, s4
	v_dual_cndmask_b32 v3, v3, v19, s6 :: v_dual_cndmask_b32 v2, v2, v18, s6
	ds_store_2addr_b64 v16, v[22:23], v[4:5] offset1:8
	s_wait_storecnt_dscnt 0x0
	s_barrier_signal -1
	s_barrier_wait -1
	s_and_saveexec_b32 s1, s0
	s_cbranch_execz .LBB70_19
; %bb.18:
	ds_load_b64 v[4:5], v20
	v_mov_b32_e32 v16, 0
	ds_load_b64 v[16:17], v16 offset:8
	s_wait_dscnt 0x1
	v_fma_f64 v[4:5], v[18:19], v[4:5], 0
	s_wait_dscnt 0x0
	s_delay_alu instid0(VALU_DEP_1)
	v_mul_f64_e32 v[4:5], v[4:5], v[16:17]
.LBB70_19:
	s_or_b32 exec_lo, exec_lo, s1
	s_delay_alu instid0(SALU_CYCLE_1)
	s_mov_b32 s2, exec_lo
	s_barrier_signal -1
	s_barrier_wait -1
	ds_store_b64 v20, v[6:7]
	s_wait_dscnt 0x0
	s_barrier_signal -1
	s_barrier_wait -1
	v_cmpx_gt_u32_e32 2, v0
	s_cbranch_execz .LBB70_23
; %bb.20:
	v_cmp_eq_u32_e32 vcc_lo, 1, v0
	v_cmp_eq_u32_e64 s1, 4, v0
	v_dual_cndmask_b32 v16, v3, v5 :: v_dual_cndmask_b32 v17, v2, v4
	v_cmp_eq_u32_e32 vcc_lo, 2, v0
	s_delay_alu instid0(VALU_DEP_2) | instskip(SKIP_1) | instid1(VALU_DEP_2)
	v_dual_cndmask_b32 v7, v16, v7 :: v_dual_cndmask_b32 v6, v17, v6
	v_cmp_eq_u32_e32 vcc_lo, 3, v0
	v_dual_cndmask_b32 v16, v7, v9 :: v_dual_cndmask_b32 v17, v6, v8
	ds_load_b64 v[6:7], v20
	v_cmp_eq_u32_e32 vcc_lo, 5, v0
	v_dual_cndmask_b32 v16, v16, v11, s1 :: v_dual_cndmask_b32 v17, v17, v10, s1
	s_delay_alu instid0(VALU_DEP_1) | instskip(SKIP_1) | instid1(VALU_DEP_2)
	v_dual_cndmask_b32 v16, v16, v13, vcc_lo :: v_dual_cndmask_b32 v18, v17, v12, vcc_lo
	v_cmp_eq_u32_e32 vcc_lo, 6, v0
	v_dual_cndmask_b32 v17, v16, v15 :: v_dual_cndmask_b32 v16, v18, v14
	s_wait_dscnt 0x0
	s_delay_alu instid0(VALU_DEP_1)
	v_fma_f64 v[6:7], v[16:17], v[6:7], 0
	s_and_saveexec_b32 s1, s0
	s_cbranch_execz .LBB70_22
; %bb.21:
	v_mov_b32_e32 v16, 0
	ds_load_b64 v[16:17], v16 offset:72
	s_wait_dscnt 0x0
	v_fmac_f64_e32 v[6:7], v[4:5], v[16:17]
.LBB70_22:
	s_or_b32 exec_lo, exec_lo, s1
	v_mov_b32_e32 v16, 0
	ds_load_b64 v[16:17], v16 offset:16
	s_wait_dscnt 0x0
	v_mul_f64_e32 v[6:7], v[6:7], v[16:17]
.LBB70_23:
	s_or_b32 exec_lo, exec_lo, s2
	s_delay_alu instid0(SALU_CYCLE_1)
	s_mov_b32 s1, exec_lo
	s_barrier_signal -1
	s_barrier_wait -1
	ds_store_b64 v20, v[8:9]
	s_wait_dscnt 0x0
	s_barrier_signal -1
	s_barrier_wait -1
	v_cmpx_gt_u32_e32 3, v0
	s_cbranch_execz .LBB70_27
; %bb.24:
	v_mov_b64_e32 v[16:17], 0
	v_mov_b64_e32 v[18:19], v[0:1]
	v_lshl_add_u32 v21, v0, 3, 64
	s_mov_b32 s2, 0
.LBB70_25:                              ; =>This Inner Loop Header: Depth=1
	s_delay_alu instid0(VALU_DEP_2) | instskip(SKIP_3) | instid1(VALU_DEP_2)
	v_cmp_eq_u32_e32 vcc_lo, 1, v18
	v_cmp_eq_u32_e64 s0, 2, v18
	v_dual_cndmask_b32 v22, v3, v5 :: v_dual_cndmask_b32 v23, v2, v4
	v_cmp_eq_u32_e32 vcc_lo, 3, v18
	v_dual_cndmask_b32 v24, v22, v7, s0 :: v_dual_cndmask_b32 v25, v23, v6, s0
	ds_load_b64 v[22:23], v21
	v_cmp_eq_u32_e64 s0, 4, v18
	v_add_nc_u32_e32 v21, 8, v21
	v_dual_cndmask_b32 v24, v24, v9 :: v_dual_cndmask_b32 v25, v25, v8
	v_cmp_eq_u32_e32 vcc_lo, 5, v18
	s_delay_alu instid0(VALU_DEP_2) | instskip(SKIP_2) | instid1(VALU_DEP_3)
	v_dual_cndmask_b32 v24, v24, v11, s0 :: v_dual_cndmask_b32 v25, v25, v10, s0
	v_cmp_eq_u32_e64 s0, 6, v18
	v_add_nc_u64_e32 v[18:19], 1, v[18:19]
	v_dual_cndmask_b32 v24, v24, v13, vcc_lo :: v_dual_cndmask_b32 v26, v25, v12, vcc_lo
	s_delay_alu instid0(VALU_DEP_1) | instskip(SKIP_1) | instid1(VALU_DEP_1)
	v_dual_cndmask_b32 v25, v24, v15, s0 :: v_dual_cndmask_b32 v24, v26, v14, s0
	s_wait_dscnt 0x0
	v_fmac_f64_e32 v[16:17], v[24:25], v[22:23]
	s_delay_alu instid0(VALU_DEP_4) | instskip(NEXT) | instid1(VALU_DEP_1)
	v_add_nc_u32_e32 v22, -1, v18
	v_cmp_lt_u32_e32 vcc_lo, 1, v22
	s_or_b32 s2, vcc_lo, s2
	s_delay_alu instid0(SALU_CYCLE_1)
	s_and_not1_b32 exec_lo, exec_lo, s2
	s_cbranch_execnz .LBB70_25
; %bb.26:
	s_or_b32 exec_lo, exec_lo, s2
	v_mov_b32_e32 v8, 0
	ds_load_b64 v[8:9], v8 offset:24
	s_wait_dscnt 0x0
	v_mul_f64_e32 v[8:9], v[16:17], v[8:9]
.LBB70_27:
	s_or_b32 exec_lo, exec_lo, s1
	s_delay_alu instid0(SALU_CYCLE_1)
	s_mov_b32 s1, exec_lo
	s_barrier_signal -1
	s_barrier_wait -1
	ds_store_b64 v20, v[10:11]
	s_wait_dscnt 0x0
	s_barrier_signal -1
	s_barrier_wait -1
	v_cmpx_gt_u32_e32 4, v0
	s_cbranch_execz .LBB70_31
; %bb.28:
	v_mov_b64_e32 v[16:17], 0
	v_mov_b64_e32 v[18:19], v[0:1]
	v_lshl_add_u32 v21, v0, 3, 64
	s_mov_b32 s2, 0
.LBB70_29:                              ; =>This Inner Loop Header: Depth=1
	s_delay_alu instid0(VALU_DEP_2) | instskip(SKIP_3) | instid1(VALU_DEP_2)
	v_cmp_eq_u32_e32 vcc_lo, 1, v18
	v_cmp_eq_u32_e64 s0, 2, v18
	v_dual_cndmask_b32 v22, v3, v5 :: v_dual_cndmask_b32 v23, v2, v4
	v_cmp_eq_u32_e32 vcc_lo, 3, v18
	v_dual_cndmask_b32 v24, v22, v7, s0 :: v_dual_cndmask_b32 v25, v23, v6, s0
	ds_load_b64 v[22:23], v21
	v_cmp_eq_u32_e64 s0, 4, v18
	v_add_nc_u32_e32 v21, 8, v21
	v_dual_cndmask_b32 v24, v24, v9 :: v_dual_cndmask_b32 v25, v25, v8
	v_cmp_eq_u32_e32 vcc_lo, 5, v18
	s_delay_alu instid0(VALU_DEP_2) | instskip(SKIP_2) | instid1(VALU_DEP_3)
	v_dual_cndmask_b32 v24, v24, v11, s0 :: v_dual_cndmask_b32 v25, v25, v10, s0
	v_cmp_eq_u32_e64 s0, 6, v18
	v_add_nc_u64_e32 v[18:19], 1, v[18:19]
	v_dual_cndmask_b32 v24, v24, v13, vcc_lo :: v_dual_cndmask_b32 v26, v25, v12, vcc_lo
	s_delay_alu instid0(VALU_DEP_1) | instskip(SKIP_1) | instid1(VALU_DEP_1)
	v_dual_cndmask_b32 v25, v24, v15, s0 :: v_dual_cndmask_b32 v24, v26, v14, s0
	s_wait_dscnt 0x0
	v_fmac_f64_e32 v[16:17], v[24:25], v[22:23]
	s_delay_alu instid0(VALU_DEP_4) | instskip(NEXT) | instid1(VALU_DEP_1)
	v_add_nc_u32_e32 v22, -1, v18
	v_cmp_lt_u32_e32 vcc_lo, 2, v22
	s_or_b32 s2, vcc_lo, s2
	s_delay_alu instid0(SALU_CYCLE_1)
	s_and_not1_b32 exec_lo, exec_lo, s2
	s_cbranch_execnz .LBB70_29
; %bb.30:
	s_or_b32 exec_lo, exec_lo, s2
	v_mov_b32_e32 v10, 0
	ds_load_b64 v[10:11], v10 offset:32
	s_wait_dscnt 0x0
	v_mul_f64_e32 v[10:11], v[16:17], v[10:11]
.LBB70_31:
	;; [unrolled: 51-line block ×3, first 2 shown]
	s_or_b32 exec_lo, exec_lo, s1
	s_delay_alu instid0(SALU_CYCLE_1)
	s_mov_b32 s1, exec_lo
	s_barrier_signal -1
	s_barrier_wait -1
	ds_store_b64 v20, v[14:15]
	s_wait_dscnt 0x0
	s_barrier_signal -1
	s_barrier_wait -1
	v_cmpx_ne_u32_e32 6, v0
	s_cbranch_execz .LBB70_39
; %bb.36:
	v_mov_b64_e32 v[16:17], 0
	v_mov_b64_e32 v[18:19], v[0:1]
	v_lshl_add_u32 v20, v0, 3, 64
	s_mov_b32 s2, 0
.LBB70_37:                              ; =>This Inner Loop Header: Depth=1
	s_delay_alu instid0(VALU_DEP_2)
	v_cmp_eq_u32_e32 vcc_lo, 1, v18
	v_cmp_eq_u32_e64 s0, 2, v18
	ds_load_b64 v[22:23], v20
	v_dual_cndmask_b32 v1, v3, v5 :: v_dual_add_nc_u32 v20, 8, v20
	v_cndmask_b32_e32 v21, v2, v4, vcc_lo
	v_cmp_eq_u32_e32 vcc_lo, 3, v18
	s_delay_alu instid0(VALU_DEP_3) | instskip(NEXT) | instid1(VALU_DEP_3)
	v_cndmask_b32_e64 v1, v1, v7, s0
	v_cndmask_b32_e64 v21, v21, v6, s0
	v_cmp_eq_u32_e64 s0, 4, v18
	s_delay_alu instid0(VALU_DEP_3) | instskip(NEXT) | instid1(VALU_DEP_3)
	v_cndmask_b32_e32 v1, v1, v9, vcc_lo
	v_cndmask_b32_e32 v21, v21, v8, vcc_lo
	v_cmp_eq_u32_e32 vcc_lo, 5, v18
	s_delay_alu instid0(VALU_DEP_3) | instskip(NEXT) | instid1(VALU_DEP_3)
	v_cndmask_b32_e64 v1, v1, v11, s0
	v_cndmask_b32_e64 v21, v21, v10, s0
	v_cmp_eq_u32_e64 s0, 6, v18
	v_add_nc_u64_e32 v[18:19], 1, v[18:19]
	s_delay_alu instid0(VALU_DEP_4) | instskip(NEXT) | instid1(VALU_DEP_4)
	v_cndmask_b32_e32 v1, v1, v13, vcc_lo
	v_cndmask_b32_e32 v21, v21, v12, vcc_lo
	s_delay_alu instid0(VALU_DEP_2) | instskip(NEXT) | instid1(VALU_DEP_2)
	v_cndmask_b32_e64 v25, v1, v15, s0
	v_cndmask_b32_e64 v24, v21, v14, s0
	v_add_nc_u32_e32 v1, -1, v18
	s_wait_dscnt 0x0
	s_delay_alu instid0(VALU_DEP_2) | instskip(NEXT) | instid1(VALU_DEP_2)
	v_fmac_f64_e32 v[16:17], v[24:25], v[22:23]
	v_cmp_lt_u32_e32 vcc_lo, 4, v1
	s_or_b32 s2, vcc_lo, s2
	s_delay_alu instid0(SALU_CYCLE_1)
	s_and_not1_b32 exec_lo, exec_lo, s2
	s_cbranch_execnz .LBB70_37
; %bb.38:
	s_or_b32 exec_lo, exec_lo, s2
	v_mov_b32_e32 v1, 0
	ds_load_b64 v[14:15], v1 offset:48
	s_wait_dscnt 0x0
	v_mul_f64_e32 v[14:15], v[16:17], v[14:15]
.LBB70_39:
	s_or_b32 exec_lo, exec_lo, s1
	s_barrier_signal -1
	s_barrier_wait -1
	s_cbranch_execnz .LBB70_15
	s_branch .LBB70_16
.LBB70_40:
	s_wait_xcnt 0x0
	v_lshl_add_u32 v1, v0, 3, 64
	s_mov_b32 s0, exec_lo
	v_cmpx_eq_u32_e32 6, v0
	s_cbranch_execz .LBB70_42
; %bb.41:
	s_wait_dscnt 0x1
	v_dual_mov_b32 v26, 0 :: v_dual_mov_b32 v16, v2
	v_dual_mov_b32 v17, v3 :: v_dual_mov_b32 v18, v4
	;; [unrolled: 1-line block ×6, first 2 shown]
	s_wait_dscnt 0x0
	v_dual_mov_b32 v28, v14 :: v_dual_mov_b32 v29, v15
	ds_store_b64 v1, v[12:13]
	v_mov_b64_e32 v[2:3], v[16:17]
	v_mov_b64_e32 v[4:5], v[18:19]
	;; [unrolled: 1-line block ×8, first 2 shown]
.LBB70_42:
	s_or_b32 exec_lo, exec_lo, s0
	v_mov_b32_e32 v24, 0
	s_wait_storecnt_dscnt 0x0
	s_barrier_signal -1
	s_barrier_wait -1
	ds_load_b64 v[16:17], v24 offset:112
	s_mov_b32 s0, exec_lo
	s_wait_dscnt 0x0
	v_fma_f64 v[16:17], v[14:15], v[16:17], 0
	s_delay_alu instid0(VALU_DEP_1)
	v_add_f64_e64 v[12:13], v[12:13], -v[16:17]
	v_cmpx_lt_u32_e32 4, v0
	s_cbranch_execz .LBB70_44
; %bb.43:
	v_dual_mov_b32 v16, v2 :: v_dual_mov_b32 v17, v3
	v_dual_mov_b32 v18, v4 :: v_dual_mov_b32 v19, v5
	;; [unrolled: 1-line block ×6, first 2 shown]
	v_mov_b32_e32 v29, v15
	ds_store_b64 v1, v[10:11]
	v_mov_b64_e32 v[2:3], v[16:17]
	v_mov_b64_e32 v[4:5], v[18:19]
	;; [unrolled: 1-line block ×8, first 2 shown]
.LBB70_44:
	s_or_b32 exec_lo, exec_lo, s0
	s_wait_dscnt 0x0
	s_barrier_signal -1
	s_barrier_wait -1
	ds_load_2addr_b64 v[16:19], v24 offset0:13 offset1:14
	s_mov_b32 s0, exec_lo
	s_wait_dscnt 0x0
	v_fma_f64 v[16:17], v[12:13], v[16:17], 0
	s_delay_alu instid0(VALU_DEP_1) | instskip(NEXT) | instid1(VALU_DEP_1)
	v_fmac_f64_e32 v[16:17], v[14:15], v[18:19]
	v_add_f64_e64 v[10:11], v[10:11], -v[16:17]
	v_cmpx_lt_u32_e32 3, v0
	s_cbranch_execz .LBB70_46
; %bb.45:
	v_dual_mov_b32 v22, 0 :: v_dual_mov_b32 v16, v2
	v_dual_mov_b32 v17, v3 :: v_dual_mov_b32 v18, v4
	;; [unrolled: 1-line block ×3, first 2 shown]
	s_delay_alu instid0(VALU_DEP_3)
	v_dual_mov_b32 v21, v7 :: v_dual_mov_b32 v23, v22
	v_dual_mov_b32 v24, v10 :: v_dual_mov_b32 v25, v11
	;; [unrolled: 1-line block ×4, first 2 shown]
	ds_store_b64 v1, v[8:9]
	v_mov_b64_e32 v[2:3], v[16:17]
	v_mov_b64_e32 v[4:5], v[18:19]
	;; [unrolled: 1-line block ×8, first 2 shown]
.LBB70_46:
	s_or_b32 exec_lo, exec_lo, s0
	v_mov_b32_e32 v20, 0
	s_wait_dscnt 0x0
	s_barrier_signal -1
	s_barrier_wait -1
	ds_load_b128 v[16:19], v20 offset:96
	ds_load_b64 v[22:23], v20 offset:112
	s_mov_b32 s0, exec_lo
	s_wait_dscnt 0x1
	v_fma_f64 v[16:17], v[10:11], v[16:17], 0
	s_delay_alu instid0(VALU_DEP_1) | instskip(SKIP_1) | instid1(VALU_DEP_1)
	v_fmac_f64_e32 v[16:17], v[12:13], v[18:19]
	s_wait_dscnt 0x0
	v_fmac_f64_e32 v[16:17], v[14:15], v[22:23]
	s_delay_alu instid0(VALU_DEP_1)
	v_add_f64_e64 v[8:9], v[8:9], -v[16:17]
	v_cmpx_lt_u32_e32 2, v0
	s_cbranch_execz .LBB70_48
; %bb.47:
	v_dual_mov_b32 v16, v2 :: v_dual_mov_b32 v17, v3
	v_dual_mov_b32 v18, v4 :: v_dual_mov_b32 v19, v5
	s_delay_alu instid0(VALU_DEP_4)
	v_dual_mov_b32 v21, v20 :: v_dual_mov_b32 v22, v8
	v_dual_mov_b32 v23, v9 :: v_dual_mov_b32 v24, v10
	;; [unrolled: 1-line block ×4, first 2 shown]
	v_mov_b32_e32 v29, v15
	ds_store_b64 v1, v[6:7]
	v_mov_b64_e32 v[2:3], v[16:17]
	v_mov_b64_e32 v[4:5], v[18:19]
	;; [unrolled: 1-line block ×8, first 2 shown]
.LBB70_48:
	s_or_b32 exec_lo, exec_lo, s0
	s_wait_dscnt 0x0
	s_barrier_signal -1
	s_barrier_wait -1
	ds_load_2addr_b64 v[16:19], v20 offset0:11 offset1:12
	ds_load_2addr_b64 v[20:23], v20 offset0:13 offset1:14
	s_mov_b32 s0, exec_lo
	s_wait_dscnt 0x1
	v_fma_f64 v[16:17], v[8:9], v[16:17], 0
	s_delay_alu instid0(VALU_DEP_1) | instskip(SKIP_1) | instid1(VALU_DEP_1)
	v_fmac_f64_e32 v[16:17], v[10:11], v[18:19]
	s_wait_dscnt 0x0
	v_fmac_f64_e32 v[16:17], v[12:13], v[20:21]
	s_delay_alu instid0(VALU_DEP_1) | instskip(NEXT) | instid1(VALU_DEP_1)
	v_fmac_f64_e32 v[16:17], v[14:15], v[22:23]
	v_add_f64_e64 v[6:7], v[6:7], -v[16:17]
	v_cmpx_lt_u32_e32 1, v0
	s_cbranch_execz .LBB70_50
; %bb.49:
	v_dual_mov_b32 v18, 0 :: v_dual_mov_b32 v16, v2
	s_delay_alu instid0(VALU_DEP_3) | instskip(NEXT) | instid1(VALU_DEP_2)
	v_dual_mov_b32 v17, v3 :: v_dual_mov_b32 v20, v6
	v_dual_mov_b32 v21, v7 :: v_dual_mov_b32 v19, v18
	;; [unrolled: 1-line block ×6, first 2 shown]
	ds_store_b64 v1, v[4:5]
	v_mov_b64_e32 v[2:3], v[16:17]
	v_mov_b64_e32 v[4:5], v[18:19]
	;; [unrolled: 1-line block ×8, first 2 shown]
.LBB70_50:
	s_or_b32 exec_lo, exec_lo, s0
	v_mov_b32_e32 v18, 0
	s_wait_dscnt 0x0
	s_barrier_signal -1
	s_barrier_wait -1
	ds_load_b128 v[20:23], v18 offset:80
	ds_load_b128 v[24:27], v18 offset:96
	v_dual_ashrrev_i32 v37, 31, v36 :: v_dual_ashrrev_i32 v39, 31, v38
	v_dual_ashrrev_i32 v41, 31, v40 :: v_dual_ashrrev_i32 v43, 31, v42
	v_ashrrev_i32_e32 v45, 31, v44
	s_mov_b32 s0, exec_lo
	s_wait_dscnt 0x1
	v_fma_f64 v[16:17], v[6:7], v[20:21], 0
	ds_load_b64 v[20:21], v18 offset:112
	v_fmac_f64_e32 v[16:17], v[8:9], v[22:23]
	s_wait_dscnt 0x1
	s_delay_alu instid0(VALU_DEP_1) | instskip(NEXT) | instid1(VALU_DEP_1)
	v_fmac_f64_e32 v[16:17], v[10:11], v[24:25]
	v_fmac_f64_e32 v[16:17], v[12:13], v[26:27]
	s_wait_dscnt 0x0
	s_delay_alu instid0(VALU_DEP_1) | instskip(NEXT) | instid1(VALU_DEP_1)
	v_fmac_f64_e32 v[16:17], v[14:15], v[20:21]
	v_add_f64_e64 v[4:5], v[4:5], -v[16:17]
	v_cmpx_ne_u32_e32 0, v0
	s_cbranch_execz .LBB70_52
; %bb.51:
	s_delay_alu instid0(VALU_DEP_2) | instskip(NEXT) | instid1(VALU_DEP_3)
	v_dual_mov_b32 v19, v18 :: v_dual_mov_b32 v20, v4
	v_dual_mov_b32 v21, v5 :: v_dual_mov_b32 v22, v6
	v_dual_mov_b32 v23, v7 :: v_dual_mov_b32 v24, v8
	v_dual_mov_b32 v25, v9 :: v_dual_mov_b32 v26, v10
	v_dual_mov_b32 v27, v11 :: v_dual_mov_b32 v28, v12
	v_dual_mov_b32 v29, v13 :: v_dual_mov_b32 v30, v14
	v_mov_b32_e32 v31, v15
	ds_store_b64 v1, v[2:3]
	v_mov_b64_e32 v[2:3], v[18:19]
	v_mov_b64_e32 v[4:5], v[20:21]
	;; [unrolled: 1-line block ×8, first 2 shown]
.LBB70_52:
	s_or_b32 exec_lo, exec_lo, s0
	s_wait_dscnt 0x0
	s_barrier_signal -1
	s_barrier_wait -1
	ds_load_2addr_b64 v[20:23], v18 offset0:9 offset1:10
	ds_load_2addr_b64 v[24:27], v18 offset0:11 offset1:12
	;; [unrolled: 1-line block ×3, first 2 shown]
	s_and_b32 vcc_lo, exec_lo, s7
	s_wait_dscnt 0x2
	v_fma_f64 v[0:1], v[4:5], v[20:21], 0
	s_delay_alu instid0(VALU_DEP_1) | instskip(SKIP_1) | instid1(VALU_DEP_1)
	v_fmac_f64_e32 v[0:1], v[6:7], v[22:23]
	s_wait_dscnt 0x1
	v_fmac_f64_e32 v[0:1], v[8:9], v[24:25]
	s_delay_alu instid0(VALU_DEP_1) | instskip(SKIP_1) | instid1(VALU_DEP_1)
	v_fmac_f64_e32 v[0:1], v[10:11], v[26:27]
	s_wait_dscnt 0x0
	v_fmac_f64_e32 v[0:1], v[12:13], v[16:17]
	s_delay_alu instid0(VALU_DEP_1) | instskip(NEXT) | instid1(VALU_DEP_1)
	v_fmac_f64_e32 v[0:1], v[14:15], v[18:19]
	v_add_f64_e64 v[2:3], v[2:3], -v[0:1]
	s_cbranch_vccz .LBB70_65
; %bb.53:
	v_mov_b32_e32 v0, 0
	global_load_b32 v1, v0, s[12:13] offset:20
	s_wait_loadcnt 0x0
	v_readfirstlane_b32 s0, v1
	s_add_co_i32 s0, s0, -1
	s_delay_alu instid0(SALU_CYCLE_1)
	s_cmp_lg_u32 s0, 5
	s_cbranch_scc0 .LBB70_55
; %bb.54:
	s_lshl_b32 m0, s0, 1
	v_movrels_b32_e32 v1, v2
	v_movrels_b32_e32 v30, v3
	v_mov_b64_e32 v[28:29], v[16:17]
	v_mov_b64_e32 v[26:27], v[14:15]
	;; [unrolled: 1-line block ×8, first 2 shown]
	v_dual_mov_b32 v24, v1 :: v_dual_mov_b32 v25, v30
	s_delay_alu instid0(VALU_DEP_2) | instskip(NEXT) | instid1(VALU_DEP_3)
	v_movreld_b32_e32 v14, v12
	v_movreld_b32_e32 v15, v13
	v_mov_b64_e32 v[2:3], v[14:15]
	v_mov_b64_e32 v[4:5], v[16:17]
	;; [unrolled: 1-line block ×8, first 2 shown]
.LBB70_55:
	global_load_b32 v0, v0, s[12:13] offset:16
	s_wait_loadcnt 0x0
	v_readfirstlane_b32 s0, v0
	s_add_co_i32 s0, s0, -1
	s_delay_alu instid0(SALU_CYCLE_1)
	s_cmp_eq_u32 s0, 4
	s_cbranch_scc1 .LBB70_57
; %bb.56:
	s_lshl_b32 m0, s0, 1
	v_movrels_b32_e32 v0, v2
	v_movrels_b32_e32 v1, v3
	v_mov_b64_e32 v[26:27], v[16:17]
	v_mov_b64_e32 v[24:25], v[14:15]
	;; [unrolled: 1-line block ×8, first 2 shown]
	v_dual_mov_b32 v20, v0 :: v_dual_mov_b32 v21, v1
	s_delay_alu instid0(VALU_DEP_2) | instskip(NEXT) | instid1(VALU_DEP_3)
	v_movreld_b32_e32 v12, v10
	v_movreld_b32_e32 v13, v11
	v_mov_b64_e32 v[2:3], v[12:13]
	v_mov_b64_e32 v[4:5], v[14:15]
	;; [unrolled: 1-line block ×8, first 2 shown]
.LBB70_57:
	v_mov_b32_e32 v0, 0
	global_load_b32 v1, v0, s[12:13] offset:12
	s_wait_loadcnt 0x0
	v_readfirstlane_b32 s0, v1
	s_add_co_i32 s0, s0, -1
	s_delay_alu instid0(SALU_CYCLE_1)
	s_cmp_eq_u32 s0, 3
	s_cbranch_scc1 .LBB70_59
; %bb.58:
	s_lshl_b32 m0, s0, 1
	v_movrels_b32_e32 v1, v2
	v_movrels_b32_e32 v26, v3
	v_mov_b64_e32 v[24:25], v[16:17]
	v_mov_b64_e32 v[22:23], v[14:15]
	;; [unrolled: 1-line block ×8, first 2 shown]
	v_dual_mov_b32 v16, v1 :: v_dual_mov_b32 v17, v26
	s_delay_alu instid0(VALU_DEP_2) | instskip(NEXT) | instid1(VALU_DEP_3)
	v_movreld_b32_e32 v10, v8
	v_movreld_b32_e32 v11, v9
	v_mov_b64_e32 v[2:3], v[10:11]
	v_mov_b64_e32 v[4:5], v[12:13]
	;; [unrolled: 1-line block ×8, first 2 shown]
.LBB70_59:
	global_load_b32 v0, v0, s[12:13] offset:8
	s_wait_loadcnt 0x0
	v_readfirstlane_b32 s0, v0
	s_add_co_i32 s0, s0, -1
	s_delay_alu instid0(SALU_CYCLE_1)
	s_cmp_eq_u32 s0, 2
	s_cbranch_scc1 .LBB70_61
; %bb.60:
	s_lshl_b32 m0, s0, 1
	v_movrels_b32_e32 v0, v2
	v_movrels_b32_e32 v1, v3
	v_mov_b64_e32 v[22:23], v[16:17]
	v_mov_b64_e32 v[20:21], v[14:15]
	v_mov_b64_e32 v[18:19], v[12:13]
	v_mov_b64_e32 v[16:17], v[10:11]
	v_mov_b64_e32 v[14:15], v[8:9]
	v_mov_b64_e32 v[12:13], v[6:7]
	v_mov_b64_e32 v[10:11], v[4:5]
	v_mov_b64_e32 v[8:9], v[2:3]
	v_dual_mov_b32 v12, v0 :: v_dual_mov_b32 v13, v1
	s_delay_alu instid0(VALU_DEP_2) | instskip(NEXT) | instid1(VALU_DEP_3)
	v_movreld_b32_e32 v8, v6
	v_movreld_b32_e32 v9, v7
	v_mov_b64_e32 v[2:3], v[8:9]
	v_mov_b64_e32 v[4:5], v[10:11]
	;; [unrolled: 1-line block ×8, first 2 shown]
.LBB70_61:
	v_mov_b32_e32 v0, 0
	global_load_b32 v1, v0, s[12:13] offset:4
	s_wait_loadcnt 0x0
	v_readfirstlane_b32 s0, v1
	s_add_co_i32 s0, s0, -1
	s_delay_alu instid0(SALU_CYCLE_1)
	s_cmp_eq_u32 s0, 1
	s_cbranch_scc1 .LBB70_63
; %bb.62:
	s_lshl_b32 m0, s0, 1
	v_movrels_b32_e32 v1, v2
	v_movrels_b32_e32 v22, v3
	v_mov_b64_e32 v[20:21], v[16:17]
	v_mov_b64_e32 v[18:19], v[14:15]
	;; [unrolled: 1-line block ×8, first 2 shown]
	v_dual_mov_b32 v8, v1 :: v_dual_mov_b32 v9, v22
	s_delay_alu instid0(VALU_DEP_2) | instskip(NEXT) | instid1(VALU_DEP_3)
	v_movreld_b32_e32 v6, v4
	v_movreld_b32_e32 v7, v5
	v_mov_b64_e32 v[2:3], v[6:7]
	s_delay_alu instid0(VALU_DEP_4)
	v_mov_b64_e32 v[4:5], v[8:9]
	v_mov_b64_e32 v[6:7], v[10:11]
	;; [unrolled: 1-line block ×7, first 2 shown]
.LBB70_63:
	global_load_b32 v0, v0, s[12:13]
	s_wait_loadcnt 0x0
	v_readfirstlane_b32 s0, v0
	s_add_co_i32 s0, s0, -1
	s_delay_alu instid0(SALU_CYCLE_1)
	s_cmp_eq_u32 s0, 0
	s_cbranch_scc1 .LBB70_65
; %bb.64:
	s_lshl_b32 m0, s0, 1
	v_movrels_b32_e32 v0, v2
	v_movrels_b32_e32 v1, v3
	v_mov_b64_e32 v[18:19], v[16:17]
	v_mov_b64_e32 v[16:17], v[14:15]
	;; [unrolled: 1-line block ×8, first 2 shown]
	v_dual_mov_b32 v4, v0 :: v_dual_mov_b32 v5, v1
	s_delay_alu instid0(VALU_DEP_1) | instskip(NEXT) | instid1(VALU_DEP_2)
	v_movreld_b32_e32 v4, v2
	v_movreld_b32_e32 v5, v3
	v_mov_b64_e32 v[2:3], v[4:5]
	v_mov_b64_e32 v[4:5], v[6:7]
	;; [unrolled: 1-line block ×8, first 2 shown]
.LBB70_65:
	v_lshl_add_u64 v[22:23], v[36:37], 3, s[8:9]
	v_lshl_add_u64 v[20:21], v[38:39], 3, s[8:9]
	v_lshl_add_u64 v[18:19], v[40:41], 3, s[8:9]
	v_lshl_add_u64 v[16:17], v[42:43], 3, s[8:9]
	v_lshl_add_u64 v[0:1], v[44:45], 3, s[8:9]
	s_clause 0x6
	flat_store_b64 v[32:33], v[2:3]
	flat_store_b64 v[34:35], v[4:5]
	;; [unrolled: 1-line block ×7, first 2 shown]
	s_endpgm
	.section	.rodata,"a",@progbits
	.p2align	6, 0x0
	.amdhsa_kernel _ZN9rocsolver6v33100L18getri_kernel_smallILi7EdPKPdEEvT1_iilPiilS6_bb
		.amdhsa_group_segment_fixed_size 120
		.amdhsa_private_segment_fixed_size 0
		.amdhsa_kernarg_size 60
		.amdhsa_user_sgpr_count 2
		.amdhsa_user_sgpr_dispatch_ptr 0
		.amdhsa_user_sgpr_queue_ptr 0
		.amdhsa_user_sgpr_kernarg_segment_ptr 1
		.amdhsa_user_sgpr_dispatch_id 0
		.amdhsa_user_sgpr_kernarg_preload_length 0
		.amdhsa_user_sgpr_kernarg_preload_offset 0
		.amdhsa_user_sgpr_private_segment_size 0
		.amdhsa_wavefront_size32 1
		.amdhsa_uses_dynamic_stack 0
		.amdhsa_enable_private_segment 0
		.amdhsa_system_sgpr_workgroup_id_x 1
		.amdhsa_system_sgpr_workgroup_id_y 0
		.amdhsa_system_sgpr_workgroup_id_z 0
		.amdhsa_system_sgpr_workgroup_info 0
		.amdhsa_system_vgpr_workitem_id 0
		.amdhsa_next_free_vgpr 46
		.amdhsa_next_free_sgpr 16
		.amdhsa_named_barrier_count 0
		.amdhsa_reserve_vcc 1
		.amdhsa_float_round_mode_32 0
		.amdhsa_float_round_mode_16_64 0
		.amdhsa_float_denorm_mode_32 3
		.amdhsa_float_denorm_mode_16_64 3
		.amdhsa_fp16_overflow 0
		.amdhsa_memory_ordered 1
		.amdhsa_forward_progress 1
		.amdhsa_inst_pref_size 36
		.amdhsa_round_robin_scheduling 0
		.amdhsa_exception_fp_ieee_invalid_op 0
		.amdhsa_exception_fp_denorm_src 0
		.amdhsa_exception_fp_ieee_div_zero 0
		.amdhsa_exception_fp_ieee_overflow 0
		.amdhsa_exception_fp_ieee_underflow 0
		.amdhsa_exception_fp_ieee_inexact 0
		.amdhsa_exception_int_div_zero 0
	.end_amdhsa_kernel
	.section	.text._ZN9rocsolver6v33100L18getri_kernel_smallILi7EdPKPdEEvT1_iilPiilS6_bb,"axG",@progbits,_ZN9rocsolver6v33100L18getri_kernel_smallILi7EdPKPdEEvT1_iilPiilS6_bb,comdat
.Lfunc_end70:
	.size	_ZN9rocsolver6v33100L18getri_kernel_smallILi7EdPKPdEEvT1_iilPiilS6_bb, .Lfunc_end70-_ZN9rocsolver6v33100L18getri_kernel_smallILi7EdPKPdEEvT1_iilPiilS6_bb
                                        ; -- End function
	.set _ZN9rocsolver6v33100L18getri_kernel_smallILi7EdPKPdEEvT1_iilPiilS6_bb.num_vgpr, 46
	.set _ZN9rocsolver6v33100L18getri_kernel_smallILi7EdPKPdEEvT1_iilPiilS6_bb.num_agpr, 0
	.set _ZN9rocsolver6v33100L18getri_kernel_smallILi7EdPKPdEEvT1_iilPiilS6_bb.numbered_sgpr, 16
	.set _ZN9rocsolver6v33100L18getri_kernel_smallILi7EdPKPdEEvT1_iilPiilS6_bb.num_named_barrier, 0
	.set _ZN9rocsolver6v33100L18getri_kernel_smallILi7EdPKPdEEvT1_iilPiilS6_bb.private_seg_size, 0
	.set _ZN9rocsolver6v33100L18getri_kernel_smallILi7EdPKPdEEvT1_iilPiilS6_bb.uses_vcc, 1
	.set _ZN9rocsolver6v33100L18getri_kernel_smallILi7EdPKPdEEvT1_iilPiilS6_bb.uses_flat_scratch, 1
	.set _ZN9rocsolver6v33100L18getri_kernel_smallILi7EdPKPdEEvT1_iilPiilS6_bb.has_dyn_sized_stack, 0
	.set _ZN9rocsolver6v33100L18getri_kernel_smallILi7EdPKPdEEvT1_iilPiilS6_bb.has_recursion, 0
	.set _ZN9rocsolver6v33100L18getri_kernel_smallILi7EdPKPdEEvT1_iilPiilS6_bb.has_indirect_call, 0
	.section	.AMDGPU.csdata,"",@progbits
; Kernel info:
; codeLenInByte = 4500
; TotalNumSgprs: 18
; NumVgprs: 46
; ScratchSize: 0
; MemoryBound: 0
; FloatMode: 240
; IeeeMode: 1
; LDSByteSize: 120 bytes/workgroup (compile time only)
; SGPRBlocks: 0
; VGPRBlocks: 2
; NumSGPRsForWavesPerEU: 18
; NumVGPRsForWavesPerEU: 46
; NamedBarCnt: 0
; Occupancy: 16
; WaveLimiterHint : 1
; COMPUTE_PGM_RSRC2:SCRATCH_EN: 0
; COMPUTE_PGM_RSRC2:USER_SGPR: 2
; COMPUTE_PGM_RSRC2:TRAP_HANDLER: 0
; COMPUTE_PGM_RSRC2:TGID_X_EN: 1
; COMPUTE_PGM_RSRC2:TGID_Y_EN: 0
; COMPUTE_PGM_RSRC2:TGID_Z_EN: 0
; COMPUTE_PGM_RSRC2:TIDIG_COMP_CNT: 0
	.section	.text._ZN9rocsolver6v33100L18getri_kernel_smallILi8EdPKPdEEvT1_iilPiilS6_bb,"axG",@progbits,_ZN9rocsolver6v33100L18getri_kernel_smallILi8EdPKPdEEvT1_iilPiilS6_bb,comdat
	.globl	_ZN9rocsolver6v33100L18getri_kernel_smallILi8EdPKPdEEvT1_iilPiilS6_bb ; -- Begin function _ZN9rocsolver6v33100L18getri_kernel_smallILi8EdPKPdEEvT1_iilPiilS6_bb
	.p2align	8
	.type	_ZN9rocsolver6v33100L18getri_kernel_smallILi8EdPKPdEEvT1_iilPiilS6_bb,@function
_ZN9rocsolver6v33100L18getri_kernel_smallILi8EdPKPdEEvT1_iilPiilS6_bb: ; @_ZN9rocsolver6v33100L18getri_kernel_smallILi8EdPKPdEEvT1_iilPiilS6_bb
; %bb.0:
	s_mov_b32 s2, exec_lo
	v_cmpx_gt_u32_e32 8, v0
	s_cbranch_execz .LBB71_16
; %bb.1:
	s_clause 0x1
	s_load_b32 s6, s[0:1], 0x38
	s_load_b64 s[2:3], s[0:1], 0x0
	s_getreg_b32 s7, hwreg(HW_REG_IB_STS2, 6, 4)
	s_load_b128 s[8:11], s[0:1], 0x28
                                        ; implicit-def: $sgpr12_sgpr13
	s_wait_kmcnt 0x0
	s_bitcmp1_b32 s6, 8
	s_cselect_b32 s16, -1, 0
	s_bfe_u32 s4, ttmp6, 0x4000c
	s_and_b32 s5, ttmp6, 15
	s_add_co_i32 s4, s4, 1
	s_delay_alu instid0(SALU_CYCLE_1) | instskip(NEXT) | instid1(SALU_CYCLE_1)
	s_mul_i32 s4, ttmp9, s4
	s_add_co_i32 s5, s5, s4
	s_cmp_eq_u32 s7, 0
	s_cselect_b32 s14, ttmp9, s5
	s_delay_alu instid0(SALU_CYCLE_1) | instskip(NEXT) | instid1(SALU_CYCLE_1)
	s_ashr_i32 s15, s14, 31
	s_lshl_b64 s[4:5], s[14:15], 3
	s_delay_alu instid0(SALU_CYCLE_1)
	s_add_nc_u64 s[2:3], s[2:3], s[4:5]
	s_bfe_u32 s4, s6, 0x10008
	s_load_b64 s[2:3], s[2:3], 0x0
	s_cmp_eq_u32 s4, 0
	s_cbranch_scc1 .LBB71_3
; %bb.2:
	s_load_b96 s[4:6], s[0:1], 0x18
	s_mul_u64 s[8:9], s[8:9], s[14:15]
	s_delay_alu instid0(SALU_CYCLE_1) | instskip(SKIP_4) | instid1(SALU_CYCLE_1)
	s_lshl_b64 s[8:9], s[8:9], 2
	s_wait_kmcnt 0x0
	s_ashr_i32 s7, s6, 31
	s_add_nc_u64 s[4:5], s[4:5], s[8:9]
	s_lshl_b64 s[6:7], s[6:7], 2
	s_add_nc_u64 s[12:13], s[4:5], s[6:7]
.LBB71_3:
	s_clause 0x1
	s_load_b64 s[4:5], s[0:1], 0x8
	s_load_b32 s6, s[0:1], 0x38
	v_dual_mov_b32 v1, 0 :: v_dual_lshlrev_b32 v18, 3, v0
	s_delay_alu instid0(VALU_DEP_1) | instskip(SKIP_4) | instid1(SALU_CYCLE_1)
	v_mov_b32_e32 v19, v1
	s_wait_kmcnt 0x0
	v_add3_u32 v32, s5, s5, v0
	s_ashr_i32 s1, s4, 31
	s_mov_b32 s0, s4
	s_lshl_b64 s[0:1], s[0:1], 3
	s_delay_alu instid0(VALU_DEP_1)
	v_add_nc_u32_e32 v38, s5, v32
	s_add_nc_u64 s[8:9], s[2:3], s[0:1]
	s_ashr_i32 s1, s5, 31
	s_mov_b32 s0, s5
	s_bitcmp0_b32 s6, 0
	v_add_nc_u32_e32 v40, s5, v38
	v_add_nc_u64_e32 v[34:35], s[8:9], v[18:19]
	s_delay_alu instid0(VALU_DEP_2) | instskip(NEXT) | instid1(VALU_DEP_2)
	v_add_nc_u32_e32 v42, s5, v40
	v_lshl_add_u64 v[36:37], s[0:1], 3, v[34:35]
	s_mov_b32 s0, -1
	s_delay_alu instid0(VALU_DEP_2)
	v_add_nc_u32_e32 v44, s5, v42
	flat_load_b64 v[4:5], v[36:37]
	v_add_nc_u32_e32 v46, s5, v44
	s_clause 0x6
	flat_load_b64 v[6:7], v32, s[8:9] scale_offset
	flat_load_b64 v[8:9], v38, s[8:9] scale_offset
	;; [unrolled: 1-line block ×7, first 2 shown]
	s_cbranch_scc1 .LBB71_14
; %bb.4:
	v_cmp_eq_u32_e64 s0, 0, v0
	s_wait_xcnt 0x0
	s_and_saveexec_b32 s1, s0
; %bb.5:
	v_mov_b32_e32 v19, 0
	ds_store_b32 v19, v19 offset:128
; %bb.6:
	s_or_b32 exec_lo, exec_lo, s1
	v_cmp_eq_u32_e32 vcc_lo, 1, v0
	s_mov_b32 s2, exec_lo
	s_wait_loadcnt_dscnt 0x0
	s_barrier_signal -1
	s_barrier_wait -1
	v_dual_cndmask_b32 v19, v3, v5 :: v_dual_cndmask_b32 v20, v2, v4
	v_cmp_eq_u32_e32 vcc_lo, 2, v0
	s_delay_alu instid0(VALU_DEP_2) | instskip(SKIP_1) | instid1(VALU_DEP_2)
	v_dual_cndmask_b32 v19, v19, v7 :: v_dual_cndmask_b32 v20, v20, v6
	v_cmp_eq_u32_e32 vcc_lo, 3, v0
	v_dual_cndmask_b32 v19, v19, v9 :: v_dual_cndmask_b32 v20, v20, v8
	v_cmp_eq_u32_e32 vcc_lo, 4, v0
	s_delay_alu instid0(VALU_DEP_2) | instskip(SKIP_1) | instid1(VALU_DEP_2)
	v_dual_cndmask_b32 v19, v19, v11 :: v_dual_cndmask_b32 v20, v20, v10
	v_cmp_eq_u32_e32 vcc_lo, 5, v0
	;; [unrolled: 5-line block ×3, first 2 shown]
	v_dual_cndmask_b32 v21, v19, v17 :: v_dual_cndmask_b32 v20, v20, v16
	s_delay_alu instid0(VALU_DEP_1)
	v_cmpx_eq_f64_e32 0, v[20:21]
	s_cbranch_execz .LBB71_10
; %bb.7:
	v_mov_b32_e32 v19, 0
	s_mov_b32 s3, 0
	ds_load_b32 v22, v19 offset:128
	s_wait_dscnt 0x0
	v_readfirstlane_b32 s1, v22
	v_add_nc_u32_e32 v22, 1, v0
	s_cmp_eq_u32 s1, 0
	s_delay_alu instid0(VALU_DEP_1) | instskip(SKIP_1) | instid1(SALU_CYCLE_1)
	v_cmp_gt_i32_e32 vcc_lo, s1, v22
	s_cselect_b32 s4, -1, 0
	s_or_b32 s4, s4, vcc_lo
	s_delay_alu instid0(SALU_CYCLE_1)
	s_and_b32 exec_lo, exec_lo, s4
	s_cbranch_execz .LBB71_10
; %bb.8:
	v_mov_b32_e32 v23, s1
.LBB71_9:                               ; =>This Inner Loop Header: Depth=1
	ds_cmpstore_rtn_b32 v23, v19, v22, v23 offset:128
	s_wait_dscnt 0x0
	v_cmp_ne_u32_e32 vcc_lo, 0, v23
	v_cmp_le_i32_e64 s1, v23, v22
	s_and_b32 s1, vcc_lo, s1
	s_delay_alu instid0(SALU_CYCLE_1) | instskip(NEXT) | instid1(SALU_CYCLE_1)
	s_and_b32 s1, exec_lo, s1
	s_or_b32 s3, s1, s3
	s_delay_alu instid0(SALU_CYCLE_1)
	s_and_not1_b32 exec_lo, exec_lo, s3
	s_cbranch_execnz .LBB71_9
.LBB71_10:
	s_or_b32 exec_lo, exec_lo, s2
	v_mov_b32_e32 v19, 0
	s_barrier_signal -1
	s_barrier_wait -1
	ds_load_b32 v22, v19 offset:128
	s_and_saveexec_b32 s1, s0
	s_cbranch_execz .LBB71_12
; %bb.11:
	s_lshl_b64 s[2:3], s[14:15], 2
	s_delay_alu instid0(SALU_CYCLE_1)
	s_add_nc_u64 s[2:3], s[10:11], s[2:3]
	s_wait_dscnt 0x0
	global_store_b32 v19, v22, s[2:3]
.LBB71_12:
	s_wait_xcnt 0x0
	s_or_b32 exec_lo, exec_lo, s1
	s_wait_dscnt 0x0
	v_cmp_ne_u32_e32 vcc_lo, 0, v22
	s_cbranch_vccz .LBB71_17
; %bb.13:
	s_mov_b32 s0, 0
                                        ; implicit-def: $vgpr2_vgpr3_vgpr4_vgpr5_vgpr6_vgpr7_vgpr8_vgpr9_vgpr10_vgpr11_vgpr12_vgpr13_vgpr14_vgpr15_vgpr16_vgpr17
.LBB71_14:
	s_delay_alu instid0(SALU_CYCLE_1)
	s_and_b32 vcc_lo, exec_lo, s0
	s_cbranch_vccz .LBB71_16
.LBB71_15:
	v_mov_b32_e32 v1, 0
	s_lshl_b64 s[0:1], s[14:15], 2
	s_delay_alu instid0(SALU_CYCLE_1)
	s_add_nc_u64 s[0:1], s[10:11], s[0:1]
	global_load_b32 v1, v1, s[0:1]
	s_wait_loadcnt 0x0
	v_cmp_ne_u32_e32 vcc_lo, 0, v1
	s_cbranch_vccz .LBB71_44
.LBB71_16:
	s_endpgm
.LBB71_17:
	v_div_scale_f64 v[22:23], null, v[20:21], v[20:21], 1.0
	v_div_scale_f64 v[28:29], vcc_lo, 1.0, v[20:21], 1.0
	v_cmp_eq_u32_e64 s1, 6, v0
	v_cmp_eq_u32_e64 s2, 5, v0
	v_cmp_eq_u32_e64 s3, 4, v0
	v_cmp_eq_u32_e64 s4, 3, v0
	v_cmp_eq_u32_e64 s5, 2, v0
	v_cmp_eq_u32_e64 s6, 1, v0
	v_cmp_eq_u32_e64 s7, 0, v0
	v_rcp_f64_e32 v[24:25], v[22:23]
	v_nop
	s_delay_alu instid0(TRANS32_DEP_1) | instskip(NEXT) | instid1(VALU_DEP_1)
	v_fma_f64 v[26:27], -v[22:23], v[24:25], 1.0
	v_fmac_f64_e32 v[24:25], v[24:25], v[26:27]
	s_delay_alu instid0(VALU_DEP_1) | instskip(NEXT) | instid1(VALU_DEP_1)
	v_fma_f64 v[26:27], -v[22:23], v[24:25], 1.0
	v_fmac_f64_e32 v[24:25], v[24:25], v[26:27]
	s_delay_alu instid0(VALU_DEP_1) | instskip(NEXT) | instid1(VALU_DEP_1)
	v_mul_f64_e32 v[26:27], v[28:29], v[24:25]
	v_fma_f64 v[22:23], -v[22:23], v[26:27], v[28:29]
	s_delay_alu instid0(VALU_DEP_1) | instskip(SKIP_1) | instid1(VALU_DEP_2)
	v_div_fmas_f64 v[22:23], v[22:23], v[24:25], v[26:27]
	v_cmp_eq_u32_e32 vcc_lo, 7, v0
	v_div_fixup_f64 v[20:21], v[22:23], v[20:21], 1.0
	s_delay_alu instid0(VALU_DEP_1) | instskip(NEXT) | instid1(VALU_DEP_2)
	v_dual_cndmask_b32 v17, v17, v21 :: v_dual_add_nc_u32 v22, 64, v18
	v_dual_cndmask_b32 v16, v16, v20, vcc_lo :: v_dual_cndmask_b32 v15, v15, v21, s1
	v_dual_cndmask_b32 v14, v14, v20, s1 :: v_dual_cndmask_b32 v13, v13, v21, s2
	v_dual_cndmask_b32 v12, v12, v20, s2 :: v_dual_cndmask_b32 v11, v11, v21, s3
	;; [unrolled: 1-line block ×5, first 2 shown]
	v_xor_b32_e32 v25, 0x80000000, v21
	v_dual_mov_b32 v24, v20 :: v_dual_cndmask_b32 v6, v6, v20, s5
	v_dual_cndmask_b32 v3, v3, v21, s7 :: v_dual_cndmask_b32 v2, v2, v20, s7
	ds_store_2addr_b64 v18, v[24:25], v[4:5] offset1:8
	s_wait_storecnt_dscnt 0x0
	s_barrier_signal -1
	s_barrier_wait -1
	s_and_saveexec_b32 s1, s0
	s_cbranch_execz .LBB71_19
; %bb.18:
	ds_load_b64 v[4:5], v22
	v_mov_b32_e32 v18, 0
	ds_load_b64 v[18:19], v18 offset:8
	s_wait_dscnt 0x1
	v_fma_f64 v[4:5], v[20:21], v[4:5], 0
	s_wait_dscnt 0x0
	s_delay_alu instid0(VALU_DEP_1)
	v_mul_f64_e32 v[4:5], v[4:5], v[18:19]
.LBB71_19:
	s_or_b32 exec_lo, exec_lo, s1
	s_delay_alu instid0(SALU_CYCLE_1)
	s_mov_b32 s2, exec_lo
	s_barrier_signal -1
	s_barrier_wait -1
	ds_store_b64 v22, v[6:7]
	s_wait_dscnt 0x0
	s_barrier_signal -1
	s_barrier_wait -1
	v_cmpx_gt_u32_e32 2, v0
	s_cbranch_execz .LBB71_23
; %bb.20:
	v_cmp_eq_u32_e32 vcc_lo, 1, v0
	v_cmp_eq_u32_e64 s1, 5, v0
	v_dual_cndmask_b32 v18, v3, v5 :: v_dual_cndmask_b32 v19, v2, v4
	v_cmp_eq_u32_e32 vcc_lo, 2, v0
	s_delay_alu instid0(VALU_DEP_2) | instskip(SKIP_1) | instid1(VALU_DEP_2)
	v_dual_cndmask_b32 v7, v18, v7 :: v_dual_cndmask_b32 v6, v19, v6
	v_cmp_eq_u32_e32 vcc_lo, 3, v0
	v_dual_cndmask_b32 v7, v7, v9 :: v_dual_cndmask_b32 v6, v6, v8
	v_cmp_eq_u32_e32 vcc_lo, 4, v0
	s_delay_alu instid0(VALU_DEP_2) | instskip(SKIP_3) | instid1(VALU_DEP_1)
	v_dual_cndmask_b32 v18, v7, v11 :: v_dual_cndmask_b32 v19, v6, v10
	ds_load_b64 v[6:7], v22
	v_cmp_eq_u32_e32 vcc_lo, 6, v0
	v_dual_cndmask_b32 v18, v18, v13, s1 :: v_dual_cndmask_b32 v19, v19, v12, s1
	v_dual_cndmask_b32 v18, v18, v15, vcc_lo :: v_dual_cndmask_b32 v20, v19, v14, vcc_lo
	v_cmp_eq_u32_e32 vcc_lo, 7, v0
	s_delay_alu instid0(VALU_DEP_2) | instskip(SKIP_1) | instid1(VALU_DEP_1)
	v_dual_cndmask_b32 v19, v18, v17 :: v_dual_cndmask_b32 v18, v20, v16
	s_wait_dscnt 0x0
	v_fma_f64 v[6:7], v[18:19], v[6:7], 0
	s_and_saveexec_b32 s1, s0
	s_cbranch_execz .LBB71_22
; %bb.21:
	v_mov_b32_e32 v18, 0
	ds_load_b64 v[18:19], v18 offset:72
	s_wait_dscnt 0x0
	v_fmac_f64_e32 v[6:7], v[4:5], v[18:19]
.LBB71_22:
	s_or_b32 exec_lo, exec_lo, s1
	v_mov_b32_e32 v18, 0
	ds_load_b64 v[18:19], v18 offset:16
	s_wait_dscnt 0x0
	v_mul_f64_e32 v[6:7], v[6:7], v[18:19]
.LBB71_23:
	s_or_b32 exec_lo, exec_lo, s2
	s_delay_alu instid0(SALU_CYCLE_1)
	s_mov_b32 s1, exec_lo
	s_barrier_signal -1
	s_barrier_wait -1
	ds_store_b64 v22, v[8:9]
	s_wait_dscnt 0x0
	s_barrier_signal -1
	s_barrier_wait -1
	v_cmpx_gt_u32_e32 3, v0
	s_cbranch_execz .LBB71_27
; %bb.24:
	v_mov_b64_e32 v[18:19], 0
	v_mov_b64_e32 v[20:21], v[0:1]
	v_lshl_add_u32 v23, v0, 3, 64
	s_mov_b32 s2, 0
.LBB71_25:                              ; =>This Inner Loop Header: Depth=1
	s_delay_alu instid0(VALU_DEP_2) | instskip(SKIP_3) | instid1(VALU_DEP_2)
	v_cmp_eq_u32_e32 vcc_lo, 1, v20
	v_cmp_eq_u32_e64 s0, 2, v20
	v_dual_cndmask_b32 v24, v3, v5 :: v_dual_cndmask_b32 v25, v2, v4
	v_cmp_eq_u32_e32 vcc_lo, 3, v20
	v_dual_cndmask_b32 v24, v24, v7, s0 :: v_dual_cndmask_b32 v25, v25, v6, s0
	v_cmp_eq_u32_e64 s0, 4, v20
	s_delay_alu instid0(VALU_DEP_2)
	v_dual_cndmask_b32 v26, v24, v9 :: v_dual_cndmask_b32 v27, v25, v8
	ds_load_b64 v[24:25], v23
	v_cmp_eq_u32_e32 vcc_lo, 5, v20
	v_add_nc_u32_e32 v23, 8, v23
	v_dual_cndmask_b32 v26, v26, v11, s0 :: v_dual_cndmask_b32 v27, v27, v10, s0
	v_cmp_eq_u32_e64 s0, 6, v20
	s_delay_alu instid0(VALU_DEP_2) | instskip(SKIP_2) | instid1(VALU_DEP_3)
	v_dual_cndmask_b32 v26, v26, v13 :: v_dual_cndmask_b32 v27, v27, v12
	v_cmp_eq_u32_e32 vcc_lo, 7, v20
	v_add_nc_u64_e32 v[20:21], 1, v[20:21]
	v_dual_cndmask_b32 v26, v26, v15, s0 :: v_dual_cndmask_b32 v28, v27, v14, s0
	s_delay_alu instid0(VALU_DEP_1) | instskip(SKIP_1) | instid1(VALU_DEP_1)
	v_dual_cndmask_b32 v27, v26, v17 :: v_dual_cndmask_b32 v26, v28, v16
	s_wait_dscnt 0x0
	v_fmac_f64_e32 v[18:19], v[26:27], v[24:25]
	s_delay_alu instid0(VALU_DEP_4) | instskip(NEXT) | instid1(VALU_DEP_1)
	v_add_nc_u32_e32 v24, -1, v20
	v_cmp_lt_u32_e32 vcc_lo, 1, v24
	s_or_b32 s2, vcc_lo, s2
	s_delay_alu instid0(SALU_CYCLE_1)
	s_and_not1_b32 exec_lo, exec_lo, s2
	s_cbranch_execnz .LBB71_25
; %bb.26:
	s_or_b32 exec_lo, exec_lo, s2
	v_mov_b32_e32 v8, 0
	ds_load_b64 v[8:9], v8 offset:24
	s_wait_dscnt 0x0
	v_mul_f64_e32 v[8:9], v[18:19], v[8:9]
.LBB71_27:
	s_or_b32 exec_lo, exec_lo, s1
	s_delay_alu instid0(SALU_CYCLE_1)
	s_mov_b32 s1, exec_lo
	s_barrier_signal -1
	s_barrier_wait -1
	ds_store_b64 v22, v[10:11]
	s_wait_dscnt 0x0
	s_barrier_signal -1
	s_barrier_wait -1
	v_cmpx_gt_u32_e32 4, v0
	s_cbranch_execz .LBB71_31
; %bb.28:
	v_mov_b64_e32 v[18:19], 0
	v_mov_b64_e32 v[20:21], v[0:1]
	v_lshl_add_u32 v23, v0, 3, 64
	s_mov_b32 s2, 0
.LBB71_29:                              ; =>This Inner Loop Header: Depth=1
	s_delay_alu instid0(VALU_DEP_2) | instskip(SKIP_3) | instid1(VALU_DEP_2)
	v_cmp_eq_u32_e32 vcc_lo, 1, v20
	v_cmp_eq_u32_e64 s0, 2, v20
	v_dual_cndmask_b32 v24, v3, v5 :: v_dual_cndmask_b32 v25, v2, v4
	v_cmp_eq_u32_e32 vcc_lo, 3, v20
	v_dual_cndmask_b32 v24, v24, v7, s0 :: v_dual_cndmask_b32 v25, v25, v6, s0
	v_cmp_eq_u32_e64 s0, 4, v20
	s_delay_alu instid0(VALU_DEP_2)
	v_dual_cndmask_b32 v26, v24, v9 :: v_dual_cndmask_b32 v27, v25, v8
	ds_load_b64 v[24:25], v23
	v_cmp_eq_u32_e32 vcc_lo, 5, v20
	v_add_nc_u32_e32 v23, 8, v23
	v_dual_cndmask_b32 v26, v26, v11, s0 :: v_dual_cndmask_b32 v27, v27, v10, s0
	v_cmp_eq_u32_e64 s0, 6, v20
	s_delay_alu instid0(VALU_DEP_2) | instskip(SKIP_2) | instid1(VALU_DEP_3)
	v_dual_cndmask_b32 v26, v26, v13 :: v_dual_cndmask_b32 v27, v27, v12
	v_cmp_eq_u32_e32 vcc_lo, 7, v20
	v_add_nc_u64_e32 v[20:21], 1, v[20:21]
	v_dual_cndmask_b32 v26, v26, v15, s0 :: v_dual_cndmask_b32 v28, v27, v14, s0
	s_delay_alu instid0(VALU_DEP_1) | instskip(SKIP_1) | instid1(VALU_DEP_1)
	v_dual_cndmask_b32 v27, v26, v17 :: v_dual_cndmask_b32 v26, v28, v16
	s_wait_dscnt 0x0
	v_fmac_f64_e32 v[18:19], v[26:27], v[24:25]
	s_delay_alu instid0(VALU_DEP_4) | instskip(NEXT) | instid1(VALU_DEP_1)
	v_add_nc_u32_e32 v24, -1, v20
	v_cmp_lt_u32_e32 vcc_lo, 2, v24
	s_or_b32 s2, vcc_lo, s2
	s_delay_alu instid0(SALU_CYCLE_1)
	s_and_not1_b32 exec_lo, exec_lo, s2
	s_cbranch_execnz .LBB71_29
; %bb.30:
	s_or_b32 exec_lo, exec_lo, s2
	v_mov_b32_e32 v10, 0
	ds_load_b64 v[10:11], v10 offset:32
	s_wait_dscnt 0x0
	v_mul_f64_e32 v[10:11], v[18:19], v[10:11]
.LBB71_31:
	;; [unrolled: 54-line block ×4, first 2 shown]
	s_or_b32 exec_lo, exec_lo, s1
	s_delay_alu instid0(SALU_CYCLE_1)
	s_mov_b32 s1, exec_lo
	s_barrier_signal -1
	s_barrier_wait -1
	ds_store_b64 v22, v[16:17]
	s_wait_dscnt 0x0
	s_barrier_signal -1
	s_barrier_wait -1
	v_cmpx_ne_u32_e32 7, v0
	s_cbranch_execz .LBB71_43
; %bb.40:
	v_mov_b64_e32 v[18:19], 0
	v_mov_b64_e32 v[20:21], v[0:1]
	v_lshl_add_u32 v22, v0, 3, 64
	s_mov_b32 s2, 0
.LBB71_41:                              ; =>This Inner Loop Header: Depth=1
	s_delay_alu instid0(VALU_DEP_2)
	v_cmp_eq_u32_e32 vcc_lo, 1, v20
	v_cmp_eq_u32_e64 s0, 2, v20
	ds_load_b64 v[24:25], v22
	v_dual_cndmask_b32 v1, v3, v5 :: v_dual_add_nc_u32 v22, 8, v22
	v_cndmask_b32_e32 v23, v2, v4, vcc_lo
	v_cmp_eq_u32_e32 vcc_lo, 3, v20
	s_delay_alu instid0(VALU_DEP_2) | instskip(SKIP_1) | instid1(VALU_DEP_2)
	v_dual_cndmask_b32 v1, v1, v7, s0 :: v_dual_cndmask_b32 v23, v23, v6, s0
	v_cmp_eq_u32_e64 s0, 4, v20
	v_dual_cndmask_b32 v1, v1, v9, vcc_lo :: v_dual_cndmask_b32 v23, v23, v8, vcc_lo
	v_cmp_eq_u32_e32 vcc_lo, 5, v20
	s_delay_alu instid0(VALU_DEP_2) | instskip(SKIP_1) | instid1(VALU_DEP_2)
	v_dual_cndmask_b32 v1, v1, v11, s0 :: v_dual_cndmask_b32 v23, v23, v10, s0
	v_cmp_eq_u32_e64 s0, 6, v20
	v_dual_cndmask_b32 v1, v1, v13, vcc_lo :: v_dual_cndmask_b32 v23, v23, v12, vcc_lo
	v_cmp_eq_u32_e32 vcc_lo, 7, v20
	v_add_nc_u64_e32 v[20:21], 1, v[20:21]
	s_delay_alu instid0(VALU_DEP_3) | instskip(NEXT) | instid1(VALU_DEP_1)
	v_dual_cndmask_b32 v1, v1, v15, s0 :: v_dual_cndmask_b32 v23, v23, v14, s0
	v_dual_cndmask_b32 v27, v1, v17 :: v_dual_cndmask_b32 v26, v23, v16
	s_delay_alu instid0(VALU_DEP_3) | instskip(SKIP_1) | instid1(VALU_DEP_2)
	v_add_nc_u32_e32 v1, -1, v20
	s_wait_dscnt 0x0
	v_fmac_f64_e32 v[18:19], v[26:27], v[24:25]
	s_delay_alu instid0(VALU_DEP_2) | instskip(SKIP_1) | instid1(SALU_CYCLE_1)
	v_cmp_lt_u32_e32 vcc_lo, 5, v1
	s_or_b32 s2, vcc_lo, s2
	s_and_not1_b32 exec_lo, exec_lo, s2
	s_cbranch_execnz .LBB71_41
; %bb.42:
	s_or_b32 exec_lo, exec_lo, s2
	v_mov_b32_e32 v1, 0
	ds_load_b64 v[16:17], v1 offset:56
	s_wait_dscnt 0x0
	v_mul_f64_e32 v[16:17], v[18:19], v[16:17]
.LBB71_43:
	s_or_b32 exec_lo, exec_lo, s1
	s_barrier_signal -1
	s_barrier_wait -1
	s_cbranch_execnz .LBB71_15
	s_branch .LBB71_16
.LBB71_44:
	s_wait_xcnt 0x0
	v_lshl_add_u32 v1, v0, 3, 64
	s_mov_b32 s0, exec_lo
	v_cmpx_eq_u32_e32 7, v0
	s_cbranch_execz .LBB71_46
; %bb.45:
	s_wait_dscnt 0x0
	v_mov_b64_e32 v[30:31], v[16:17]
	v_mov_b64_e32 v[28:29], v[14:15]
	;; [unrolled: 1-line block ×8, first 2 shown]
	s_mov_b32 s1, 0
	ds_store_b64 v1, v[14:15]
	v_dual_mov_b32 v28, s1 :: v_dual_mov_b32 v29, s1
	v_mov_b64_e32 v[2:3], v[16:17]
	v_mov_b64_e32 v[4:5], v[18:19]
	;; [unrolled: 1-line block ×8, first 2 shown]
.LBB71_46:
	s_or_b32 exec_lo, exec_lo, s0
	v_mov_b32_e32 v30, 0
	s_wait_storecnt_dscnt 0x0
	s_barrier_signal -1
	s_barrier_wait -1
	ds_load_b64 v[18:19], v30 offset:120
	s_mov_b32 s0, exec_lo
	s_wait_dscnt 0x0
	v_fma_f64 v[18:19], v[16:17], v[18:19], 0
	s_delay_alu instid0(VALU_DEP_1)
	v_add_f64_e64 v[14:15], v[14:15], -v[18:19]
	v_cmpx_lt_u32_e32 5, v0
	s_cbranch_execz .LBB71_48
; %bb.47:
	v_mov_b64_e32 v[28:29], v[16:17]
	s_delay_alu instid0(VALU_DEP_3)
	v_mov_b64_e32 v[26:27], v[14:15]
	v_mov_b64_e32 v[24:25], v[12:13]
	;; [unrolled: 1-line block ×7, first 2 shown]
	s_mov_b32 s1, 0
	ds_store_b64 v1, v[12:13]
	v_dual_mov_b32 v24, s1 :: v_dual_mov_b32 v25, s1
	v_mov_b64_e32 v[2:3], v[14:15]
	v_mov_b64_e32 v[4:5], v[16:17]
	v_mov_b64_e32 v[6:7], v[18:19]
	v_mov_b64_e32 v[8:9], v[20:21]
	v_mov_b64_e32 v[10:11], v[22:23]
	v_mov_b64_e32 v[12:13], v[24:25]
	v_mov_b64_e32 v[14:15], v[26:27]
	v_mov_b64_e32 v[16:17], v[28:29]
.LBB71_48:
	s_or_b32 exec_lo, exec_lo, s0
	s_wait_dscnt 0x0
	s_barrier_signal -1
	s_barrier_wait -1
	ds_load_b128 v[18:21], v30 offset:112
	s_mov_b32 s0, exec_lo
	s_wait_dscnt 0x0
	v_fma_f64 v[18:19], v[14:15], v[18:19], 0
	s_delay_alu instid0(VALU_DEP_1) | instskip(NEXT) | instid1(VALU_DEP_1)
	v_fmac_f64_e32 v[18:19], v[16:17], v[20:21]
	v_add_f64_e64 v[12:13], v[12:13], -v[18:19]
	v_cmpx_lt_u32_e32 4, v0
	s_cbranch_execz .LBB71_50
; %bb.49:
	v_mov_b64_e32 v[26:27], v[16:17]
	v_mov_b64_e32 v[24:25], v[14:15]
	s_delay_alu instid0(VALU_DEP_4)
	v_mov_b64_e32 v[22:23], v[12:13]
	v_mov_b64_e32 v[20:21], v[10:11]
	;; [unrolled: 1-line block ×6, first 2 shown]
	s_mov_b32 s1, 0
	ds_store_b64 v1, v[10:11]
	v_dual_mov_b32 v20, s1 :: v_dual_mov_b32 v21, s1
	v_mov_b64_e32 v[2:3], v[12:13]
	v_mov_b64_e32 v[4:5], v[14:15]
	;; [unrolled: 1-line block ×8, first 2 shown]
.LBB71_50:
	s_or_b32 exec_lo, exec_lo, s0
	v_mov_b32_e32 v26, 0
	s_wait_dscnt 0x0
	s_barrier_signal -1
	s_barrier_wait -1
	ds_load_2addr_b64 v[18:21], v26 offset0:13 offset1:14
	ds_load_b64 v[22:23], v26 offset:120
	s_mov_b32 s0, exec_lo
	s_wait_dscnt 0x1
	v_fma_f64 v[18:19], v[12:13], v[18:19], 0
	s_delay_alu instid0(VALU_DEP_1) | instskip(SKIP_1) | instid1(VALU_DEP_1)
	v_fmac_f64_e32 v[18:19], v[14:15], v[20:21]
	s_wait_dscnt 0x0
	v_fmac_f64_e32 v[18:19], v[16:17], v[22:23]
	s_delay_alu instid0(VALU_DEP_1)
	v_add_f64_e64 v[10:11], v[10:11], -v[18:19]
	v_cmpx_lt_u32_e32 3, v0
	s_cbranch_execz .LBB71_52
; %bb.51:
	v_mov_b64_e32 v[24:25], v[16:17]
	v_mov_b64_e32 v[22:23], v[14:15]
	;; [unrolled: 1-line block ×8, first 2 shown]
	s_mov_b32 s1, 0
	ds_store_b64 v1, v[8:9]
	v_dual_mov_b32 v16, s1 :: v_dual_mov_b32 v17, s1
	v_mov_b64_e32 v[2:3], v[10:11]
	v_mov_b64_e32 v[4:5], v[12:13]
	;; [unrolled: 1-line block ×3, first 2 shown]
	s_delay_alu instid0(VALU_DEP_4)
	v_mov_b64_e32 v[8:9], v[16:17]
	v_mov_b64_e32 v[10:11], v[18:19]
	;; [unrolled: 1-line block ×5, first 2 shown]
.LBB71_52:
	s_or_b32 exec_lo, exec_lo, s0
	s_wait_dscnt 0x0
	s_barrier_signal -1
	s_barrier_wait -1
	ds_load_b128 v[18:21], v26 offset:96
	ds_load_b128 v[22:25], v26 offset:112
	s_mov_b32 s0, exec_lo
	s_wait_dscnt 0x1
	v_fma_f64 v[18:19], v[10:11], v[18:19], 0
	s_delay_alu instid0(VALU_DEP_1) | instskip(SKIP_1) | instid1(VALU_DEP_1)
	v_fmac_f64_e32 v[18:19], v[12:13], v[20:21]
	s_wait_dscnt 0x0
	v_fmac_f64_e32 v[18:19], v[14:15], v[22:23]
	s_delay_alu instid0(VALU_DEP_1) | instskip(NEXT) | instid1(VALU_DEP_1)
	v_fmac_f64_e32 v[18:19], v[16:17], v[24:25]
	v_add_f64_e64 v[8:9], v[8:9], -v[18:19]
	v_cmpx_lt_u32_e32 2, v0
	s_cbranch_execz .LBB71_54
; %bb.53:
	v_mov_b64_e32 v[22:23], v[16:17]
	v_mov_b64_e32 v[20:21], v[14:15]
	;; [unrolled: 1-line block ×8, first 2 shown]
	s_mov_b32 s1, 0
	ds_store_b64 v1, v[6:7]
	v_dual_mov_b32 v12, s1 :: v_dual_mov_b32 v13, s1
	v_mov_b64_e32 v[2:3], v[8:9]
	v_mov_b64_e32 v[4:5], v[10:11]
	s_delay_alu instid0(VALU_DEP_3)
	v_mov_b64_e32 v[6:7], v[12:13]
	v_mov_b64_e32 v[8:9], v[14:15]
	;; [unrolled: 1-line block ×6, first 2 shown]
.LBB71_54:
	s_or_b32 exec_lo, exec_lo, s0
	v_mov_b32_e32 v22, 0
	s_wait_dscnt 0x0
	s_barrier_signal -1
	s_barrier_wait -1
	ds_load_2addr_b64 v[18:21], v22 offset0:11 offset1:12
	ds_load_2addr_b64 v[24:27], v22 offset0:13 offset1:14
	s_mov_b32 s0, exec_lo
	s_wait_dscnt 0x1
	v_fma_f64 v[18:19], v[8:9], v[18:19], 0
	s_delay_alu instid0(VALU_DEP_1) | instskip(SKIP_3) | instid1(VALU_DEP_1)
	v_fmac_f64_e32 v[18:19], v[10:11], v[20:21]
	ds_load_b64 v[20:21], v22 offset:120
	s_wait_dscnt 0x1
	v_fmac_f64_e32 v[18:19], v[12:13], v[24:25]
	v_fmac_f64_e32 v[18:19], v[14:15], v[26:27]
	s_wait_dscnt 0x0
	s_delay_alu instid0(VALU_DEP_1) | instskip(NEXT) | instid1(VALU_DEP_1)
	v_fmac_f64_e32 v[18:19], v[16:17], v[20:21]
	v_add_f64_e64 v[6:7], v[6:7], -v[18:19]
	v_cmpx_lt_u32_e32 1, v0
	s_cbranch_execz .LBB71_56
; %bb.55:
	v_mov_b64_e32 v[20:21], v[16:17]
	v_mov_b64_e32 v[18:19], v[14:15]
	;; [unrolled: 1-line block ×8, first 2 shown]
	s_mov_b32 s1, 0
	ds_store_b64 v1, v[4:5]
	v_dual_mov_b32 v8, s1 :: v_dual_mov_b32 v9, s1
	v_mov_b64_e32 v[2:3], v[6:7]
	s_delay_alu instid0(VALU_DEP_2)
	v_mov_b64_e32 v[4:5], v[8:9]
	v_mov_b64_e32 v[6:7], v[10:11]
	;; [unrolled: 1-line block ×7, first 2 shown]
.LBB71_56:
	s_or_b32 exec_lo, exec_lo, s0
	s_wait_dscnt 0x0
	s_barrier_signal -1
	s_barrier_wait -1
	ds_load_b128 v[18:21], v22 offset:80
	ds_load_b128 v[24:27], v22 offset:96
	v_dual_ashrrev_i32 v33, 31, v32 :: v_dual_ashrrev_i32 v43, 31, v42
	v_dual_ashrrev_i32 v41, 31, v40 :: v_dual_ashrrev_i32 v47, 31, v46
	v_ashrrev_i32_e32 v45, 31, v44
	s_mov_b32 s1, 0
	s_mov_b32 s0, exec_lo
	v_ashrrev_i32_e32 v39, 31, v38
	s_wait_dscnt 0x1
	v_fma_f64 v[28:29], v[6:7], v[18:19], 0
	s_delay_alu instid0(VALU_DEP_1) | instskip(SKIP_3) | instid1(VALU_DEP_1)
	v_fmac_f64_e32 v[28:29], v[8:9], v[20:21]
	ds_load_b128 v[18:21], v22 offset:112
	s_wait_dscnt 0x1
	v_fmac_f64_e32 v[28:29], v[10:11], v[24:25]
	v_fmac_f64_e32 v[28:29], v[12:13], v[26:27]
	s_wait_dscnt 0x0
	s_delay_alu instid0(VALU_DEP_1) | instskip(NEXT) | instid1(VALU_DEP_1)
	v_fmac_f64_e32 v[28:29], v[14:15], v[18:19]
	v_fmac_f64_e32 v[28:29], v[16:17], v[20:21]
	s_delay_alu instid0(VALU_DEP_1)
	v_add_f64_e64 v[4:5], v[4:5], -v[28:29]
	v_cmpx_ne_u32_e32 0, v0
	s_cbranch_execz .LBB71_58
; %bb.57:
	v_mov_b64_e32 v[18:19], v[16:17]
	v_mov_b64_e32 v[16:17], v[14:15]
	;; [unrolled: 1-line block ×8, first 2 shown]
	v_dual_mov_b32 v4, s1 :: v_dual_mov_b32 v5, s1
	ds_store_b64 v1, v[2:3]
	v_mov_b64_e32 v[2:3], v[4:5]
	v_mov_b64_e32 v[4:5], v[6:7]
	;; [unrolled: 1-line block ×8, first 2 shown]
.LBB71_58:
	s_or_b32 exec_lo, exec_lo, s0
	v_mov_b32_e32 v0, 0
	s_wait_dscnt 0x0
	s_barrier_signal -1
	s_barrier_wait -1
	ds_load_2addr_b64 v[18:21], v0 offset0:9 offset1:10
	ds_load_2addr_b64 v[22:25], v0 offset0:11 offset1:12
	s_and_b32 vcc_lo, exec_lo, s16
	s_wait_dscnt 0x1
	v_fma_f64 v[26:27], v[4:5], v[18:19], 0
	s_delay_alu instid0(VALU_DEP_1) | instskip(SKIP_1) | instid1(VALU_DEP_1)
	v_fmac_f64_e32 v[26:27], v[6:7], v[20:21]
	s_wait_dscnt 0x0
	v_fmac_f64_e32 v[26:27], v[8:9], v[22:23]
	ds_load_2addr_b64 v[18:21], v0 offset0:13 offset1:14
	ds_load_b64 v[22:23], v0 offset:120
	v_fmac_f64_e32 v[26:27], v[10:11], v[24:25]
	s_wait_dscnt 0x1
	s_delay_alu instid0(VALU_DEP_1) | instskip(NEXT) | instid1(VALU_DEP_1)
	v_fmac_f64_e32 v[26:27], v[12:13], v[18:19]
	v_fmac_f64_e32 v[26:27], v[14:15], v[20:21]
	s_wait_dscnt 0x0
	s_delay_alu instid0(VALU_DEP_1) | instskip(NEXT) | instid1(VALU_DEP_1)
	v_fmac_f64_e32 v[26:27], v[16:17], v[22:23]
	v_add_f64_e64 v[2:3], v[2:3], -v[26:27]
	s_cbranch_vccz .LBB71_73
; %bb.59:
	global_load_b32 v0, v0, s[12:13] offset:24
	s_wait_loadcnt 0x0
	v_readfirstlane_b32 s0, v0
	s_add_co_i32 s0, s0, -1
	s_delay_alu instid0(SALU_CYCLE_1)
	s_cmp_lg_u32 s0, 6
	s_cbranch_scc0 .LBB71_61
; %bb.60:
	s_lshl_b32 m0, s0, 1
	v_movrels_b32_e32 v0, v2
	v_movrels_b32_e32 v1, v3
	v_mov_b64_e32 v[30:31], v[16:17]
	v_mov_b64_e32 v[28:29], v[14:15]
	;; [unrolled: 1-line block ×8, first 2 shown]
	v_dual_mov_b32 v28, v0 :: v_dual_mov_b32 v29, v1
	s_delay_alu instid0(VALU_DEP_2) | instskip(NEXT) | instid1(VALU_DEP_3)
	v_movreld_b32_e32 v16, v14
	v_movreld_b32_e32 v17, v15
	v_mov_b64_e32 v[2:3], v[16:17]
	v_mov_b64_e32 v[4:5], v[18:19]
	;; [unrolled: 1-line block ×8, first 2 shown]
.LBB71_61:
	v_mov_b32_e32 v0, 0
	global_load_b32 v1, v0, s[12:13] offset:20
	s_wait_loadcnt 0x0
	v_readfirstlane_b32 s0, v1
	s_add_co_i32 s0, s0, -1
	s_delay_alu instid0(SALU_CYCLE_1)
	s_cmp_eq_u32 s0, 5
	s_cbranch_scc1 .LBB71_63
; %bb.62:
	s_lshl_b32 m0, s0, 1
	v_movrels_b32_e32 v1, v2
	v_movrels_b32_e32 v30, v3
	v_mov_b64_e32 v[28:29], v[16:17]
	v_mov_b64_e32 v[26:27], v[14:15]
	;; [unrolled: 1-line block ×8, first 2 shown]
	v_dual_mov_b32 v24, v1 :: v_dual_mov_b32 v25, v30
	s_delay_alu instid0(VALU_DEP_2) | instskip(NEXT) | instid1(VALU_DEP_3)
	v_movreld_b32_e32 v14, v12
	v_movreld_b32_e32 v15, v13
	v_mov_b64_e32 v[2:3], v[14:15]
	v_mov_b64_e32 v[4:5], v[16:17]
	;; [unrolled: 1-line block ×8, first 2 shown]
.LBB71_63:
	global_load_b32 v0, v0, s[12:13] offset:16
	s_wait_loadcnt 0x0
	v_readfirstlane_b32 s0, v0
	s_add_co_i32 s0, s0, -1
	s_delay_alu instid0(SALU_CYCLE_1)
	s_cmp_eq_u32 s0, 4
	s_cbranch_scc1 .LBB71_65
; %bb.64:
	s_lshl_b32 m0, s0, 1
	v_movrels_b32_e32 v0, v2
	v_movrels_b32_e32 v1, v3
	v_mov_b64_e32 v[26:27], v[16:17]
	v_mov_b64_e32 v[24:25], v[14:15]
	;; [unrolled: 1-line block ×8, first 2 shown]
	v_dual_mov_b32 v20, v0 :: v_dual_mov_b32 v21, v1
	s_delay_alu instid0(VALU_DEP_2) | instskip(NEXT) | instid1(VALU_DEP_3)
	v_movreld_b32_e32 v12, v10
	v_movreld_b32_e32 v13, v11
	v_mov_b64_e32 v[2:3], v[12:13]
	v_mov_b64_e32 v[4:5], v[14:15]
	;; [unrolled: 1-line block ×8, first 2 shown]
.LBB71_65:
	v_mov_b32_e32 v0, 0
	global_load_b32 v1, v0, s[12:13] offset:12
	s_wait_loadcnt 0x0
	v_readfirstlane_b32 s0, v1
	s_add_co_i32 s0, s0, -1
	s_delay_alu instid0(SALU_CYCLE_1)
	s_cmp_eq_u32 s0, 3
	s_cbranch_scc1 .LBB71_67
; %bb.66:
	s_lshl_b32 m0, s0, 1
	v_movrels_b32_e32 v1, v2
	v_movrels_b32_e32 v26, v3
	v_mov_b64_e32 v[24:25], v[16:17]
	v_mov_b64_e32 v[22:23], v[14:15]
	v_mov_b64_e32 v[20:21], v[12:13]
	v_mov_b64_e32 v[18:19], v[10:11]
	v_mov_b64_e32 v[16:17], v[8:9]
	v_mov_b64_e32 v[14:15], v[6:7]
	v_mov_b64_e32 v[12:13], v[4:5]
	v_mov_b64_e32 v[10:11], v[2:3]
	v_dual_mov_b32 v16, v1 :: v_dual_mov_b32 v17, v26
	s_delay_alu instid0(VALU_DEP_2) | instskip(NEXT) | instid1(VALU_DEP_3)
	v_movreld_b32_e32 v10, v8
	v_movreld_b32_e32 v11, v9
	v_mov_b64_e32 v[2:3], v[10:11]
	v_mov_b64_e32 v[4:5], v[12:13]
	;; [unrolled: 1-line block ×8, first 2 shown]
.LBB71_67:
	global_load_b32 v0, v0, s[12:13] offset:8
	s_wait_loadcnt 0x0
	v_readfirstlane_b32 s0, v0
	s_add_co_i32 s0, s0, -1
	s_delay_alu instid0(SALU_CYCLE_1)
	s_cmp_eq_u32 s0, 2
	s_cbranch_scc1 .LBB71_69
; %bb.68:
	s_lshl_b32 m0, s0, 1
	v_movrels_b32_e32 v0, v2
	v_movrels_b32_e32 v1, v3
	v_mov_b64_e32 v[22:23], v[16:17]
	v_mov_b64_e32 v[20:21], v[14:15]
	;; [unrolled: 1-line block ×8, first 2 shown]
	v_dual_mov_b32 v12, v0 :: v_dual_mov_b32 v13, v1
	s_delay_alu instid0(VALU_DEP_2) | instskip(NEXT) | instid1(VALU_DEP_3)
	v_movreld_b32_e32 v8, v6
	v_movreld_b32_e32 v9, v7
	v_mov_b64_e32 v[2:3], v[8:9]
	v_mov_b64_e32 v[4:5], v[10:11]
	;; [unrolled: 1-line block ×8, first 2 shown]
.LBB71_69:
	v_mov_b32_e32 v0, 0
	global_load_b32 v1, v0, s[12:13] offset:4
	s_wait_loadcnt 0x0
	v_readfirstlane_b32 s0, v1
	s_add_co_i32 s0, s0, -1
	s_delay_alu instid0(SALU_CYCLE_1)
	s_cmp_eq_u32 s0, 1
	s_cbranch_scc1 .LBB71_71
; %bb.70:
	s_lshl_b32 m0, s0, 1
	v_movrels_b32_e32 v1, v2
	v_movrels_b32_e32 v22, v3
	v_mov_b64_e32 v[20:21], v[16:17]
	v_mov_b64_e32 v[18:19], v[14:15]
	;; [unrolled: 1-line block ×8, first 2 shown]
	v_dual_mov_b32 v8, v1 :: v_dual_mov_b32 v9, v22
	s_delay_alu instid0(VALU_DEP_2) | instskip(NEXT) | instid1(VALU_DEP_3)
	v_movreld_b32_e32 v6, v4
	v_movreld_b32_e32 v7, v5
	v_mov_b64_e32 v[2:3], v[6:7]
	s_delay_alu instid0(VALU_DEP_4)
	v_mov_b64_e32 v[4:5], v[8:9]
	v_mov_b64_e32 v[6:7], v[10:11]
	;; [unrolled: 1-line block ×7, first 2 shown]
.LBB71_71:
	global_load_b32 v0, v0, s[12:13]
	s_wait_loadcnt 0x0
	v_readfirstlane_b32 s0, v0
	s_add_co_i32 s0, s0, -1
	s_delay_alu instid0(SALU_CYCLE_1)
	s_cmp_eq_u32 s0, 0
	s_cbranch_scc1 .LBB71_73
; %bb.72:
	s_lshl_b32 m0, s0, 1
	v_movrels_b32_e32 v0, v2
	v_movrels_b32_e32 v1, v3
	v_mov_b64_e32 v[18:19], v[16:17]
	v_mov_b64_e32 v[16:17], v[14:15]
	;; [unrolled: 1-line block ×8, first 2 shown]
	v_dual_mov_b32 v4, v0 :: v_dual_mov_b32 v5, v1
	s_delay_alu instid0(VALU_DEP_1) | instskip(NEXT) | instid1(VALU_DEP_2)
	v_movreld_b32_e32 v4, v2
	v_movreld_b32_e32 v5, v3
	v_mov_b64_e32 v[2:3], v[4:5]
	v_mov_b64_e32 v[4:5], v[6:7]
	;; [unrolled: 1-line block ×8, first 2 shown]
.LBB71_73:
	v_lshl_add_u64 v[26:27], v[32:33], 3, s[8:9]
	v_lshl_add_u64 v[24:25], v[38:39], 3, s[8:9]
	v_lshl_add_u64 v[22:23], v[40:41], 3, s[8:9]
	v_lshl_add_u64 v[20:21], v[42:43], 3, s[8:9]
	v_lshl_add_u64 v[18:19], v[44:45], 3, s[8:9]
	v_lshl_add_u64 v[0:1], v[46:47], 3, s[8:9]
	s_clause 0x7
	flat_store_b64 v[34:35], v[2:3]
	flat_store_b64 v[36:37], v[4:5]
	;; [unrolled: 1-line block ×8, first 2 shown]
	s_endpgm
	.section	.rodata,"a",@progbits
	.p2align	6, 0x0
	.amdhsa_kernel _ZN9rocsolver6v33100L18getri_kernel_smallILi8EdPKPdEEvT1_iilPiilS6_bb
		.amdhsa_group_segment_fixed_size 136
		.amdhsa_private_segment_fixed_size 0
		.amdhsa_kernarg_size 60
		.amdhsa_user_sgpr_count 2
		.amdhsa_user_sgpr_dispatch_ptr 0
		.amdhsa_user_sgpr_queue_ptr 0
		.amdhsa_user_sgpr_kernarg_segment_ptr 1
		.amdhsa_user_sgpr_dispatch_id 0
		.amdhsa_user_sgpr_kernarg_preload_length 0
		.amdhsa_user_sgpr_kernarg_preload_offset 0
		.amdhsa_user_sgpr_private_segment_size 0
		.amdhsa_wavefront_size32 1
		.amdhsa_uses_dynamic_stack 0
		.amdhsa_enable_private_segment 0
		.amdhsa_system_sgpr_workgroup_id_x 1
		.amdhsa_system_sgpr_workgroup_id_y 0
		.amdhsa_system_sgpr_workgroup_id_z 0
		.amdhsa_system_sgpr_workgroup_info 0
		.amdhsa_system_vgpr_workitem_id 0
		.amdhsa_next_free_vgpr 48
		.amdhsa_next_free_sgpr 17
		.amdhsa_named_barrier_count 0
		.amdhsa_reserve_vcc 1
		.amdhsa_float_round_mode_32 0
		.amdhsa_float_round_mode_16_64 0
		.amdhsa_float_denorm_mode_32 3
		.amdhsa_float_denorm_mode_16_64 3
		.amdhsa_fp16_overflow 0
		.amdhsa_memory_ordered 1
		.amdhsa_forward_progress 1
		.amdhsa_inst_pref_size 41
		.amdhsa_round_robin_scheduling 0
		.amdhsa_exception_fp_ieee_invalid_op 0
		.amdhsa_exception_fp_denorm_src 0
		.amdhsa_exception_fp_ieee_div_zero 0
		.amdhsa_exception_fp_ieee_overflow 0
		.amdhsa_exception_fp_ieee_underflow 0
		.amdhsa_exception_fp_ieee_inexact 0
		.amdhsa_exception_int_div_zero 0
	.end_amdhsa_kernel
	.section	.text._ZN9rocsolver6v33100L18getri_kernel_smallILi8EdPKPdEEvT1_iilPiilS6_bb,"axG",@progbits,_ZN9rocsolver6v33100L18getri_kernel_smallILi8EdPKPdEEvT1_iilPiilS6_bb,comdat
.Lfunc_end71:
	.size	_ZN9rocsolver6v33100L18getri_kernel_smallILi8EdPKPdEEvT1_iilPiilS6_bb, .Lfunc_end71-_ZN9rocsolver6v33100L18getri_kernel_smallILi8EdPKPdEEvT1_iilPiilS6_bb
                                        ; -- End function
	.set _ZN9rocsolver6v33100L18getri_kernel_smallILi8EdPKPdEEvT1_iilPiilS6_bb.num_vgpr, 48
	.set _ZN9rocsolver6v33100L18getri_kernel_smallILi8EdPKPdEEvT1_iilPiilS6_bb.num_agpr, 0
	.set _ZN9rocsolver6v33100L18getri_kernel_smallILi8EdPKPdEEvT1_iilPiilS6_bb.numbered_sgpr, 17
	.set _ZN9rocsolver6v33100L18getri_kernel_smallILi8EdPKPdEEvT1_iilPiilS6_bb.num_named_barrier, 0
	.set _ZN9rocsolver6v33100L18getri_kernel_smallILi8EdPKPdEEvT1_iilPiilS6_bb.private_seg_size, 0
	.set _ZN9rocsolver6v33100L18getri_kernel_smallILi8EdPKPdEEvT1_iilPiilS6_bb.uses_vcc, 1
	.set _ZN9rocsolver6v33100L18getri_kernel_smallILi8EdPKPdEEvT1_iilPiilS6_bb.uses_flat_scratch, 1
	.set _ZN9rocsolver6v33100L18getri_kernel_smallILi8EdPKPdEEvT1_iilPiilS6_bb.has_dyn_sized_stack, 0
	.set _ZN9rocsolver6v33100L18getri_kernel_smallILi8EdPKPdEEvT1_iilPiilS6_bb.has_recursion, 0
	.set _ZN9rocsolver6v33100L18getri_kernel_smallILi8EdPKPdEEvT1_iilPiilS6_bb.has_indirect_call, 0
	.section	.AMDGPU.csdata,"",@progbits
; Kernel info:
; codeLenInByte = 5164
; TotalNumSgprs: 19
; NumVgprs: 48
; ScratchSize: 0
; MemoryBound: 0
; FloatMode: 240
; IeeeMode: 1
; LDSByteSize: 136 bytes/workgroup (compile time only)
; SGPRBlocks: 0
; VGPRBlocks: 2
; NumSGPRsForWavesPerEU: 19
; NumVGPRsForWavesPerEU: 48
; NamedBarCnt: 0
; Occupancy: 16
; WaveLimiterHint : 1
; COMPUTE_PGM_RSRC2:SCRATCH_EN: 0
; COMPUTE_PGM_RSRC2:USER_SGPR: 2
; COMPUTE_PGM_RSRC2:TRAP_HANDLER: 0
; COMPUTE_PGM_RSRC2:TGID_X_EN: 1
; COMPUTE_PGM_RSRC2:TGID_Y_EN: 0
; COMPUTE_PGM_RSRC2:TGID_Z_EN: 0
; COMPUTE_PGM_RSRC2:TIDIG_COMP_CNT: 0
	.section	.text._ZN9rocsolver6v33100L18getri_kernel_smallILi9EdPKPdEEvT1_iilPiilS6_bb,"axG",@progbits,_ZN9rocsolver6v33100L18getri_kernel_smallILi9EdPKPdEEvT1_iilPiilS6_bb,comdat
	.globl	_ZN9rocsolver6v33100L18getri_kernel_smallILi9EdPKPdEEvT1_iilPiilS6_bb ; -- Begin function _ZN9rocsolver6v33100L18getri_kernel_smallILi9EdPKPdEEvT1_iilPiilS6_bb
	.p2align	8
	.type	_ZN9rocsolver6v33100L18getri_kernel_smallILi9EdPKPdEEvT1_iilPiilS6_bb,@function
_ZN9rocsolver6v33100L18getri_kernel_smallILi9EdPKPdEEvT1_iilPiilS6_bb: ; @_ZN9rocsolver6v33100L18getri_kernel_smallILi9EdPKPdEEvT1_iilPiilS6_bb
; %bb.0:
	s_mov_b32 s2, exec_lo
	v_cmpx_gt_u32_e32 9, v0
	s_cbranch_execz .LBB72_16
; %bb.1:
	s_clause 0x1
	s_load_b32 s6, s[0:1], 0x38
	s_load_b64 s[2:3], s[0:1], 0x0
	s_getreg_b32 s7, hwreg(HW_REG_IB_STS2, 6, 4)
	s_load_b128 s[8:11], s[0:1], 0x28
                                        ; implicit-def: $sgpr12_sgpr13
	s_wait_kmcnt 0x0
	s_bitcmp1_b32 s6, 8
	s_cselect_b32 s18, -1, 0
	s_bfe_u32 s4, ttmp6, 0x4000c
	s_and_b32 s5, ttmp6, 15
	s_add_co_i32 s4, s4, 1
	s_delay_alu instid0(SALU_CYCLE_1) | instskip(NEXT) | instid1(SALU_CYCLE_1)
	s_mul_i32 s4, ttmp9, s4
	s_add_co_i32 s5, s5, s4
	s_cmp_eq_u32 s7, 0
	s_cselect_b32 s16, ttmp9, s5
	s_delay_alu instid0(SALU_CYCLE_1) | instskip(NEXT) | instid1(SALU_CYCLE_1)
	s_ashr_i32 s17, s16, 31
	s_lshl_b64 s[4:5], s[16:17], 3
	s_delay_alu instid0(SALU_CYCLE_1)
	s_add_nc_u64 s[2:3], s[2:3], s[4:5]
	s_bfe_u32 s4, s6, 0x10008
	s_load_b64 s[2:3], s[2:3], 0x0
	s_cmp_eq_u32 s4, 0
	s_cbranch_scc1 .LBB72_3
; %bb.2:
	s_load_b96 s[4:6], s[0:1], 0x18
	s_mul_u64 s[8:9], s[8:9], s[16:17]
	s_delay_alu instid0(SALU_CYCLE_1) | instskip(SKIP_4) | instid1(SALU_CYCLE_1)
	s_lshl_b64 s[8:9], s[8:9], 2
	s_wait_kmcnt 0x0
	s_ashr_i32 s7, s6, 31
	s_add_nc_u64 s[4:5], s[4:5], s[8:9]
	s_lshl_b64 s[6:7], s[6:7], 2
	s_add_nc_u64 s[12:13], s[4:5], s[6:7]
.LBB72_3:
	s_clause 0x1
	s_load_b64 s[4:5], s[0:1], 0x8
	s_load_b32 s6, s[0:1], 0x38
	v_mov_b32_e32 v1, 0
	s_wait_kmcnt 0x0
	v_add3_u32 v52, s5, s5, v0
	s_ashr_i32 s1, s4, 31
	s_mov_b32 s0, s4
	s_delay_alu instid0(SALU_CYCLE_1) | instskip(NEXT) | instid1(VALU_DEP_1)
	s_lshl_b64 s[0:1], s[0:1], 3
	v_add_nc_u32_e32 v54, s5, v52
	v_lshlrev_b32_e32 v20, 3, v0
	s_add_nc_u64 s[14:15], s[2:3], s[0:1]
	s_ashr_i32 s1, s5, 31
	s_mov_b32 s0, s5
	v_dual_mov_b32 v21, v1 :: v_dual_add_nc_u32 v60, s5, v54
	s_bitcmp0_b32 s6, 0
	s_delay_alu instid0(VALU_DEP_1) | instskip(NEXT) | instid1(VALU_DEP_2)
	v_add_nc_u32_e32 v62, s5, v60
	v_add_nc_u64_e32 v[56:57], s[14:15], v[20:21]
	s_delay_alu instid0(VALU_DEP_2) | instskip(NEXT) | instid1(VALU_DEP_2)
	v_add_nc_u32_e32 v64, s5, v62
	v_lshl_add_u64 v[58:59], s[0:1], 3, v[56:57]
	s_mov_b32 s0, -1
	s_delay_alu instid0(VALU_DEP_2)
	v_add_nc_u32_e32 v66, s5, v64
	flat_load_b64 v[4:5], v[58:59]
	v_add_nc_u32_e32 v68, s5, v66
	s_clause 0x7
	flat_load_b64 v[6:7], v52, s[14:15] scale_offset
	flat_load_b64 v[8:9], v54, s[14:15] scale_offset
	;; [unrolled: 1-line block ×8, first 2 shown]
	s_cbranch_scc1 .LBB72_14
; %bb.4:
	v_cmp_eq_u32_e64 s0, 0, v0
	s_wait_xcnt 0x0
	s_and_saveexec_b32 s1, s0
; %bb.5:
	v_mov_b32_e32 v21, 0
	ds_store_b32 v21, v21 offset:72
; %bb.6:
	s_or_b32 exec_lo, exec_lo, s1
	v_cmp_eq_u32_e32 vcc_lo, 1, v0
	s_mov_b32 s2, exec_lo
	s_wait_loadcnt_dscnt 0x0
	s_barrier_signal -1
	s_barrier_wait -1
	v_dual_cndmask_b32 v21, v3, v5 :: v_dual_cndmask_b32 v22, v2, v4
	v_cmp_eq_u32_e32 vcc_lo, 2, v0
	s_delay_alu instid0(VALU_DEP_2) | instskip(SKIP_1) | instid1(VALU_DEP_2)
	v_dual_cndmask_b32 v21, v21, v7 :: v_dual_cndmask_b32 v22, v22, v6
	v_cmp_eq_u32_e32 vcc_lo, 3, v0
	v_dual_cndmask_b32 v21, v21, v9 :: v_dual_cndmask_b32 v22, v22, v8
	v_cmp_eq_u32_e32 vcc_lo, 4, v0
	s_delay_alu instid0(VALU_DEP_2) | instskip(SKIP_1) | instid1(VALU_DEP_2)
	v_dual_cndmask_b32 v21, v21, v11 :: v_dual_cndmask_b32 v22, v22, v10
	v_cmp_eq_u32_e32 vcc_lo, 5, v0
	;; [unrolled: 5-line block ×3, first 2 shown]
	v_dual_cndmask_b32 v21, v21, v17 :: v_dual_cndmask_b32 v22, v22, v16
	v_cmp_eq_u32_e32 vcc_lo, 8, v0
	s_delay_alu instid0(VALU_DEP_2) | instskip(NEXT) | instid1(VALU_DEP_1)
	v_dual_cndmask_b32 v23, v21, v19 :: v_dual_cndmask_b32 v22, v22, v18
	v_cmpx_eq_f64_e32 0, v[22:23]
	s_cbranch_execz .LBB72_10
; %bb.7:
	v_mov_b32_e32 v21, 0
	s_mov_b32 s3, 0
	ds_load_b32 v24, v21 offset:72
	s_wait_dscnt 0x0
	v_readfirstlane_b32 s1, v24
	v_add_nc_u32_e32 v24, 1, v0
	s_cmp_eq_u32 s1, 0
	s_delay_alu instid0(VALU_DEP_1) | instskip(SKIP_1) | instid1(SALU_CYCLE_1)
	v_cmp_gt_i32_e32 vcc_lo, s1, v24
	s_cselect_b32 s4, -1, 0
	s_or_b32 s4, s4, vcc_lo
	s_delay_alu instid0(SALU_CYCLE_1)
	s_and_b32 exec_lo, exec_lo, s4
	s_cbranch_execz .LBB72_10
; %bb.8:
	v_mov_b32_e32 v25, s1
.LBB72_9:                               ; =>This Inner Loop Header: Depth=1
	ds_cmpstore_rtn_b32 v25, v21, v24, v25 offset:72
	s_wait_dscnt 0x0
	v_cmp_ne_u32_e32 vcc_lo, 0, v25
	v_cmp_le_i32_e64 s1, v25, v24
	s_and_b32 s1, vcc_lo, s1
	s_delay_alu instid0(SALU_CYCLE_1) | instskip(NEXT) | instid1(SALU_CYCLE_1)
	s_and_b32 s1, exec_lo, s1
	s_or_b32 s3, s1, s3
	s_delay_alu instid0(SALU_CYCLE_1)
	s_and_not1_b32 exec_lo, exec_lo, s3
	s_cbranch_execnz .LBB72_9
.LBB72_10:
	s_or_b32 exec_lo, exec_lo, s2
	v_mov_b32_e32 v21, 0
	s_barrier_signal -1
	s_barrier_wait -1
	ds_load_b32 v24, v21 offset:72
	s_and_saveexec_b32 s1, s0
	s_cbranch_execz .LBB72_12
; %bb.11:
	s_lshl_b64 s[2:3], s[16:17], 2
	s_delay_alu instid0(SALU_CYCLE_1)
	s_add_nc_u64 s[2:3], s[10:11], s[2:3]
	s_wait_dscnt 0x0
	global_store_b32 v21, v24, s[2:3]
.LBB72_12:
	s_wait_xcnt 0x0
	s_or_b32 exec_lo, exec_lo, s1
	s_wait_dscnt 0x0
	v_cmp_ne_u32_e32 vcc_lo, 0, v24
	s_cbranch_vccz .LBB72_17
; %bb.13:
	s_mov_b32 s0, 0
                                        ; implicit-def: $vgpr2_vgpr3_vgpr4_vgpr5_vgpr6_vgpr7_vgpr8_vgpr9_vgpr10_vgpr11_vgpr12_vgpr13_vgpr14_vgpr15_vgpr16_vgpr17_vgpr18_vgpr19_vgpr20_vgpr21_vgpr22_vgpr23_vgpr24_vgpr25_vgpr26_vgpr27_vgpr28_vgpr29_vgpr30_vgpr31_vgpr32_vgpr33
.LBB72_14:
	s_delay_alu instid0(SALU_CYCLE_1)
	s_and_b32 vcc_lo, exec_lo, s0
	s_cbranch_vccz .LBB72_16
.LBB72_15:
	v_mov_b32_e32 v1, 0
	s_lshl_b64 s[0:1], s[16:17], 2
	s_delay_alu instid0(SALU_CYCLE_1)
	s_add_nc_u64 s[0:1], s[10:11], s[0:1]
	global_load_b32 v1, v1, s[0:1]
	s_wait_loadcnt 0x0
	v_cmp_ne_u32_e32 vcc_lo, 0, v1
	s_cbranch_vccz .LBB72_60
.LBB72_16:
	s_sendmsg sendmsg(MSG_DEALLOC_VGPRS)
	s_endpgm
.LBB72_17:
	v_div_scale_f64 v[24:25], null, v[22:23], v[22:23], 1.0
	v_div_scale_f64 v[30:31], vcc_lo, 1.0, v[22:23], 1.0
	v_cmp_eq_u32_e64 s1, 7, v0
	v_cmp_eq_u32_e64 s2, 6, v0
	;; [unrolled: 1-line block ×8, first 2 shown]
	v_rcp_f64_e32 v[26:27], v[24:25]
	v_nop
	s_delay_alu instid0(TRANS32_DEP_1) | instskip(NEXT) | instid1(VALU_DEP_1)
	v_fma_f64 v[28:29], -v[24:25], v[26:27], 1.0
	v_fmac_f64_e32 v[26:27], v[26:27], v[28:29]
	s_delay_alu instid0(VALU_DEP_1) | instskip(NEXT) | instid1(VALU_DEP_1)
	v_fma_f64 v[28:29], -v[24:25], v[26:27], 1.0
	v_fmac_f64_e32 v[26:27], v[26:27], v[28:29]
	s_delay_alu instid0(VALU_DEP_1) | instskip(NEXT) | instid1(VALU_DEP_1)
	v_mul_f64_e32 v[28:29], v[30:31], v[26:27]
	v_fma_f64 v[24:25], -v[24:25], v[28:29], v[30:31]
	s_delay_alu instid0(VALU_DEP_1) | instskip(SKIP_1) | instid1(VALU_DEP_2)
	v_div_fmas_f64 v[24:25], v[24:25], v[26:27], v[28:29]
	v_cmp_eq_u32_e32 vcc_lo, 8, v0
	v_div_fixup_f64 v[22:23], v[24:25], v[22:23], 1.0
	s_delay_alu instid0(VALU_DEP_1) | instskip(NEXT) | instid1(VALU_DEP_2)
	v_dual_cndmask_b32 v19, v19, v23 :: v_dual_add_nc_u32 v24, 0x50, v20
	v_dual_cndmask_b32 v18, v18, v22, vcc_lo :: v_dual_cndmask_b32 v17, v17, v23, s1
	v_dual_cndmask_b32 v16, v16, v22, s1 :: v_dual_cndmask_b32 v15, v15, v23, s2
	v_dual_cndmask_b32 v14, v14, v22, s2 :: v_dual_cndmask_b32 v13, v13, v23, s3
	;; [unrolled: 1-line block ×5, first 2 shown]
	v_dual_cndmask_b32 v4, v4, v22, s7 :: v_dual_mov_b32 v26, v22
	v_xor_b32_e32 v27, 0x80000000, v23
	v_dual_cndmask_b32 v7, v7, v23, s6 :: v_dual_cndmask_b32 v6, v6, v22, s6
	v_dual_cndmask_b32 v3, v3, v23, s8 :: v_dual_cndmask_b32 v2, v2, v22, s8
	ds_store_2addr_b64 v20, v[26:27], v[4:5] offset1:10
	s_wait_storecnt_dscnt 0x0
	s_barrier_signal -1
	s_barrier_wait -1
	s_and_saveexec_b32 s1, s0
	s_cbranch_execz .LBB72_19
; %bb.18:
	ds_load_b64 v[4:5], v24
	v_mov_b32_e32 v20, 0
	ds_load_b64 v[20:21], v20 offset:8
	s_wait_dscnt 0x1
	v_fma_f64 v[4:5], v[22:23], v[4:5], 0
	s_wait_dscnt 0x0
	s_delay_alu instid0(VALU_DEP_1)
	v_mul_f64_e32 v[4:5], v[4:5], v[20:21]
.LBB72_19:
	s_or_b32 exec_lo, exec_lo, s1
	s_delay_alu instid0(SALU_CYCLE_1)
	s_mov_b32 s2, exec_lo
	s_barrier_signal -1
	s_barrier_wait -1
	ds_store_b64 v24, v[6:7]
	s_wait_dscnt 0x0
	s_barrier_signal -1
	s_barrier_wait -1
	v_cmpx_gt_u32_e32 2, v0
	s_cbranch_execz .LBB72_23
; %bb.20:
	v_cmp_eq_u32_e32 vcc_lo, 1, v0
	v_cmp_eq_u32_e64 s1, 6, v0
	v_dual_cndmask_b32 v20, v3, v5 :: v_dual_cndmask_b32 v21, v2, v4
	v_cmp_eq_u32_e32 vcc_lo, 2, v0
	s_delay_alu instid0(VALU_DEP_2) | instskip(SKIP_1) | instid1(VALU_DEP_2)
	v_dual_cndmask_b32 v7, v20, v7 :: v_dual_cndmask_b32 v6, v21, v6
	v_cmp_eq_u32_e32 vcc_lo, 3, v0
	v_dual_cndmask_b32 v7, v7, v9 :: v_dual_cndmask_b32 v6, v6, v8
	v_cmp_eq_u32_e32 vcc_lo, 4, v0
	s_delay_alu instid0(VALU_DEP_2) | instskip(SKIP_1) | instid1(VALU_DEP_2)
	v_dual_cndmask_b32 v7, v7, v11 :: v_dual_cndmask_b32 v6, v6, v10
	v_cmp_eq_u32_e32 vcc_lo, 5, v0
	v_dual_cndmask_b32 v20, v7, v13 :: v_dual_cndmask_b32 v21, v6, v12
	ds_load_b64 v[6:7], v24
	v_cmp_eq_u32_e32 vcc_lo, 7, v0
	v_dual_cndmask_b32 v20, v20, v15, s1 :: v_dual_cndmask_b32 v21, v21, v14, s1
	s_delay_alu instid0(VALU_DEP_1) | instskip(SKIP_1) | instid1(VALU_DEP_2)
	v_dual_cndmask_b32 v20, v20, v17, vcc_lo :: v_dual_cndmask_b32 v22, v21, v16, vcc_lo
	v_cmp_eq_u32_e32 vcc_lo, 8, v0
	v_dual_cndmask_b32 v21, v20, v19 :: v_dual_cndmask_b32 v20, v22, v18
	s_wait_dscnt 0x0
	s_delay_alu instid0(VALU_DEP_1)
	v_fma_f64 v[6:7], v[20:21], v[6:7], 0
	s_and_saveexec_b32 s1, s0
	s_cbranch_execz .LBB72_22
; %bb.21:
	v_mov_b32_e32 v20, 0
	ds_load_b64 v[20:21], v20 offset:88
	s_wait_dscnt 0x0
	v_fmac_f64_e32 v[6:7], v[4:5], v[20:21]
.LBB72_22:
	s_or_b32 exec_lo, exec_lo, s1
	v_mov_b32_e32 v20, 0
	ds_load_b64 v[20:21], v20 offset:16
	s_wait_dscnt 0x0
	v_mul_f64_e32 v[6:7], v[6:7], v[20:21]
.LBB72_23:
	s_or_b32 exec_lo, exec_lo, s2
	v_cmp_gt_u32_e32 vcc_lo, 3, v0
	s_barrier_signal -1
	s_barrier_wait -1
	ds_store_b64 v24, v[8:9]
	s_wait_dscnt 0x0
	s_barrier_signal -1
	s_barrier_wait -1
	s_and_saveexec_b32 s3, vcc_lo
	s_cbranch_execz .LBB72_27
; %bb.24:
	v_mov_b64_e32 v[20:21], 0
	v_mov_b64_e32 v[22:23], v[0:1]
	v_lshl_add_u32 v25, v0, 3, 0x50
	s_mov_b32 s4, 0
.LBB72_25:                              ; =>This Inner Loop Header: Depth=1
	s_delay_alu instid0(VALU_DEP_2) | instskip(SKIP_1) | instid1(VALU_DEP_2)
	v_cmp_eq_u32_e64 s1, 1, v22
	v_cmp_eq_u32_e64 s2, 2, v22
	v_dual_cndmask_b32 v26, v3, v5, s1 :: v_dual_cndmask_b32 v27, v2, v4, s1
	v_cmp_eq_u32_e64 s1, 3, v22
	s_delay_alu instid0(VALU_DEP_2) | instskip(SKIP_1) | instid1(VALU_DEP_2)
	v_dual_cndmask_b32 v26, v26, v7, s2 :: v_dual_cndmask_b32 v27, v27, v6, s2
	v_cmp_eq_u32_e64 s2, 4, v22
	v_dual_cndmask_b32 v26, v26, v9, s1 :: v_dual_cndmask_b32 v27, v27, v8, s1
	v_cmp_eq_u32_e64 s1, 5, v22
	s_delay_alu instid0(VALU_DEP_2)
	v_dual_cndmask_b32 v28, v26, v11, s2 :: v_dual_cndmask_b32 v29, v27, v10, s2
	ds_load_b64 v[26:27], v25
	v_cmp_eq_u32_e64 s2, 6, v22
	v_add_nc_u32_e32 v25, 8, v25
	v_dual_cndmask_b32 v28, v28, v13, s1 :: v_dual_cndmask_b32 v29, v29, v12, s1
	v_cmp_eq_u32_e64 s1, 7, v22
	s_delay_alu instid0(VALU_DEP_2) | instskip(SKIP_2) | instid1(VALU_DEP_3)
	v_dual_cndmask_b32 v28, v28, v15, s2 :: v_dual_cndmask_b32 v29, v29, v14, s2
	v_cmp_eq_u32_e64 s2, 8, v22
	v_add_nc_u64_e32 v[22:23], 1, v[22:23]
	v_dual_cndmask_b32 v28, v28, v17, s1 :: v_dual_cndmask_b32 v30, v29, v16, s1
	s_delay_alu instid0(VALU_DEP_1) | instskip(SKIP_1) | instid1(VALU_DEP_1)
	v_dual_cndmask_b32 v29, v28, v19, s2 :: v_dual_cndmask_b32 v28, v30, v18, s2
	s_wait_dscnt 0x0
	v_fmac_f64_e32 v[20:21], v[28:29], v[26:27]
	s_delay_alu instid0(VALU_DEP_4) | instskip(NEXT) | instid1(VALU_DEP_1)
	v_add_nc_u32_e32 v26, -1, v22
	v_cmp_lt_u32_e64 s1, 1, v26
	s_or_b32 s4, s1, s4
	s_delay_alu instid0(SALU_CYCLE_1)
	s_and_not1_b32 exec_lo, exec_lo, s4
	s_cbranch_execnz .LBB72_25
; %bb.26:
	s_or_b32 exec_lo, exec_lo, s4
	v_mov_b32_e32 v8, 0
	ds_load_b64 v[8:9], v8 offset:24
	s_wait_dscnt 0x0
	v_mul_f64_e32 v[8:9], v[20:21], v[8:9]
.LBB72_27:
	s_or_b32 exec_lo, exec_lo, s3
	s_delay_alu instid0(SALU_CYCLE_1)
	s_mov_b32 s3, exec_lo
	s_barrier_signal -1
	s_barrier_wait -1
	ds_store_b64 v24, v[10:11]
	s_wait_dscnt 0x0
	s_barrier_signal -1
	s_barrier_wait -1
	v_cmpx_gt_u32_e32 4, v0
	s_cbranch_execz .LBB72_31
; %bb.28:
	v_mov_b64_e32 v[20:21], 0
	v_mov_b64_e32 v[22:23], v[0:1]
	v_lshl_add_u32 v25, v0, 3, 0x50
	s_mov_b32 s4, 0
.LBB72_29:                              ; =>This Inner Loop Header: Depth=1
	s_delay_alu instid0(VALU_DEP_2) | instskip(SKIP_1) | instid1(VALU_DEP_2)
	v_cmp_eq_u32_e64 s1, 1, v22
	v_cmp_eq_u32_e64 s2, 2, v22
	v_dual_cndmask_b32 v26, v3, v5, s1 :: v_dual_cndmask_b32 v27, v2, v4, s1
	v_cmp_eq_u32_e64 s1, 3, v22
	s_delay_alu instid0(VALU_DEP_2) | instskip(SKIP_1) | instid1(VALU_DEP_2)
	v_dual_cndmask_b32 v26, v26, v7, s2 :: v_dual_cndmask_b32 v27, v27, v6, s2
	v_cmp_eq_u32_e64 s2, 4, v22
	v_dual_cndmask_b32 v26, v26, v9, s1 :: v_dual_cndmask_b32 v27, v27, v8, s1
	v_cmp_eq_u32_e64 s1, 5, v22
	s_delay_alu instid0(VALU_DEP_2)
	v_dual_cndmask_b32 v28, v26, v11, s2 :: v_dual_cndmask_b32 v29, v27, v10, s2
	ds_load_b64 v[26:27], v25
	v_cmp_eq_u32_e64 s2, 6, v22
	v_add_nc_u32_e32 v25, 8, v25
	v_dual_cndmask_b32 v28, v28, v13, s1 :: v_dual_cndmask_b32 v29, v29, v12, s1
	v_cmp_eq_u32_e64 s1, 7, v22
	s_delay_alu instid0(VALU_DEP_2) | instskip(SKIP_2) | instid1(VALU_DEP_3)
	v_dual_cndmask_b32 v28, v28, v15, s2 :: v_dual_cndmask_b32 v29, v29, v14, s2
	v_cmp_eq_u32_e64 s2, 8, v22
	v_add_nc_u64_e32 v[22:23], 1, v[22:23]
	v_dual_cndmask_b32 v28, v28, v17, s1 :: v_dual_cndmask_b32 v30, v29, v16, s1
	s_delay_alu instid0(VALU_DEP_1) | instskip(SKIP_1) | instid1(VALU_DEP_1)
	v_dual_cndmask_b32 v29, v28, v19, s2 :: v_dual_cndmask_b32 v28, v30, v18, s2
	s_wait_dscnt 0x0
	v_fmac_f64_e32 v[20:21], v[28:29], v[26:27]
	s_delay_alu instid0(VALU_DEP_4) | instskip(NEXT) | instid1(VALU_DEP_1)
	v_add_nc_u32_e32 v26, -1, v22
	v_cmp_lt_u32_e64 s1, 2, v26
	s_or_b32 s4, s1, s4
	s_delay_alu instid0(SALU_CYCLE_1)
	s_and_not1_b32 exec_lo, exec_lo, s4
	s_cbranch_execnz .LBB72_29
; %bb.30:
	s_or_b32 exec_lo, exec_lo, s4
	v_mov_b32_e32 v10, 0
	ds_load_b64 v[10:11], v10 offset:32
	s_wait_dscnt 0x0
	v_mul_f64_e32 v[10:11], v[20:21], v[10:11]
.LBB72_31:
	s_or_b32 exec_lo, exec_lo, s3
	v_cmp_gt_u32_e64 s1, 5, v0
	s_barrier_signal -1
	s_barrier_wait -1
	ds_store_b64 v24, v[12:13]
	s_wait_dscnt 0x0
	s_barrier_signal -1
	s_barrier_wait -1
	s_and_saveexec_b32 s4, s1
	s_cbranch_execz .LBB72_35
; %bb.32:
	v_mov_b64_e32 v[20:21], 0
	v_mov_b64_e32 v[22:23], v[0:1]
	v_lshl_add_u32 v25, v0, 3, 0x50
	s_mov_b32 s5, 0
.LBB72_33:                              ; =>This Inner Loop Header: Depth=1
	s_delay_alu instid0(VALU_DEP_2) | instskip(SKIP_1) | instid1(VALU_DEP_2)
	v_cmp_eq_u32_e64 s2, 1, v22
	v_cmp_eq_u32_e64 s3, 2, v22
	v_dual_cndmask_b32 v26, v3, v5, s2 :: v_dual_cndmask_b32 v27, v2, v4, s2
	v_cmp_eq_u32_e64 s2, 3, v22
	s_delay_alu instid0(VALU_DEP_2) | instskip(SKIP_1) | instid1(VALU_DEP_2)
	v_dual_cndmask_b32 v26, v26, v7, s3 :: v_dual_cndmask_b32 v27, v27, v6, s3
	v_cmp_eq_u32_e64 s3, 4, v22
	v_dual_cndmask_b32 v26, v26, v9, s2 :: v_dual_cndmask_b32 v27, v27, v8, s2
	v_cmp_eq_u32_e64 s2, 5, v22
	s_delay_alu instid0(VALU_DEP_2)
	v_dual_cndmask_b32 v28, v26, v11, s3 :: v_dual_cndmask_b32 v29, v27, v10, s3
	ds_load_b64 v[26:27], v25
	v_cmp_eq_u32_e64 s3, 6, v22
	v_add_nc_u32_e32 v25, 8, v25
	v_dual_cndmask_b32 v28, v28, v13, s2 :: v_dual_cndmask_b32 v29, v29, v12, s2
	v_cmp_eq_u32_e64 s2, 7, v22
	s_delay_alu instid0(VALU_DEP_2) | instskip(SKIP_2) | instid1(VALU_DEP_3)
	v_dual_cndmask_b32 v28, v28, v15, s3 :: v_dual_cndmask_b32 v29, v29, v14, s3
	v_cmp_eq_u32_e64 s3, 8, v22
	v_add_nc_u64_e32 v[22:23], 1, v[22:23]
	v_dual_cndmask_b32 v28, v28, v17, s2 :: v_dual_cndmask_b32 v30, v29, v16, s2
	s_delay_alu instid0(VALU_DEP_1) | instskip(SKIP_1) | instid1(VALU_DEP_1)
	v_dual_cndmask_b32 v29, v28, v19, s3 :: v_dual_cndmask_b32 v28, v30, v18, s3
	s_wait_dscnt 0x0
	v_fmac_f64_e32 v[20:21], v[28:29], v[26:27]
	s_delay_alu instid0(VALU_DEP_4) | instskip(NEXT) | instid1(VALU_DEP_1)
	v_add_nc_u32_e32 v26, -1, v22
	v_cmp_lt_u32_e64 s2, 3, v26
	s_or_b32 s5, s2, s5
	s_delay_alu instid0(SALU_CYCLE_1)
	s_and_not1_b32 exec_lo, exec_lo, s5
	s_cbranch_execnz .LBB72_33
; %bb.34:
	s_or_b32 exec_lo, exec_lo, s5
	v_mov_b32_e32 v12, 0
	ds_load_b64 v[12:13], v12 offset:40
	s_wait_dscnt 0x0
	v_mul_f64_e32 v[12:13], v[20:21], v[12:13]
.LBB72_35:
	s_or_b32 exec_lo, exec_lo, s4
	s_delay_alu instid0(SALU_CYCLE_1)
	s_mov_b32 s4, exec_lo
	s_barrier_signal -1
	s_barrier_wait -1
	ds_store_b64 v24, v[14:15]
	s_wait_dscnt 0x0
	s_barrier_signal -1
	s_barrier_wait -1
	v_cmpx_gt_u32_e32 6, v0
	s_cbranch_execz .LBB72_39
; %bb.36:
	v_mov_b64_e32 v[20:21], 0
	v_mov_b64_e32 v[22:23], v[0:1]
	v_lshl_add_u32 v25, v0, 3, 0x50
	s_mov_b32 s5, 0
.LBB72_37:                              ; =>This Inner Loop Header: Depth=1
	s_delay_alu instid0(VALU_DEP_2) | instskip(SKIP_1) | instid1(VALU_DEP_2)
	v_cmp_eq_u32_e64 s2, 1, v22
	v_cmp_eq_u32_e64 s3, 2, v22
	v_dual_cndmask_b32 v26, v3, v5, s2 :: v_dual_cndmask_b32 v27, v2, v4, s2
	v_cmp_eq_u32_e64 s2, 3, v22
	s_delay_alu instid0(VALU_DEP_2) | instskip(SKIP_1) | instid1(VALU_DEP_2)
	v_dual_cndmask_b32 v26, v26, v7, s3 :: v_dual_cndmask_b32 v27, v27, v6, s3
	v_cmp_eq_u32_e64 s3, 4, v22
	v_dual_cndmask_b32 v26, v26, v9, s2 :: v_dual_cndmask_b32 v27, v27, v8, s2
	v_cmp_eq_u32_e64 s2, 5, v22
	s_delay_alu instid0(VALU_DEP_2)
	v_dual_cndmask_b32 v28, v26, v11, s3 :: v_dual_cndmask_b32 v29, v27, v10, s3
	ds_load_b64 v[26:27], v25
	v_cmp_eq_u32_e64 s3, 6, v22
	v_add_nc_u32_e32 v25, 8, v25
	v_dual_cndmask_b32 v28, v28, v13, s2 :: v_dual_cndmask_b32 v29, v29, v12, s2
	v_cmp_eq_u32_e64 s2, 7, v22
	s_delay_alu instid0(VALU_DEP_2) | instskip(SKIP_2) | instid1(VALU_DEP_3)
	v_dual_cndmask_b32 v28, v28, v15, s3 :: v_dual_cndmask_b32 v29, v29, v14, s3
	v_cmp_eq_u32_e64 s3, 8, v22
	v_add_nc_u64_e32 v[22:23], 1, v[22:23]
	v_dual_cndmask_b32 v28, v28, v17, s2 :: v_dual_cndmask_b32 v30, v29, v16, s2
	s_delay_alu instid0(VALU_DEP_1) | instskip(SKIP_1) | instid1(VALU_DEP_1)
	v_dual_cndmask_b32 v29, v28, v19, s3 :: v_dual_cndmask_b32 v28, v30, v18, s3
	s_wait_dscnt 0x0
	v_fmac_f64_e32 v[20:21], v[28:29], v[26:27]
	s_delay_alu instid0(VALU_DEP_4) | instskip(NEXT) | instid1(VALU_DEP_1)
	v_add_nc_u32_e32 v26, -1, v22
	v_cmp_lt_u32_e64 s2, 4, v26
	s_or_b32 s5, s2, s5
	s_delay_alu instid0(SALU_CYCLE_1)
	s_and_not1_b32 exec_lo, exec_lo, s5
	s_cbranch_execnz .LBB72_37
; %bb.38:
	s_or_b32 exec_lo, exec_lo, s5
	v_mov_b32_e32 v14, 0
	ds_load_b64 v[14:15], v14 offset:48
	s_wait_dscnt 0x0
	v_mul_f64_e32 v[14:15], v[20:21], v[14:15]
.LBB72_39:
	s_or_b32 exec_lo, exec_lo, s4
	v_cmp_gt_u32_e64 s2, 7, v0
	s_barrier_signal -1
	s_barrier_wait -1
	ds_store_b64 v24, v[16:17]
	s_wait_dscnt 0x0
	s_barrier_signal -1
	s_barrier_wait -1
	s_and_saveexec_b32 s5, s2
	s_cbranch_execz .LBB72_43
; %bb.40:
	v_mov_b64_e32 v[20:21], 0
	v_mov_b64_e32 v[22:23], v[0:1]
	v_lshl_add_u32 v25, v0, 3, 0x50
	s_mov_b32 s6, 0
.LBB72_41:                              ; =>This Inner Loop Header: Depth=1
	s_delay_alu instid0(VALU_DEP_2) | instskip(SKIP_1) | instid1(VALU_DEP_2)
	v_cmp_eq_u32_e64 s3, 1, v22
	v_cmp_eq_u32_e64 s4, 2, v22
	v_dual_cndmask_b32 v1, v3, v5, s3 :: v_dual_cndmask_b32 v26, v2, v4, s3
	v_cmp_eq_u32_e64 s3, 3, v22
	s_delay_alu instid0(VALU_DEP_2) | instskip(SKIP_1) | instid1(VALU_DEP_2)
	v_dual_cndmask_b32 v1, v1, v7, s4 :: v_dual_cndmask_b32 v26, v26, v6, s4
	v_cmp_eq_u32_e64 s4, 4, v22
	v_dual_cndmask_b32 v1, v1, v9, s3 :: v_dual_cndmask_b32 v26, v26, v8, s3
	v_cmp_eq_u32_e64 s3, 5, v22
	s_delay_alu instid0(VALU_DEP_2)
	v_dual_cndmask_b32 v1, v1, v11, s4 :: v_dual_cndmask_b32 v28, v26, v10, s4
	ds_load_b64 v[26:27], v25
	v_cmp_eq_u32_e64 s4, 6, v22
	v_add_nc_u32_e32 v25, 8, v25
	v_dual_cndmask_b32 v1, v1, v13, s3 :: v_dual_cndmask_b32 v28, v28, v12, s3
	v_cmp_eq_u32_e64 s3, 7, v22
	s_delay_alu instid0(VALU_DEP_2) | instskip(SKIP_2) | instid1(VALU_DEP_3)
	v_dual_cndmask_b32 v1, v1, v15, s4 :: v_dual_cndmask_b32 v28, v28, v14, s4
	v_cmp_eq_u32_e64 s4, 8, v22
	v_add_nc_u64_e32 v[22:23], 1, v[22:23]
	v_dual_cndmask_b32 v1, v1, v17, s3 :: v_dual_cndmask_b32 v28, v28, v16, s3
	s_delay_alu instid0(VALU_DEP_1) | instskip(NEXT) | instid1(VALU_DEP_3)
	v_dual_cndmask_b32 v29, v1, v19, s4 :: v_dual_cndmask_b32 v28, v28, v18, s4
	v_add_nc_u32_e32 v1, -1, v22
	s_wait_dscnt 0x0
	s_delay_alu instid0(VALU_DEP_2) | instskip(NEXT) | instid1(VALU_DEP_2)
	v_fmac_f64_e32 v[20:21], v[28:29], v[26:27]
	v_cmp_lt_u32_e64 s3, 5, v1
	s_or_b32 s6, s3, s6
	s_delay_alu instid0(SALU_CYCLE_1)
	s_and_not1_b32 exec_lo, exec_lo, s6
	s_cbranch_execnz .LBB72_41
; %bb.42:
	s_or_b32 exec_lo, exec_lo, s6
	v_mov_b32_e32 v1, 0
	ds_load_b64 v[16:17], v1 offset:56
	s_wait_dscnt 0x0
	v_mul_f64_e32 v[16:17], v[20:21], v[16:17]
.LBB72_43:
	s_or_b32 exec_lo, exec_lo, s5
	s_delay_alu instid0(SALU_CYCLE_1)
	s_mov_b32 s5, exec_lo
	s_barrier_signal -1
	s_barrier_wait -1
	ds_store_b64 v24, v[18:19]
	s_wait_dscnt 0x0
	s_barrier_signal -1
	s_barrier_wait -1
	v_cmpx_ne_u32_e32 8, v0
	s_cbranch_execz .LBB72_59
; %bb.44:
	v_cmp_eq_u32_e64 s3, 1, v0
	v_cmp_eq_u32_e64 s4, 6, v0
	s_delay_alu instid0(VALU_DEP_2) | instskip(SKIP_1) | instid1(VALU_DEP_1)
	v_dual_cndmask_b32 v1, v3, v5, s3 :: v_dual_cndmask_b32 v20, v2, v4, s3
	v_cmp_eq_u32_e64 s3, 2, v0
	v_dual_cndmask_b32 v1, v1, v7, s3 :: v_dual_cndmask_b32 v20, v20, v6, s3
	v_cmp_eq_u32_e64 s3, 3, v0
	s_delay_alu instid0(VALU_DEP_1) | instskip(SKIP_1) | instid1(VALU_DEP_1)
	v_dual_cndmask_b32 v1, v1, v9, s3 :: v_dual_cndmask_b32 v20, v20, v8, s3
	v_cmp_eq_u32_e64 s3, 4, v0
	v_dual_cndmask_b32 v1, v1, v11, s3 :: v_dual_cndmask_b32 v20, v20, v10, s3
	v_cmp_eq_u32_e64 s3, 5, v0
	s_delay_alu instid0(VALU_DEP_1) | instskip(SKIP_3) | instid1(VALU_DEP_1)
	v_dual_cndmask_b32 v1, v1, v13, s3 :: v_dual_cndmask_b32 v22, v20, v12, s3
	ds_load_b64 v[20:21], v24
	v_cmp_eq_u32_e64 s3, 7, v0
	v_dual_cndmask_b32 v1, v1, v15, s4 :: v_dual_cndmask_b32 v22, v22, v14, s4
	v_dual_cndmask_b32 v1, v1, v17, s3 :: v_dual_cndmask_b32 v22, v22, v16, s3
	v_cmp_eq_u32_e64 s3, 8, v0
	s_delay_alu instid0(VALU_DEP_1) | instskip(SKIP_1) | instid1(VALU_DEP_1)
	v_dual_cndmask_b32 v23, v1, v19, s3 :: v_dual_cndmask_b32 v22, v22, v18, s3
	s_wait_dscnt 0x0
	v_fma_f64 v[20:21], v[22:23], v[20:21], 0
	s_and_saveexec_b32 s4, s2
	s_cbranch_execz .LBB72_58
; %bb.45:
	v_add_nc_u32_e32 v1, 1, v0
	s_mov_b32 s6, exec_lo
	s_delay_alu instid0(VALU_DEP_1) | instskip(NEXT) | instid1(VALU_DEP_1)
	v_cmp_eq_u32_e64 s2, 1, v1
	v_cndmask_b32_e64 v22, v3, v5, s2
	v_cmp_eq_u32_e64 s3, 6, v1
	v_cndmask_b32_e64 v23, v2, v4, s2
	v_cmp_eq_u32_e64 s2, 2, v1
	s_delay_alu instid0(VALU_DEP_1) | instskip(SKIP_1) | instid1(VALU_DEP_1)
	v_dual_cndmask_b32 v22, v22, v7, s2 :: v_dual_cndmask_b32 v23, v23, v6, s2
	v_cmp_eq_u32_e64 s2, 3, v1
	v_dual_cndmask_b32 v22, v22, v9, s2 :: v_dual_cndmask_b32 v23, v23, v8, s2
	v_cmp_eq_u32_e64 s2, 4, v1
	s_delay_alu instid0(VALU_DEP_1) | instskip(SKIP_1) | instid1(VALU_DEP_1)
	v_dual_cndmask_b32 v22, v22, v11, s2 :: v_dual_cndmask_b32 v23, v23, v10, s2
	v_cmp_eq_u32_e64 s2, 5, v1
	v_dual_cndmask_b32 v25, v22, v13, s2 :: v_dual_cndmask_b32 v26, v23, v12, s2
	ds_load_b64 v[22:23], v24 offset:8
	v_cmp_eq_u32_e64 s2, 7, v1
	v_dual_cndmask_b32 v25, v25, v15, s3 :: v_dual_cndmask_b32 v26, v26, v14, s3
	s_delay_alu instid0(VALU_DEP_1) | instskip(SKIP_1) | instid1(VALU_DEP_1)
	v_dual_cndmask_b32 v25, v25, v17, s2 :: v_dual_cndmask_b32 v26, v26, v16, s2
	v_cmp_eq_u32_e64 s2, 8, v1
	v_dual_cndmask_b32 v27, v25, v19, s2 :: v_dual_cndmask_b32 v26, v26, v18, s2
	s_wait_dscnt 0x0
	s_delay_alu instid0(VALU_DEP_1)
	v_fmac_f64_e32 v[20:21], v[26:27], v[22:23]
	v_cmpx_ne_u32_e32 6, v0
	s_cbranch_execz .LBB72_57
; %bb.46:
	v_add_nc_u32_e32 v1, 2, v0
	s_delay_alu instid0(VALU_DEP_1) | instskip(NEXT) | instid1(VALU_DEP_1)
	v_cmp_eq_u32_e64 s2, 1, v1
	v_cndmask_b32_e64 v22, v3, v5, s2
	v_cmp_eq_u32_e64 s3, 6, v1
	v_cndmask_b32_e64 v23, v2, v4, s2
	v_cmp_eq_u32_e64 s2, 2, v1
	s_delay_alu instid0(VALU_DEP_1) | instskip(SKIP_1) | instid1(VALU_DEP_1)
	v_dual_cndmask_b32 v22, v22, v7, s2 :: v_dual_cndmask_b32 v23, v23, v6, s2
	v_cmp_eq_u32_e64 s2, 3, v1
	v_dual_cndmask_b32 v22, v22, v9, s2 :: v_dual_cndmask_b32 v23, v23, v8, s2
	v_cmp_eq_u32_e64 s2, 4, v1
	s_delay_alu instid0(VALU_DEP_1) | instskip(SKIP_1) | instid1(VALU_DEP_1)
	v_dual_cndmask_b32 v22, v22, v11, s2 :: v_dual_cndmask_b32 v23, v23, v10, s2
	v_cmp_eq_u32_e64 s2, 5, v1
	v_dual_cndmask_b32 v25, v22, v13, s2 :: v_dual_cndmask_b32 v26, v23, v12, s2
	ds_load_b64 v[22:23], v24 offset:16
	v_cmp_eq_u32_e64 s2, 7, v1
	v_dual_cndmask_b32 v25, v25, v15, s3 :: v_dual_cndmask_b32 v26, v26, v14, s3
	s_delay_alu instid0(VALU_DEP_1) | instskip(SKIP_1) | instid1(VALU_DEP_1)
	v_dual_cndmask_b32 v25, v25, v17, s2 :: v_dual_cndmask_b32 v26, v26, v16, s2
	v_cmp_eq_u32_e64 s2, 8, v1
	v_dual_cndmask_b32 v27, v25, v19, s2 :: v_dual_cndmask_b32 v26, v26, v18, s2
	s_wait_dscnt 0x0
	s_delay_alu instid0(VALU_DEP_1)
	v_fmac_f64_e32 v[20:21], v[26:27], v[22:23]
	s_and_saveexec_b32 s3, s1
	s_cbranch_execz .LBB72_56
; %bb.47:
	v_add_nc_u32_e32 v1, 3, v0
	s_mov_b32 s7, exec_lo
	s_delay_alu instid0(VALU_DEP_1) | instskip(NEXT) | instid1(VALU_DEP_1)
	v_cmp_eq_u32_e64 s1, 1, v1
	v_cndmask_b32_e64 v22, v3, v5, s1
	v_cmp_eq_u32_e64 s2, 6, v1
	v_cndmask_b32_e64 v23, v2, v4, s1
	v_cmp_eq_u32_e64 s1, 2, v1
	s_delay_alu instid0(VALU_DEP_1) | instskip(SKIP_1) | instid1(VALU_DEP_1)
	v_dual_cndmask_b32 v22, v22, v7, s1 :: v_dual_cndmask_b32 v23, v23, v6, s1
	v_cmp_eq_u32_e64 s1, 3, v1
	v_dual_cndmask_b32 v22, v22, v9, s1 :: v_dual_cndmask_b32 v23, v23, v8, s1
	v_cmp_eq_u32_e64 s1, 4, v1
	s_delay_alu instid0(VALU_DEP_1) | instskip(SKIP_1) | instid1(VALU_DEP_1)
	v_dual_cndmask_b32 v22, v22, v11, s1 :: v_dual_cndmask_b32 v23, v23, v10, s1
	v_cmp_eq_u32_e64 s1, 5, v1
	v_dual_cndmask_b32 v25, v22, v13, s1 :: v_dual_cndmask_b32 v26, v23, v12, s1
	ds_load_b64 v[22:23], v24 offset:24
	v_cmp_eq_u32_e64 s1, 7, v1
	v_dual_cndmask_b32 v25, v25, v15, s2 :: v_dual_cndmask_b32 v26, v26, v14, s2
	s_delay_alu instid0(VALU_DEP_1) | instskip(SKIP_1) | instid1(VALU_DEP_1)
	v_dual_cndmask_b32 v25, v25, v17, s1 :: v_dual_cndmask_b32 v26, v26, v16, s1
	v_cmp_eq_u32_e64 s1, 8, v1
	v_dual_cndmask_b32 v27, v25, v19, s1 :: v_dual_cndmask_b32 v26, v26, v18, s1
	s_wait_dscnt 0x0
	s_delay_alu instid0(VALU_DEP_1)
	v_fmac_f64_e32 v[20:21], v[26:27], v[22:23]
	v_cmpx_ne_u32_e32 4, v0
	s_cbranch_execz .LBB72_55
; %bb.48:
	v_add_nc_u32_e32 v1, 4, v0
	s_delay_alu instid0(VALU_DEP_1) | instskip(NEXT) | instid1(VALU_DEP_1)
	v_cmp_eq_u32_e64 s1, 1, v1
	v_cndmask_b32_e64 v22, v3, v5, s1
	v_cmp_eq_u32_e64 s2, 6, v1
	v_cndmask_b32_e64 v23, v2, v4, s1
	v_cmp_eq_u32_e64 s1, 2, v1
	s_delay_alu instid0(VALU_DEP_1) | instskip(SKIP_1) | instid1(VALU_DEP_1)
	v_dual_cndmask_b32 v22, v22, v7, s1 :: v_dual_cndmask_b32 v23, v23, v6, s1
	v_cmp_eq_u32_e64 s1, 3, v1
	v_dual_cndmask_b32 v22, v22, v9, s1 :: v_dual_cndmask_b32 v23, v23, v8, s1
	v_cmp_eq_u32_e64 s1, 4, v1
	s_delay_alu instid0(VALU_DEP_1) | instskip(SKIP_1) | instid1(VALU_DEP_1)
	v_dual_cndmask_b32 v22, v22, v11, s1 :: v_dual_cndmask_b32 v23, v23, v10, s1
	v_cmp_eq_u32_e64 s1, 5, v1
	v_dual_cndmask_b32 v25, v22, v13, s1 :: v_dual_cndmask_b32 v26, v23, v12, s1
	ds_load_b64 v[22:23], v24 offset:32
	v_cmp_eq_u32_e64 s1, 7, v1
	v_dual_cndmask_b32 v25, v25, v15, s2 :: v_dual_cndmask_b32 v26, v26, v14, s2
	s_delay_alu instid0(VALU_DEP_1) | instskip(SKIP_1) | instid1(VALU_DEP_1)
	v_dual_cndmask_b32 v25, v25, v17, s1 :: v_dual_cndmask_b32 v26, v26, v16, s1
	v_cmp_eq_u32_e64 s1, 8, v1
	v_dual_cndmask_b32 v27, v25, v19, s1 :: v_dual_cndmask_b32 v26, v26, v18, s1
	s_wait_dscnt 0x0
	s_delay_alu instid0(VALU_DEP_1)
	v_fmac_f64_e32 v[20:21], v[26:27], v[22:23]
	s_and_saveexec_b32 s2, vcc_lo
	s_cbranch_execz .LBB72_54
; %bb.49:
	v_add_nc_u32_e32 v1, 5, v0
	s_mov_b32 s8, exec_lo
	s_delay_alu instid0(VALU_DEP_1) | instskip(SKIP_4) | instid1(VALU_DEP_2)
	v_cmp_eq_u32_e32 vcc_lo, 1, v1
	v_cndmask_b32_e32 v22, v3, v5, vcc_lo
	v_cmp_eq_u32_e64 s1, 6, v1
	v_cndmask_b32_e32 v23, v2, v4, vcc_lo
	v_cmp_eq_u32_e32 vcc_lo, 2, v1
	v_dual_cndmask_b32 v22, v22, v7 :: v_dual_cndmask_b32 v23, v23, v6
	v_cmp_eq_u32_e32 vcc_lo, 3, v1
	s_delay_alu instid0(VALU_DEP_2) | instskip(SKIP_1) | instid1(VALU_DEP_2)
	v_dual_cndmask_b32 v22, v22, v9 :: v_dual_cndmask_b32 v23, v23, v8
	v_cmp_eq_u32_e32 vcc_lo, 4, v1
	v_dual_cndmask_b32 v22, v22, v11 :: v_dual_cndmask_b32 v23, v23, v10
	v_cmp_eq_u32_e32 vcc_lo, 5, v1
	s_delay_alu instid0(VALU_DEP_2) | instskip(SKIP_3) | instid1(VALU_DEP_1)
	v_dual_cndmask_b32 v25, v22, v13 :: v_dual_cndmask_b32 v26, v23, v12
	ds_load_b64 v[22:23], v24 offset:40
	v_cmp_eq_u32_e32 vcc_lo, 7, v1
	v_dual_cndmask_b32 v25, v25, v15, s1 :: v_dual_cndmask_b32 v26, v26, v14, s1
	v_dual_cndmask_b32 v25, v25, v17 :: v_dual_cndmask_b32 v26, v26, v16
	v_cmp_eq_u32_e32 vcc_lo, 8, v1
	s_delay_alu instid0(VALU_DEP_2) | instskip(SKIP_1) | instid1(VALU_DEP_1)
	v_dual_cndmask_b32 v27, v25, v19 :: v_dual_cndmask_b32 v26, v26, v18
	s_wait_dscnt 0x0
	v_fmac_f64_e32 v[20:21], v[26:27], v[22:23]
	v_cmpx_ne_u32_e32 2, v0
	s_cbranch_execz .LBB72_53
; %bb.50:
	v_add_nc_u32_e32 v1, 6, v0
	s_delay_alu instid0(VALU_DEP_1) | instskip(SKIP_4) | instid1(VALU_DEP_2)
	v_cmp_eq_u32_e32 vcc_lo, 1, v1
	v_cndmask_b32_e32 v22, v3, v5, vcc_lo
	v_cmp_eq_u32_e64 s1, 6, v1
	v_cndmask_b32_e32 v23, v2, v4, vcc_lo
	v_cmp_eq_u32_e32 vcc_lo, 2, v1
	v_dual_cndmask_b32 v22, v22, v7 :: v_dual_cndmask_b32 v23, v23, v6
	v_cmp_eq_u32_e32 vcc_lo, 3, v1
	s_delay_alu instid0(VALU_DEP_2) | instskip(SKIP_1) | instid1(VALU_DEP_2)
	v_dual_cndmask_b32 v22, v22, v9 :: v_dual_cndmask_b32 v23, v23, v8
	v_cmp_eq_u32_e32 vcc_lo, 4, v1
	v_dual_cndmask_b32 v22, v22, v11 :: v_dual_cndmask_b32 v23, v23, v10
	v_cmp_eq_u32_e32 vcc_lo, 5, v1
	s_delay_alu instid0(VALU_DEP_2) | instskip(SKIP_3) | instid1(VALU_DEP_1)
	v_dual_cndmask_b32 v25, v22, v13 :: v_dual_cndmask_b32 v26, v23, v12
	ds_load_b64 v[22:23], v24 offset:48
	v_cmp_eq_u32_e32 vcc_lo, 7, v1
	v_dual_cndmask_b32 v25, v25, v15, s1 :: v_dual_cndmask_b32 v26, v26, v14, s1
	v_dual_cndmask_b32 v25, v25, v17 :: v_dual_cndmask_b32 v26, v26, v16
	v_cmp_eq_u32_e32 vcc_lo, 8, v1
	s_delay_alu instid0(VALU_DEP_2) | instskip(SKIP_1) | instid1(VALU_DEP_1)
	v_dual_cndmask_b32 v19, v25, v19 :: v_dual_cndmask_b32 v18, v26, v18
	s_wait_dscnt 0x0
	v_fmac_f64_e32 v[20:21], v[18:19], v[22:23]
	s_and_saveexec_b32 s1, s0
	s_cbranch_execz .LBB72_52
; %bb.51:
	ds_load_b64 v[18:19], v24 offset:56
	s_wait_dscnt 0x0
	v_fmac_f64_e32 v[20:21], v[16:17], v[18:19]
.LBB72_52:
	s_or_b32 exec_lo, exec_lo, s1
.LBB72_53:
	s_delay_alu instid0(SALU_CYCLE_1)
	s_or_b32 exec_lo, exec_lo, s8
.LBB72_54:
	s_delay_alu instid0(SALU_CYCLE_1)
	s_or_b32 exec_lo, exec_lo, s2
.LBB72_55:
	s_delay_alu instid0(SALU_CYCLE_1)
	s_or_b32 exec_lo, exec_lo, s7
.LBB72_56:
	s_delay_alu instid0(SALU_CYCLE_1)
	s_or_b32 exec_lo, exec_lo, s3
.LBB72_57:
	s_delay_alu instid0(SALU_CYCLE_1)
	s_or_b32 exec_lo, exec_lo, s6
.LBB72_58:
	s_delay_alu instid0(SALU_CYCLE_1)
	s_or_b32 exec_lo, exec_lo, s4
	v_mov_b32_e32 v1, 0
	ds_load_b64 v[18:19], v1 offset:64
	s_wait_dscnt 0x0
	v_mul_f64_e32 v[18:19], v[20:21], v[18:19]
.LBB72_59:
	s_or_b32 exec_lo, exec_lo, s5
	s_barrier_signal -1
	s_barrier_wait -1
	s_cbranch_execnz .LBB72_15
	s_branch .LBB72_16
.LBB72_60:
	s_wait_xcnt 0x0
	v_lshl_add_u32 v1, v0, 3, 0x50
	s_mov_b32 s0, exec_lo
	v_cmpx_eq_u32_e32 8, v0
	s_cbranch_execz .LBB72_62
; %bb.61:
	s_wait_dscnt 0x2
	v_dual_mov_b32 v34, 0 :: v_dual_mov_b32 v32, v14
	v_dual_mov_b32 v20, v2 :: v_dual_mov_b32 v21, v3
	s_wait_dscnt 0x0
	v_dual_mov_b32 v33, v15 :: v_dual_mov_b32 v36, v18
	s_delay_alu instid0(VALU_DEP_3)
	v_dual_mov_b32 v37, v19 :: v_dual_mov_b32 v35, v34
	v_dual_mov_b32 v22, v4 :: v_dual_mov_b32 v23, v5
	;; [unrolled: 1-line block ×6, first 2 shown]
	ds_store_b64 v1, v[16:17]
	v_mov_b64_e32 v[2:3], v[20:21]
	v_mov_b64_e32 v[4:5], v[22:23]
	;; [unrolled: 1-line block ×16, first 2 shown]
.LBB72_62:
	s_or_b32 exec_lo, exec_lo, s0
	v_mov_b32_e32 v34, 0
	s_wait_storecnt_dscnt 0x0
	s_barrier_signal -1
	s_barrier_wait -1
	ds_load_b64 v[20:21], v34 offset:144
	s_mov_b32 s0, exec_lo
	s_wait_dscnt 0x0
	v_fma_f64 v[20:21], v[18:19], v[20:21], 0
	s_delay_alu instid0(VALU_DEP_1)
	v_add_f64_e64 v[16:17], v[16:17], -v[20:21]
	v_cmpx_lt_u32_e32 6, v0
	s_cbranch_execz .LBB72_64
; %bb.63:
	v_dual_mov_b32 v22, v2 :: v_dual_mov_b32 v23, v3
	s_delay_alu instid0(VALU_DEP_3)
	v_dual_mov_b32 v36, v16 :: v_dual_mov_b32 v37, v17
	v_dual_mov_b32 v38, v18 :: v_dual_mov_b32 v39, v19
	;; [unrolled: 1-line block ×7, first 2 shown]
	v_mov_b32_e32 v33, v13
	ds_store_b64 v1, v[14:15]
	v_mov_b64_e32 v[2:3], v[22:23]
	v_mov_b64_e32 v[4:5], v[24:25]
	;; [unrolled: 1-line block ×16, first 2 shown]
.LBB72_64:
	s_or_b32 exec_lo, exec_lo, s0
	s_wait_dscnt 0x0
	s_barrier_signal -1
	s_barrier_wait -1
	ds_load_2addr_b64 v[20:23], v34 offset0:17 offset1:18
	s_mov_b32 s0, exec_lo
	s_wait_dscnt 0x0
	v_fma_f64 v[20:21], v[16:17], v[20:21], 0
	s_delay_alu instid0(VALU_DEP_1) | instskip(NEXT) | instid1(VALU_DEP_1)
	v_fmac_f64_e32 v[20:21], v[18:19], v[22:23]
	v_add_f64_e64 v[14:15], v[14:15], -v[20:21]
	v_cmpx_lt_u32_e32 5, v0
	s_cbranch_execz .LBB72_66
; %bb.65:
	v_dual_mov_b32 v30, 0 :: v_dual_mov_b32 v34, v16
	v_dual_mov_b32 v20, v2 :: v_dual_mov_b32 v21, v3
	;; [unrolled: 1-line block ×3, first 2 shown]
	s_delay_alu instid0(VALU_DEP_3)
	v_dual_mov_b32 v37, v19 :: v_dual_mov_b32 v31, v30
	v_dual_mov_b32 v22, v4 :: v_dual_mov_b32 v23, v5
	;; [unrolled: 1-line block ×6, first 2 shown]
	ds_store_b64 v1, v[12:13]
	v_mov_b64_e32 v[2:3], v[20:21]
	v_mov_b64_e32 v[4:5], v[22:23]
	;; [unrolled: 1-line block ×16, first 2 shown]
.LBB72_66:
	s_or_b32 exec_lo, exec_lo, s0
	v_mov_b32_e32 v34, 0
	s_wait_dscnt 0x0
	s_barrier_signal -1
	s_barrier_wait -1
	ds_load_b128 v[20:23], v34 offset:128
	s_mov_b32 s0, exec_lo
	s_wait_dscnt 0x0
	v_fma_f64 v[20:21], v[14:15], v[20:21], 0
	s_delay_alu instid0(VALU_DEP_1) | instskip(SKIP_3) | instid1(VALU_DEP_1)
	v_fmac_f64_e32 v[20:21], v[16:17], v[22:23]
	ds_load_b64 v[22:23], v34 offset:144
	s_wait_dscnt 0x0
	v_fmac_f64_e32 v[20:21], v[18:19], v[22:23]
	v_add_f64_e64 v[12:13], v[12:13], -v[20:21]
	v_cmpx_lt_u32_e32 4, v0
	s_cbranch_execz .LBB72_68
; %bb.67:
	v_dual_mov_b32 v26, v2 :: v_dual_mov_b32 v27, v3
	s_delay_alu instid0(VALU_DEP_3)
	v_dual_mov_b32 v36, v12 :: v_dual_mov_b32 v37, v13
	v_dual_mov_b32 v38, v14 :: v_dual_mov_b32 v39, v15
	;; [unrolled: 1-line block ×7, first 2 shown]
	v_mov_b32_e32 v33, v9
	ds_store_b64 v1, v[10:11]
	v_mov_b64_e32 v[2:3], v[26:27]
	v_mov_b64_e32 v[4:5], v[28:29]
	;; [unrolled: 1-line block ×16, first 2 shown]
.LBB72_68:
	s_or_b32 exec_lo, exec_lo, s0
	s_wait_dscnt 0x0
	s_barrier_signal -1
	s_barrier_wait -1
	ds_load_2addr_b64 v[20:23], v34 offset0:15 offset1:16
	ds_load_2addr_b64 v[24:27], v34 offset0:17 offset1:18
	s_mov_b32 s0, exec_lo
	s_wait_dscnt 0x1
	v_fma_f64 v[20:21], v[12:13], v[20:21], 0
	s_delay_alu instid0(VALU_DEP_1) | instskip(SKIP_1) | instid1(VALU_DEP_1)
	v_fmac_f64_e32 v[20:21], v[14:15], v[22:23]
	s_wait_dscnt 0x0
	v_fmac_f64_e32 v[20:21], v[16:17], v[24:25]
	s_delay_alu instid0(VALU_DEP_1) | instskip(NEXT) | instid1(VALU_DEP_1)
	v_fmac_f64_e32 v[20:21], v[18:19], v[26:27]
	v_add_f64_e64 v[10:11], v[10:11], -v[20:21]
	v_cmpx_lt_u32_e32 3, v0
	s_cbranch_execz .LBB72_70
; %bb.69:
	v_dual_mov_b32 v26, 0 :: v_dual_mov_b32 v34, v16
	v_dual_mov_b32 v20, v2 :: v_dual_mov_b32 v21, v3
	;; [unrolled: 1-line block ×3, first 2 shown]
	s_delay_alu instid0(VALU_DEP_3)
	v_dual_mov_b32 v37, v19 :: v_dual_mov_b32 v27, v26
	v_dual_mov_b32 v22, v4 :: v_dual_mov_b32 v23, v5
	;; [unrolled: 1-line block ×6, first 2 shown]
	ds_store_b64 v1, v[8:9]
	v_mov_b64_e32 v[2:3], v[20:21]
	v_mov_b64_e32 v[4:5], v[22:23]
	;; [unrolled: 1-line block ×16, first 2 shown]
.LBB72_70:
	s_or_b32 exec_lo, exec_lo, s0
	v_mov_b32_e32 v34, 0
	s_wait_dscnt 0x0
	s_barrier_signal -1
	s_barrier_wait -1
	ds_load_b128 v[20:23], v34 offset:112
	ds_load_b128 v[24:27], v34 offset:128
	s_mov_b32 s0, exec_lo
	s_wait_dscnt 0x1
	v_fma_f64 v[20:21], v[10:11], v[20:21], 0
	s_delay_alu instid0(VALU_DEP_1) | instskip(SKIP_3) | instid1(VALU_DEP_1)
	v_fmac_f64_e32 v[20:21], v[12:13], v[22:23]
	ds_load_b64 v[22:23], v34 offset:144
	s_wait_dscnt 0x1
	v_fmac_f64_e32 v[20:21], v[14:15], v[24:25]
	v_fmac_f64_e32 v[20:21], v[16:17], v[26:27]
	s_wait_dscnt 0x0
	s_delay_alu instid0(VALU_DEP_1) | instskip(NEXT) | instid1(VALU_DEP_1)
	v_fmac_f64_e32 v[20:21], v[18:19], v[22:23]
	v_add_f64_e64 v[8:9], v[8:9], -v[20:21]
	v_cmpx_lt_u32_e32 2, v0
	s_cbranch_execz .LBB72_72
; %bb.71:
	v_dual_mov_b32 v30, v2 :: v_dual_mov_b32 v31, v3
	s_delay_alu instid0(VALU_DEP_3)
	v_dual_mov_b32 v36, v8 :: v_dual_mov_b32 v37, v9
	v_dual_mov_b32 v38, v10 :: v_dual_mov_b32 v39, v11
	;; [unrolled: 1-line block ×7, first 2 shown]
	v_mov_b32_e32 v33, v5
	ds_store_b64 v1, v[6:7]
	v_mov_b64_e32 v[2:3], v[30:31]
	v_mov_b64_e32 v[4:5], v[32:33]
	;; [unrolled: 1-line block ×16, first 2 shown]
.LBB72_72:
	s_or_b32 exec_lo, exec_lo, s0
	s_wait_dscnt 0x0
	s_barrier_signal -1
	s_barrier_wait -1
	ds_load_2addr_b64 v[20:23], v34 offset0:13 offset1:14
	ds_load_2addr_b64 v[24:27], v34 offset0:15 offset1:16
	s_mov_b32 s0, exec_lo
	s_wait_dscnt 0x1
	v_fma_f64 v[28:29], v[8:9], v[20:21], 0
	s_delay_alu instid0(VALU_DEP_1) | instskip(SKIP_3) | instid1(VALU_DEP_1)
	v_fmac_f64_e32 v[28:29], v[10:11], v[22:23]
	ds_load_2addr_b64 v[20:23], v34 offset0:17 offset1:18
	s_wait_dscnt 0x1
	v_fmac_f64_e32 v[28:29], v[12:13], v[24:25]
	v_fmac_f64_e32 v[28:29], v[14:15], v[26:27]
	s_wait_dscnt 0x0
	s_delay_alu instid0(VALU_DEP_1) | instskip(NEXT) | instid1(VALU_DEP_1)
	v_fmac_f64_e32 v[28:29], v[16:17], v[20:21]
	v_fmac_f64_e32 v[28:29], v[18:19], v[22:23]
	s_delay_alu instid0(VALU_DEP_1)
	v_add_f64_e64 v[6:7], v[6:7], -v[28:29]
	v_cmpx_lt_u32_e32 1, v0
	s_cbranch_execz .LBB72_74
; %bb.73:
	v_dual_mov_b32 v22, 0 :: v_dual_mov_b32 v34, v16
	v_dual_mov_b32 v20, v2 :: v_dual_mov_b32 v21, v3
	;; [unrolled: 1-line block ×3, first 2 shown]
	s_delay_alu instid0(VALU_DEP_3)
	v_dual_mov_b32 v37, v19 :: v_dual_mov_b32 v23, v22
	v_dual_mov_b32 v24, v6 :: v_dual_mov_b32 v25, v7
	;; [unrolled: 1-line block ×6, first 2 shown]
	ds_store_b64 v1, v[4:5]
	v_mov_b64_e32 v[2:3], v[20:21]
	v_mov_b64_e32 v[4:5], v[22:23]
	;; [unrolled: 1-line block ×16, first 2 shown]
.LBB72_74:
	s_or_b32 exec_lo, exec_lo, s0
	v_mov_b32_e32 v34, 0
	s_wait_dscnt 0x0
	s_barrier_signal -1
	s_barrier_wait -1
	ds_load_b128 v[20:23], v34 offset:96
	ds_load_b128 v[24:27], v34 offset:112
	v_dual_ashrrev_i32 v53, 31, v52 :: v_dual_ashrrev_i32 v55, 31, v54
	v_dual_ashrrev_i32 v61, 31, v60 :: v_dual_ashrrev_i32 v63, 31, v62
	;; [unrolled: 1-line block ×3, first 2 shown]
	v_ashrrev_i32_e32 v69, 31, v68
	s_mov_b32 s0, exec_lo
	s_wait_dscnt 0x1
	v_fma_f64 v[28:29], v[6:7], v[20:21], 0
	s_delay_alu instid0(VALU_DEP_1) | instskip(SKIP_3) | instid1(VALU_DEP_1)
	v_fmac_f64_e32 v[28:29], v[8:9], v[22:23]
	ds_load_b128 v[20:23], v34 offset:128
	s_wait_dscnt 0x1
	v_fmac_f64_e32 v[28:29], v[10:11], v[24:25]
	v_fmac_f64_e32 v[28:29], v[12:13], v[26:27]
	s_wait_dscnt 0x0
	s_delay_alu instid0(VALU_DEP_1) | instskip(SKIP_3) | instid1(VALU_DEP_1)
	v_fmac_f64_e32 v[28:29], v[14:15], v[20:21]
	ds_load_b64 v[20:21], v34 offset:144
	v_fmac_f64_e32 v[28:29], v[16:17], v[22:23]
	s_wait_dscnt 0x0
	v_fmac_f64_e32 v[28:29], v[18:19], v[20:21]
	s_delay_alu instid0(VALU_DEP_1)
	v_add_f64_e64 v[4:5], v[4:5], -v[28:29]
	v_cmpx_ne_u32_e32 0, v0
	s_cbranch_execz .LBB72_76
; %bb.75:
	s_delay_alu instid0(VALU_DEP_2) | instskip(NEXT) | instid1(VALU_DEP_3)
	v_dual_mov_b32 v35, v34 :: v_dual_mov_b32 v36, v4
	v_dual_mov_b32 v37, v5 :: v_dual_mov_b32 v38, v6
	;; [unrolled: 1-line block ×8, first 2 shown]
	v_mov_b32_e32 v51, v19
	ds_store_b64 v1, v[2:3]
	v_mov_b64_e32 v[2:3], v[34:35]
	v_mov_b64_e32 v[4:5], v[36:37]
	;; [unrolled: 1-line block ×16, first 2 shown]
.LBB72_76:
	s_or_b32 exec_lo, exec_lo, s0
	s_wait_dscnt 0x0
	s_barrier_signal -1
	s_barrier_wait -1
	ds_load_2addr_b64 v[20:23], v34 offset0:11 offset1:12
	ds_load_2addr_b64 v[24:27], v34 offset0:13 offset1:14
	s_and_b32 vcc_lo, exec_lo, s18
	s_wait_dscnt 0x1
	v_fma_f64 v[0:1], v[4:5], v[20:21], 0
	s_delay_alu instid0(VALU_DEP_1) | instskip(SKIP_1) | instid1(VALU_DEP_1)
	v_fmac_f64_e32 v[0:1], v[6:7], v[22:23]
	s_wait_dscnt 0x0
	v_fmac_f64_e32 v[0:1], v[8:9], v[24:25]
	s_delay_alu instid0(VALU_DEP_1) | instskip(SKIP_4) | instid1(VALU_DEP_1)
	v_fmac_f64_e32 v[0:1], v[10:11], v[26:27]
	ds_load_2addr_b64 v[20:23], v34 offset0:15 offset1:16
	ds_load_2addr_b64 v[24:27], v34 offset0:17 offset1:18
	s_wait_dscnt 0x1
	v_fmac_f64_e32 v[0:1], v[12:13], v[20:21]
	v_fmac_f64_e32 v[0:1], v[14:15], v[22:23]
	s_wait_dscnt 0x0
	s_delay_alu instid0(VALU_DEP_1) | instskip(NEXT) | instid1(VALU_DEP_1)
	v_fmac_f64_e32 v[0:1], v[16:17], v[24:25]
	v_fmac_f64_e32 v[0:1], v[18:19], v[26:27]
	s_delay_alu instid0(VALU_DEP_1)
	v_add_f64_e64 v[2:3], v[2:3], -v[0:1]
	s_cbranch_vccz .LBB72_93
; %bb.77:
	v_mov_b32_e32 v0, 0
	global_load_b32 v1, v0, s[12:13] offset:28
	s_wait_loadcnt 0x0
	v_readfirstlane_b32 s0, v1
	s_add_co_i32 s0, s0, -1
	s_delay_alu instid0(SALU_CYCLE_1)
	s_cmp_lg_u32 s0, 7
	s_cbranch_scc0 .LBB72_79
; %bb.78:
	s_lshl_b32 m0, s0, 1
	v_movrels_b32_e32 v1, v2
	v_movrels_b32_e32 v50, v3
	v_mov_b64_e32 v[48:49], v[32:33]
	v_mov_b64_e32 v[46:47], v[30:31]
	;; [unrolled: 1-line block ×16, first 2 shown]
	v_dual_mov_b32 v32, v1 :: v_dual_mov_b32 v33, v50
	s_delay_alu instid0(VALU_DEP_2) | instskip(NEXT) | instid1(VALU_DEP_3)
	v_movreld_b32_e32 v18, v16
	v_movreld_b32_e32 v19, v17
	v_mov_b64_e32 v[2:3], v[18:19]
	v_mov_b64_e32 v[4:5], v[20:21]
	;; [unrolled: 1-line block ×16, first 2 shown]
.LBB72_79:
	global_load_b32 v0, v0, s[12:13] offset:24
	s_wait_loadcnt 0x0
	v_readfirstlane_b32 s0, v0
	s_add_co_i32 s0, s0, -1
	s_delay_alu instid0(SALU_CYCLE_1)
	s_cmp_eq_u32 s0, 6
	s_cbranch_scc1 .LBB72_81
; %bb.80:
	s_lshl_b32 m0, s0, 1
	v_movrels_b32_e32 v0, v2
	v_movrels_b32_e32 v1, v3
	v_mov_b64_e32 v[46:47], v[32:33]
	v_mov_b64_e32 v[44:45], v[30:31]
	;; [unrolled: 1-line block ×16, first 2 shown]
	v_dual_mov_b32 v28, v0 :: v_dual_mov_b32 v29, v1
	s_delay_alu instid0(VALU_DEP_2) | instskip(NEXT) | instid1(VALU_DEP_3)
	v_movreld_b32_e32 v16, v14
	v_movreld_b32_e32 v17, v15
	v_mov_b64_e32 v[2:3], v[16:17]
	v_mov_b64_e32 v[4:5], v[18:19]
	;; [unrolled: 1-line block ×16, first 2 shown]
.LBB72_81:
	v_mov_b32_e32 v0, 0
	global_load_b32 v1, v0, s[12:13] offset:20
	s_wait_loadcnt 0x0
	v_readfirstlane_b32 s0, v1
	s_add_co_i32 s0, s0, -1
	s_delay_alu instid0(SALU_CYCLE_1)
	s_cmp_eq_u32 s0, 5
	s_cbranch_scc1 .LBB72_83
; %bb.82:
	s_lshl_b32 m0, s0, 1
	v_movrels_b32_e32 v1, v2
	v_movrels_b32_e32 v46, v3
	v_mov_b64_e32 v[44:45], v[32:33]
	v_mov_b64_e32 v[42:43], v[30:31]
	;; [unrolled: 1-line block ×16, first 2 shown]
	v_dual_mov_b32 v24, v1 :: v_dual_mov_b32 v25, v46
	s_delay_alu instid0(VALU_DEP_2) | instskip(NEXT) | instid1(VALU_DEP_3)
	v_movreld_b32_e32 v14, v12
	v_movreld_b32_e32 v15, v13
	v_mov_b64_e32 v[2:3], v[14:15]
	v_mov_b64_e32 v[4:5], v[16:17]
	;; [unrolled: 1-line block ×16, first 2 shown]
.LBB72_83:
	global_load_b32 v0, v0, s[12:13] offset:16
	s_wait_loadcnt 0x0
	v_readfirstlane_b32 s0, v0
	s_add_co_i32 s0, s0, -1
	s_delay_alu instid0(SALU_CYCLE_1)
	s_cmp_eq_u32 s0, 4
	s_cbranch_scc1 .LBB72_85
; %bb.84:
	s_lshl_b32 m0, s0, 1
	v_movrels_b32_e32 v0, v2
	v_movrels_b32_e32 v1, v3
	v_mov_b64_e32 v[42:43], v[32:33]
	v_mov_b64_e32 v[40:41], v[30:31]
	;; [unrolled: 1-line block ×16, first 2 shown]
	v_dual_mov_b32 v20, v0 :: v_dual_mov_b32 v21, v1
	s_delay_alu instid0(VALU_DEP_2) | instskip(NEXT) | instid1(VALU_DEP_3)
	v_movreld_b32_e32 v12, v10
	v_movreld_b32_e32 v13, v11
	v_mov_b64_e32 v[2:3], v[12:13]
	v_mov_b64_e32 v[4:5], v[14:15]
	;; [unrolled: 1-line block ×16, first 2 shown]
.LBB72_85:
	v_mov_b32_e32 v0, 0
	global_load_b32 v1, v0, s[12:13] offset:12
	s_wait_loadcnt 0x0
	v_readfirstlane_b32 s0, v1
	s_add_co_i32 s0, s0, -1
	s_delay_alu instid0(SALU_CYCLE_1)
	s_cmp_eq_u32 s0, 3
	s_cbranch_scc1 .LBB72_87
; %bb.86:
	s_lshl_b32 m0, s0, 1
	v_movrels_b32_e32 v1, v2
	v_movrels_b32_e32 v42, v3
	v_mov_b64_e32 v[40:41], v[32:33]
	v_mov_b64_e32 v[38:39], v[30:31]
	;; [unrolled: 1-line block ×16, first 2 shown]
	v_dual_mov_b32 v16, v1 :: v_dual_mov_b32 v17, v42
	s_delay_alu instid0(VALU_DEP_2) | instskip(NEXT) | instid1(VALU_DEP_3)
	v_movreld_b32_e32 v10, v8
	v_movreld_b32_e32 v11, v9
	v_mov_b64_e32 v[2:3], v[10:11]
	v_mov_b64_e32 v[4:5], v[12:13]
	v_mov_b64_e32 v[6:7], v[14:15]
	v_mov_b64_e32 v[8:9], v[16:17]
	v_mov_b64_e32 v[10:11], v[18:19]
	v_mov_b64_e32 v[12:13], v[20:21]
	v_mov_b64_e32 v[14:15], v[22:23]
	v_mov_b64_e32 v[16:17], v[24:25]
	v_mov_b64_e32 v[18:19], v[26:27]
	v_mov_b64_e32 v[20:21], v[28:29]
	v_mov_b64_e32 v[22:23], v[30:31]
	v_mov_b64_e32 v[24:25], v[32:33]
	v_mov_b64_e32 v[26:27], v[34:35]
	v_mov_b64_e32 v[28:29], v[36:37]
	v_mov_b64_e32 v[30:31], v[38:39]
	v_mov_b64_e32 v[32:33], v[40:41]
.LBB72_87:
	global_load_b32 v0, v0, s[12:13] offset:8
	s_wait_loadcnt 0x0
	v_readfirstlane_b32 s0, v0
	s_add_co_i32 s0, s0, -1
	s_delay_alu instid0(SALU_CYCLE_1)
	s_cmp_eq_u32 s0, 2
	s_cbranch_scc1 .LBB72_89
; %bb.88:
	s_lshl_b32 m0, s0, 1
	v_movrels_b32_e32 v0, v2
	v_movrels_b32_e32 v1, v3
	v_mov_b64_e32 v[38:39], v[32:33]
	v_mov_b64_e32 v[36:37], v[30:31]
	;; [unrolled: 1-line block ×16, first 2 shown]
	v_dual_mov_b32 v12, v0 :: v_dual_mov_b32 v13, v1
	s_delay_alu instid0(VALU_DEP_2) | instskip(NEXT) | instid1(VALU_DEP_3)
	v_movreld_b32_e32 v8, v6
	v_movreld_b32_e32 v9, v7
	v_mov_b64_e32 v[2:3], v[8:9]
	v_mov_b64_e32 v[4:5], v[10:11]
	;; [unrolled: 1-line block ×16, first 2 shown]
.LBB72_89:
	v_mov_b32_e32 v0, 0
	global_load_b32 v1, v0, s[12:13] offset:4
	s_wait_loadcnt 0x0
	v_readfirstlane_b32 s0, v1
	s_add_co_i32 s0, s0, -1
	s_delay_alu instid0(SALU_CYCLE_1)
	s_cmp_eq_u32 s0, 1
	s_cbranch_scc1 .LBB72_91
; %bb.90:
	s_lshl_b32 m0, s0, 1
	v_movrels_b32_e32 v1, v2
	v_movrels_b32_e32 v38, v3
	v_mov_b64_e32 v[36:37], v[32:33]
	v_mov_b64_e32 v[34:35], v[30:31]
	;; [unrolled: 1-line block ×16, first 2 shown]
	v_dual_mov_b32 v8, v1 :: v_dual_mov_b32 v9, v38
	s_delay_alu instid0(VALU_DEP_2) | instskip(NEXT) | instid1(VALU_DEP_3)
	v_movreld_b32_e32 v6, v4
	v_movreld_b32_e32 v7, v5
	v_mov_b64_e32 v[2:3], v[6:7]
	s_delay_alu instid0(VALU_DEP_4)
	v_mov_b64_e32 v[4:5], v[8:9]
	v_mov_b64_e32 v[6:7], v[10:11]
	;; [unrolled: 1-line block ×15, first 2 shown]
.LBB72_91:
	global_load_b32 v0, v0, s[12:13]
	s_wait_loadcnt 0x0
	v_readfirstlane_b32 s0, v0
	s_add_co_i32 s0, s0, -1
	s_delay_alu instid0(SALU_CYCLE_1)
	s_cmp_eq_u32 s0, 0
	s_cbranch_scc1 .LBB72_93
; %bb.92:
	s_lshl_b32 m0, s0, 1
	v_movrels_b32_e32 v0, v2
	v_movrels_b32_e32 v1, v3
	v_mov_b64_e32 v[34:35], v[32:33]
	v_mov_b64_e32 v[32:33], v[30:31]
	;; [unrolled: 1-line block ×16, first 2 shown]
	v_dual_mov_b32 v4, v0 :: v_dual_mov_b32 v5, v1
	s_delay_alu instid0(VALU_DEP_1) | instskip(NEXT) | instid1(VALU_DEP_2)
	v_movreld_b32_e32 v4, v2
	v_movreld_b32_e32 v5, v3
	v_mov_b64_e32 v[2:3], v[4:5]
	v_mov_b64_e32 v[4:5], v[6:7]
	;; [unrolled: 1-line block ×16, first 2 shown]
.LBB72_93:
	v_lshl_add_u64 v[30:31], v[52:53], 3, s[14:15]
	v_lshl_add_u64 v[28:29], v[54:55], 3, s[14:15]
	;; [unrolled: 1-line block ×7, first 2 shown]
	s_clause 0x8
	flat_store_b64 v[56:57], v[2:3]
	flat_store_b64 v[58:59], v[4:5]
	;; [unrolled: 1-line block ×9, first 2 shown]
	s_sendmsg sendmsg(MSG_DEALLOC_VGPRS)
	s_endpgm
	.section	.rodata,"a",@progbits
	.p2align	6, 0x0
	.amdhsa_kernel _ZN9rocsolver6v33100L18getri_kernel_smallILi9EdPKPdEEvT1_iilPiilS6_bb
		.amdhsa_group_segment_fixed_size 152
		.amdhsa_private_segment_fixed_size 0
		.amdhsa_kernarg_size 60
		.amdhsa_user_sgpr_count 2
		.amdhsa_user_sgpr_dispatch_ptr 0
		.amdhsa_user_sgpr_queue_ptr 0
		.amdhsa_user_sgpr_kernarg_segment_ptr 1
		.amdhsa_user_sgpr_dispatch_id 0
		.amdhsa_user_sgpr_kernarg_preload_length 0
		.amdhsa_user_sgpr_kernarg_preload_offset 0
		.amdhsa_user_sgpr_private_segment_size 0
		.amdhsa_wavefront_size32 1
		.amdhsa_uses_dynamic_stack 0
		.amdhsa_enable_private_segment 0
		.amdhsa_system_sgpr_workgroup_id_x 1
		.amdhsa_system_sgpr_workgroup_id_y 0
		.amdhsa_system_sgpr_workgroup_id_z 0
		.amdhsa_system_sgpr_workgroup_info 0
		.amdhsa_system_vgpr_workitem_id 0
		.amdhsa_next_free_vgpr 70
		.amdhsa_next_free_sgpr 19
		.amdhsa_named_barrier_count 0
		.amdhsa_reserve_vcc 1
		.amdhsa_float_round_mode_32 0
		.amdhsa_float_round_mode_16_64 0
		.amdhsa_float_denorm_mode_32 3
		.amdhsa_float_denorm_mode_16_64 3
		.amdhsa_fp16_overflow 0
		.amdhsa_memory_ordered 1
		.amdhsa_forward_progress 1
		.amdhsa_inst_pref_size 67
		.amdhsa_round_robin_scheduling 0
		.amdhsa_exception_fp_ieee_invalid_op 0
		.amdhsa_exception_fp_denorm_src 0
		.amdhsa_exception_fp_ieee_div_zero 0
		.amdhsa_exception_fp_ieee_overflow 0
		.amdhsa_exception_fp_ieee_underflow 0
		.amdhsa_exception_fp_ieee_inexact 0
		.amdhsa_exception_int_div_zero 0
	.end_amdhsa_kernel
	.section	.text._ZN9rocsolver6v33100L18getri_kernel_smallILi9EdPKPdEEvT1_iilPiilS6_bb,"axG",@progbits,_ZN9rocsolver6v33100L18getri_kernel_smallILi9EdPKPdEEvT1_iilPiilS6_bb,comdat
.Lfunc_end72:
	.size	_ZN9rocsolver6v33100L18getri_kernel_smallILi9EdPKPdEEvT1_iilPiilS6_bb, .Lfunc_end72-_ZN9rocsolver6v33100L18getri_kernel_smallILi9EdPKPdEEvT1_iilPiilS6_bb
                                        ; -- End function
	.set _ZN9rocsolver6v33100L18getri_kernel_smallILi9EdPKPdEEvT1_iilPiilS6_bb.num_vgpr, 70
	.set _ZN9rocsolver6v33100L18getri_kernel_smallILi9EdPKPdEEvT1_iilPiilS6_bb.num_agpr, 0
	.set _ZN9rocsolver6v33100L18getri_kernel_smallILi9EdPKPdEEvT1_iilPiilS6_bb.numbered_sgpr, 19
	.set _ZN9rocsolver6v33100L18getri_kernel_smallILi9EdPKPdEEvT1_iilPiilS6_bb.num_named_barrier, 0
	.set _ZN9rocsolver6v33100L18getri_kernel_smallILi9EdPKPdEEvT1_iilPiilS6_bb.private_seg_size, 0
	.set _ZN9rocsolver6v33100L18getri_kernel_smallILi9EdPKPdEEvT1_iilPiilS6_bb.uses_vcc, 1
	.set _ZN9rocsolver6v33100L18getri_kernel_smallILi9EdPKPdEEvT1_iilPiilS6_bb.uses_flat_scratch, 1
	.set _ZN9rocsolver6v33100L18getri_kernel_smallILi9EdPKPdEEvT1_iilPiilS6_bb.has_dyn_sized_stack, 0
	.set _ZN9rocsolver6v33100L18getri_kernel_smallILi9EdPKPdEEvT1_iilPiilS6_bb.has_recursion, 0
	.set _ZN9rocsolver6v33100L18getri_kernel_smallILi9EdPKPdEEvT1_iilPiilS6_bb.has_indirect_call, 0
	.section	.AMDGPU.csdata,"",@progbits
; Kernel info:
; codeLenInByte = 8452
; TotalNumSgprs: 21
; NumVgprs: 70
; ScratchSize: 0
; MemoryBound: 0
; FloatMode: 240
; IeeeMode: 1
; LDSByteSize: 152 bytes/workgroup (compile time only)
; SGPRBlocks: 0
; VGPRBlocks: 4
; NumSGPRsForWavesPerEU: 21
; NumVGPRsForWavesPerEU: 70
; NamedBarCnt: 0
; Occupancy: 12
; WaveLimiterHint : 1
; COMPUTE_PGM_RSRC2:SCRATCH_EN: 0
; COMPUTE_PGM_RSRC2:USER_SGPR: 2
; COMPUTE_PGM_RSRC2:TRAP_HANDLER: 0
; COMPUTE_PGM_RSRC2:TGID_X_EN: 1
; COMPUTE_PGM_RSRC2:TGID_Y_EN: 0
; COMPUTE_PGM_RSRC2:TGID_Z_EN: 0
; COMPUTE_PGM_RSRC2:TIDIG_COMP_CNT: 0
	.section	.text._ZN9rocsolver6v33100L18getri_kernel_smallILi10EdPKPdEEvT1_iilPiilS6_bb,"axG",@progbits,_ZN9rocsolver6v33100L18getri_kernel_smallILi10EdPKPdEEvT1_iilPiilS6_bb,comdat
	.globl	_ZN9rocsolver6v33100L18getri_kernel_smallILi10EdPKPdEEvT1_iilPiilS6_bb ; -- Begin function _ZN9rocsolver6v33100L18getri_kernel_smallILi10EdPKPdEEvT1_iilPiilS6_bb
	.p2align	8
	.type	_ZN9rocsolver6v33100L18getri_kernel_smallILi10EdPKPdEEvT1_iilPiilS6_bb,@function
_ZN9rocsolver6v33100L18getri_kernel_smallILi10EdPKPdEEvT1_iilPiilS6_bb: ; @_ZN9rocsolver6v33100L18getri_kernel_smallILi10EdPKPdEEvT1_iilPiilS6_bb
; %bb.0:
	s_mov_b32 s2, exec_lo
	v_cmpx_gt_u32_e32 10, v0
	s_cbranch_execz .LBB73_16
; %bb.1:
	s_clause 0x1
	s_load_b32 s6, s[0:1], 0x38
	s_load_b64 s[2:3], s[0:1], 0x0
	s_getreg_b32 s7, hwreg(HW_REG_IB_STS2, 6, 4)
	s_load_b128 s[8:11], s[0:1], 0x28
                                        ; implicit-def: $sgpr12_sgpr13
	s_wait_kmcnt 0x0
	s_bitcmp1_b32 s6, 8
	s_cselect_b32 s18, -1, 0
	s_bfe_u32 s4, ttmp6, 0x4000c
	s_and_b32 s5, ttmp6, 15
	s_add_co_i32 s4, s4, 1
	s_delay_alu instid0(SALU_CYCLE_1) | instskip(NEXT) | instid1(SALU_CYCLE_1)
	s_mul_i32 s4, ttmp9, s4
	s_add_co_i32 s5, s5, s4
	s_cmp_eq_u32 s7, 0
	s_cselect_b32 s16, ttmp9, s5
	s_delay_alu instid0(SALU_CYCLE_1) | instskip(NEXT) | instid1(SALU_CYCLE_1)
	s_ashr_i32 s17, s16, 31
	s_lshl_b64 s[4:5], s[16:17], 3
	s_delay_alu instid0(SALU_CYCLE_1)
	s_add_nc_u64 s[2:3], s[2:3], s[4:5]
	s_bfe_u32 s4, s6, 0x10008
	s_load_b64 s[2:3], s[2:3], 0x0
	s_cmp_eq_u32 s4, 0
	s_cbranch_scc1 .LBB73_3
; %bb.2:
	s_load_b96 s[4:6], s[0:1], 0x18
	s_mul_u64 s[8:9], s[8:9], s[16:17]
	s_delay_alu instid0(SALU_CYCLE_1) | instskip(SKIP_4) | instid1(SALU_CYCLE_1)
	s_lshl_b64 s[8:9], s[8:9], 2
	s_wait_kmcnt 0x0
	s_ashr_i32 s7, s6, 31
	s_add_nc_u64 s[4:5], s[4:5], s[8:9]
	s_lshl_b64 s[6:7], s[6:7], 2
	s_add_nc_u64 s[12:13], s[4:5], s[6:7]
.LBB73_3:
	s_clause 0x1
	s_load_b64 s[4:5], s[0:1], 0x8
	s_load_b32 s6, s[0:1], 0x38
	v_dual_mov_b32 v1, 0 :: v_dual_lshlrev_b32 v22, 3, v0
	s_delay_alu instid0(VALU_DEP_1) | instskip(SKIP_4) | instid1(SALU_CYCLE_1)
	v_mov_b32_e32 v23, v1
	s_wait_kmcnt 0x0
	v_add3_u32 v52, s5, s5, v0
	s_ashr_i32 s1, s4, 31
	s_mov_b32 s0, s4
	s_lshl_b64 s[0:1], s[0:1], 3
	s_delay_alu instid0(VALU_DEP_1)
	v_add_nc_u32_e32 v54, s5, v52
	s_add_nc_u64 s[14:15], s[2:3], s[0:1]
	s_ashr_i32 s1, s5, 31
	s_mov_b32 s0, s5
	s_bitcmp0_b32 s6, 0
	v_add_nc_u32_e32 v56, s5, v54
	v_add_nc_u64_e32 v[58:59], s[14:15], v[22:23]
	s_delay_alu instid0(VALU_DEP_2) | instskip(NEXT) | instid1(VALU_DEP_2)
	v_add_nc_u32_e32 v62, s5, v56
	v_lshl_add_u64 v[60:61], s[0:1], 3, v[58:59]
	s_mov_b32 s0, -1
	s_delay_alu instid0(VALU_DEP_2) | instskip(SKIP_4) | instid1(VALU_DEP_1)
	v_add_nc_u32_e32 v64, s5, v62
	s_clause 0x1
	flat_load_b64 v[2:3], v0, s[14:15] scale_offset
	flat_load_b64 v[4:5], v[60:61]
	v_add_nc_u32_e32 v66, s5, v64
	v_add_nc_u32_e32 v68, s5, v66
	s_delay_alu instid0(VALU_DEP_1)
	v_add_nc_u32_e32 v70, s5, v68
	s_clause 0x7
	flat_load_b64 v[6:7], v52, s[14:15] scale_offset
	flat_load_b64 v[8:9], v54, s[14:15] scale_offset
	;; [unrolled: 1-line block ×8, first 2 shown]
	s_cbranch_scc1 .LBB73_14
; %bb.4:
	v_cmp_eq_u32_e64 s0, 0, v0
	s_wait_xcnt 0x0
	s_and_saveexec_b32 s1, s0
; %bb.5:
	v_mov_b32_e32 v23, 0
	ds_store_b32 v23, v23 offset:160
; %bb.6:
	s_or_b32 exec_lo, exec_lo, s1
	v_cmp_eq_u32_e32 vcc_lo, 1, v0
	s_mov_b32 s2, exec_lo
	s_wait_loadcnt_dscnt 0x0
	s_barrier_signal -1
	s_barrier_wait -1
	v_dual_cndmask_b32 v23, v3, v5 :: v_dual_cndmask_b32 v24, v2, v4
	v_cmp_eq_u32_e32 vcc_lo, 2, v0
	s_delay_alu instid0(VALU_DEP_2) | instskip(SKIP_1) | instid1(VALU_DEP_2)
	v_dual_cndmask_b32 v23, v23, v7 :: v_dual_cndmask_b32 v24, v24, v6
	v_cmp_eq_u32_e32 vcc_lo, 3, v0
	v_dual_cndmask_b32 v23, v23, v9 :: v_dual_cndmask_b32 v24, v24, v8
	v_cmp_eq_u32_e32 vcc_lo, 4, v0
	s_delay_alu instid0(VALU_DEP_2) | instskip(SKIP_1) | instid1(VALU_DEP_2)
	v_dual_cndmask_b32 v23, v23, v11 :: v_dual_cndmask_b32 v24, v24, v10
	v_cmp_eq_u32_e32 vcc_lo, 5, v0
	;; [unrolled: 5-line block ×4, first 2 shown]
	v_dual_cndmask_b32 v25, v23, v21 :: v_dual_cndmask_b32 v24, v24, v20
	s_delay_alu instid0(VALU_DEP_1)
	v_cmpx_eq_f64_e32 0, v[24:25]
	s_cbranch_execz .LBB73_10
; %bb.7:
	v_mov_b32_e32 v23, 0
	s_mov_b32 s3, 0
	ds_load_b32 v26, v23 offset:160
	s_wait_dscnt 0x0
	v_readfirstlane_b32 s1, v26
	v_add_nc_u32_e32 v26, 1, v0
	s_cmp_eq_u32 s1, 0
	s_delay_alu instid0(VALU_DEP_1) | instskip(SKIP_1) | instid1(SALU_CYCLE_1)
	v_cmp_gt_i32_e32 vcc_lo, s1, v26
	s_cselect_b32 s4, -1, 0
	s_or_b32 s4, s4, vcc_lo
	s_delay_alu instid0(SALU_CYCLE_1)
	s_and_b32 exec_lo, exec_lo, s4
	s_cbranch_execz .LBB73_10
; %bb.8:
	v_mov_b32_e32 v27, s1
.LBB73_9:                               ; =>This Inner Loop Header: Depth=1
	ds_cmpstore_rtn_b32 v27, v23, v26, v27 offset:160
	s_wait_dscnt 0x0
	v_cmp_ne_u32_e32 vcc_lo, 0, v27
	v_cmp_le_i32_e64 s1, v27, v26
	s_and_b32 s1, vcc_lo, s1
	s_delay_alu instid0(SALU_CYCLE_1) | instskip(NEXT) | instid1(SALU_CYCLE_1)
	s_and_b32 s1, exec_lo, s1
	s_or_b32 s3, s1, s3
	s_delay_alu instid0(SALU_CYCLE_1)
	s_and_not1_b32 exec_lo, exec_lo, s3
	s_cbranch_execnz .LBB73_9
.LBB73_10:
	s_or_b32 exec_lo, exec_lo, s2
	v_mov_b32_e32 v23, 0
	s_barrier_signal -1
	s_barrier_wait -1
	ds_load_b32 v26, v23 offset:160
	s_and_saveexec_b32 s1, s0
	s_cbranch_execz .LBB73_12
; %bb.11:
	s_lshl_b64 s[2:3], s[16:17], 2
	s_delay_alu instid0(SALU_CYCLE_1)
	s_add_nc_u64 s[2:3], s[10:11], s[2:3]
	s_wait_dscnt 0x0
	global_store_b32 v23, v26, s[2:3]
.LBB73_12:
	s_wait_xcnt 0x0
	s_or_b32 exec_lo, exec_lo, s1
	s_wait_dscnt 0x0
	v_cmp_ne_u32_e32 vcc_lo, 0, v26
	s_cbranch_vccz .LBB73_17
; %bb.13:
	s_mov_b32 s0, 0
                                        ; implicit-def: $vgpr2_vgpr3_vgpr4_vgpr5_vgpr6_vgpr7_vgpr8_vgpr9_vgpr10_vgpr11_vgpr12_vgpr13_vgpr14_vgpr15_vgpr16_vgpr17_vgpr18_vgpr19_vgpr20_vgpr21_vgpr22_vgpr23_vgpr24_vgpr25_vgpr26_vgpr27_vgpr28_vgpr29_vgpr30_vgpr31_vgpr32_vgpr33
.LBB73_14:
	s_delay_alu instid0(SALU_CYCLE_1)
	s_and_b32 vcc_lo, exec_lo, s0
	s_cbranch_vccz .LBB73_16
.LBB73_15:
	v_mov_b32_e32 v1, 0
	s_lshl_b64 s[0:1], s[16:17], 2
	s_delay_alu instid0(SALU_CYCLE_1)
	s_add_nc_u64 s[0:1], s[10:11], s[0:1]
	global_load_b32 v1, v1, s[0:1]
	s_wait_loadcnt 0x0
	v_cmp_ne_u32_e32 vcc_lo, 0, v1
	s_cbranch_vccz .LBB73_64
.LBB73_16:
	s_sendmsg sendmsg(MSG_DEALLOC_VGPRS)
	s_endpgm
.LBB73_17:
	v_div_scale_f64 v[26:27], null, v[24:25], v[24:25], 1.0
	v_div_scale_f64 v[32:33], vcc_lo, 1.0, v[24:25], 1.0
	v_cmp_eq_u32_e64 s1, 8, v0
	v_cmp_eq_u32_e64 s2, 7, v0
	;; [unrolled: 1-line block ×9, first 2 shown]
	v_rcp_f64_e32 v[28:29], v[26:27]
	v_nop
	s_delay_alu instid0(TRANS32_DEP_1) | instskip(NEXT) | instid1(VALU_DEP_1)
	v_fma_f64 v[30:31], -v[26:27], v[28:29], 1.0
	v_fmac_f64_e32 v[28:29], v[28:29], v[30:31]
	s_delay_alu instid0(VALU_DEP_1) | instskip(NEXT) | instid1(VALU_DEP_1)
	v_fma_f64 v[30:31], -v[26:27], v[28:29], 1.0
	v_fmac_f64_e32 v[28:29], v[28:29], v[30:31]
	s_delay_alu instid0(VALU_DEP_1) | instskip(NEXT) | instid1(VALU_DEP_1)
	v_mul_f64_e32 v[30:31], v[32:33], v[28:29]
	v_fma_f64 v[26:27], -v[26:27], v[30:31], v[32:33]
	s_delay_alu instid0(VALU_DEP_1) | instskip(SKIP_1) | instid1(VALU_DEP_2)
	v_div_fmas_f64 v[26:27], v[26:27], v[28:29], v[30:31]
	v_cmp_eq_u32_e32 vcc_lo, 9, v0
	v_div_fixup_f64 v[24:25], v[26:27], v[24:25], 1.0
	s_delay_alu instid0(VALU_DEP_1) | instskip(NEXT) | instid1(VALU_DEP_2)
	v_dual_cndmask_b32 v21, v21, v25 :: v_dual_add_nc_u32 v26, 0x50, v22
	v_dual_cndmask_b32 v20, v20, v24, vcc_lo :: v_dual_cndmask_b32 v19, v19, v25, s1
	v_dual_cndmask_b32 v18, v18, v24, s1 :: v_dual_cndmask_b32 v17, v17, v25, s2
	v_dual_cndmask_b32 v16, v16, v24, s2 :: v_dual_cndmask_b32 v15, v15, v25, s3
	;; [unrolled: 1-line block ×7, first 2 shown]
	v_xor_b32_e32 v29, 0x80000000, v25
	v_dual_mov_b32 v28, v24 :: v_dual_cndmask_b32 v6, v6, v24, s7
	v_dual_cndmask_b32 v3, v3, v25, s9 :: v_dual_cndmask_b32 v2, v2, v24, s9
	ds_store_2addr_b64 v22, v[28:29], v[4:5] offset1:10
	s_wait_storecnt_dscnt 0x0
	s_barrier_signal -1
	s_barrier_wait -1
	s_and_saveexec_b32 s1, s0
	s_cbranch_execz .LBB73_19
; %bb.18:
	ds_load_b64 v[4:5], v26
	v_mov_b32_e32 v22, 0
	ds_load_b64 v[22:23], v22 offset:8
	s_wait_dscnt 0x1
	v_fma_f64 v[4:5], v[24:25], v[4:5], 0
	s_wait_dscnt 0x0
	s_delay_alu instid0(VALU_DEP_1)
	v_mul_f64_e32 v[4:5], v[4:5], v[22:23]
.LBB73_19:
	s_or_b32 exec_lo, exec_lo, s1
	v_cmp_gt_u32_e32 vcc_lo, 2, v0
	s_barrier_signal -1
	s_barrier_wait -1
	ds_store_b64 v26, v[6:7]
	s_wait_dscnt 0x0
	s_barrier_signal -1
	s_barrier_wait -1
	s_and_saveexec_b32 s3, vcc_lo
	s_cbranch_execz .LBB73_23
; %bb.20:
	v_cmp_eq_u32_e64 s1, 1, v0
	v_cmp_eq_u32_e64 s2, 7, v0
	s_delay_alu instid0(VALU_DEP_2) | instskip(SKIP_1) | instid1(VALU_DEP_1)
	v_dual_cndmask_b32 v22, v3, v5, s1 :: v_dual_cndmask_b32 v23, v2, v4, s1
	v_cmp_eq_u32_e64 s1, 2, v0
	v_dual_cndmask_b32 v7, v22, v7, s1 :: v_dual_cndmask_b32 v6, v23, v6, s1
	v_cmp_eq_u32_e64 s1, 3, v0
	s_delay_alu instid0(VALU_DEP_1) | instskip(SKIP_1) | instid1(VALU_DEP_1)
	v_dual_cndmask_b32 v7, v7, v9, s1 :: v_dual_cndmask_b32 v6, v6, v8, s1
	v_cmp_eq_u32_e64 s1, 4, v0
	v_dual_cndmask_b32 v7, v7, v11, s1 :: v_dual_cndmask_b32 v6, v6, v10, s1
	v_cmp_eq_u32_e64 s1, 5, v0
	s_delay_alu instid0(VALU_DEP_1) | instskip(SKIP_1) | instid1(VALU_DEP_1)
	v_dual_cndmask_b32 v7, v7, v13, s1 :: v_dual_cndmask_b32 v6, v6, v12, s1
	v_cmp_eq_u32_e64 s1, 6, v0
	v_dual_cndmask_b32 v22, v7, v15, s1 :: v_dual_cndmask_b32 v23, v6, v14, s1
	ds_load_b64 v[6:7], v26
	v_cmp_eq_u32_e64 s1, 8, v0
	v_dual_cndmask_b32 v22, v22, v17, s2 :: v_dual_cndmask_b32 v23, v23, v16, s2
	s_delay_alu instid0(VALU_DEP_1) | instskip(SKIP_1) | instid1(VALU_DEP_1)
	v_dual_cndmask_b32 v22, v22, v19, s1 :: v_dual_cndmask_b32 v24, v23, v18, s1
	v_cmp_eq_u32_e64 s1, 9, v0
	v_dual_cndmask_b32 v23, v22, v21, s1 :: v_dual_cndmask_b32 v22, v24, v20, s1
	s_wait_dscnt 0x0
	s_delay_alu instid0(VALU_DEP_1)
	v_fma_f64 v[6:7], v[22:23], v[6:7], 0
	s_and_saveexec_b32 s1, s0
	s_cbranch_execz .LBB73_22
; %bb.21:
	v_mov_b32_e32 v22, 0
	ds_load_b64 v[22:23], v22 offset:88
	s_wait_dscnt 0x0
	v_fmac_f64_e32 v[6:7], v[4:5], v[22:23]
.LBB73_22:
	s_or_b32 exec_lo, exec_lo, s1
	v_mov_b32_e32 v22, 0
	ds_load_b64 v[22:23], v22 offset:16
	s_wait_dscnt 0x0
	v_mul_f64_e32 v[6:7], v[6:7], v[22:23]
.LBB73_23:
	s_or_b32 exec_lo, exec_lo, s3
	s_delay_alu instid0(SALU_CYCLE_1)
	s_mov_b32 s3, exec_lo
	s_barrier_signal -1
	s_barrier_wait -1
	ds_store_b64 v26, v[8:9]
	s_wait_dscnt 0x0
	s_barrier_signal -1
	s_barrier_wait -1
	v_cmpx_gt_u32_e32 3, v0
	s_cbranch_execz .LBB73_27
; %bb.24:
	v_mov_b64_e32 v[22:23], 0
	v_mov_b64_e32 v[24:25], v[0:1]
	v_lshl_add_u32 v27, v0, 3, 0x50
	s_mov_b32 s4, 0
.LBB73_25:                              ; =>This Inner Loop Header: Depth=1
	s_delay_alu instid0(VALU_DEP_2) | instskip(SKIP_1) | instid1(VALU_DEP_2)
	v_cmp_eq_u32_e64 s1, 1, v24
	v_cmp_eq_u32_e64 s2, 2, v24
	v_dual_cndmask_b32 v28, v3, v5, s1 :: v_dual_cndmask_b32 v29, v2, v4, s1
	v_cmp_eq_u32_e64 s1, 3, v24
	s_delay_alu instid0(VALU_DEP_2) | instskip(SKIP_1) | instid1(VALU_DEP_2)
	v_dual_cndmask_b32 v28, v28, v7, s2 :: v_dual_cndmask_b32 v29, v29, v6, s2
	v_cmp_eq_u32_e64 s2, 4, v24
	v_dual_cndmask_b32 v28, v28, v9, s1 :: v_dual_cndmask_b32 v29, v29, v8, s1
	v_cmp_eq_u32_e64 s1, 5, v24
	s_delay_alu instid0(VALU_DEP_2) | instskip(SKIP_1) | instid1(VALU_DEP_2)
	v_dual_cndmask_b32 v28, v28, v11, s2 :: v_dual_cndmask_b32 v29, v29, v10, s2
	v_cmp_eq_u32_e64 s2, 6, v24
	v_dual_cndmask_b32 v30, v28, v13, s1 :: v_dual_cndmask_b32 v31, v29, v12, s1
	ds_load_b64 v[28:29], v27
	v_cmp_eq_u32_e64 s1, 7, v24
	v_add_nc_u32_e32 v27, 8, v27
	v_dual_cndmask_b32 v30, v30, v15, s2 :: v_dual_cndmask_b32 v31, v31, v14, s2
	v_cmp_eq_u32_e64 s2, 8, v24
	s_delay_alu instid0(VALU_DEP_2) | instskip(SKIP_2) | instid1(VALU_DEP_3)
	v_dual_cndmask_b32 v30, v30, v17, s1 :: v_dual_cndmask_b32 v31, v31, v16, s1
	v_cmp_eq_u32_e64 s1, 9, v24
	v_add_nc_u64_e32 v[24:25], 1, v[24:25]
	v_dual_cndmask_b32 v30, v30, v19, s2 :: v_dual_cndmask_b32 v32, v31, v18, s2
	s_delay_alu instid0(VALU_DEP_1) | instskip(SKIP_1) | instid1(VALU_DEP_1)
	v_dual_cndmask_b32 v31, v30, v21, s1 :: v_dual_cndmask_b32 v30, v32, v20, s1
	s_wait_dscnt 0x0
	v_fmac_f64_e32 v[22:23], v[30:31], v[28:29]
	s_delay_alu instid0(VALU_DEP_4) | instskip(NEXT) | instid1(VALU_DEP_1)
	v_add_nc_u32_e32 v28, -1, v24
	v_cmp_lt_u32_e64 s1, 1, v28
	s_or_b32 s4, s1, s4
	s_delay_alu instid0(SALU_CYCLE_1)
	s_and_not1_b32 exec_lo, exec_lo, s4
	s_cbranch_execnz .LBB73_25
; %bb.26:
	s_or_b32 exec_lo, exec_lo, s4
	v_mov_b32_e32 v8, 0
	ds_load_b64 v[8:9], v8 offset:24
	s_wait_dscnt 0x0
	v_mul_f64_e32 v[8:9], v[22:23], v[8:9]
.LBB73_27:
	s_or_b32 exec_lo, exec_lo, s3
	v_cmp_gt_u32_e64 s1, 4, v0
	s_barrier_signal -1
	s_barrier_wait -1
	ds_store_b64 v26, v[10:11]
	s_wait_dscnt 0x0
	s_barrier_signal -1
	s_barrier_wait -1
	s_and_saveexec_b32 s4, s1
	s_cbranch_execz .LBB73_31
; %bb.28:
	v_mov_b64_e32 v[22:23], 0
	v_mov_b64_e32 v[24:25], v[0:1]
	v_lshl_add_u32 v27, v0, 3, 0x50
	s_mov_b32 s5, 0
.LBB73_29:                              ; =>This Inner Loop Header: Depth=1
	s_delay_alu instid0(VALU_DEP_2) | instskip(SKIP_1) | instid1(VALU_DEP_2)
	v_cmp_eq_u32_e64 s2, 1, v24
	v_cmp_eq_u32_e64 s3, 2, v24
	v_dual_cndmask_b32 v28, v3, v5, s2 :: v_dual_cndmask_b32 v29, v2, v4, s2
	v_cmp_eq_u32_e64 s2, 3, v24
	s_delay_alu instid0(VALU_DEP_2) | instskip(SKIP_1) | instid1(VALU_DEP_2)
	v_dual_cndmask_b32 v28, v28, v7, s3 :: v_dual_cndmask_b32 v29, v29, v6, s3
	v_cmp_eq_u32_e64 s3, 4, v24
	v_dual_cndmask_b32 v28, v28, v9, s2 :: v_dual_cndmask_b32 v29, v29, v8, s2
	v_cmp_eq_u32_e64 s2, 5, v24
	s_delay_alu instid0(VALU_DEP_2) | instskip(SKIP_1) | instid1(VALU_DEP_2)
	v_dual_cndmask_b32 v28, v28, v11, s3 :: v_dual_cndmask_b32 v29, v29, v10, s3
	v_cmp_eq_u32_e64 s3, 6, v24
	v_dual_cndmask_b32 v30, v28, v13, s2 :: v_dual_cndmask_b32 v31, v29, v12, s2
	ds_load_b64 v[28:29], v27
	v_cmp_eq_u32_e64 s2, 7, v24
	v_add_nc_u32_e32 v27, 8, v27
	v_dual_cndmask_b32 v30, v30, v15, s3 :: v_dual_cndmask_b32 v31, v31, v14, s3
	v_cmp_eq_u32_e64 s3, 8, v24
	s_delay_alu instid0(VALU_DEP_2) | instskip(SKIP_2) | instid1(VALU_DEP_3)
	v_dual_cndmask_b32 v30, v30, v17, s2 :: v_dual_cndmask_b32 v31, v31, v16, s2
	v_cmp_eq_u32_e64 s2, 9, v24
	v_add_nc_u64_e32 v[24:25], 1, v[24:25]
	v_dual_cndmask_b32 v30, v30, v19, s3 :: v_dual_cndmask_b32 v32, v31, v18, s3
	s_delay_alu instid0(VALU_DEP_1) | instskip(SKIP_1) | instid1(VALU_DEP_1)
	v_dual_cndmask_b32 v31, v30, v21, s2 :: v_dual_cndmask_b32 v30, v32, v20, s2
	s_wait_dscnt 0x0
	v_fmac_f64_e32 v[22:23], v[30:31], v[28:29]
	s_delay_alu instid0(VALU_DEP_4) | instskip(NEXT) | instid1(VALU_DEP_1)
	v_add_nc_u32_e32 v28, -1, v24
	v_cmp_lt_u32_e64 s2, 2, v28
	s_or_b32 s5, s2, s5
	s_delay_alu instid0(SALU_CYCLE_1)
	s_and_not1_b32 exec_lo, exec_lo, s5
	s_cbranch_execnz .LBB73_29
; %bb.30:
	s_or_b32 exec_lo, exec_lo, s5
	v_mov_b32_e32 v10, 0
	ds_load_b64 v[10:11], v10 offset:32
	s_wait_dscnt 0x0
	v_mul_f64_e32 v[10:11], v[22:23], v[10:11]
.LBB73_31:
	s_or_b32 exec_lo, exec_lo, s4
	s_delay_alu instid0(SALU_CYCLE_1)
	s_mov_b32 s4, exec_lo
	s_barrier_signal -1
	s_barrier_wait -1
	ds_store_b64 v26, v[12:13]
	s_wait_dscnt 0x0
	s_barrier_signal -1
	s_barrier_wait -1
	v_cmpx_gt_u32_e32 5, v0
	s_cbranch_execz .LBB73_35
; %bb.32:
	v_mov_b64_e32 v[22:23], 0
	v_mov_b64_e32 v[24:25], v[0:1]
	v_lshl_add_u32 v27, v0, 3, 0x50
	s_mov_b32 s5, 0
.LBB73_33:                              ; =>This Inner Loop Header: Depth=1
	s_delay_alu instid0(VALU_DEP_2) | instskip(SKIP_1) | instid1(VALU_DEP_2)
	v_cmp_eq_u32_e64 s2, 1, v24
	v_cmp_eq_u32_e64 s3, 2, v24
	v_dual_cndmask_b32 v28, v3, v5, s2 :: v_dual_cndmask_b32 v29, v2, v4, s2
	v_cmp_eq_u32_e64 s2, 3, v24
	s_delay_alu instid0(VALU_DEP_2) | instskip(SKIP_1) | instid1(VALU_DEP_2)
	v_dual_cndmask_b32 v28, v28, v7, s3 :: v_dual_cndmask_b32 v29, v29, v6, s3
	v_cmp_eq_u32_e64 s3, 4, v24
	v_dual_cndmask_b32 v28, v28, v9, s2 :: v_dual_cndmask_b32 v29, v29, v8, s2
	v_cmp_eq_u32_e64 s2, 5, v24
	s_delay_alu instid0(VALU_DEP_2) | instskip(SKIP_1) | instid1(VALU_DEP_2)
	v_dual_cndmask_b32 v28, v28, v11, s3 :: v_dual_cndmask_b32 v29, v29, v10, s3
	v_cmp_eq_u32_e64 s3, 6, v24
	v_dual_cndmask_b32 v30, v28, v13, s2 :: v_dual_cndmask_b32 v31, v29, v12, s2
	ds_load_b64 v[28:29], v27
	v_cmp_eq_u32_e64 s2, 7, v24
	v_add_nc_u32_e32 v27, 8, v27
	v_dual_cndmask_b32 v30, v30, v15, s3 :: v_dual_cndmask_b32 v31, v31, v14, s3
	v_cmp_eq_u32_e64 s3, 8, v24
	s_delay_alu instid0(VALU_DEP_2) | instskip(SKIP_2) | instid1(VALU_DEP_3)
	v_dual_cndmask_b32 v30, v30, v17, s2 :: v_dual_cndmask_b32 v31, v31, v16, s2
	v_cmp_eq_u32_e64 s2, 9, v24
	v_add_nc_u64_e32 v[24:25], 1, v[24:25]
	v_dual_cndmask_b32 v30, v30, v19, s3 :: v_dual_cndmask_b32 v32, v31, v18, s3
	s_delay_alu instid0(VALU_DEP_1) | instskip(SKIP_1) | instid1(VALU_DEP_1)
	v_dual_cndmask_b32 v31, v30, v21, s2 :: v_dual_cndmask_b32 v30, v32, v20, s2
	s_wait_dscnt 0x0
	v_fmac_f64_e32 v[22:23], v[30:31], v[28:29]
	s_delay_alu instid0(VALU_DEP_4) | instskip(NEXT) | instid1(VALU_DEP_1)
	v_add_nc_u32_e32 v28, -1, v24
	v_cmp_lt_u32_e64 s2, 3, v28
	s_or_b32 s5, s2, s5
	s_delay_alu instid0(SALU_CYCLE_1)
	s_and_not1_b32 exec_lo, exec_lo, s5
	s_cbranch_execnz .LBB73_33
; %bb.34:
	s_or_b32 exec_lo, exec_lo, s5
	v_mov_b32_e32 v12, 0
	ds_load_b64 v[12:13], v12 offset:40
	s_wait_dscnt 0x0
	v_mul_f64_e32 v[12:13], v[22:23], v[12:13]
.LBB73_35:
	s_or_b32 exec_lo, exec_lo, s4
	v_cmp_gt_u32_e64 s2, 6, v0
	s_barrier_signal -1
	s_barrier_wait -1
	ds_store_b64 v26, v[14:15]
	s_wait_dscnt 0x0
	s_barrier_signal -1
	s_barrier_wait -1
	s_and_saveexec_b32 s5, s2
	s_cbranch_execz .LBB73_39
; %bb.36:
	v_mov_b64_e32 v[22:23], 0
	v_mov_b64_e32 v[24:25], v[0:1]
	v_lshl_add_u32 v27, v0, 3, 0x50
	s_mov_b32 s6, 0
.LBB73_37:                              ; =>This Inner Loop Header: Depth=1
	s_delay_alu instid0(VALU_DEP_2) | instskip(SKIP_1) | instid1(VALU_DEP_2)
	v_cmp_eq_u32_e64 s3, 1, v24
	v_cmp_eq_u32_e64 s4, 2, v24
	v_dual_cndmask_b32 v28, v3, v5, s3 :: v_dual_cndmask_b32 v29, v2, v4, s3
	v_cmp_eq_u32_e64 s3, 3, v24
	s_delay_alu instid0(VALU_DEP_2) | instskip(SKIP_1) | instid1(VALU_DEP_2)
	v_dual_cndmask_b32 v28, v28, v7, s4 :: v_dual_cndmask_b32 v29, v29, v6, s4
	v_cmp_eq_u32_e64 s4, 4, v24
	v_dual_cndmask_b32 v28, v28, v9, s3 :: v_dual_cndmask_b32 v29, v29, v8, s3
	v_cmp_eq_u32_e64 s3, 5, v24
	s_delay_alu instid0(VALU_DEP_2) | instskip(SKIP_1) | instid1(VALU_DEP_2)
	v_dual_cndmask_b32 v28, v28, v11, s4 :: v_dual_cndmask_b32 v29, v29, v10, s4
	v_cmp_eq_u32_e64 s4, 6, v24
	v_dual_cndmask_b32 v30, v28, v13, s3 :: v_dual_cndmask_b32 v31, v29, v12, s3
	ds_load_b64 v[28:29], v27
	v_cmp_eq_u32_e64 s3, 7, v24
	v_add_nc_u32_e32 v27, 8, v27
	v_dual_cndmask_b32 v30, v30, v15, s4 :: v_dual_cndmask_b32 v31, v31, v14, s4
	v_cmp_eq_u32_e64 s4, 8, v24
	s_delay_alu instid0(VALU_DEP_2) | instskip(SKIP_2) | instid1(VALU_DEP_3)
	v_dual_cndmask_b32 v30, v30, v17, s3 :: v_dual_cndmask_b32 v31, v31, v16, s3
	v_cmp_eq_u32_e64 s3, 9, v24
	v_add_nc_u64_e32 v[24:25], 1, v[24:25]
	v_dual_cndmask_b32 v30, v30, v19, s4 :: v_dual_cndmask_b32 v32, v31, v18, s4
	s_delay_alu instid0(VALU_DEP_1) | instskip(SKIP_1) | instid1(VALU_DEP_1)
	v_dual_cndmask_b32 v31, v30, v21, s3 :: v_dual_cndmask_b32 v30, v32, v20, s3
	s_wait_dscnt 0x0
	v_fmac_f64_e32 v[22:23], v[30:31], v[28:29]
	s_delay_alu instid0(VALU_DEP_4) | instskip(NEXT) | instid1(VALU_DEP_1)
	v_add_nc_u32_e32 v28, -1, v24
	v_cmp_lt_u32_e64 s3, 4, v28
	s_or_b32 s6, s3, s6
	s_delay_alu instid0(SALU_CYCLE_1)
	s_and_not1_b32 exec_lo, exec_lo, s6
	s_cbranch_execnz .LBB73_37
; %bb.38:
	s_or_b32 exec_lo, exec_lo, s6
	v_mov_b32_e32 v14, 0
	ds_load_b64 v[14:15], v14 offset:48
	s_wait_dscnt 0x0
	v_mul_f64_e32 v[14:15], v[22:23], v[14:15]
.LBB73_39:
	s_or_b32 exec_lo, exec_lo, s5
	s_delay_alu instid0(SALU_CYCLE_1)
	s_mov_b32 s5, exec_lo
	s_barrier_signal -1
	s_barrier_wait -1
	ds_store_b64 v26, v[16:17]
	s_wait_dscnt 0x0
	s_barrier_signal -1
	s_barrier_wait -1
	v_cmpx_gt_u32_e32 7, v0
	s_cbranch_execz .LBB73_43
; %bb.40:
	v_mov_b64_e32 v[22:23], 0
	v_mov_b64_e32 v[24:25], v[0:1]
	v_lshl_add_u32 v27, v0, 3, 0x50
	s_mov_b32 s6, 0
.LBB73_41:                              ; =>This Inner Loop Header: Depth=1
	s_delay_alu instid0(VALU_DEP_2) | instskip(SKIP_1) | instid1(VALU_DEP_2)
	v_cmp_eq_u32_e64 s3, 1, v24
	v_cmp_eq_u32_e64 s4, 2, v24
	v_dual_cndmask_b32 v28, v3, v5, s3 :: v_dual_cndmask_b32 v29, v2, v4, s3
	v_cmp_eq_u32_e64 s3, 3, v24
	s_delay_alu instid0(VALU_DEP_2) | instskip(SKIP_1) | instid1(VALU_DEP_2)
	v_dual_cndmask_b32 v28, v28, v7, s4 :: v_dual_cndmask_b32 v29, v29, v6, s4
	v_cmp_eq_u32_e64 s4, 4, v24
	v_dual_cndmask_b32 v28, v28, v9, s3 :: v_dual_cndmask_b32 v29, v29, v8, s3
	v_cmp_eq_u32_e64 s3, 5, v24
	s_delay_alu instid0(VALU_DEP_2) | instskip(SKIP_1) | instid1(VALU_DEP_2)
	v_dual_cndmask_b32 v28, v28, v11, s4 :: v_dual_cndmask_b32 v29, v29, v10, s4
	v_cmp_eq_u32_e64 s4, 6, v24
	v_dual_cndmask_b32 v30, v28, v13, s3 :: v_dual_cndmask_b32 v31, v29, v12, s3
	ds_load_b64 v[28:29], v27
	v_cmp_eq_u32_e64 s3, 7, v24
	v_add_nc_u32_e32 v27, 8, v27
	v_dual_cndmask_b32 v30, v30, v15, s4 :: v_dual_cndmask_b32 v31, v31, v14, s4
	v_cmp_eq_u32_e64 s4, 8, v24
	s_delay_alu instid0(VALU_DEP_2) | instskip(SKIP_2) | instid1(VALU_DEP_3)
	v_dual_cndmask_b32 v30, v30, v17, s3 :: v_dual_cndmask_b32 v31, v31, v16, s3
	v_cmp_eq_u32_e64 s3, 9, v24
	v_add_nc_u64_e32 v[24:25], 1, v[24:25]
	v_dual_cndmask_b32 v30, v30, v19, s4 :: v_dual_cndmask_b32 v32, v31, v18, s4
	s_delay_alu instid0(VALU_DEP_1) | instskip(SKIP_1) | instid1(VALU_DEP_1)
	v_dual_cndmask_b32 v31, v30, v21, s3 :: v_dual_cndmask_b32 v30, v32, v20, s3
	s_wait_dscnt 0x0
	v_fmac_f64_e32 v[22:23], v[30:31], v[28:29]
	s_delay_alu instid0(VALU_DEP_4) | instskip(NEXT) | instid1(VALU_DEP_1)
	v_add_nc_u32_e32 v28, -1, v24
	v_cmp_lt_u32_e64 s3, 5, v28
	s_or_b32 s6, s3, s6
	s_delay_alu instid0(SALU_CYCLE_1)
	s_and_not1_b32 exec_lo, exec_lo, s6
	s_cbranch_execnz .LBB73_41
; %bb.42:
	s_or_b32 exec_lo, exec_lo, s6
	v_mov_b32_e32 v16, 0
	ds_load_b64 v[16:17], v16 offset:56
	s_wait_dscnt 0x0
	v_mul_f64_e32 v[16:17], v[22:23], v[16:17]
.LBB73_43:
	s_or_b32 exec_lo, exec_lo, s5
	s_delay_alu instid0(SALU_CYCLE_1)
	s_mov_b32 s5, exec_lo
	s_barrier_signal -1
	s_barrier_wait -1
	ds_store_b64 v26, v[18:19]
	s_wait_dscnt 0x0
	s_barrier_signal -1
	s_barrier_wait -1
	v_cmpx_gt_u32_e32 8, v0
	s_cbranch_execz .LBB73_59
; %bb.44:
	v_cmp_eq_u32_e64 s3, 1, v0
	v_cmp_eq_u32_e64 s4, 7, v0
	s_mov_b32 s6, exec_lo
	v_dual_cndmask_b32 v22, v3, v5, s3 :: v_dual_cndmask_b32 v23, v2, v4, s3
	v_cmp_eq_u32_e64 s3, 2, v0
	s_delay_alu instid0(VALU_DEP_1) | instskip(SKIP_1) | instid1(VALU_DEP_1)
	v_dual_cndmask_b32 v22, v22, v7, s3 :: v_dual_cndmask_b32 v23, v23, v6, s3
	v_cmp_eq_u32_e64 s3, 3, v0
	v_dual_cndmask_b32 v22, v22, v9, s3 :: v_dual_cndmask_b32 v23, v23, v8, s3
	v_cmp_eq_u32_e64 s3, 4, v0
	s_delay_alu instid0(VALU_DEP_1) | instskip(SKIP_1) | instid1(VALU_DEP_1)
	v_dual_cndmask_b32 v22, v22, v11, s3 :: v_dual_cndmask_b32 v23, v23, v10, s3
	v_cmp_eq_u32_e64 s3, 5, v0
	v_dual_cndmask_b32 v22, v22, v13, s3 :: v_dual_cndmask_b32 v23, v23, v12, s3
	v_cmp_eq_u32_e64 s3, 6, v0
	s_delay_alu instid0(VALU_DEP_1) | instskip(SKIP_3) | instid1(VALU_DEP_1)
	v_dual_cndmask_b32 v24, v22, v15, s3 :: v_dual_cndmask_b32 v25, v23, v14, s3
	ds_load_b64 v[22:23], v26
	v_cmp_eq_u32_e64 s3, 8, v0
	v_dual_cndmask_b32 v24, v24, v17, s4 :: v_dual_cndmask_b32 v25, v25, v16, s4
	v_dual_cndmask_b32 v24, v24, v19, s3 :: v_dual_cndmask_b32 v27, v25, v18, s3
	v_cmp_eq_u32_e64 s3, 9, v0
	s_delay_alu instid0(VALU_DEP_1) | instskip(SKIP_1) | instid1(VALU_DEP_1)
	v_dual_cndmask_b32 v25, v24, v21, s3 :: v_dual_cndmask_b32 v24, v27, v20, s3
	s_wait_dscnt 0x0
	v_fma_f64 v[22:23], v[24:25], v[22:23], 0
	v_cmpx_ne_u32_e32 7, v0
	s_cbranch_execz .LBB73_58
; %bb.45:
	v_add_nc_u32_e32 v27, 1, v0
	s_delay_alu instid0(VALU_DEP_1) | instskip(NEXT) | instid1(VALU_DEP_1)
	v_cmp_eq_u32_e64 s3, 1, v27
	v_dual_cndmask_b32 v24, v3, v5, s3 :: v_dual_cndmask_b32 v25, v2, v4, s3
	v_cmp_eq_u32_e64 s3, 2, v27
	v_cmp_eq_u32_e64 s4, 7, v27
	s_delay_alu instid0(VALU_DEP_2) | instskip(SKIP_1) | instid1(VALU_DEP_1)
	v_dual_cndmask_b32 v24, v24, v7, s3 :: v_dual_cndmask_b32 v25, v25, v6, s3
	v_cmp_eq_u32_e64 s3, 3, v27
	v_dual_cndmask_b32 v24, v24, v9, s3 :: v_dual_cndmask_b32 v25, v25, v8, s3
	v_cmp_eq_u32_e64 s3, 4, v27
	s_delay_alu instid0(VALU_DEP_1) | instskip(SKIP_1) | instid1(VALU_DEP_1)
	v_dual_cndmask_b32 v24, v24, v11, s3 :: v_dual_cndmask_b32 v25, v25, v10, s3
	v_cmp_eq_u32_e64 s3, 5, v27
	v_dual_cndmask_b32 v24, v24, v13, s3 :: v_dual_cndmask_b32 v25, v25, v12, s3
	v_cmp_eq_u32_e64 s3, 6, v27
	s_delay_alu instid0(VALU_DEP_1) | instskip(SKIP_3) | instid1(VALU_DEP_1)
	v_dual_cndmask_b32 v28, v24, v15, s3 :: v_dual_cndmask_b32 v29, v25, v14, s3
	ds_load_b64 v[24:25], v26 offset:8
	v_cmp_eq_u32_e64 s3, 8, v27
	v_dual_cndmask_b32 v28, v28, v17, s4 :: v_dual_cndmask_b32 v29, v29, v16, s4
	v_dual_cndmask_b32 v28, v28, v19, s3 :: v_dual_cndmask_b32 v30, v29, v18, s3
	v_cmp_eq_u32_e64 s3, 9, v27
	s_delay_alu instid0(VALU_DEP_1) | instskip(SKIP_1) | instid1(VALU_DEP_1)
	v_dual_cndmask_b32 v29, v28, v21, s3 :: v_dual_cndmask_b32 v28, v30, v20, s3
	s_wait_dscnt 0x0
	v_fmac_f64_e32 v[22:23], v[28:29], v[24:25]
	s_and_saveexec_b32 s4, s2
	s_cbranch_execz .LBB73_57
; %bb.46:
	v_add_nc_u32_e32 v27, 2, v0
	s_mov_b32 s7, exec_lo
	s_delay_alu instid0(VALU_DEP_1) | instskip(NEXT) | instid1(VALU_DEP_1)
	v_cmp_eq_u32_e64 s2, 1, v27
	v_dual_cndmask_b32 v24, v3, v5, s2 :: v_dual_cndmask_b32 v25, v2, v4, s2
	v_cmp_eq_u32_e64 s2, 2, v27
	v_cmp_eq_u32_e64 s3, 7, v27
	s_delay_alu instid0(VALU_DEP_2) | instskip(SKIP_1) | instid1(VALU_DEP_1)
	v_dual_cndmask_b32 v24, v24, v7, s2 :: v_dual_cndmask_b32 v25, v25, v6, s2
	v_cmp_eq_u32_e64 s2, 3, v27
	v_dual_cndmask_b32 v24, v24, v9, s2 :: v_dual_cndmask_b32 v25, v25, v8, s2
	v_cmp_eq_u32_e64 s2, 4, v27
	s_delay_alu instid0(VALU_DEP_1) | instskip(SKIP_1) | instid1(VALU_DEP_1)
	v_dual_cndmask_b32 v24, v24, v11, s2 :: v_dual_cndmask_b32 v25, v25, v10, s2
	v_cmp_eq_u32_e64 s2, 5, v27
	v_dual_cndmask_b32 v24, v24, v13, s2 :: v_dual_cndmask_b32 v25, v25, v12, s2
	v_cmp_eq_u32_e64 s2, 6, v27
	s_delay_alu instid0(VALU_DEP_1) | instskip(SKIP_3) | instid1(VALU_DEP_1)
	v_dual_cndmask_b32 v28, v24, v15, s2 :: v_dual_cndmask_b32 v29, v25, v14, s2
	ds_load_b64 v[24:25], v26 offset:16
	v_cmp_eq_u32_e64 s2, 8, v27
	v_dual_cndmask_b32 v28, v28, v17, s3 :: v_dual_cndmask_b32 v29, v29, v16, s3
	v_dual_cndmask_b32 v28, v28, v19, s2 :: v_dual_cndmask_b32 v30, v29, v18, s2
	v_cmp_eq_u32_e64 s2, 9, v27
	s_delay_alu instid0(VALU_DEP_1) | instskip(SKIP_1) | instid1(VALU_DEP_1)
	v_dual_cndmask_b32 v29, v28, v21, s2 :: v_dual_cndmask_b32 v28, v30, v20, s2
	s_wait_dscnt 0x0
	v_fmac_f64_e32 v[22:23], v[28:29], v[24:25]
	v_cmpx_ne_u32_e32 5, v0
	s_cbranch_execz .LBB73_56
; %bb.47:
	v_add_nc_u32_e32 v27, 3, v0
	s_delay_alu instid0(VALU_DEP_1) | instskip(NEXT) | instid1(VALU_DEP_1)
	v_cmp_eq_u32_e64 s2, 1, v27
	v_dual_cndmask_b32 v24, v3, v5, s2 :: v_dual_cndmask_b32 v25, v2, v4, s2
	v_cmp_eq_u32_e64 s2, 2, v27
	v_cmp_eq_u32_e64 s3, 7, v27
	s_delay_alu instid0(VALU_DEP_2) | instskip(SKIP_1) | instid1(VALU_DEP_1)
	v_dual_cndmask_b32 v24, v24, v7, s2 :: v_dual_cndmask_b32 v25, v25, v6, s2
	v_cmp_eq_u32_e64 s2, 3, v27
	v_dual_cndmask_b32 v24, v24, v9, s2 :: v_dual_cndmask_b32 v25, v25, v8, s2
	v_cmp_eq_u32_e64 s2, 4, v27
	s_delay_alu instid0(VALU_DEP_1) | instskip(SKIP_1) | instid1(VALU_DEP_1)
	v_dual_cndmask_b32 v24, v24, v11, s2 :: v_dual_cndmask_b32 v25, v25, v10, s2
	v_cmp_eq_u32_e64 s2, 5, v27
	v_dual_cndmask_b32 v24, v24, v13, s2 :: v_dual_cndmask_b32 v25, v25, v12, s2
	v_cmp_eq_u32_e64 s2, 6, v27
	s_delay_alu instid0(VALU_DEP_1) | instskip(SKIP_3) | instid1(VALU_DEP_1)
	v_dual_cndmask_b32 v28, v24, v15, s2 :: v_dual_cndmask_b32 v29, v25, v14, s2
	ds_load_b64 v[24:25], v26 offset:24
	v_cmp_eq_u32_e64 s2, 8, v27
	v_dual_cndmask_b32 v28, v28, v17, s3 :: v_dual_cndmask_b32 v29, v29, v16, s3
	v_dual_cndmask_b32 v28, v28, v19, s2 :: v_dual_cndmask_b32 v30, v29, v18, s2
	v_cmp_eq_u32_e64 s2, 9, v27
	s_delay_alu instid0(VALU_DEP_1) | instskip(SKIP_1) | instid1(VALU_DEP_1)
	v_dual_cndmask_b32 v29, v28, v21, s2 :: v_dual_cndmask_b32 v28, v30, v20, s2
	s_wait_dscnt 0x0
	v_fmac_f64_e32 v[22:23], v[28:29], v[24:25]
	s_and_saveexec_b32 s3, s1
	s_cbranch_execz .LBB73_55
; %bb.48:
	v_or_b32_e32 v27, 4, v0
	s_mov_b32 s8, exec_lo
	s_delay_alu instid0(VALU_DEP_1) | instskip(NEXT) | instid1(VALU_DEP_1)
	v_cmp_eq_u32_e64 s1, 1, v27
	v_dual_cndmask_b32 v24, v3, v5, s1 :: v_dual_cndmask_b32 v25, v2, v4, s1
	v_cmp_eq_u32_e64 s1, 2, v27
	v_cmp_eq_u32_e64 s2, 7, v27
	s_delay_alu instid0(VALU_DEP_2) | instskip(SKIP_1) | instid1(VALU_DEP_1)
	v_dual_cndmask_b32 v24, v24, v7, s1 :: v_dual_cndmask_b32 v25, v25, v6, s1
	v_cmp_eq_u32_e64 s1, 3, v27
	v_dual_cndmask_b32 v24, v24, v9, s1 :: v_dual_cndmask_b32 v25, v25, v8, s1
	v_cmp_eq_u32_e64 s1, 4, v27
	s_delay_alu instid0(VALU_DEP_1) | instskip(SKIP_1) | instid1(VALU_DEP_1)
	v_dual_cndmask_b32 v24, v24, v11, s1 :: v_dual_cndmask_b32 v25, v25, v10, s1
	v_cmp_eq_u32_e64 s1, 5, v27
	v_dual_cndmask_b32 v24, v24, v13, s1 :: v_dual_cndmask_b32 v25, v25, v12, s1
	v_cmp_eq_u32_e64 s1, 6, v27
	s_delay_alu instid0(VALU_DEP_1) | instskip(SKIP_3) | instid1(VALU_DEP_1)
	v_dual_cndmask_b32 v28, v24, v15, s1 :: v_dual_cndmask_b32 v29, v25, v14, s1
	ds_load_b64 v[24:25], v26 offset:32
	v_cmp_eq_u32_e64 s1, 8, v27
	v_dual_cndmask_b32 v28, v28, v17, s2 :: v_dual_cndmask_b32 v29, v29, v16, s2
	v_dual_cndmask_b32 v28, v28, v19, s1 :: v_dual_cndmask_b32 v30, v29, v18, s1
	v_cmp_eq_u32_e64 s1, 9, v27
	s_delay_alu instid0(VALU_DEP_1) | instskip(SKIP_1) | instid1(VALU_DEP_1)
	v_dual_cndmask_b32 v29, v28, v21, s1 :: v_dual_cndmask_b32 v28, v30, v20, s1
	s_wait_dscnt 0x0
	v_fmac_f64_e32 v[22:23], v[28:29], v[24:25]
	v_cmpx_ne_u32_e32 3, v0
	s_cbranch_execz .LBB73_54
; %bb.49:
	v_add_nc_u32_e32 v27, 5, v0
	s_delay_alu instid0(VALU_DEP_1) | instskip(NEXT) | instid1(VALU_DEP_1)
	v_cmp_eq_u32_e64 s1, 1, v27
	v_dual_cndmask_b32 v24, v3, v5, s1 :: v_dual_cndmask_b32 v25, v2, v4, s1
	v_cmp_eq_u32_e64 s1, 2, v27
	v_cmp_eq_u32_e64 s2, 7, v27
	s_delay_alu instid0(VALU_DEP_2) | instskip(SKIP_1) | instid1(VALU_DEP_1)
	v_dual_cndmask_b32 v24, v24, v7, s1 :: v_dual_cndmask_b32 v25, v25, v6, s1
	v_cmp_eq_u32_e64 s1, 3, v27
	v_dual_cndmask_b32 v24, v24, v9, s1 :: v_dual_cndmask_b32 v25, v25, v8, s1
	v_cmp_eq_u32_e64 s1, 4, v27
	s_delay_alu instid0(VALU_DEP_1) | instskip(SKIP_1) | instid1(VALU_DEP_1)
	v_dual_cndmask_b32 v24, v24, v11, s1 :: v_dual_cndmask_b32 v25, v25, v10, s1
	v_cmp_eq_u32_e64 s1, 5, v27
	v_dual_cndmask_b32 v24, v24, v13, s1 :: v_dual_cndmask_b32 v25, v25, v12, s1
	v_cmp_eq_u32_e64 s1, 6, v27
	s_delay_alu instid0(VALU_DEP_1) | instskip(SKIP_3) | instid1(VALU_DEP_1)
	v_dual_cndmask_b32 v28, v24, v15, s1 :: v_dual_cndmask_b32 v29, v25, v14, s1
	ds_load_b64 v[24:25], v26 offset:40
	v_cmp_eq_u32_e64 s1, 8, v27
	v_dual_cndmask_b32 v28, v28, v17, s2 :: v_dual_cndmask_b32 v29, v29, v16, s2
	v_dual_cndmask_b32 v28, v28, v19, s1 :: v_dual_cndmask_b32 v30, v29, v18, s1
	v_cmp_eq_u32_e64 s1, 9, v27
	s_delay_alu instid0(VALU_DEP_1) | instskip(SKIP_1) | instid1(VALU_DEP_1)
	v_dual_cndmask_b32 v29, v28, v21, s1 :: v_dual_cndmask_b32 v28, v30, v20, s1
	s_wait_dscnt 0x0
	v_fmac_f64_e32 v[22:23], v[28:29], v[24:25]
	s_and_saveexec_b32 s2, vcc_lo
	s_cbranch_execz .LBB73_53
; %bb.50:
	v_or_b32_e32 v27, 6, v0
	s_delay_alu instid0(VALU_DEP_1) | instskip(SKIP_3) | instid1(VALU_DEP_3)
	v_cmp_eq_u32_e32 vcc_lo, 1, v27
	v_dual_cndmask_b32 v24, v3, v5 :: v_dual_cndmask_b32 v25, v2, v4
	v_cmp_eq_u32_e32 vcc_lo, 2, v27
	v_cmp_eq_u32_e64 s1, 7, v27
	v_dual_cndmask_b32 v24, v24, v7 :: v_dual_cndmask_b32 v25, v25, v6
	v_cmp_eq_u32_e32 vcc_lo, 3, v27
	s_delay_alu instid0(VALU_DEP_2) | instskip(SKIP_1) | instid1(VALU_DEP_2)
	v_dual_cndmask_b32 v24, v24, v9 :: v_dual_cndmask_b32 v25, v25, v8
	v_cmp_eq_u32_e32 vcc_lo, 4, v27
	v_dual_cndmask_b32 v24, v24, v11 :: v_dual_cndmask_b32 v25, v25, v10
	v_cmp_eq_u32_e32 vcc_lo, 5, v27
	s_delay_alu instid0(VALU_DEP_2) | instskip(SKIP_1) | instid1(VALU_DEP_2)
	v_dual_cndmask_b32 v24, v24, v13 :: v_dual_cndmask_b32 v25, v25, v12
	v_cmp_eq_u32_e32 vcc_lo, 6, v27
	v_dual_cndmask_b32 v28, v24, v15 :: v_dual_cndmask_b32 v29, v25, v14
	ds_load_b64 v[24:25], v26 offset:48
	v_cmp_eq_u32_e32 vcc_lo, 8, v27
	v_dual_cndmask_b32 v28, v28, v17, s1 :: v_dual_cndmask_b32 v29, v29, v16, s1
	s_delay_alu instid0(VALU_DEP_1) | instskip(SKIP_1) | instid1(VALU_DEP_2)
	v_dual_cndmask_b32 v19, v28, v19 :: v_dual_cndmask_b32 v18, v29, v18
	v_cmp_eq_u32_e32 vcc_lo, 9, v27
	v_dual_cndmask_b32 v19, v19, v21 :: v_dual_cndmask_b32 v18, v18, v20
	s_wait_dscnt 0x0
	s_delay_alu instid0(VALU_DEP_1)
	v_fmac_f64_e32 v[22:23], v[18:19], v[24:25]
	s_and_saveexec_b32 s1, s0
	s_cbranch_execz .LBB73_52
; %bb.51:
	ds_load_b64 v[18:19], v26 offset:56
	s_wait_dscnt 0x0
	v_fmac_f64_e32 v[22:23], v[16:17], v[18:19]
.LBB73_52:
	s_or_b32 exec_lo, exec_lo, s1
.LBB73_53:
	s_delay_alu instid0(SALU_CYCLE_1)
	s_or_b32 exec_lo, exec_lo, s2
.LBB73_54:
	s_delay_alu instid0(SALU_CYCLE_1)
	s_or_b32 exec_lo, exec_lo, s8
.LBB73_55:
	s_delay_alu instid0(SALU_CYCLE_1)
	s_or_b32 exec_lo, exec_lo, s3
.LBB73_56:
	s_delay_alu instid0(SALU_CYCLE_1)
	s_or_b32 exec_lo, exec_lo, s7
.LBB73_57:
	s_delay_alu instid0(SALU_CYCLE_1)
	s_or_b32 exec_lo, exec_lo, s4
.LBB73_58:
	s_delay_alu instid0(SALU_CYCLE_1)
	s_or_b32 exec_lo, exec_lo, s6
	v_mov_b32_e32 v18, 0
	ds_load_b64 v[18:19], v18 offset:64
	s_wait_dscnt 0x0
	v_mul_f64_e32 v[18:19], v[22:23], v[18:19]
.LBB73_59:
	s_or_b32 exec_lo, exec_lo, s5
	s_delay_alu instid0(SALU_CYCLE_1)
	s_mov_b32 s1, exec_lo
	s_barrier_signal -1
	s_barrier_wait -1
	ds_store_b64 v26, v[20:21]
	s_wait_dscnt 0x0
	s_barrier_signal -1
	s_barrier_wait -1
	v_cmpx_ne_u32_e32 9, v0
	s_cbranch_execz .LBB73_63
; %bb.60:
	v_mov_b64_e32 v[22:23], 0
	v_mov_b64_e32 v[24:25], v[0:1]
	v_lshl_add_u32 v26, v0, 3, 0x50
	s_mov_b32 s2, 0
.LBB73_61:                              ; =>This Inner Loop Header: Depth=1
	s_delay_alu instid0(VALU_DEP_2)
	v_cmp_eq_u32_e32 vcc_lo, 1, v24
	v_cmp_eq_u32_e64 s0, 2, v24
	ds_load_b64 v[28:29], v26
	v_dual_cndmask_b32 v1, v3, v5 :: v_dual_add_nc_u32 v26, 8, v26
	v_cndmask_b32_e32 v27, v2, v4, vcc_lo
	v_cmp_eq_u32_e32 vcc_lo, 3, v24
	s_delay_alu instid0(VALU_DEP_2) | instskip(SKIP_1) | instid1(VALU_DEP_2)
	v_dual_cndmask_b32 v1, v1, v7, s0 :: v_dual_cndmask_b32 v27, v27, v6, s0
	v_cmp_eq_u32_e64 s0, 4, v24
	v_dual_cndmask_b32 v1, v1, v9, vcc_lo :: v_dual_cndmask_b32 v27, v27, v8, vcc_lo
	v_cmp_eq_u32_e32 vcc_lo, 5, v24
	s_delay_alu instid0(VALU_DEP_2) | instskip(SKIP_1) | instid1(VALU_DEP_2)
	v_dual_cndmask_b32 v1, v1, v11, s0 :: v_dual_cndmask_b32 v27, v27, v10, s0
	v_cmp_eq_u32_e64 s0, 6, v24
	v_dual_cndmask_b32 v1, v1, v13, vcc_lo :: v_dual_cndmask_b32 v27, v27, v12, vcc_lo
	;; [unrolled: 5-line block ×3, first 2 shown]
	v_cmp_eq_u32_e32 vcc_lo, 9, v24
	v_add_nc_u64_e32 v[24:25], 1, v[24:25]
	s_delay_alu instid0(VALU_DEP_3) | instskip(NEXT) | instid1(VALU_DEP_1)
	v_dual_cndmask_b32 v1, v1, v19, s0 :: v_dual_cndmask_b32 v27, v27, v18, s0
	v_dual_cndmask_b32 v31, v1, v21 :: v_dual_cndmask_b32 v30, v27, v20
	s_delay_alu instid0(VALU_DEP_3) | instskip(SKIP_1) | instid1(VALU_DEP_2)
	v_add_nc_u32_e32 v1, -1, v24
	s_wait_dscnt 0x0
	v_fmac_f64_e32 v[22:23], v[30:31], v[28:29]
	s_delay_alu instid0(VALU_DEP_2) | instskip(SKIP_1) | instid1(SALU_CYCLE_1)
	v_cmp_lt_u32_e32 vcc_lo, 7, v1
	s_or_b32 s2, vcc_lo, s2
	s_and_not1_b32 exec_lo, exec_lo, s2
	s_cbranch_execnz .LBB73_61
; %bb.62:
	s_or_b32 exec_lo, exec_lo, s2
	v_mov_b32_e32 v1, 0
	ds_load_b64 v[20:21], v1 offset:72
	s_wait_dscnt 0x0
	v_mul_f64_e32 v[20:21], v[22:23], v[20:21]
.LBB73_63:
	s_or_b32 exec_lo, exec_lo, s1
	s_barrier_signal -1
	s_barrier_wait -1
	s_cbranch_execnz .LBB73_15
	s_branch .LBB73_16
.LBB73_64:
	s_wait_xcnt 0x0
	v_lshl_add_u32 v1, v0, 3, 0x50
	s_mov_b32 s0, exec_lo
	v_cmpx_eq_u32_e32 9, v0
	s_cbranch_execz .LBB73_66
; %bb.65:
	s_wait_dscnt 0x2
	v_dual_mov_b32 v38, 0 :: v_dual_mov_b32 v36, v16
	v_dual_mov_b32 v22, v2 :: v_dual_mov_b32 v23, v3
	;; [unrolled: 1-line block ×3, first 2 shown]
	s_wait_dscnt 0x0
	v_dual_mov_b32 v37, v17 :: v_dual_mov_b32 v40, v20
	v_dual_mov_b32 v41, v21 :: v_dual_mov_b32 v39, v38
	;; [unrolled: 1-line block ×7, first 2 shown]
	ds_store_b64 v1, v[18:19]
	v_mov_b64_e32 v[2:3], v[22:23]
	v_mov_b64_e32 v[4:5], v[24:25]
	;; [unrolled: 1-line block ×16, first 2 shown]
.LBB73_66:
	s_or_b32 exec_lo, exec_lo, s0
	v_mov_b32_e32 v36, 0
	s_wait_storecnt_dscnt 0x0
	s_barrier_signal -1
	s_barrier_wait -1
	ds_load_b64 v[22:23], v36 offset:152
	s_mov_b32 s0, exec_lo
	s_wait_dscnt 0x0
	v_fma_f64 v[22:23], v[20:21], v[22:23], 0
	s_delay_alu instid0(VALU_DEP_1)
	v_add_f64_e64 v[18:19], v[18:19], -v[22:23]
	v_cmpx_lt_u32_e32 7, v0
	s_cbranch_execz .LBB73_68
; %bb.67:
	v_dual_mov_b32 v22, v2 :: v_dual_mov_b32 v23, v3
	v_dual_mov_b32 v34, v14 :: v_dual_mov_b32 v35, v15
	s_delay_alu instid0(VALU_DEP_4)
	v_dual_mov_b32 v37, v36 :: v_dual_mov_b32 v38, v18
	v_dual_mov_b32 v39, v19 :: v_dual_mov_b32 v40, v20
	;; [unrolled: 1-line block ×7, first 2 shown]
	v_mov_b32_e32 v33, v13
	ds_store_b64 v1, v[16:17]
	v_mov_b64_e32 v[2:3], v[22:23]
	v_mov_b64_e32 v[4:5], v[24:25]
	;; [unrolled: 1-line block ×16, first 2 shown]
.LBB73_68:
	s_or_b32 exec_lo, exec_lo, s0
	s_wait_dscnt 0x0
	s_barrier_signal -1
	s_barrier_wait -1
	ds_load_b128 v[22:25], v36 offset:144
	s_mov_b32 s0, exec_lo
	s_wait_dscnt 0x0
	v_fma_f64 v[22:23], v[18:19], v[22:23], 0
	s_delay_alu instid0(VALU_DEP_1) | instskip(NEXT) | instid1(VALU_DEP_1)
	v_fmac_f64_e32 v[22:23], v[20:21], v[24:25]
	v_add_f64_e64 v[16:17], v[16:17], -v[22:23]
	v_cmpx_lt_u32_e32 6, v0
	s_cbranch_execz .LBB73_70
; %bb.69:
	v_dual_mov_b32 v34, 0 :: v_dual_mov_b32 v22, v2
	v_dual_mov_b32 v23, v3 :: v_dual_mov_b32 v24, v4
	s_delay_alu instid0(VALU_DEP_2)
	v_dual_mov_b32 v33, v13 :: v_dual_mov_b32 v35, v34
	v_dual_mov_b32 v36, v16 :: v_dual_mov_b32 v37, v17
	;; [unrolled: 1-line block ×8, first 2 shown]
	ds_store_b64 v1, v[14:15]
	v_mov_b64_e32 v[2:3], v[22:23]
	v_mov_b64_e32 v[4:5], v[24:25]
	;; [unrolled: 1-line block ×16, first 2 shown]
.LBB73_70:
	s_or_b32 exec_lo, exec_lo, s0
	v_mov_b32_e32 v34, 0
	s_wait_dscnt 0x0
	s_barrier_signal -1
	s_barrier_wait -1
	ds_load_2addr_b64 v[22:25], v34 offset0:17 offset1:18
	ds_load_b64 v[26:27], v34 offset:152
	s_mov_b32 s0, exec_lo
	s_wait_dscnt 0x1
	v_fma_f64 v[22:23], v[16:17], v[22:23], 0
	s_delay_alu instid0(VALU_DEP_1) | instskip(SKIP_1) | instid1(VALU_DEP_1)
	v_fmac_f64_e32 v[22:23], v[18:19], v[24:25]
	s_wait_dscnt 0x0
	v_fmac_f64_e32 v[22:23], v[20:21], v[26:27]
	s_delay_alu instid0(VALU_DEP_1)
	v_add_f64_e64 v[14:15], v[14:15], -v[22:23]
	v_cmpx_lt_u32_e32 5, v0
	s_cbranch_execz .LBB73_72
; %bb.71:
	v_dual_mov_b32 v24, v2 :: v_dual_mov_b32 v25, v3
	s_delay_alu instid0(VALU_DEP_3) | instskip(NEXT) | instid1(VALU_DEP_4)
	v_dual_mov_b32 v35, v34 :: v_dual_mov_b32 v36, v14
	v_dual_mov_b32 v37, v15 :: v_dual_mov_b32 v38, v16
	;; [unrolled: 1-line block ×8, first 2 shown]
	v_mov_b32_e32 v33, v11
	ds_store_b64 v1, v[12:13]
	v_mov_b64_e32 v[2:3], v[24:25]
	v_mov_b64_e32 v[4:5], v[26:27]
	;; [unrolled: 1-line block ×16, first 2 shown]
.LBB73_72:
	s_or_b32 exec_lo, exec_lo, s0
	s_wait_dscnt 0x0
	s_barrier_signal -1
	s_barrier_wait -1
	ds_load_b128 v[22:25], v34 offset:128
	ds_load_b128 v[26:29], v34 offset:144
	s_mov_b32 s0, exec_lo
	s_wait_dscnt 0x1
	v_fma_f64 v[22:23], v[14:15], v[22:23], 0
	s_delay_alu instid0(VALU_DEP_1) | instskip(SKIP_1) | instid1(VALU_DEP_1)
	v_fmac_f64_e32 v[22:23], v[16:17], v[24:25]
	s_wait_dscnt 0x0
	v_fmac_f64_e32 v[22:23], v[18:19], v[26:27]
	s_delay_alu instid0(VALU_DEP_1) | instskip(NEXT) | instid1(VALU_DEP_1)
	v_fmac_f64_e32 v[22:23], v[20:21], v[28:29]
	v_add_f64_e64 v[12:13], v[12:13], -v[22:23]
	v_cmpx_lt_u32_e32 4, v0
	s_cbranch_execz .LBB73_74
; %bb.73:
	v_dual_mov_b32 v30, 0 :: v_dual_mov_b32 v22, v2
	v_dual_mov_b32 v23, v3 :: v_dual_mov_b32 v24, v4
	;; [unrolled: 1-line block ×10, first 2 shown]
	ds_store_b64 v1, v[10:11]
	v_mov_b64_e32 v[2:3], v[22:23]
	v_mov_b64_e32 v[4:5], v[24:25]
	;; [unrolled: 1-line block ×16, first 2 shown]
.LBB73_74:
	s_or_b32 exec_lo, exec_lo, s0
	v_mov_b32_e32 v34, 0
	s_wait_dscnt 0x0
	s_barrier_signal -1
	s_barrier_wait -1
	ds_load_2addr_b64 v[22:25], v34 offset0:15 offset1:16
	ds_load_2addr_b64 v[26:29], v34 offset0:17 offset1:18
	s_mov_b32 s0, exec_lo
	s_wait_dscnt 0x1
	v_fma_f64 v[22:23], v[12:13], v[22:23], 0
	s_delay_alu instid0(VALU_DEP_1) | instskip(SKIP_3) | instid1(VALU_DEP_1)
	v_fmac_f64_e32 v[22:23], v[14:15], v[24:25]
	ds_load_b64 v[24:25], v34 offset:152
	s_wait_dscnt 0x1
	v_fmac_f64_e32 v[22:23], v[16:17], v[26:27]
	v_fmac_f64_e32 v[22:23], v[18:19], v[28:29]
	s_wait_dscnt 0x0
	s_delay_alu instid0(VALU_DEP_1) | instskip(NEXT) | instid1(VALU_DEP_1)
	v_fmac_f64_e32 v[22:23], v[20:21], v[24:25]
	v_add_f64_e64 v[10:11], v[10:11], -v[22:23]
	v_cmpx_lt_u32_e32 3, v0
	s_cbranch_execz .LBB73_76
; %bb.75:
	v_dual_mov_b32 v28, v2 :: v_dual_mov_b32 v29, v3
	s_delay_alu instid0(VALU_DEP_3) | instskip(NEXT) | instid1(VALU_DEP_4)
	v_dual_mov_b32 v35, v34 :: v_dual_mov_b32 v36, v10
	v_dual_mov_b32 v37, v11 :: v_dual_mov_b32 v38, v12
	;; [unrolled: 1-line block ×8, first 2 shown]
	v_mov_b32_e32 v33, v7
	ds_store_b64 v1, v[8:9]
	v_mov_b64_e32 v[2:3], v[28:29]
	v_mov_b64_e32 v[4:5], v[30:31]
	v_mov_b64_e32 v[6:7], v[32:33]
	v_mov_b64_e32 v[8:9], v[34:35]
	v_mov_b64_e32 v[10:11], v[36:37]
	v_mov_b64_e32 v[12:13], v[38:39]
	v_mov_b64_e32 v[14:15], v[40:41]
	v_mov_b64_e32 v[16:17], v[42:43]
	v_mov_b64_e32 v[18:19], v[44:45]
	v_mov_b64_e32 v[20:21], v[46:47]
	v_mov_b64_e32 v[22:23], v[48:49]
	v_mov_b64_e32 v[24:25], v[50:51]
	v_mov_b64_e32 v[26:27], v[52:53]
	v_mov_b64_e32 v[28:29], v[54:55]
	v_mov_b64_e32 v[30:31], v[56:57]
	v_mov_b64_e32 v[32:33], v[58:59]
.LBB73_76:
	s_or_b32 exec_lo, exec_lo, s0
	s_wait_dscnt 0x0
	s_barrier_signal -1
	s_barrier_wait -1
	ds_load_b128 v[22:25], v34 offset:112
	ds_load_b128 v[26:29], v34 offset:128
	s_mov_b32 s0, exec_lo
	s_wait_dscnt 0x1
	v_fma_f64 v[30:31], v[10:11], v[22:23], 0
	s_delay_alu instid0(VALU_DEP_1) | instskip(SKIP_3) | instid1(VALU_DEP_1)
	v_fmac_f64_e32 v[30:31], v[12:13], v[24:25]
	ds_load_b128 v[22:25], v34 offset:144
	s_wait_dscnt 0x1
	v_fmac_f64_e32 v[30:31], v[14:15], v[26:27]
	v_fmac_f64_e32 v[30:31], v[16:17], v[28:29]
	s_wait_dscnt 0x0
	s_delay_alu instid0(VALU_DEP_1) | instskip(NEXT) | instid1(VALU_DEP_1)
	v_fmac_f64_e32 v[30:31], v[18:19], v[22:23]
	v_fmac_f64_e32 v[30:31], v[20:21], v[24:25]
	s_delay_alu instid0(VALU_DEP_1)
	v_add_f64_e64 v[8:9], v[8:9], -v[30:31]
	v_cmpx_lt_u32_e32 2, v0
	s_cbranch_execz .LBB73_78
; %bb.77:
	v_dual_mov_b32 v26, 0 :: v_dual_mov_b32 v22, v2
	v_dual_mov_b32 v23, v3 :: v_dual_mov_b32 v24, v4
	;; [unrolled: 1-line block ×10, first 2 shown]
	ds_store_b64 v1, v[6:7]
	v_mov_b64_e32 v[2:3], v[22:23]
	v_mov_b64_e32 v[4:5], v[24:25]
	;; [unrolled: 1-line block ×16, first 2 shown]
.LBB73_78:
	s_or_b32 exec_lo, exec_lo, s0
	v_mov_b32_e32 v34, 0
	s_wait_dscnt 0x0
	s_barrier_signal -1
	s_barrier_wait -1
	ds_load_2addr_b64 v[22:25], v34 offset0:13 offset1:14
	ds_load_2addr_b64 v[26:29], v34 offset0:15 offset1:16
	s_mov_b32 s0, exec_lo
	s_wait_dscnt 0x1
	v_fma_f64 v[30:31], v[8:9], v[22:23], 0
	s_delay_alu instid0(VALU_DEP_1) | instskip(SKIP_1) | instid1(VALU_DEP_1)
	v_fmac_f64_e32 v[30:31], v[10:11], v[24:25]
	s_wait_dscnt 0x0
	v_fmac_f64_e32 v[30:31], v[12:13], v[26:27]
	ds_load_2addr_b64 v[22:25], v34 offset0:17 offset1:18
	ds_load_b64 v[26:27], v34 offset:152
	v_fmac_f64_e32 v[30:31], v[14:15], v[28:29]
	s_wait_dscnt 0x1
	s_delay_alu instid0(VALU_DEP_1) | instskip(NEXT) | instid1(VALU_DEP_1)
	v_fmac_f64_e32 v[30:31], v[16:17], v[22:23]
	v_fmac_f64_e32 v[30:31], v[18:19], v[24:25]
	s_wait_dscnt 0x0
	s_delay_alu instid0(VALU_DEP_1) | instskip(NEXT) | instid1(VALU_DEP_1)
	v_fmac_f64_e32 v[30:31], v[20:21], v[26:27]
	v_add_f64_e64 v[6:7], v[6:7], -v[30:31]
	v_cmpx_lt_u32_e32 1, v0
	s_cbranch_execz .LBB73_80
; %bb.79:
	v_dual_mov_b32 v32, v2 :: v_dual_mov_b32 v33, v3
	s_delay_alu instid0(VALU_DEP_3) | instskip(NEXT) | instid1(VALU_DEP_4)
	v_dual_mov_b32 v35, v34 :: v_dual_mov_b32 v36, v6
	v_dual_mov_b32 v37, v7 :: v_dual_mov_b32 v38, v8
	;; [unrolled: 1-line block ×8, first 2 shown]
	v_mov_b32_e32 v51, v21
	ds_store_b64 v1, v[4:5]
	v_mov_b64_e32 v[2:3], v[32:33]
	v_mov_b64_e32 v[4:5], v[34:35]
	;; [unrolled: 1-line block ×16, first 2 shown]
.LBB73_80:
	s_or_b32 exec_lo, exec_lo, s0
	s_wait_dscnt 0x0
	s_barrier_signal -1
	s_barrier_wait -1
	ds_load_b128 v[22:25], v34 offset:96
	ds_load_b128 v[26:29], v34 offset:112
	v_dual_ashrrev_i32 v55, 31, v54 :: v_dual_ashrrev_i32 v57, 31, v56
	v_dual_ashrrev_i32 v63, 31, v62 :: v_dual_ashrrev_i32 v65, 31, v64
	;; [unrolled: 1-line block ×3, first 2 shown]
	v_ashrrev_i32_e32 v71, 31, v70
	s_mov_b32 s0, exec_lo
	v_ashrrev_i32_e32 v53, 31, v52
	s_wait_dscnt 0x1
	v_fma_f64 v[30:31], v[6:7], v[22:23], 0
	s_delay_alu instid0(VALU_DEP_1) | instskip(SKIP_1) | instid1(VALU_DEP_1)
	v_fmac_f64_e32 v[30:31], v[8:9], v[24:25]
	s_wait_dscnt 0x0
	v_fmac_f64_e32 v[30:31], v[10:11], v[26:27]
	s_delay_alu instid0(VALU_DEP_1) | instskip(SKIP_4) | instid1(VALU_DEP_1)
	v_fmac_f64_e32 v[30:31], v[12:13], v[28:29]
	ds_load_b128 v[22:25], v34 offset:128
	ds_load_b128 v[26:29], v34 offset:144
	s_wait_dscnt 0x1
	v_fmac_f64_e32 v[30:31], v[14:15], v[22:23]
	v_fmac_f64_e32 v[30:31], v[16:17], v[24:25]
	s_wait_dscnt 0x0
	s_delay_alu instid0(VALU_DEP_1) | instskip(NEXT) | instid1(VALU_DEP_1)
	v_fmac_f64_e32 v[30:31], v[18:19], v[26:27]
	v_fmac_f64_e32 v[30:31], v[20:21], v[28:29]
	s_delay_alu instid0(VALU_DEP_1)
	v_add_f64_e64 v[4:5], v[4:5], -v[30:31]
	v_cmpx_ne_u32_e32 0, v0
	s_cbranch_execz .LBB73_82
; %bb.81:
	s_delay_alu instid0(VALU_DEP_2) | instskip(SKIP_1) | instid1(VALU_DEP_2)
	v_dual_mov_b32 v22, 0 :: v_dual_mov_b32 v24, v4
	v_dual_mov_b32 v27, v7 :: v_dual_mov_b32 v34, v14
	;; [unrolled: 1-line block ×10, first 2 shown]
	ds_store_b64 v1, v[2:3]
	v_mov_b64_e32 v[2:3], v[22:23]
	v_mov_b64_e32 v[4:5], v[24:25]
	;; [unrolled: 1-line block ×16, first 2 shown]
.LBB73_82:
	s_or_b32 exec_lo, exec_lo, s0
	v_mov_b32_e32 v0, 0
	s_wait_dscnt 0x0
	s_barrier_signal -1
	s_barrier_wait -1
	ds_load_2addr_b64 v[22:25], v0 offset0:11 offset1:12
	ds_load_2addr_b64 v[26:29], v0 offset0:13 offset1:14
	s_and_b32 vcc_lo, exec_lo, s18
	s_wait_dscnt 0x1
	v_fma_f64 v[30:31], v[4:5], v[22:23], 0
	s_delay_alu instid0(VALU_DEP_1) | instskip(SKIP_1) | instid1(VALU_DEP_1)
	v_fmac_f64_e32 v[30:31], v[6:7], v[24:25]
	s_wait_dscnt 0x0
	v_fmac_f64_e32 v[30:31], v[8:9], v[26:27]
	s_delay_alu instid0(VALU_DEP_1)
	v_fmac_f64_e32 v[30:31], v[10:11], v[28:29]
	ds_load_2addr_b64 v[22:25], v0 offset0:15 offset1:16
	ds_load_2addr_b64 v[26:29], v0 offset0:17 offset1:18
	s_wait_dscnt 0x1
	v_fmac_f64_e32 v[30:31], v[12:13], v[22:23]
	ds_load_b64 v[22:23], v0 offset:152
	v_fmac_f64_e32 v[30:31], v[14:15], v[24:25]
	s_wait_dscnt 0x1
	s_delay_alu instid0(VALU_DEP_1) | instskip(NEXT) | instid1(VALU_DEP_1)
	v_fmac_f64_e32 v[30:31], v[16:17], v[26:27]
	v_fmac_f64_e32 v[30:31], v[18:19], v[28:29]
	s_wait_dscnt 0x0
	s_delay_alu instid0(VALU_DEP_1) | instskip(NEXT) | instid1(VALU_DEP_1)
	v_fmac_f64_e32 v[30:31], v[20:21], v[22:23]
	v_add_f64_e64 v[2:3], v[2:3], -v[30:31]
	s_cbranch_vccz .LBB73_101
; %bb.83:
	global_load_b32 v0, v0, s[12:13] offset:32
	s_wait_loadcnt 0x0
	v_readfirstlane_b32 s0, v0
	s_add_co_i32 s0, s0, -1
	s_delay_alu instid0(SALU_CYCLE_1)
	s_cmp_lg_u32 s0, 8
	s_cbranch_scc0 .LBB73_85
; %bb.84:
	s_lshl_b32 m0, s0, 1
	v_movrels_b32_e32 v0, v2
	v_movrels_b32_e32 v1, v3
	v_mov_b64_e32 v[50:51], v[32:33]
	v_mov_b64_e32 v[48:49], v[30:31]
	;; [unrolled: 1-line block ×16, first 2 shown]
	v_dual_mov_b32 v36, v0 :: v_dual_mov_b32 v37, v1
	s_delay_alu instid0(VALU_DEP_2) | instskip(NEXT) | instid1(VALU_DEP_3)
	v_movreld_b32_e32 v20, v18
	v_movreld_b32_e32 v21, v19
	v_mov_b64_e32 v[2:3], v[20:21]
	v_mov_b64_e32 v[4:5], v[22:23]
	;; [unrolled: 1-line block ×16, first 2 shown]
.LBB73_85:
	v_mov_b32_e32 v0, 0
	global_load_b32 v1, v0, s[12:13] offset:28
	s_wait_loadcnt 0x0
	v_readfirstlane_b32 s0, v1
	s_add_co_i32 s0, s0, -1
	s_delay_alu instid0(SALU_CYCLE_1)
	s_cmp_eq_u32 s0, 7
	s_cbranch_scc1 .LBB73_87
; %bb.86:
	s_lshl_b32 m0, s0, 1
	v_movrels_b32_e32 v1, v2
	v_movrels_b32_e32 v50, v3
	v_mov_b64_e32 v[48:49], v[32:33]
	v_mov_b64_e32 v[46:47], v[30:31]
	;; [unrolled: 1-line block ×16, first 2 shown]
	v_dual_mov_b32 v32, v1 :: v_dual_mov_b32 v33, v50
	s_delay_alu instid0(VALU_DEP_2) | instskip(NEXT) | instid1(VALU_DEP_3)
	v_movreld_b32_e32 v18, v16
	v_movreld_b32_e32 v19, v17
	v_mov_b64_e32 v[2:3], v[18:19]
	v_mov_b64_e32 v[4:5], v[20:21]
	;; [unrolled: 1-line block ×16, first 2 shown]
.LBB73_87:
	global_load_b32 v0, v0, s[12:13] offset:24
	s_wait_loadcnt 0x0
	v_readfirstlane_b32 s0, v0
	s_add_co_i32 s0, s0, -1
	s_delay_alu instid0(SALU_CYCLE_1)
	s_cmp_eq_u32 s0, 6
	s_cbranch_scc1 .LBB73_89
; %bb.88:
	s_lshl_b32 m0, s0, 1
	v_movrels_b32_e32 v0, v2
	v_movrels_b32_e32 v1, v3
	v_mov_b64_e32 v[46:47], v[32:33]
	v_mov_b64_e32 v[44:45], v[30:31]
	;; [unrolled: 1-line block ×16, first 2 shown]
	v_dual_mov_b32 v28, v0 :: v_dual_mov_b32 v29, v1
	s_delay_alu instid0(VALU_DEP_2) | instskip(NEXT) | instid1(VALU_DEP_3)
	v_movreld_b32_e32 v16, v14
	v_movreld_b32_e32 v17, v15
	v_mov_b64_e32 v[2:3], v[16:17]
	v_mov_b64_e32 v[4:5], v[18:19]
	;; [unrolled: 1-line block ×16, first 2 shown]
.LBB73_89:
	v_mov_b32_e32 v0, 0
	global_load_b32 v1, v0, s[12:13] offset:20
	s_wait_loadcnt 0x0
	v_readfirstlane_b32 s0, v1
	s_add_co_i32 s0, s0, -1
	s_delay_alu instid0(SALU_CYCLE_1)
	s_cmp_eq_u32 s0, 5
	s_cbranch_scc1 .LBB73_91
; %bb.90:
	s_lshl_b32 m0, s0, 1
	v_movrels_b32_e32 v1, v2
	v_movrels_b32_e32 v46, v3
	v_mov_b64_e32 v[44:45], v[32:33]
	v_mov_b64_e32 v[42:43], v[30:31]
	;; [unrolled: 1-line block ×16, first 2 shown]
	v_dual_mov_b32 v24, v1 :: v_dual_mov_b32 v25, v46
	s_delay_alu instid0(VALU_DEP_2) | instskip(NEXT) | instid1(VALU_DEP_3)
	v_movreld_b32_e32 v14, v12
	v_movreld_b32_e32 v15, v13
	v_mov_b64_e32 v[2:3], v[14:15]
	v_mov_b64_e32 v[4:5], v[16:17]
	;; [unrolled: 1-line block ×16, first 2 shown]
.LBB73_91:
	global_load_b32 v0, v0, s[12:13] offset:16
	s_wait_loadcnt 0x0
	v_readfirstlane_b32 s0, v0
	s_add_co_i32 s0, s0, -1
	s_delay_alu instid0(SALU_CYCLE_1)
	s_cmp_eq_u32 s0, 4
	s_cbranch_scc1 .LBB73_93
; %bb.92:
	s_lshl_b32 m0, s0, 1
	v_movrels_b32_e32 v0, v2
	v_movrels_b32_e32 v1, v3
	v_mov_b64_e32 v[42:43], v[32:33]
	v_mov_b64_e32 v[40:41], v[30:31]
	;; [unrolled: 1-line block ×16, first 2 shown]
	v_dual_mov_b32 v20, v0 :: v_dual_mov_b32 v21, v1
	s_delay_alu instid0(VALU_DEP_2) | instskip(NEXT) | instid1(VALU_DEP_3)
	v_movreld_b32_e32 v12, v10
	v_movreld_b32_e32 v13, v11
	v_mov_b64_e32 v[2:3], v[12:13]
	v_mov_b64_e32 v[4:5], v[14:15]
	v_mov_b64_e32 v[6:7], v[16:17]
	v_mov_b64_e32 v[8:9], v[18:19]
	v_mov_b64_e32 v[10:11], v[20:21]
	v_mov_b64_e32 v[12:13], v[22:23]
	v_mov_b64_e32 v[14:15], v[24:25]
	v_mov_b64_e32 v[16:17], v[26:27]
	v_mov_b64_e32 v[18:19], v[28:29]
	v_mov_b64_e32 v[20:21], v[30:31]
	v_mov_b64_e32 v[22:23], v[32:33]
	v_mov_b64_e32 v[24:25], v[34:35]
	v_mov_b64_e32 v[26:27], v[36:37]
	v_mov_b64_e32 v[28:29], v[38:39]
	v_mov_b64_e32 v[30:31], v[40:41]
	v_mov_b64_e32 v[32:33], v[42:43]
.LBB73_93:
	v_mov_b32_e32 v0, 0
	global_load_b32 v1, v0, s[12:13] offset:12
	s_wait_loadcnt 0x0
	v_readfirstlane_b32 s0, v1
	s_add_co_i32 s0, s0, -1
	s_delay_alu instid0(SALU_CYCLE_1)
	s_cmp_eq_u32 s0, 3
	s_cbranch_scc1 .LBB73_95
; %bb.94:
	s_lshl_b32 m0, s0, 1
	v_movrels_b32_e32 v1, v2
	v_movrels_b32_e32 v42, v3
	v_mov_b64_e32 v[40:41], v[32:33]
	v_mov_b64_e32 v[38:39], v[30:31]
	;; [unrolled: 1-line block ×16, first 2 shown]
	v_dual_mov_b32 v16, v1 :: v_dual_mov_b32 v17, v42
	s_delay_alu instid0(VALU_DEP_2) | instskip(NEXT) | instid1(VALU_DEP_3)
	v_movreld_b32_e32 v10, v8
	v_movreld_b32_e32 v11, v9
	v_mov_b64_e32 v[2:3], v[10:11]
	v_mov_b64_e32 v[4:5], v[12:13]
	;; [unrolled: 1-line block ×16, first 2 shown]
.LBB73_95:
	global_load_b32 v0, v0, s[12:13] offset:8
	s_wait_loadcnt 0x0
	v_readfirstlane_b32 s0, v0
	s_add_co_i32 s0, s0, -1
	s_delay_alu instid0(SALU_CYCLE_1)
	s_cmp_eq_u32 s0, 2
	s_cbranch_scc1 .LBB73_97
; %bb.96:
	s_lshl_b32 m0, s0, 1
	v_movrels_b32_e32 v0, v2
	v_movrels_b32_e32 v1, v3
	v_mov_b64_e32 v[38:39], v[32:33]
	v_mov_b64_e32 v[36:37], v[30:31]
	;; [unrolled: 1-line block ×16, first 2 shown]
	v_dual_mov_b32 v12, v0 :: v_dual_mov_b32 v13, v1
	s_delay_alu instid0(VALU_DEP_2) | instskip(NEXT) | instid1(VALU_DEP_3)
	v_movreld_b32_e32 v8, v6
	v_movreld_b32_e32 v9, v7
	v_mov_b64_e32 v[2:3], v[8:9]
	v_mov_b64_e32 v[4:5], v[10:11]
	;; [unrolled: 1-line block ×16, first 2 shown]
.LBB73_97:
	v_mov_b32_e32 v0, 0
	global_load_b32 v1, v0, s[12:13] offset:4
	s_wait_loadcnt 0x0
	v_readfirstlane_b32 s0, v1
	s_add_co_i32 s0, s0, -1
	s_delay_alu instid0(SALU_CYCLE_1)
	s_cmp_eq_u32 s0, 1
	s_cbranch_scc1 .LBB73_99
; %bb.98:
	s_lshl_b32 m0, s0, 1
	v_movrels_b32_e32 v1, v2
	v_movrels_b32_e32 v38, v3
	v_mov_b64_e32 v[36:37], v[32:33]
	v_mov_b64_e32 v[34:35], v[30:31]
	;; [unrolled: 1-line block ×16, first 2 shown]
	v_dual_mov_b32 v8, v1 :: v_dual_mov_b32 v9, v38
	s_delay_alu instid0(VALU_DEP_2) | instskip(NEXT) | instid1(VALU_DEP_3)
	v_movreld_b32_e32 v6, v4
	v_movreld_b32_e32 v7, v5
	v_mov_b64_e32 v[2:3], v[6:7]
	s_delay_alu instid0(VALU_DEP_4)
	v_mov_b64_e32 v[4:5], v[8:9]
	v_mov_b64_e32 v[6:7], v[10:11]
	;; [unrolled: 1-line block ×15, first 2 shown]
.LBB73_99:
	global_load_b32 v0, v0, s[12:13]
	s_wait_loadcnt 0x0
	v_readfirstlane_b32 s0, v0
	s_add_co_i32 s0, s0, -1
	s_delay_alu instid0(SALU_CYCLE_1)
	s_cmp_eq_u32 s0, 0
	s_cbranch_scc1 .LBB73_101
; %bb.100:
	s_lshl_b32 m0, s0, 1
	v_movrels_b32_e32 v0, v2
	v_movrels_b32_e32 v1, v3
	v_mov_b64_e32 v[34:35], v[32:33]
	v_mov_b64_e32 v[32:33], v[30:31]
	;; [unrolled: 1-line block ×16, first 2 shown]
	v_dual_mov_b32 v4, v0 :: v_dual_mov_b32 v5, v1
	s_delay_alu instid0(VALU_DEP_1) | instskip(NEXT) | instid1(VALU_DEP_2)
	v_movreld_b32_e32 v4, v2
	v_movreld_b32_e32 v5, v3
	v_mov_b64_e32 v[2:3], v[4:5]
	v_mov_b64_e32 v[4:5], v[6:7]
	;; [unrolled: 1-line block ×16, first 2 shown]
.LBB73_101:
	v_lshl_add_u64 v[34:35], v[52:53], 3, s[14:15]
	v_lshl_add_u64 v[32:33], v[54:55], 3, s[14:15]
	;; [unrolled: 1-line block ×8, first 2 shown]
	s_clause 0x9
	flat_store_b64 v[58:59], v[2:3]
	flat_store_b64 v[60:61], v[4:5]
	;; [unrolled: 1-line block ×10, first 2 shown]
	s_sendmsg sendmsg(MSG_DEALLOC_VGPRS)
	s_endpgm
	.section	.rodata,"a",@progbits
	.p2align	6, 0x0
	.amdhsa_kernel _ZN9rocsolver6v33100L18getri_kernel_smallILi10EdPKPdEEvT1_iilPiilS6_bb
		.amdhsa_group_segment_fixed_size 168
		.amdhsa_private_segment_fixed_size 0
		.amdhsa_kernarg_size 60
		.amdhsa_user_sgpr_count 2
		.amdhsa_user_sgpr_dispatch_ptr 0
		.amdhsa_user_sgpr_queue_ptr 0
		.amdhsa_user_sgpr_kernarg_segment_ptr 1
		.amdhsa_user_sgpr_dispatch_id 0
		.amdhsa_user_sgpr_kernarg_preload_length 0
		.amdhsa_user_sgpr_kernarg_preload_offset 0
		.amdhsa_user_sgpr_private_segment_size 0
		.amdhsa_wavefront_size32 1
		.amdhsa_uses_dynamic_stack 0
		.amdhsa_enable_private_segment 0
		.amdhsa_system_sgpr_workgroup_id_x 1
		.amdhsa_system_sgpr_workgroup_id_y 0
		.amdhsa_system_sgpr_workgroup_id_z 0
		.amdhsa_system_sgpr_workgroup_info 0
		.amdhsa_system_vgpr_workitem_id 0
		.amdhsa_next_free_vgpr 72
		.amdhsa_next_free_sgpr 19
		.amdhsa_named_barrier_count 0
		.amdhsa_reserve_vcc 1
		.amdhsa_float_round_mode_32 0
		.amdhsa_float_round_mode_16_64 0
		.amdhsa_float_denorm_mode_32 3
		.amdhsa_float_denorm_mode_16_64 3
		.amdhsa_fp16_overflow 0
		.amdhsa_memory_ordered 1
		.amdhsa_forward_progress 1
		.amdhsa_inst_pref_size 77
		.amdhsa_round_robin_scheduling 0
		.amdhsa_exception_fp_ieee_invalid_op 0
		.amdhsa_exception_fp_denorm_src 0
		.amdhsa_exception_fp_ieee_div_zero 0
		.amdhsa_exception_fp_ieee_overflow 0
		.amdhsa_exception_fp_ieee_underflow 0
		.amdhsa_exception_fp_ieee_inexact 0
		.amdhsa_exception_int_div_zero 0
	.end_amdhsa_kernel
	.section	.text._ZN9rocsolver6v33100L18getri_kernel_smallILi10EdPKPdEEvT1_iilPiilS6_bb,"axG",@progbits,_ZN9rocsolver6v33100L18getri_kernel_smallILi10EdPKPdEEvT1_iilPiilS6_bb,comdat
.Lfunc_end73:
	.size	_ZN9rocsolver6v33100L18getri_kernel_smallILi10EdPKPdEEvT1_iilPiilS6_bb, .Lfunc_end73-_ZN9rocsolver6v33100L18getri_kernel_smallILi10EdPKPdEEvT1_iilPiilS6_bb
                                        ; -- End function
	.set _ZN9rocsolver6v33100L18getri_kernel_smallILi10EdPKPdEEvT1_iilPiilS6_bb.num_vgpr, 72
	.set _ZN9rocsolver6v33100L18getri_kernel_smallILi10EdPKPdEEvT1_iilPiilS6_bb.num_agpr, 0
	.set _ZN9rocsolver6v33100L18getri_kernel_smallILi10EdPKPdEEvT1_iilPiilS6_bb.numbered_sgpr, 19
	.set _ZN9rocsolver6v33100L18getri_kernel_smallILi10EdPKPdEEvT1_iilPiilS6_bb.num_named_barrier, 0
	.set _ZN9rocsolver6v33100L18getri_kernel_smallILi10EdPKPdEEvT1_iilPiilS6_bb.private_seg_size, 0
	.set _ZN9rocsolver6v33100L18getri_kernel_smallILi10EdPKPdEEvT1_iilPiilS6_bb.uses_vcc, 1
	.set _ZN9rocsolver6v33100L18getri_kernel_smallILi10EdPKPdEEvT1_iilPiilS6_bb.uses_flat_scratch, 1
	.set _ZN9rocsolver6v33100L18getri_kernel_smallILi10EdPKPdEEvT1_iilPiilS6_bb.has_dyn_sized_stack, 0
	.set _ZN9rocsolver6v33100L18getri_kernel_smallILi10EdPKPdEEvT1_iilPiilS6_bb.has_recursion, 0
	.set _ZN9rocsolver6v33100L18getri_kernel_smallILi10EdPKPdEEvT1_iilPiilS6_bb.has_indirect_call, 0
	.section	.AMDGPU.csdata,"",@progbits
; Kernel info:
; codeLenInByte = 9784
; TotalNumSgprs: 21
; NumVgprs: 72
; ScratchSize: 0
; MemoryBound: 0
; FloatMode: 240
; IeeeMode: 1
; LDSByteSize: 168 bytes/workgroup (compile time only)
; SGPRBlocks: 0
; VGPRBlocks: 4
; NumSGPRsForWavesPerEU: 21
; NumVGPRsForWavesPerEU: 72
; NamedBarCnt: 0
; Occupancy: 12
; WaveLimiterHint : 1
; COMPUTE_PGM_RSRC2:SCRATCH_EN: 0
; COMPUTE_PGM_RSRC2:USER_SGPR: 2
; COMPUTE_PGM_RSRC2:TRAP_HANDLER: 0
; COMPUTE_PGM_RSRC2:TGID_X_EN: 1
; COMPUTE_PGM_RSRC2:TGID_Y_EN: 0
; COMPUTE_PGM_RSRC2:TGID_Z_EN: 0
; COMPUTE_PGM_RSRC2:TIDIG_COMP_CNT: 0
	.section	.text._ZN9rocsolver6v33100L18getri_kernel_smallILi11EdPKPdEEvT1_iilPiilS6_bb,"axG",@progbits,_ZN9rocsolver6v33100L18getri_kernel_smallILi11EdPKPdEEvT1_iilPiilS6_bb,comdat
	.globl	_ZN9rocsolver6v33100L18getri_kernel_smallILi11EdPKPdEEvT1_iilPiilS6_bb ; -- Begin function _ZN9rocsolver6v33100L18getri_kernel_smallILi11EdPKPdEEvT1_iilPiilS6_bb
	.p2align	8
	.type	_ZN9rocsolver6v33100L18getri_kernel_smallILi11EdPKPdEEvT1_iilPiilS6_bb,@function
_ZN9rocsolver6v33100L18getri_kernel_smallILi11EdPKPdEEvT1_iilPiilS6_bb: ; @_ZN9rocsolver6v33100L18getri_kernel_smallILi11EdPKPdEEvT1_iilPiilS6_bb
; %bb.0:
	s_mov_b32 s2, exec_lo
	v_cmpx_gt_u32_e32 11, v0
	s_cbranch_execz .LBB74_16
; %bb.1:
	s_clause 0x1
	s_load_b32 s6, s[0:1], 0x38
	s_load_b64 s[2:3], s[0:1], 0x0
	s_getreg_b32 s7, hwreg(HW_REG_IB_STS2, 6, 4)
	s_load_b128 s[12:15], s[0:1], 0x28
                                        ; implicit-def: $sgpr16_sgpr17
	s_wait_kmcnt 0x0
	s_bitcmp1_b32 s6, 8
	s_cselect_b32 s11, -1, 0
	s_bfe_u32 s4, ttmp6, 0x4000c
	s_and_b32 s5, ttmp6, 15
	s_add_co_i32 s4, s4, 1
	s_delay_alu instid0(SALU_CYCLE_1) | instskip(NEXT) | instid1(SALU_CYCLE_1)
	s_mul_i32 s4, ttmp9, s4
	s_add_co_i32 s5, s5, s4
	s_cmp_eq_u32 s7, 0
	s_cselect_b32 s18, ttmp9, s5
	s_delay_alu instid0(SALU_CYCLE_1) | instskip(NEXT) | instid1(SALU_CYCLE_1)
	s_ashr_i32 s19, s18, 31
	s_lshl_b64 s[4:5], s[18:19], 3
	s_delay_alu instid0(SALU_CYCLE_1)
	s_add_nc_u64 s[2:3], s[2:3], s[4:5]
	s_bfe_u32 s4, s6, 0x10008
	s_load_b64 s[2:3], s[2:3], 0x0
	s_cmp_eq_u32 s4, 0
	s_cbranch_scc1 .LBB74_3
; %bb.2:
	s_load_b96 s[4:6], s[0:1], 0x18
	s_mul_u64 s[8:9], s[12:13], s[18:19]
	s_delay_alu instid0(SALU_CYCLE_1) | instskip(SKIP_4) | instid1(SALU_CYCLE_1)
	s_lshl_b64 s[8:9], s[8:9], 2
	s_wait_kmcnt 0x0
	s_ashr_i32 s7, s6, 31
	s_add_nc_u64 s[4:5], s[4:5], s[8:9]
	s_lshl_b64 s[6:7], s[6:7], 2
	s_add_nc_u64 s[16:17], s[4:5], s[6:7]
.LBB74_3:
	s_clause 0x1
	s_load_b64 s[4:5], s[0:1], 0x8
	s_load_b32 s6, s[0:1], 0x38
	v_dual_mov_b32 v1, 0 :: v_dual_lshlrev_b32 v24, 3, v0
	s_delay_alu instid0(VALU_DEP_1) | instskip(SKIP_4) | instid1(SALU_CYCLE_1)
	v_mov_b32_e32 v25, v1
	s_wait_kmcnt 0x0
	v_add3_u32 v56, s5, s5, v0
	s_ashr_i32 s1, s4, 31
	s_mov_b32 s0, s4
	s_lshl_b64 s[0:1], s[0:1], 3
	s_delay_alu instid0(VALU_DEP_1)
	v_add_nc_u32_e32 v58, s5, v56
	s_add_nc_u64 s[12:13], s[2:3], s[0:1]
	s_ashr_i32 s1, s5, 31
	s_mov_b32 s0, s5
	s_bitcmp0_b32 s6, 0
	v_add_nc_u32_e32 v60, s5, v58
	v_add_nc_u64_e32 v[62:63], s[12:13], v[24:25]
	s_delay_alu instid0(VALU_DEP_2) | instskip(NEXT) | instid1(VALU_DEP_2)
	v_add_nc_u32_e32 v66, s5, v60
	v_lshl_add_u64 v[64:65], s[0:1], 3, v[62:63]
	s_mov_b32 s0, -1
	s_delay_alu instid0(VALU_DEP_2)
	v_add_nc_u32_e32 v68, s5, v66
	s_clause 0x4
	flat_load_b64 v[4:5], v[64:65]
	flat_load_b64 v[6:7], v56, s[12:13] scale_offset
	flat_load_b64 v[8:9], v58, s[12:13] scale_offset
	;; [unrolled: 1-line block ×4, first 2 shown]
	v_add_nc_u32_e32 v70, s5, v68
	s_delay_alu instid0(VALU_DEP_1) | instskip(NEXT) | instid1(VALU_DEP_1)
	v_add_nc_u32_e32 v72, s5, v70
	v_add_nc_u32_e32 v74, s5, v72
	s_delay_alu instid0(VALU_DEP_1)
	v_add_nc_u32_e32 v76, s5, v74
	s_clause 0x5
	flat_load_b64 v[14:15], v68, s[12:13] scale_offset
	flat_load_b64 v[16:17], v70, s[12:13] scale_offset
	;; [unrolled: 1-line block ×6, first 2 shown]
	s_cbranch_scc1 .LBB74_14
; %bb.4:
	v_cmp_eq_u32_e64 s0, 0, v0
	s_wait_xcnt 0x0
	s_and_saveexec_b32 s1, s0
; %bb.5:
	v_mov_b32_e32 v25, 0
	ds_store_b32 v25, v25 offset:88
; %bb.6:
	s_or_b32 exec_lo, exec_lo, s1
	v_cmp_eq_u32_e32 vcc_lo, 1, v0
	s_mov_b32 s2, exec_lo
	s_wait_loadcnt_dscnt 0x0
	s_barrier_signal -1
	s_barrier_wait -1
	v_dual_cndmask_b32 v25, v3, v5 :: v_dual_cndmask_b32 v26, v2, v4
	v_cmp_eq_u32_e32 vcc_lo, 2, v0
	s_delay_alu instid0(VALU_DEP_2) | instskip(SKIP_1) | instid1(VALU_DEP_2)
	v_dual_cndmask_b32 v25, v25, v7 :: v_dual_cndmask_b32 v26, v26, v6
	v_cmp_eq_u32_e32 vcc_lo, 3, v0
	v_dual_cndmask_b32 v25, v25, v9 :: v_dual_cndmask_b32 v26, v26, v8
	v_cmp_eq_u32_e32 vcc_lo, 4, v0
	s_delay_alu instid0(VALU_DEP_2) | instskip(SKIP_1) | instid1(VALU_DEP_2)
	v_dual_cndmask_b32 v25, v25, v11 :: v_dual_cndmask_b32 v26, v26, v10
	v_cmp_eq_u32_e32 vcc_lo, 5, v0
	;; [unrolled: 5-line block ×4, first 2 shown]
	v_dual_cndmask_b32 v25, v25, v21 :: v_dual_cndmask_b32 v26, v26, v20
	v_cmp_eq_u32_e32 vcc_lo, 10, v0
	s_delay_alu instid0(VALU_DEP_2) | instskip(NEXT) | instid1(VALU_DEP_1)
	v_dual_cndmask_b32 v27, v25, v23 :: v_dual_cndmask_b32 v26, v26, v22
	v_cmpx_eq_f64_e32 0, v[26:27]
	s_cbranch_execz .LBB74_10
; %bb.7:
	v_mov_b32_e32 v25, 0
	s_mov_b32 s3, 0
	ds_load_b32 v28, v25 offset:88
	s_wait_dscnt 0x0
	v_readfirstlane_b32 s1, v28
	v_add_nc_u32_e32 v28, 1, v0
	s_cmp_eq_u32 s1, 0
	s_delay_alu instid0(VALU_DEP_1) | instskip(SKIP_1) | instid1(SALU_CYCLE_1)
	v_cmp_gt_i32_e32 vcc_lo, s1, v28
	s_cselect_b32 s4, -1, 0
	s_or_b32 s4, s4, vcc_lo
	s_delay_alu instid0(SALU_CYCLE_1)
	s_and_b32 exec_lo, exec_lo, s4
	s_cbranch_execz .LBB74_10
; %bb.8:
	v_mov_b32_e32 v29, s1
.LBB74_9:                               ; =>This Inner Loop Header: Depth=1
	ds_cmpstore_rtn_b32 v29, v25, v28, v29 offset:88
	s_wait_dscnt 0x0
	v_cmp_ne_u32_e32 vcc_lo, 0, v29
	v_cmp_le_i32_e64 s1, v29, v28
	s_and_b32 s1, vcc_lo, s1
	s_delay_alu instid0(SALU_CYCLE_1) | instskip(NEXT) | instid1(SALU_CYCLE_1)
	s_and_b32 s1, exec_lo, s1
	s_or_b32 s3, s1, s3
	s_delay_alu instid0(SALU_CYCLE_1)
	s_and_not1_b32 exec_lo, exec_lo, s3
	s_cbranch_execnz .LBB74_9
.LBB74_10:
	s_or_b32 exec_lo, exec_lo, s2
	v_mov_b32_e32 v25, 0
	s_barrier_signal -1
	s_barrier_wait -1
	ds_load_b32 v28, v25 offset:88
	s_and_saveexec_b32 s1, s0
	s_cbranch_execz .LBB74_12
; %bb.11:
	s_lshl_b64 s[2:3], s[18:19], 2
	s_delay_alu instid0(SALU_CYCLE_1)
	s_add_nc_u64 s[2:3], s[14:15], s[2:3]
	s_wait_dscnt 0x0
	global_store_b32 v25, v28, s[2:3]
.LBB74_12:
	s_wait_xcnt 0x0
	s_or_b32 exec_lo, exec_lo, s1
	s_wait_dscnt 0x0
	v_cmp_ne_u32_e32 vcc_lo, 0, v28
	s_cbranch_vccz .LBB74_17
; %bb.13:
	s_mov_b32 s0, 0
                                        ; implicit-def: $vgpr2_vgpr3_vgpr4_vgpr5_vgpr6_vgpr7_vgpr8_vgpr9_vgpr10_vgpr11_vgpr12_vgpr13_vgpr14_vgpr15_vgpr16_vgpr17_vgpr18_vgpr19_vgpr20_vgpr21_vgpr22_vgpr23_vgpr24_vgpr25_vgpr26_vgpr27_vgpr28_vgpr29_vgpr30_vgpr31_vgpr32_vgpr33
.LBB74_14:
	s_delay_alu instid0(SALU_CYCLE_1)
	s_and_b32 vcc_lo, exec_lo, s0
	s_cbranch_vccz .LBB74_16
.LBB74_15:
	v_mov_b32_e32 v1, 0
	s_lshl_b64 s[0:1], s[18:19], 2
	s_delay_alu instid0(SALU_CYCLE_1)
	s_add_nc_u64 s[0:1], s[14:15], s[0:1]
	global_load_b32 v1, v1, s[0:1]
	s_wait_loadcnt 0x0
	v_cmp_ne_u32_e32 vcc_lo, 0, v1
	s_cbranch_vccz .LBB74_68
.LBB74_16:
	s_sendmsg sendmsg(MSG_DEALLOC_VGPRS)
	s_endpgm
.LBB74_17:
	v_div_scale_f64 v[28:29], null, v[26:27], v[26:27], 1.0
	v_div_scale_f64 v[34:35], vcc_lo, 1.0, v[26:27], 1.0
	v_cmp_eq_u32_e64 s1, 9, v0
	v_cmp_eq_u32_e64 s2, 8, v0
	v_cmp_eq_u32_e64 s3, 7, v0
	v_cmp_eq_u32_e64 s4, 6, v0
	v_cmp_eq_u32_e64 s5, 5, v0
	v_cmp_eq_u32_e64 s6, 4, v0
	v_cmp_eq_u32_e64 s7, 3, v0
	v_cmp_eq_u32_e64 s8, 2, v0
	v_cmp_eq_u32_e64 s9, 1, v0
	v_cmp_eq_u32_e64 s10, 0, v0
	v_rcp_f64_e32 v[30:31], v[28:29]
	v_nop
	s_delay_alu instid0(TRANS32_DEP_1) | instskip(NEXT) | instid1(VALU_DEP_1)
	v_fma_f64 v[32:33], -v[28:29], v[30:31], 1.0
	v_fmac_f64_e32 v[30:31], v[30:31], v[32:33]
	s_delay_alu instid0(VALU_DEP_1) | instskip(NEXT) | instid1(VALU_DEP_1)
	v_fma_f64 v[32:33], -v[28:29], v[30:31], 1.0
	v_fmac_f64_e32 v[30:31], v[30:31], v[32:33]
	s_delay_alu instid0(VALU_DEP_1) | instskip(NEXT) | instid1(VALU_DEP_1)
	v_mul_f64_e32 v[32:33], v[34:35], v[30:31]
	v_fma_f64 v[28:29], -v[28:29], v[32:33], v[34:35]
	s_delay_alu instid0(VALU_DEP_1) | instskip(SKIP_1) | instid1(VALU_DEP_2)
	v_div_fmas_f64 v[28:29], v[28:29], v[30:31], v[32:33]
	v_cmp_eq_u32_e32 vcc_lo, 10, v0
	v_div_fixup_f64 v[26:27], v[28:29], v[26:27], 1.0
	s_delay_alu instid0(VALU_DEP_1) | instskip(NEXT) | instid1(VALU_DEP_2)
	v_dual_cndmask_b32 v23, v23, v27 :: v_dual_add_nc_u32 v28, 0x60, v24
	v_dual_cndmask_b32 v22, v22, v26, vcc_lo :: v_dual_cndmask_b32 v21, v21, v27, s1
	v_dual_cndmask_b32 v20, v20, v26, s1 :: v_dual_cndmask_b32 v19, v19, v27, s2
	v_dual_cndmask_b32 v18, v18, v26, s2 :: v_dual_cndmask_b32 v17, v17, v27, s3
	;; [unrolled: 1-line block ×7, first 2 shown]
	v_dual_cndmask_b32 v4, v4, v26, s9 :: v_dual_mov_b32 v30, v26
	v_xor_b32_e32 v31, 0x80000000, v27
	v_dual_cndmask_b32 v7, v7, v27, s8 :: v_dual_cndmask_b32 v6, v6, v26, s8
	v_dual_cndmask_b32 v3, v3, v27, s10 :: v_dual_cndmask_b32 v2, v2, v26, s10
	ds_store_2addr_b64 v24, v[30:31], v[4:5] offset1:12
	s_wait_storecnt_dscnt 0x0
	s_barrier_signal -1
	s_barrier_wait -1
	s_and_saveexec_b32 s1, s0
	s_cbranch_execz .LBB74_19
; %bb.18:
	ds_load_b64 v[4:5], v28
	v_mov_b32_e32 v24, 0
	ds_load_b64 v[24:25], v24 offset:8
	s_wait_dscnt 0x1
	v_fma_f64 v[4:5], v[26:27], v[4:5], 0
	s_wait_dscnt 0x0
	s_delay_alu instid0(VALU_DEP_1)
	v_mul_f64_e32 v[4:5], v[4:5], v[24:25]
.LBB74_19:
	s_or_b32 exec_lo, exec_lo, s1
	v_cmp_gt_u32_e32 vcc_lo, 2, v0
	s_barrier_signal -1
	s_barrier_wait -1
	ds_store_b64 v28, v[6:7]
	s_wait_dscnt 0x0
	s_barrier_signal -1
	s_barrier_wait -1
	s_and_saveexec_b32 s3, vcc_lo
	s_cbranch_execz .LBB74_23
; %bb.20:
	v_cmp_eq_u32_e64 s1, 1, v0
	v_cmp_eq_u32_e64 s2, 8, v0
	s_delay_alu instid0(VALU_DEP_2) | instskip(SKIP_1) | instid1(VALU_DEP_1)
	v_dual_cndmask_b32 v24, v3, v5, s1 :: v_dual_cndmask_b32 v25, v2, v4, s1
	v_cmp_eq_u32_e64 s1, 2, v0
	v_dual_cndmask_b32 v7, v24, v7, s1 :: v_dual_cndmask_b32 v6, v25, v6, s1
	v_cmp_eq_u32_e64 s1, 3, v0
	s_delay_alu instid0(VALU_DEP_1) | instskip(SKIP_1) | instid1(VALU_DEP_1)
	v_dual_cndmask_b32 v7, v7, v9, s1 :: v_dual_cndmask_b32 v6, v6, v8, s1
	v_cmp_eq_u32_e64 s1, 4, v0
	v_dual_cndmask_b32 v7, v7, v11, s1 :: v_dual_cndmask_b32 v6, v6, v10, s1
	v_cmp_eq_u32_e64 s1, 5, v0
	s_delay_alu instid0(VALU_DEP_1) | instskip(SKIP_1) | instid1(VALU_DEP_1)
	v_dual_cndmask_b32 v7, v7, v13, s1 :: v_dual_cndmask_b32 v6, v6, v12, s1
	v_cmp_eq_u32_e64 s1, 6, v0
	v_dual_cndmask_b32 v7, v7, v15, s1 :: v_dual_cndmask_b32 v6, v6, v14, s1
	v_cmp_eq_u32_e64 s1, 7, v0
	s_delay_alu instid0(VALU_DEP_1) | instskip(SKIP_3) | instid1(VALU_DEP_1)
	v_dual_cndmask_b32 v24, v7, v17, s1 :: v_dual_cndmask_b32 v25, v6, v16, s1
	ds_load_b64 v[6:7], v28
	v_cmp_eq_u32_e64 s1, 9, v0
	v_dual_cndmask_b32 v24, v24, v19, s2 :: v_dual_cndmask_b32 v25, v25, v18, s2
	v_dual_cndmask_b32 v24, v24, v21, s1 :: v_dual_cndmask_b32 v26, v25, v20, s1
	v_cmp_eq_u32_e64 s1, 10, v0
	s_delay_alu instid0(VALU_DEP_1) | instskip(SKIP_1) | instid1(VALU_DEP_1)
	v_dual_cndmask_b32 v25, v24, v23, s1 :: v_dual_cndmask_b32 v24, v26, v22, s1
	s_wait_dscnt 0x0
	v_fma_f64 v[6:7], v[24:25], v[6:7], 0
	s_and_saveexec_b32 s1, s0
	s_cbranch_execz .LBB74_22
; %bb.21:
	v_mov_b32_e32 v24, 0
	ds_load_b64 v[24:25], v24 offset:104
	s_wait_dscnt 0x0
	v_fmac_f64_e32 v[6:7], v[4:5], v[24:25]
.LBB74_22:
	s_or_b32 exec_lo, exec_lo, s1
	v_mov_b32_e32 v24, 0
	ds_load_b64 v[24:25], v24 offset:16
	s_wait_dscnt 0x0
	v_mul_f64_e32 v[6:7], v[6:7], v[24:25]
.LBB74_23:
	s_or_b32 exec_lo, exec_lo, s3
	s_delay_alu instid0(SALU_CYCLE_1)
	s_mov_b32 s3, exec_lo
	s_barrier_signal -1
	s_barrier_wait -1
	ds_store_b64 v28, v[8:9]
	s_wait_dscnt 0x0
	s_barrier_signal -1
	s_barrier_wait -1
	v_cmpx_gt_u32_e32 3, v0
	s_cbranch_execz .LBB74_27
; %bb.24:
	v_mov_b64_e32 v[24:25], 0
	v_mov_b64_e32 v[26:27], v[0:1]
	v_lshl_add_u32 v29, v0, 3, 0x60
	s_mov_b32 s4, 0
.LBB74_25:                              ; =>This Inner Loop Header: Depth=1
	s_delay_alu instid0(VALU_DEP_2) | instskip(SKIP_1) | instid1(VALU_DEP_2)
	v_cmp_eq_u32_e64 s1, 1, v26
	v_cmp_eq_u32_e64 s2, 2, v26
	v_dual_cndmask_b32 v30, v3, v5, s1 :: v_dual_cndmask_b32 v31, v2, v4, s1
	v_cmp_eq_u32_e64 s1, 3, v26
	s_delay_alu instid0(VALU_DEP_2) | instskip(SKIP_1) | instid1(VALU_DEP_2)
	v_dual_cndmask_b32 v30, v30, v7, s2 :: v_dual_cndmask_b32 v31, v31, v6, s2
	v_cmp_eq_u32_e64 s2, 4, v26
	v_dual_cndmask_b32 v30, v30, v9, s1 :: v_dual_cndmask_b32 v31, v31, v8, s1
	v_cmp_eq_u32_e64 s1, 5, v26
	s_delay_alu instid0(VALU_DEP_2) | instskip(SKIP_1) | instid1(VALU_DEP_2)
	v_dual_cndmask_b32 v30, v30, v11, s2 :: v_dual_cndmask_b32 v31, v31, v10, s2
	v_cmp_eq_u32_e64 s2, 6, v26
	v_dual_cndmask_b32 v30, v30, v13, s1 :: v_dual_cndmask_b32 v31, v31, v12, s1
	v_cmp_eq_u32_e64 s1, 7, v26
	s_delay_alu instid0(VALU_DEP_2)
	v_dual_cndmask_b32 v32, v30, v15, s2 :: v_dual_cndmask_b32 v33, v31, v14, s2
	ds_load_b64 v[30:31], v29
	v_cmp_eq_u32_e64 s2, 8, v26
	v_add_nc_u32_e32 v29, 8, v29
	v_dual_cndmask_b32 v32, v32, v17, s1 :: v_dual_cndmask_b32 v33, v33, v16, s1
	v_cmp_eq_u32_e64 s1, 9, v26
	s_delay_alu instid0(VALU_DEP_2) | instskip(SKIP_2) | instid1(VALU_DEP_3)
	v_dual_cndmask_b32 v32, v32, v19, s2 :: v_dual_cndmask_b32 v33, v33, v18, s2
	v_cmp_eq_u32_e64 s2, 10, v26
	v_add_nc_u64_e32 v[26:27], 1, v[26:27]
	v_dual_cndmask_b32 v32, v32, v21, s1 :: v_dual_cndmask_b32 v34, v33, v20, s1
	s_delay_alu instid0(VALU_DEP_1) | instskip(SKIP_1) | instid1(VALU_DEP_1)
	v_dual_cndmask_b32 v33, v32, v23, s2 :: v_dual_cndmask_b32 v32, v34, v22, s2
	s_wait_dscnt 0x0
	v_fmac_f64_e32 v[24:25], v[32:33], v[30:31]
	s_delay_alu instid0(VALU_DEP_4) | instskip(NEXT) | instid1(VALU_DEP_1)
	v_add_nc_u32_e32 v30, -1, v26
	v_cmp_lt_u32_e64 s1, 1, v30
	s_or_b32 s4, s1, s4
	s_delay_alu instid0(SALU_CYCLE_1)
	s_and_not1_b32 exec_lo, exec_lo, s4
	s_cbranch_execnz .LBB74_25
; %bb.26:
	s_or_b32 exec_lo, exec_lo, s4
	v_mov_b32_e32 v8, 0
	ds_load_b64 v[8:9], v8 offset:24
	s_wait_dscnt 0x0
	v_mul_f64_e32 v[8:9], v[24:25], v[8:9]
.LBB74_27:
	s_or_b32 exec_lo, exec_lo, s3
	v_cmp_gt_u32_e64 s1, 4, v0
	s_barrier_signal -1
	s_barrier_wait -1
	ds_store_b64 v28, v[10:11]
	s_wait_dscnt 0x0
	s_barrier_signal -1
	s_barrier_wait -1
	s_and_saveexec_b32 s4, s1
	s_cbranch_execz .LBB74_31
; %bb.28:
	v_mov_b64_e32 v[24:25], 0
	v_mov_b64_e32 v[26:27], v[0:1]
	v_lshl_add_u32 v29, v0, 3, 0x60
	s_mov_b32 s5, 0
.LBB74_29:                              ; =>This Inner Loop Header: Depth=1
	s_delay_alu instid0(VALU_DEP_2) | instskip(SKIP_1) | instid1(VALU_DEP_2)
	v_cmp_eq_u32_e64 s2, 1, v26
	v_cmp_eq_u32_e64 s3, 2, v26
	v_dual_cndmask_b32 v30, v3, v5, s2 :: v_dual_cndmask_b32 v31, v2, v4, s2
	v_cmp_eq_u32_e64 s2, 3, v26
	s_delay_alu instid0(VALU_DEP_2) | instskip(SKIP_1) | instid1(VALU_DEP_2)
	v_dual_cndmask_b32 v30, v30, v7, s3 :: v_dual_cndmask_b32 v31, v31, v6, s3
	v_cmp_eq_u32_e64 s3, 4, v26
	v_dual_cndmask_b32 v30, v30, v9, s2 :: v_dual_cndmask_b32 v31, v31, v8, s2
	v_cmp_eq_u32_e64 s2, 5, v26
	s_delay_alu instid0(VALU_DEP_2) | instskip(SKIP_1) | instid1(VALU_DEP_2)
	v_dual_cndmask_b32 v30, v30, v11, s3 :: v_dual_cndmask_b32 v31, v31, v10, s3
	v_cmp_eq_u32_e64 s3, 6, v26
	v_dual_cndmask_b32 v30, v30, v13, s2 :: v_dual_cndmask_b32 v31, v31, v12, s2
	v_cmp_eq_u32_e64 s2, 7, v26
	s_delay_alu instid0(VALU_DEP_2)
	v_dual_cndmask_b32 v32, v30, v15, s3 :: v_dual_cndmask_b32 v33, v31, v14, s3
	ds_load_b64 v[30:31], v29
	v_cmp_eq_u32_e64 s3, 8, v26
	v_add_nc_u32_e32 v29, 8, v29
	v_dual_cndmask_b32 v32, v32, v17, s2 :: v_dual_cndmask_b32 v33, v33, v16, s2
	v_cmp_eq_u32_e64 s2, 9, v26
	s_delay_alu instid0(VALU_DEP_2) | instskip(SKIP_2) | instid1(VALU_DEP_3)
	v_dual_cndmask_b32 v32, v32, v19, s3 :: v_dual_cndmask_b32 v33, v33, v18, s3
	v_cmp_eq_u32_e64 s3, 10, v26
	v_add_nc_u64_e32 v[26:27], 1, v[26:27]
	v_dual_cndmask_b32 v32, v32, v21, s2 :: v_dual_cndmask_b32 v34, v33, v20, s2
	s_delay_alu instid0(VALU_DEP_1) | instskip(SKIP_1) | instid1(VALU_DEP_1)
	v_dual_cndmask_b32 v33, v32, v23, s3 :: v_dual_cndmask_b32 v32, v34, v22, s3
	s_wait_dscnt 0x0
	v_fmac_f64_e32 v[24:25], v[32:33], v[30:31]
	s_delay_alu instid0(VALU_DEP_4) | instskip(NEXT) | instid1(VALU_DEP_1)
	v_add_nc_u32_e32 v30, -1, v26
	v_cmp_lt_u32_e64 s2, 2, v30
	s_or_b32 s5, s2, s5
	s_delay_alu instid0(SALU_CYCLE_1)
	s_and_not1_b32 exec_lo, exec_lo, s5
	s_cbranch_execnz .LBB74_29
; %bb.30:
	s_or_b32 exec_lo, exec_lo, s5
	v_mov_b32_e32 v10, 0
	ds_load_b64 v[10:11], v10 offset:32
	s_wait_dscnt 0x0
	v_mul_f64_e32 v[10:11], v[24:25], v[10:11]
.LBB74_31:
	s_or_b32 exec_lo, exec_lo, s4
	s_delay_alu instid0(SALU_CYCLE_1)
	s_mov_b32 s4, exec_lo
	s_barrier_signal -1
	s_barrier_wait -1
	ds_store_b64 v28, v[12:13]
	s_wait_dscnt 0x0
	s_barrier_signal -1
	s_barrier_wait -1
	v_cmpx_gt_u32_e32 5, v0
	s_cbranch_execz .LBB74_35
; %bb.32:
	v_mov_b64_e32 v[24:25], 0
	v_mov_b64_e32 v[26:27], v[0:1]
	v_lshl_add_u32 v29, v0, 3, 0x60
	s_mov_b32 s5, 0
.LBB74_33:                              ; =>This Inner Loop Header: Depth=1
	s_delay_alu instid0(VALU_DEP_2) | instskip(SKIP_1) | instid1(VALU_DEP_2)
	v_cmp_eq_u32_e64 s2, 1, v26
	v_cmp_eq_u32_e64 s3, 2, v26
	v_dual_cndmask_b32 v30, v3, v5, s2 :: v_dual_cndmask_b32 v31, v2, v4, s2
	v_cmp_eq_u32_e64 s2, 3, v26
	s_delay_alu instid0(VALU_DEP_2) | instskip(SKIP_1) | instid1(VALU_DEP_2)
	v_dual_cndmask_b32 v30, v30, v7, s3 :: v_dual_cndmask_b32 v31, v31, v6, s3
	v_cmp_eq_u32_e64 s3, 4, v26
	v_dual_cndmask_b32 v30, v30, v9, s2 :: v_dual_cndmask_b32 v31, v31, v8, s2
	v_cmp_eq_u32_e64 s2, 5, v26
	s_delay_alu instid0(VALU_DEP_2) | instskip(SKIP_1) | instid1(VALU_DEP_2)
	v_dual_cndmask_b32 v30, v30, v11, s3 :: v_dual_cndmask_b32 v31, v31, v10, s3
	v_cmp_eq_u32_e64 s3, 6, v26
	v_dual_cndmask_b32 v30, v30, v13, s2 :: v_dual_cndmask_b32 v31, v31, v12, s2
	v_cmp_eq_u32_e64 s2, 7, v26
	s_delay_alu instid0(VALU_DEP_2)
	v_dual_cndmask_b32 v32, v30, v15, s3 :: v_dual_cndmask_b32 v33, v31, v14, s3
	ds_load_b64 v[30:31], v29
	v_cmp_eq_u32_e64 s3, 8, v26
	v_add_nc_u32_e32 v29, 8, v29
	v_dual_cndmask_b32 v32, v32, v17, s2 :: v_dual_cndmask_b32 v33, v33, v16, s2
	v_cmp_eq_u32_e64 s2, 9, v26
	s_delay_alu instid0(VALU_DEP_2) | instskip(SKIP_2) | instid1(VALU_DEP_3)
	v_dual_cndmask_b32 v32, v32, v19, s3 :: v_dual_cndmask_b32 v33, v33, v18, s3
	v_cmp_eq_u32_e64 s3, 10, v26
	v_add_nc_u64_e32 v[26:27], 1, v[26:27]
	v_dual_cndmask_b32 v32, v32, v21, s2 :: v_dual_cndmask_b32 v34, v33, v20, s2
	s_delay_alu instid0(VALU_DEP_1) | instskip(SKIP_1) | instid1(VALU_DEP_1)
	v_dual_cndmask_b32 v33, v32, v23, s3 :: v_dual_cndmask_b32 v32, v34, v22, s3
	s_wait_dscnt 0x0
	v_fmac_f64_e32 v[24:25], v[32:33], v[30:31]
	s_delay_alu instid0(VALU_DEP_4) | instskip(NEXT) | instid1(VALU_DEP_1)
	v_add_nc_u32_e32 v30, -1, v26
	v_cmp_lt_u32_e64 s2, 3, v30
	s_or_b32 s5, s2, s5
	s_delay_alu instid0(SALU_CYCLE_1)
	s_and_not1_b32 exec_lo, exec_lo, s5
	s_cbranch_execnz .LBB74_33
; %bb.34:
	s_or_b32 exec_lo, exec_lo, s5
	v_mov_b32_e32 v12, 0
	ds_load_b64 v[12:13], v12 offset:40
	s_wait_dscnt 0x0
	v_mul_f64_e32 v[12:13], v[24:25], v[12:13]
.LBB74_35:
	s_or_b32 exec_lo, exec_lo, s4
	v_cmp_gt_u32_e64 s2, 6, v0
	s_barrier_signal -1
	s_barrier_wait -1
	ds_store_b64 v28, v[14:15]
	s_wait_dscnt 0x0
	s_barrier_signal -1
	s_barrier_wait -1
	s_and_saveexec_b32 s5, s2
	s_cbranch_execz .LBB74_39
; %bb.36:
	v_mov_b64_e32 v[24:25], 0
	v_mov_b64_e32 v[26:27], v[0:1]
	v_lshl_add_u32 v29, v0, 3, 0x60
	s_mov_b32 s6, 0
.LBB74_37:                              ; =>This Inner Loop Header: Depth=1
	s_delay_alu instid0(VALU_DEP_2) | instskip(SKIP_1) | instid1(VALU_DEP_2)
	v_cmp_eq_u32_e64 s3, 1, v26
	v_cmp_eq_u32_e64 s4, 2, v26
	v_dual_cndmask_b32 v30, v3, v5, s3 :: v_dual_cndmask_b32 v31, v2, v4, s3
	v_cmp_eq_u32_e64 s3, 3, v26
	s_delay_alu instid0(VALU_DEP_2) | instskip(SKIP_1) | instid1(VALU_DEP_2)
	v_dual_cndmask_b32 v30, v30, v7, s4 :: v_dual_cndmask_b32 v31, v31, v6, s4
	v_cmp_eq_u32_e64 s4, 4, v26
	v_dual_cndmask_b32 v30, v30, v9, s3 :: v_dual_cndmask_b32 v31, v31, v8, s3
	v_cmp_eq_u32_e64 s3, 5, v26
	s_delay_alu instid0(VALU_DEP_2) | instskip(SKIP_1) | instid1(VALU_DEP_2)
	v_dual_cndmask_b32 v30, v30, v11, s4 :: v_dual_cndmask_b32 v31, v31, v10, s4
	v_cmp_eq_u32_e64 s4, 6, v26
	v_dual_cndmask_b32 v30, v30, v13, s3 :: v_dual_cndmask_b32 v31, v31, v12, s3
	v_cmp_eq_u32_e64 s3, 7, v26
	s_delay_alu instid0(VALU_DEP_2)
	v_dual_cndmask_b32 v32, v30, v15, s4 :: v_dual_cndmask_b32 v33, v31, v14, s4
	ds_load_b64 v[30:31], v29
	v_cmp_eq_u32_e64 s4, 8, v26
	v_add_nc_u32_e32 v29, 8, v29
	v_dual_cndmask_b32 v32, v32, v17, s3 :: v_dual_cndmask_b32 v33, v33, v16, s3
	v_cmp_eq_u32_e64 s3, 9, v26
	s_delay_alu instid0(VALU_DEP_2) | instskip(SKIP_2) | instid1(VALU_DEP_3)
	v_dual_cndmask_b32 v32, v32, v19, s4 :: v_dual_cndmask_b32 v33, v33, v18, s4
	v_cmp_eq_u32_e64 s4, 10, v26
	v_add_nc_u64_e32 v[26:27], 1, v[26:27]
	v_dual_cndmask_b32 v32, v32, v21, s3 :: v_dual_cndmask_b32 v34, v33, v20, s3
	s_delay_alu instid0(VALU_DEP_1) | instskip(SKIP_1) | instid1(VALU_DEP_1)
	v_dual_cndmask_b32 v33, v32, v23, s4 :: v_dual_cndmask_b32 v32, v34, v22, s4
	s_wait_dscnt 0x0
	v_fmac_f64_e32 v[24:25], v[32:33], v[30:31]
	s_delay_alu instid0(VALU_DEP_4) | instskip(NEXT) | instid1(VALU_DEP_1)
	v_add_nc_u32_e32 v30, -1, v26
	v_cmp_lt_u32_e64 s3, 4, v30
	s_or_b32 s6, s3, s6
	s_delay_alu instid0(SALU_CYCLE_1)
	s_and_not1_b32 exec_lo, exec_lo, s6
	s_cbranch_execnz .LBB74_37
; %bb.38:
	s_or_b32 exec_lo, exec_lo, s6
	v_mov_b32_e32 v14, 0
	ds_load_b64 v[14:15], v14 offset:48
	s_wait_dscnt 0x0
	v_mul_f64_e32 v[14:15], v[24:25], v[14:15]
.LBB74_39:
	s_or_b32 exec_lo, exec_lo, s5
	s_delay_alu instid0(SALU_CYCLE_1)
	s_mov_b32 s5, exec_lo
	s_barrier_signal -1
	s_barrier_wait -1
	ds_store_b64 v28, v[16:17]
	s_wait_dscnt 0x0
	s_barrier_signal -1
	s_barrier_wait -1
	v_cmpx_gt_u32_e32 7, v0
	s_cbranch_execz .LBB74_43
; %bb.40:
	v_mov_b64_e32 v[24:25], 0
	v_mov_b64_e32 v[26:27], v[0:1]
	v_lshl_add_u32 v29, v0, 3, 0x60
	s_mov_b32 s6, 0
.LBB74_41:                              ; =>This Inner Loop Header: Depth=1
	s_delay_alu instid0(VALU_DEP_2) | instskip(SKIP_1) | instid1(VALU_DEP_2)
	v_cmp_eq_u32_e64 s3, 1, v26
	v_cmp_eq_u32_e64 s4, 2, v26
	v_dual_cndmask_b32 v30, v3, v5, s3 :: v_dual_cndmask_b32 v31, v2, v4, s3
	v_cmp_eq_u32_e64 s3, 3, v26
	s_delay_alu instid0(VALU_DEP_2) | instskip(SKIP_1) | instid1(VALU_DEP_2)
	v_dual_cndmask_b32 v30, v30, v7, s4 :: v_dual_cndmask_b32 v31, v31, v6, s4
	v_cmp_eq_u32_e64 s4, 4, v26
	v_dual_cndmask_b32 v30, v30, v9, s3 :: v_dual_cndmask_b32 v31, v31, v8, s3
	v_cmp_eq_u32_e64 s3, 5, v26
	s_delay_alu instid0(VALU_DEP_2) | instskip(SKIP_1) | instid1(VALU_DEP_2)
	v_dual_cndmask_b32 v30, v30, v11, s4 :: v_dual_cndmask_b32 v31, v31, v10, s4
	v_cmp_eq_u32_e64 s4, 6, v26
	v_dual_cndmask_b32 v30, v30, v13, s3 :: v_dual_cndmask_b32 v31, v31, v12, s3
	v_cmp_eq_u32_e64 s3, 7, v26
	s_delay_alu instid0(VALU_DEP_2)
	v_dual_cndmask_b32 v32, v30, v15, s4 :: v_dual_cndmask_b32 v33, v31, v14, s4
	ds_load_b64 v[30:31], v29
	v_cmp_eq_u32_e64 s4, 8, v26
	v_add_nc_u32_e32 v29, 8, v29
	v_dual_cndmask_b32 v32, v32, v17, s3 :: v_dual_cndmask_b32 v33, v33, v16, s3
	v_cmp_eq_u32_e64 s3, 9, v26
	s_delay_alu instid0(VALU_DEP_2) | instskip(SKIP_2) | instid1(VALU_DEP_3)
	v_dual_cndmask_b32 v32, v32, v19, s4 :: v_dual_cndmask_b32 v33, v33, v18, s4
	v_cmp_eq_u32_e64 s4, 10, v26
	v_add_nc_u64_e32 v[26:27], 1, v[26:27]
	v_dual_cndmask_b32 v32, v32, v21, s3 :: v_dual_cndmask_b32 v34, v33, v20, s3
	s_delay_alu instid0(VALU_DEP_1) | instskip(SKIP_1) | instid1(VALU_DEP_1)
	v_dual_cndmask_b32 v33, v32, v23, s4 :: v_dual_cndmask_b32 v32, v34, v22, s4
	s_wait_dscnt 0x0
	v_fmac_f64_e32 v[24:25], v[32:33], v[30:31]
	s_delay_alu instid0(VALU_DEP_4) | instskip(NEXT) | instid1(VALU_DEP_1)
	v_add_nc_u32_e32 v30, -1, v26
	v_cmp_lt_u32_e64 s3, 5, v30
	s_or_b32 s6, s3, s6
	s_delay_alu instid0(SALU_CYCLE_1)
	s_and_not1_b32 exec_lo, exec_lo, s6
	s_cbranch_execnz .LBB74_41
; %bb.42:
	s_or_b32 exec_lo, exec_lo, s6
	v_mov_b32_e32 v16, 0
	ds_load_b64 v[16:17], v16 offset:56
	s_wait_dscnt 0x0
	v_mul_f64_e32 v[16:17], v[24:25], v[16:17]
.LBB74_43:
	s_or_b32 exec_lo, exec_lo, s5
	s_delay_alu instid0(SALU_CYCLE_1)
	s_mov_b32 s5, exec_lo
	s_barrier_signal -1
	s_barrier_wait -1
	ds_store_b64 v28, v[18:19]
	s_wait_dscnt 0x0
	s_barrier_signal -1
	s_barrier_wait -1
	v_cmpx_gt_u32_e32 8, v0
	s_cbranch_execz .LBB74_59
; %bb.44:
	v_cmp_eq_u32_e64 s3, 1, v0
	v_cmp_eq_u32_e64 s4, 8, v0
	s_mov_b32 s6, exec_lo
	v_dual_cndmask_b32 v24, v3, v5, s3 :: v_dual_cndmask_b32 v25, v2, v4, s3
	v_cmp_eq_u32_e64 s3, 2, v0
	s_delay_alu instid0(VALU_DEP_1) | instskip(SKIP_1) | instid1(VALU_DEP_1)
	v_dual_cndmask_b32 v24, v24, v7, s3 :: v_dual_cndmask_b32 v25, v25, v6, s3
	v_cmp_eq_u32_e64 s3, 3, v0
	v_dual_cndmask_b32 v24, v24, v9, s3 :: v_dual_cndmask_b32 v25, v25, v8, s3
	v_cmp_eq_u32_e64 s3, 4, v0
	s_delay_alu instid0(VALU_DEP_1) | instskip(SKIP_1) | instid1(VALU_DEP_1)
	v_dual_cndmask_b32 v24, v24, v11, s3 :: v_dual_cndmask_b32 v25, v25, v10, s3
	v_cmp_eq_u32_e64 s3, 5, v0
	;; [unrolled: 5-line block ×3, first 2 shown]
	v_dual_cndmask_b32 v26, v24, v17, s3 :: v_dual_cndmask_b32 v27, v25, v16, s3
	ds_load_b64 v[24:25], v28
	v_cmp_eq_u32_e64 s3, 9, v0
	v_dual_cndmask_b32 v26, v26, v19, s4 :: v_dual_cndmask_b32 v27, v27, v18, s4
	s_delay_alu instid0(VALU_DEP_1) | instskip(SKIP_1) | instid1(VALU_DEP_1)
	v_dual_cndmask_b32 v26, v26, v21, s3 :: v_dual_cndmask_b32 v29, v27, v20, s3
	v_cmp_eq_u32_e64 s3, 10, v0
	v_dual_cndmask_b32 v27, v26, v23, s3 :: v_dual_cndmask_b32 v26, v29, v22, s3
	s_wait_dscnt 0x0
	s_delay_alu instid0(VALU_DEP_1)
	v_fma_f64 v[24:25], v[26:27], v[24:25], 0
	v_cmpx_ne_u32_e32 7, v0
	s_cbranch_execz .LBB74_58
; %bb.45:
	v_add_nc_u32_e32 v29, 1, v0
	s_delay_alu instid0(VALU_DEP_1) | instskip(NEXT) | instid1(VALU_DEP_1)
	v_cmp_eq_u32_e64 s3, 1, v29
	v_cndmask_b32_e64 v26, v3, v5, s3
	v_cmp_eq_u32_e64 s4, 8, v29
	v_cndmask_b32_e64 v27, v2, v4, s3
	v_cmp_eq_u32_e64 s3, 2, v29
	s_delay_alu instid0(VALU_DEP_1) | instskip(SKIP_1) | instid1(VALU_DEP_1)
	v_dual_cndmask_b32 v26, v26, v7, s3 :: v_dual_cndmask_b32 v27, v27, v6, s3
	v_cmp_eq_u32_e64 s3, 3, v29
	v_dual_cndmask_b32 v26, v26, v9, s3 :: v_dual_cndmask_b32 v27, v27, v8, s3
	v_cmp_eq_u32_e64 s3, 4, v29
	s_delay_alu instid0(VALU_DEP_1) | instskip(SKIP_1) | instid1(VALU_DEP_1)
	v_dual_cndmask_b32 v26, v26, v11, s3 :: v_dual_cndmask_b32 v27, v27, v10, s3
	v_cmp_eq_u32_e64 s3, 5, v29
	v_dual_cndmask_b32 v26, v26, v13, s3 :: v_dual_cndmask_b32 v27, v27, v12, s3
	;; [unrolled: 5-line block ×3, first 2 shown]
	ds_load_b64 v[26:27], v28 offset:8
	v_cmp_eq_u32_e64 s3, 9, v29
	v_dual_cndmask_b32 v31, v31, v18, s4 :: v_dual_cndmask_b32 v30, v30, v19, s4
	s_delay_alu instid0(VALU_DEP_1) | instskip(SKIP_1) | instid1(VALU_DEP_1)
	v_dual_cndmask_b32 v32, v31, v20, s3 :: v_dual_cndmask_b32 v30, v30, v21, s3
	v_cmp_eq_u32_e64 s3, 10, v29
	v_dual_cndmask_b32 v31, v30, v23, s3 :: v_dual_cndmask_b32 v30, v32, v22, s3
	s_wait_dscnt 0x0
	s_delay_alu instid0(VALU_DEP_1)
	v_fmac_f64_e32 v[24:25], v[30:31], v[26:27]
	s_and_saveexec_b32 s4, s2
	s_cbranch_execz .LBB74_57
; %bb.46:
	v_add_nc_u32_e32 v29, 2, v0
	s_mov_b32 s7, exec_lo
	s_delay_alu instid0(VALU_DEP_1) | instskip(NEXT) | instid1(VALU_DEP_1)
	v_cmp_eq_u32_e64 s2, 1, v29
	v_cndmask_b32_e64 v26, v3, v5, s2
	v_cmp_eq_u32_e64 s3, 8, v29
	v_cndmask_b32_e64 v27, v2, v4, s2
	v_cmp_eq_u32_e64 s2, 2, v29
	s_delay_alu instid0(VALU_DEP_1) | instskip(SKIP_1) | instid1(VALU_DEP_1)
	v_dual_cndmask_b32 v26, v26, v7, s2 :: v_dual_cndmask_b32 v27, v27, v6, s2
	v_cmp_eq_u32_e64 s2, 3, v29
	v_dual_cndmask_b32 v26, v26, v9, s2 :: v_dual_cndmask_b32 v27, v27, v8, s2
	v_cmp_eq_u32_e64 s2, 4, v29
	s_delay_alu instid0(VALU_DEP_1) | instskip(SKIP_1) | instid1(VALU_DEP_1)
	v_dual_cndmask_b32 v26, v26, v11, s2 :: v_dual_cndmask_b32 v27, v27, v10, s2
	v_cmp_eq_u32_e64 s2, 5, v29
	v_dual_cndmask_b32 v26, v26, v13, s2 :: v_dual_cndmask_b32 v27, v27, v12, s2
	;; [unrolled: 5-line block ×3, first 2 shown]
	ds_load_b64 v[26:27], v28 offset:16
	v_cmp_eq_u32_e64 s2, 9, v29
	v_dual_cndmask_b32 v31, v31, v18, s3 :: v_dual_cndmask_b32 v30, v30, v19, s3
	s_delay_alu instid0(VALU_DEP_1) | instskip(SKIP_1) | instid1(VALU_DEP_1)
	v_dual_cndmask_b32 v32, v31, v20, s2 :: v_dual_cndmask_b32 v30, v30, v21, s2
	v_cmp_eq_u32_e64 s2, 10, v29
	v_dual_cndmask_b32 v31, v30, v23, s2 :: v_dual_cndmask_b32 v30, v32, v22, s2
	s_wait_dscnt 0x0
	s_delay_alu instid0(VALU_DEP_1)
	v_fmac_f64_e32 v[24:25], v[30:31], v[26:27]
	v_cmpx_ne_u32_e32 5, v0
	s_cbranch_execz .LBB74_56
; %bb.47:
	v_add_nc_u32_e32 v29, 3, v0
	s_delay_alu instid0(VALU_DEP_1) | instskip(NEXT) | instid1(VALU_DEP_1)
	v_cmp_eq_u32_e64 s2, 1, v29
	v_cndmask_b32_e64 v26, v3, v5, s2
	v_cmp_eq_u32_e64 s3, 8, v29
	v_cndmask_b32_e64 v27, v2, v4, s2
	v_cmp_eq_u32_e64 s2, 2, v29
	s_delay_alu instid0(VALU_DEP_1) | instskip(SKIP_1) | instid1(VALU_DEP_1)
	v_dual_cndmask_b32 v26, v26, v7, s2 :: v_dual_cndmask_b32 v27, v27, v6, s2
	v_cmp_eq_u32_e64 s2, 3, v29
	v_dual_cndmask_b32 v26, v26, v9, s2 :: v_dual_cndmask_b32 v27, v27, v8, s2
	v_cmp_eq_u32_e64 s2, 4, v29
	s_delay_alu instid0(VALU_DEP_1) | instskip(SKIP_1) | instid1(VALU_DEP_1)
	v_dual_cndmask_b32 v26, v26, v11, s2 :: v_dual_cndmask_b32 v27, v27, v10, s2
	v_cmp_eq_u32_e64 s2, 5, v29
	v_dual_cndmask_b32 v26, v26, v13, s2 :: v_dual_cndmask_b32 v27, v27, v12, s2
	;; [unrolled: 5-line block ×3, first 2 shown]
	ds_load_b64 v[26:27], v28 offset:24
	v_cmp_eq_u32_e64 s2, 9, v29
	v_dual_cndmask_b32 v31, v31, v18, s3 :: v_dual_cndmask_b32 v30, v30, v19, s3
	s_delay_alu instid0(VALU_DEP_1) | instskip(SKIP_1) | instid1(VALU_DEP_1)
	v_dual_cndmask_b32 v32, v31, v20, s2 :: v_dual_cndmask_b32 v30, v30, v21, s2
	v_cmp_eq_u32_e64 s2, 10, v29
	v_dual_cndmask_b32 v31, v30, v23, s2 :: v_dual_cndmask_b32 v30, v32, v22, s2
	s_wait_dscnt 0x0
	s_delay_alu instid0(VALU_DEP_1)
	v_fmac_f64_e32 v[24:25], v[30:31], v[26:27]
	s_and_saveexec_b32 s3, s1
	s_cbranch_execz .LBB74_55
; %bb.48:
	v_or_b32_e32 v29, 4, v0
	s_mov_b32 s8, exec_lo
	s_delay_alu instid0(VALU_DEP_1) | instskip(NEXT) | instid1(VALU_DEP_1)
	v_cmp_eq_u32_e64 s1, 1, v29
	v_cndmask_b32_e64 v26, v3, v5, s1
	v_cmp_eq_u32_e64 s2, 8, v29
	v_cndmask_b32_e64 v27, v2, v4, s1
	v_cmp_eq_u32_e64 s1, 2, v29
	s_delay_alu instid0(VALU_DEP_1) | instskip(SKIP_1) | instid1(VALU_DEP_1)
	v_dual_cndmask_b32 v26, v26, v7, s1 :: v_dual_cndmask_b32 v27, v27, v6, s1
	v_cmp_eq_u32_e64 s1, 3, v29
	v_dual_cndmask_b32 v26, v26, v9, s1 :: v_dual_cndmask_b32 v27, v27, v8, s1
	v_cmp_eq_u32_e64 s1, 4, v29
	s_delay_alu instid0(VALU_DEP_1) | instskip(SKIP_1) | instid1(VALU_DEP_1)
	v_dual_cndmask_b32 v26, v26, v11, s1 :: v_dual_cndmask_b32 v27, v27, v10, s1
	v_cmp_eq_u32_e64 s1, 5, v29
	v_dual_cndmask_b32 v26, v26, v13, s1 :: v_dual_cndmask_b32 v27, v27, v12, s1
	;; [unrolled: 5-line block ×3, first 2 shown]
	ds_load_b64 v[26:27], v28 offset:32
	v_cmp_eq_u32_e64 s1, 9, v29
	v_dual_cndmask_b32 v31, v31, v18, s2 :: v_dual_cndmask_b32 v30, v30, v19, s2
	s_delay_alu instid0(VALU_DEP_1) | instskip(SKIP_1) | instid1(VALU_DEP_1)
	v_dual_cndmask_b32 v32, v31, v20, s1 :: v_dual_cndmask_b32 v30, v30, v21, s1
	v_cmp_eq_u32_e64 s1, 10, v29
	v_dual_cndmask_b32 v31, v30, v23, s1 :: v_dual_cndmask_b32 v30, v32, v22, s1
	s_wait_dscnt 0x0
	s_delay_alu instid0(VALU_DEP_1)
	v_fmac_f64_e32 v[24:25], v[30:31], v[26:27]
	v_cmpx_ne_u32_e32 3, v0
	s_cbranch_execz .LBB74_54
; %bb.49:
	v_add_nc_u32_e32 v29, 5, v0
	s_delay_alu instid0(VALU_DEP_1) | instskip(NEXT) | instid1(VALU_DEP_1)
	v_cmp_eq_u32_e64 s1, 1, v29
	v_cndmask_b32_e64 v26, v3, v5, s1
	v_cmp_eq_u32_e64 s2, 8, v29
	v_cndmask_b32_e64 v27, v2, v4, s1
	v_cmp_eq_u32_e64 s1, 2, v29
	s_delay_alu instid0(VALU_DEP_1) | instskip(SKIP_1) | instid1(VALU_DEP_1)
	v_dual_cndmask_b32 v26, v26, v7, s1 :: v_dual_cndmask_b32 v27, v27, v6, s1
	v_cmp_eq_u32_e64 s1, 3, v29
	v_dual_cndmask_b32 v26, v26, v9, s1 :: v_dual_cndmask_b32 v27, v27, v8, s1
	v_cmp_eq_u32_e64 s1, 4, v29
	s_delay_alu instid0(VALU_DEP_1) | instskip(SKIP_1) | instid1(VALU_DEP_1)
	v_dual_cndmask_b32 v26, v26, v11, s1 :: v_dual_cndmask_b32 v27, v27, v10, s1
	v_cmp_eq_u32_e64 s1, 5, v29
	v_dual_cndmask_b32 v26, v26, v13, s1 :: v_dual_cndmask_b32 v27, v27, v12, s1
	;; [unrolled: 5-line block ×3, first 2 shown]
	ds_load_b64 v[26:27], v28 offset:40
	v_cmp_eq_u32_e64 s1, 9, v29
	v_dual_cndmask_b32 v31, v31, v18, s2 :: v_dual_cndmask_b32 v30, v30, v19, s2
	s_delay_alu instid0(VALU_DEP_1) | instskip(SKIP_1) | instid1(VALU_DEP_1)
	v_dual_cndmask_b32 v32, v31, v20, s1 :: v_dual_cndmask_b32 v30, v30, v21, s1
	v_cmp_eq_u32_e64 s1, 10, v29
	v_dual_cndmask_b32 v31, v30, v23, s1 :: v_dual_cndmask_b32 v30, v32, v22, s1
	s_wait_dscnt 0x0
	s_delay_alu instid0(VALU_DEP_1)
	v_fmac_f64_e32 v[24:25], v[30:31], v[26:27]
	s_and_saveexec_b32 s2, vcc_lo
	s_cbranch_execz .LBB74_53
; %bb.50:
	v_or_b32_e32 v29, 6, v0
	s_delay_alu instid0(VALU_DEP_1) | instskip(SKIP_4) | instid1(VALU_DEP_2)
	v_cmp_eq_u32_e32 vcc_lo, 1, v29
	v_cndmask_b32_e32 v26, v3, v5, vcc_lo
	v_cmp_eq_u32_e64 s1, 8, v29
	v_cndmask_b32_e32 v27, v2, v4, vcc_lo
	v_cmp_eq_u32_e32 vcc_lo, 2, v29
	v_dual_cndmask_b32 v26, v26, v7 :: v_dual_cndmask_b32 v27, v27, v6
	v_cmp_eq_u32_e32 vcc_lo, 3, v29
	s_delay_alu instid0(VALU_DEP_2) | instskip(SKIP_1) | instid1(VALU_DEP_2)
	v_dual_cndmask_b32 v26, v26, v9 :: v_dual_cndmask_b32 v27, v27, v8
	v_cmp_eq_u32_e32 vcc_lo, 4, v29
	v_dual_cndmask_b32 v26, v26, v11 :: v_dual_cndmask_b32 v27, v27, v10
	v_cmp_eq_u32_e32 vcc_lo, 5, v29
	s_delay_alu instid0(VALU_DEP_2) | instskip(SKIP_1) | instid1(VALU_DEP_2)
	v_dual_cndmask_b32 v26, v26, v13 :: v_dual_cndmask_b32 v27, v27, v12
	v_cmp_eq_u32_e32 vcc_lo, 6, v29
	v_dual_cndmask_b32 v26, v26, v15 :: v_dual_cndmask_b32 v27, v27, v14
	v_cmp_eq_u32_e32 vcc_lo, 7, v29
	s_delay_alu instid0(VALU_DEP_2) | instskip(SKIP_3) | instid1(VALU_DEP_1)
	v_dual_cndmask_b32 v30, v26, v17 :: v_dual_cndmask_b32 v31, v27, v16
	ds_load_b64 v[26:27], v28 offset:48
	v_cmp_eq_u32_e32 vcc_lo, 9, v29
	v_dual_cndmask_b32 v19, v30, v19, s1 :: v_dual_cndmask_b32 v18, v31, v18, s1
	v_dual_cndmask_b32 v19, v19, v21 :: v_dual_cndmask_b32 v18, v18, v20
	v_cmp_eq_u32_e32 vcc_lo, 10, v29
	s_delay_alu instid0(VALU_DEP_2) | instskip(SKIP_1) | instid1(VALU_DEP_1)
	v_dual_cndmask_b32 v19, v19, v23 :: v_dual_cndmask_b32 v18, v18, v22
	s_wait_dscnt 0x0
	v_fmac_f64_e32 v[24:25], v[18:19], v[26:27]
	s_and_saveexec_b32 s1, s0
	s_cbranch_execz .LBB74_52
; %bb.51:
	ds_load_b64 v[18:19], v28 offset:56
	s_wait_dscnt 0x0
	v_fmac_f64_e32 v[24:25], v[16:17], v[18:19]
.LBB74_52:
	s_or_b32 exec_lo, exec_lo, s1
.LBB74_53:
	s_delay_alu instid0(SALU_CYCLE_1)
	s_or_b32 exec_lo, exec_lo, s2
.LBB74_54:
	s_delay_alu instid0(SALU_CYCLE_1)
	s_or_b32 exec_lo, exec_lo, s8
.LBB74_55:
	s_delay_alu instid0(SALU_CYCLE_1)
	s_or_b32 exec_lo, exec_lo, s3
.LBB74_56:
	s_delay_alu instid0(SALU_CYCLE_1)
	s_or_b32 exec_lo, exec_lo, s7
.LBB74_57:
	s_delay_alu instid0(SALU_CYCLE_1)
	s_or_b32 exec_lo, exec_lo, s4
.LBB74_58:
	s_delay_alu instid0(SALU_CYCLE_1)
	s_or_b32 exec_lo, exec_lo, s6
	v_mov_b32_e32 v18, 0
	ds_load_b64 v[18:19], v18 offset:64
	s_wait_dscnt 0x0
	v_mul_f64_e32 v[18:19], v[24:25], v[18:19]
.LBB74_59:
	s_or_b32 exec_lo, exec_lo, s5
	s_delay_alu instid0(SALU_CYCLE_1)
	s_mov_b32 s1, exec_lo
	s_barrier_signal -1
	s_barrier_wait -1
	ds_store_b64 v28, v[20:21]
	s_wait_dscnt 0x0
	s_barrier_signal -1
	s_barrier_wait -1
	v_cmpx_gt_u32_e32 9, v0
	s_cbranch_execz .LBB74_63
; %bb.60:
	v_mov_b64_e32 v[24:25], 0
	v_mov_b64_e32 v[26:27], v[0:1]
	v_lshl_add_u32 v29, v0, 3, 0x60
	s_mov_b32 s2, 0
.LBB74_61:                              ; =>This Inner Loop Header: Depth=1
	s_delay_alu instid0(VALU_DEP_2) | instskip(SKIP_3) | instid1(VALU_DEP_2)
	v_cmp_eq_u32_e32 vcc_lo, 1, v26
	v_cmp_eq_u32_e64 s0, 2, v26
	v_dual_cndmask_b32 v30, v3, v5 :: v_dual_cndmask_b32 v31, v2, v4
	v_cmp_eq_u32_e32 vcc_lo, 3, v26
	v_dual_cndmask_b32 v30, v30, v7, s0 :: v_dual_cndmask_b32 v31, v31, v6, s0
	v_cmp_eq_u32_e64 s0, 4, v26
	s_delay_alu instid0(VALU_DEP_2) | instskip(SKIP_1) | instid1(VALU_DEP_2)
	v_dual_cndmask_b32 v30, v30, v9 :: v_dual_cndmask_b32 v31, v31, v8
	v_cmp_eq_u32_e32 vcc_lo, 5, v26
	v_dual_cndmask_b32 v30, v30, v11, s0 :: v_dual_cndmask_b32 v31, v31, v10, s0
	v_cmp_eq_u32_e64 s0, 6, v26
	s_delay_alu instid0(VALU_DEP_2) | instskip(SKIP_1) | instid1(VALU_DEP_2)
	v_dual_cndmask_b32 v30, v30, v13 :: v_dual_cndmask_b32 v31, v31, v12
	v_cmp_eq_u32_e32 vcc_lo, 7, v26
	v_dual_cndmask_b32 v32, v30, v15, s0 :: v_dual_cndmask_b32 v33, v31, v14, s0
	ds_load_b64 v[30:31], v29
	v_cmp_eq_u32_e64 s0, 8, v26
	v_add_nc_u32_e32 v29, 8, v29
	v_dual_cndmask_b32 v32, v32, v17 :: v_dual_cndmask_b32 v33, v33, v16
	v_cmp_eq_u32_e32 vcc_lo, 9, v26
	s_delay_alu instid0(VALU_DEP_2) | instskip(SKIP_2) | instid1(VALU_DEP_3)
	v_dual_cndmask_b32 v32, v32, v19, s0 :: v_dual_cndmask_b32 v33, v33, v18, s0
	v_cmp_eq_u32_e64 s0, 10, v26
	v_add_nc_u64_e32 v[26:27], 1, v[26:27]
	v_dual_cndmask_b32 v32, v32, v21, vcc_lo :: v_dual_cndmask_b32 v34, v33, v20, vcc_lo
	s_delay_alu instid0(VALU_DEP_1) | instskip(SKIP_1) | instid1(VALU_DEP_1)
	v_dual_cndmask_b32 v33, v32, v23, s0 :: v_dual_cndmask_b32 v32, v34, v22, s0
	s_wait_dscnt 0x0
	v_fmac_f64_e32 v[24:25], v[32:33], v[30:31]
	s_delay_alu instid0(VALU_DEP_4) | instskip(NEXT) | instid1(VALU_DEP_1)
	v_add_nc_u32_e32 v30, -1, v26
	v_cmp_lt_u32_e32 vcc_lo, 7, v30
	s_or_b32 s2, vcc_lo, s2
	s_delay_alu instid0(SALU_CYCLE_1)
	s_and_not1_b32 exec_lo, exec_lo, s2
	s_cbranch_execnz .LBB74_61
; %bb.62:
	s_or_b32 exec_lo, exec_lo, s2
	v_mov_b32_e32 v20, 0
	ds_load_b64 v[20:21], v20 offset:72
	s_wait_dscnt 0x0
	v_mul_f64_e32 v[20:21], v[24:25], v[20:21]
.LBB74_63:
	s_or_b32 exec_lo, exec_lo, s1
	s_delay_alu instid0(SALU_CYCLE_1)
	s_mov_b32 s1, exec_lo
	s_barrier_signal -1
	s_barrier_wait -1
	ds_store_b64 v28, v[22:23]
	s_wait_dscnt 0x0
	s_barrier_signal -1
	s_barrier_wait -1
	v_cmpx_ne_u32_e32 10, v0
	s_cbranch_execz .LBB74_67
; %bb.64:
	v_mov_b64_e32 v[24:25], 0
	v_mov_b64_e32 v[26:27], v[0:1]
	v_lshl_add_u32 v28, v0, 3, 0x60
	s_mov_b32 s2, 0
.LBB74_65:                              ; =>This Inner Loop Header: Depth=1
	s_delay_alu instid0(VALU_DEP_2)
	v_cmp_eq_u32_e32 vcc_lo, 1, v26
	v_cmp_eq_u32_e64 s0, 2, v26
	ds_load_b64 v[30:31], v28
	v_dual_cndmask_b32 v1, v3, v5 :: v_dual_add_nc_u32 v28, 8, v28
	v_cndmask_b32_e32 v29, v2, v4, vcc_lo
	v_cmp_eq_u32_e32 vcc_lo, 3, v26
	s_delay_alu instid0(VALU_DEP_3) | instskip(NEXT) | instid1(VALU_DEP_3)
	v_cndmask_b32_e64 v1, v1, v7, s0
	v_cndmask_b32_e64 v29, v29, v6, s0
	v_cmp_eq_u32_e64 s0, 4, v26
	s_delay_alu instid0(VALU_DEP_3) | instskip(NEXT) | instid1(VALU_DEP_3)
	v_cndmask_b32_e32 v1, v1, v9, vcc_lo
	v_cndmask_b32_e32 v29, v29, v8, vcc_lo
	v_cmp_eq_u32_e32 vcc_lo, 5, v26
	s_delay_alu instid0(VALU_DEP_3) | instskip(NEXT) | instid1(VALU_DEP_3)
	v_cndmask_b32_e64 v1, v1, v11, s0
	v_cndmask_b32_e64 v29, v29, v10, s0
	v_cmp_eq_u32_e64 s0, 6, v26
	s_delay_alu instid0(VALU_DEP_3) | instskip(NEXT) | instid1(VALU_DEP_3)
	v_cndmask_b32_e32 v1, v1, v13, vcc_lo
	;; [unrolled: 8-line block ×3, first 2 shown]
	v_cndmask_b32_e32 v29, v29, v16, vcc_lo
	v_cmp_eq_u32_e32 vcc_lo, 9, v26
	s_delay_alu instid0(VALU_DEP_3) | instskip(NEXT) | instid1(VALU_DEP_3)
	v_cndmask_b32_e64 v1, v1, v19, s0
	v_cndmask_b32_e64 v29, v29, v18, s0
	v_cmp_eq_u32_e64 s0, 10, v26
	v_add_nc_u64_e32 v[26:27], 1, v[26:27]
	s_delay_alu instid0(VALU_DEP_4) | instskip(NEXT) | instid1(VALU_DEP_4)
	v_cndmask_b32_e32 v1, v1, v21, vcc_lo
	v_cndmask_b32_e32 v29, v29, v20, vcc_lo
	s_delay_alu instid0(VALU_DEP_2) | instskip(NEXT) | instid1(VALU_DEP_2)
	v_cndmask_b32_e64 v33, v1, v23, s0
	v_cndmask_b32_e64 v32, v29, v22, s0
	v_add_nc_u32_e32 v1, -1, v26
	s_wait_dscnt 0x0
	s_delay_alu instid0(VALU_DEP_2) | instskip(NEXT) | instid1(VALU_DEP_2)
	v_fmac_f64_e32 v[24:25], v[32:33], v[30:31]
	v_cmp_lt_u32_e32 vcc_lo, 8, v1
	s_or_b32 s2, vcc_lo, s2
	s_delay_alu instid0(SALU_CYCLE_1)
	s_and_not1_b32 exec_lo, exec_lo, s2
	s_cbranch_execnz .LBB74_65
; %bb.66:
	s_or_b32 exec_lo, exec_lo, s2
	v_mov_b32_e32 v1, 0
	ds_load_b64 v[22:23], v1 offset:80
	s_wait_dscnt 0x0
	v_mul_f64_e32 v[22:23], v[24:25], v[22:23]
.LBB74_67:
	s_or_b32 exec_lo, exec_lo, s1
	s_barrier_signal -1
	s_barrier_wait -1
	s_cbranch_execnz .LBB74_15
	s_branch .LBB74_16
.LBB74_68:
	s_wait_xcnt 0x0
	v_lshl_add_u32 v1, v0, 3, 0x60
	s_mov_b32 s0, exec_lo
	v_cmpx_eq_u32_e32 10, v0
	s_cbranch_execz .LBB74_70
; %bb.69:
	s_wait_dscnt 0x3
	v_dual_mov_b32 v42, 0 :: v_dual_mov_b32 v40, v18
	s_wait_dscnt 0x1
	v_dual_mov_b32 v24, v2 :: v_dual_mov_b32 v25, v3
	v_dual_mov_b32 v34, v12 :: v_dual_mov_b32 v35, v13
	;; [unrolled: 1-line block ×4, first 2 shown]
	s_wait_dscnt 0x0
	v_dual_mov_b32 v41, v19 :: v_dual_mov_b32 v44, v22
	v_dual_mov_b32 v45, v23 :: v_dual_mov_b32 v43, v42
	v_dual_mov_b32 v26, v4 :: v_dual_mov_b32 v27, v5
	v_dual_mov_b32 v28, v6 :: v_dual_mov_b32 v29, v7
	v_dual_mov_b32 v30, v8 :: v_dual_mov_b32 v31, v9
	v_dual_mov_b32 v32, v10 :: v_dual_mov_b32 v33, v11
	ds_store_b64 v1, v[20:21]
	v_mov_b64_e32 v[2:3], v[24:25]
	v_mov_b64_e32 v[4:5], v[26:27]
	v_mov_b64_e32 v[6:7], v[28:29]
	v_mov_b64_e32 v[8:9], v[30:31]
	v_mov_b64_e32 v[10:11], v[32:33]
	v_mov_b64_e32 v[12:13], v[34:35]
	v_mov_b64_e32 v[14:15], v[36:37]
	v_mov_b64_e32 v[16:17], v[38:39]
	v_mov_b64_e32 v[18:19], v[40:41]
	v_mov_b64_e32 v[20:21], v[42:43]
	v_mov_b64_e32 v[22:23], v[44:45]
	v_mov_b64_e32 v[24:25], v[46:47]
	v_mov_b64_e32 v[26:27], v[48:49]
	v_mov_b64_e32 v[28:29], v[50:51]
	v_mov_b64_e32 v[30:31], v[52:53]
	v_mov_b64_e32 v[32:33], v[54:55]
.LBB74_70:
	s_or_b32 exec_lo, exec_lo, s0
	v_mov_b32_e32 v40, 0
	s_wait_storecnt_dscnt 0x0
	s_barrier_signal -1
	s_barrier_wait -1
	ds_load_b64 v[24:25], v40 offset:176
	s_mov_b32 s0, exec_lo
	s_wait_dscnt 0x0
	v_fma_f64 v[24:25], v[22:23], v[24:25], 0
	s_delay_alu instid0(VALU_DEP_1)
	v_add_f64_e64 v[20:21], v[20:21], -v[24:25]
	v_cmpx_lt_u32_e32 8, v0
	s_cbranch_execz .LBB74_72
; %bb.71:
	v_dual_mov_b32 v24, v2 :: v_dual_mov_b32 v25, v3
	v_dual_mov_b32 v34, v12 :: v_dual_mov_b32 v35, v13
	;; [unrolled: 1-line block ×10, first 2 shown]
	v_mov_b32_e32 v33, v11
	ds_store_b64 v1, v[18:19]
	v_mov_b64_e32 v[2:3], v[24:25]
	v_mov_b64_e32 v[4:5], v[26:27]
	;; [unrolled: 1-line block ×16, first 2 shown]
.LBB74_72:
	s_or_b32 exec_lo, exec_lo, s0
	s_wait_dscnt 0x0
	s_barrier_signal -1
	s_barrier_wait -1
	ds_load_2addr_b64 v[24:27], v40 offset0:21 offset1:22
	s_mov_b32 s0, exec_lo
	s_wait_dscnt 0x0
	v_fma_f64 v[24:25], v[20:21], v[24:25], 0
	s_delay_alu instid0(VALU_DEP_1) | instskip(NEXT) | instid1(VALU_DEP_1)
	v_fmac_f64_e32 v[24:25], v[22:23], v[26:27]
	v_add_f64_e64 v[18:19], v[18:19], -v[24:25]
	v_cmpx_lt_u32_e32 7, v0
	s_cbranch_execz .LBB74_74
; %bb.73:
	v_dual_mov_b32 v38, 0 :: v_dual_mov_b32 v24, v2
	v_dual_mov_b32 v25, v3 :: v_dual_mov_b32 v26, v4
	v_dual_mov_b32 v33, v11 :: v_dual_mov_b32 v34, v12
	v_dual_mov_b32 v35, v13 :: v_dual_mov_b32 v36, v14
	s_delay_alu instid0(VALU_DEP_4)
	v_dual_mov_b32 v37, v15 :: v_dual_mov_b32 v39, v38
	v_dual_mov_b32 v40, v18 :: v_dual_mov_b32 v41, v19
	;; [unrolled: 1-line block ×7, first 2 shown]
	ds_store_b64 v1, v[16:17]
	v_mov_b64_e32 v[2:3], v[24:25]
	v_mov_b64_e32 v[4:5], v[26:27]
	;; [unrolled: 1-line block ×16, first 2 shown]
.LBB74_74:
	s_or_b32 exec_lo, exec_lo, s0
	v_mov_b32_e32 v36, 0
	s_wait_dscnt 0x0
	s_barrier_signal -1
	s_barrier_wait -1
	ds_load_b128 v[24:27], v36 offset:160
	ds_load_b64 v[28:29], v36 offset:176
	s_mov_b32 s0, exec_lo
	s_wait_dscnt 0x1
	v_fma_f64 v[24:25], v[18:19], v[24:25], 0
	s_delay_alu instid0(VALU_DEP_1) | instskip(SKIP_1) | instid1(VALU_DEP_1)
	v_fmac_f64_e32 v[24:25], v[20:21], v[26:27]
	s_wait_dscnt 0x0
	v_fmac_f64_e32 v[24:25], v[22:23], v[28:29]
	s_delay_alu instid0(VALU_DEP_1)
	v_add_f64_e64 v[16:17], v[16:17], -v[24:25]
	v_cmpx_lt_u32_e32 6, v0
	s_cbranch_execz .LBB74_76
; %bb.75:
	v_dual_mov_b32 v24, v2 :: v_dual_mov_b32 v25, v3
	v_dual_mov_b32 v34, v12 :: v_dual_mov_b32 v35, v13
	s_delay_alu instid0(VALU_DEP_4)
	v_dual_mov_b32 v37, v36 :: v_dual_mov_b32 v38, v16
	v_dual_mov_b32 v39, v17 :: v_dual_mov_b32 v40, v18
	;; [unrolled: 1-line block ×8, first 2 shown]
	v_mov_b32_e32 v33, v11
	ds_store_b64 v1, v[14:15]
	v_mov_b64_e32 v[2:3], v[24:25]
	v_mov_b64_e32 v[4:5], v[26:27]
	;; [unrolled: 1-line block ×16, first 2 shown]
.LBB74_76:
	s_or_b32 exec_lo, exec_lo, s0
	s_wait_dscnt 0x0
	s_barrier_signal -1
	s_barrier_wait -1
	ds_load_2addr_b64 v[24:27], v36 offset0:19 offset1:20
	ds_load_2addr_b64 v[28:31], v36 offset0:21 offset1:22
	s_mov_b32 s0, exec_lo
	s_wait_dscnt 0x1
	v_fma_f64 v[24:25], v[16:17], v[24:25], 0
	s_delay_alu instid0(VALU_DEP_1) | instskip(SKIP_1) | instid1(VALU_DEP_1)
	v_fmac_f64_e32 v[24:25], v[18:19], v[26:27]
	s_wait_dscnt 0x0
	v_fmac_f64_e32 v[24:25], v[20:21], v[28:29]
	s_delay_alu instid0(VALU_DEP_1) | instskip(NEXT) | instid1(VALU_DEP_1)
	v_fmac_f64_e32 v[24:25], v[22:23], v[30:31]
	v_add_f64_e64 v[14:15], v[14:15], -v[24:25]
	v_cmpx_lt_u32_e32 5, v0
	s_cbranch_execz .LBB74_78
; %bb.77:
	v_dual_mov_b32 v34, 0 :: v_dual_mov_b32 v24, v2
	v_dual_mov_b32 v25, v3 :: v_dual_mov_b32 v26, v4
	s_delay_alu instid0(VALU_DEP_2)
	v_dual_mov_b32 v33, v11 :: v_dual_mov_b32 v35, v34
	v_dual_mov_b32 v36, v14 :: v_dual_mov_b32 v37, v15
	;; [unrolled: 1-line block ×9, first 2 shown]
	ds_store_b64 v1, v[12:13]
	v_mov_b64_e32 v[2:3], v[24:25]
	v_mov_b64_e32 v[4:5], v[26:27]
	;; [unrolled: 1-line block ×16, first 2 shown]
.LBB74_78:
	s_or_b32 exec_lo, exec_lo, s0
	v_mov_b32_e32 v34, 0
	s_wait_dscnt 0x0
	s_barrier_signal -1
	s_barrier_wait -1
	ds_load_b128 v[24:27], v34 offset:144
	ds_load_b128 v[28:31], v34 offset:160
	s_mov_b32 s0, exec_lo
	s_wait_dscnt 0x1
	v_fma_f64 v[24:25], v[14:15], v[24:25], 0
	s_delay_alu instid0(VALU_DEP_1) | instskip(SKIP_3) | instid1(VALU_DEP_1)
	v_fmac_f64_e32 v[24:25], v[16:17], v[26:27]
	ds_load_b64 v[26:27], v34 offset:176
	s_wait_dscnt 0x1
	v_fmac_f64_e32 v[24:25], v[18:19], v[28:29]
	v_fmac_f64_e32 v[24:25], v[20:21], v[30:31]
	s_wait_dscnt 0x0
	s_delay_alu instid0(VALU_DEP_1) | instskip(NEXT) | instid1(VALU_DEP_1)
	v_fmac_f64_e32 v[24:25], v[22:23], v[26:27]
	v_add_f64_e64 v[12:13], v[12:13], -v[24:25]
	v_cmpx_lt_u32_e32 4, v0
	s_cbranch_execz .LBB74_80
; %bb.79:
	v_dual_mov_b32 v26, v2 :: v_dual_mov_b32 v27, v3
	s_delay_alu instid0(VALU_DEP_3) | instskip(NEXT) | instid1(VALU_DEP_4)
	v_dual_mov_b32 v35, v34 :: v_dual_mov_b32 v36, v12
	v_dual_mov_b32 v37, v13 :: v_dual_mov_b32 v38, v14
	;; [unrolled: 1-line block ×9, first 2 shown]
	v_mov_b32_e32 v33, v9
	ds_store_b64 v1, v[10:11]
	v_mov_b64_e32 v[2:3], v[26:27]
	v_mov_b64_e32 v[4:5], v[28:29]
	;; [unrolled: 1-line block ×16, first 2 shown]
.LBB74_80:
	s_or_b32 exec_lo, exec_lo, s0
	s_wait_dscnt 0x0
	s_barrier_signal -1
	s_barrier_wait -1
	ds_load_2addr_b64 v[24:27], v34 offset0:17 offset1:18
	ds_load_2addr_b64 v[28:31], v34 offset0:19 offset1:20
	s_mov_b32 s0, exec_lo
	s_wait_dscnt 0x1
	v_fma_f64 v[32:33], v[12:13], v[24:25], 0
	s_delay_alu instid0(VALU_DEP_1) | instskip(SKIP_3) | instid1(VALU_DEP_1)
	v_fmac_f64_e32 v[32:33], v[14:15], v[26:27]
	ds_load_2addr_b64 v[24:27], v34 offset0:21 offset1:22
	s_wait_dscnt 0x1
	v_fmac_f64_e32 v[32:33], v[16:17], v[28:29]
	v_fmac_f64_e32 v[32:33], v[18:19], v[30:31]
	s_wait_dscnt 0x0
	s_delay_alu instid0(VALU_DEP_1) | instskip(NEXT) | instid1(VALU_DEP_1)
	v_fmac_f64_e32 v[32:33], v[20:21], v[24:25]
	v_fmac_f64_e32 v[32:33], v[22:23], v[26:27]
	s_delay_alu instid0(VALU_DEP_1)
	v_add_f64_e64 v[10:11], v[10:11], -v[32:33]
	v_cmpx_lt_u32_e32 3, v0
	s_cbranch_execz .LBB74_82
; %bb.81:
	v_dual_mov_b32 v30, 0 :: v_dual_mov_b32 v24, v2
	v_dual_mov_b32 v25, v3 :: v_dual_mov_b32 v26, v4
	;; [unrolled: 1-line block ×11, first 2 shown]
	ds_store_b64 v1, v[8:9]
	v_mov_b64_e32 v[2:3], v[24:25]
	v_mov_b64_e32 v[4:5], v[26:27]
	;; [unrolled: 1-line block ×16, first 2 shown]
.LBB74_82:
	s_or_b32 exec_lo, exec_lo, s0
	v_mov_b32_e32 v34, 0
	s_wait_dscnt 0x0
	s_barrier_signal -1
	s_barrier_wait -1
	ds_load_b128 v[24:27], v34 offset:128
	ds_load_b128 v[28:31], v34 offset:144
	s_mov_b32 s0, exec_lo
	s_wait_dscnt 0x1
	v_fma_f64 v[32:33], v[10:11], v[24:25], 0
	s_delay_alu instid0(VALU_DEP_1) | instskip(SKIP_1) | instid1(VALU_DEP_1)
	v_fmac_f64_e32 v[32:33], v[12:13], v[26:27]
	s_wait_dscnt 0x0
	v_fmac_f64_e32 v[32:33], v[14:15], v[28:29]
	ds_load_b128 v[24:27], v34 offset:160
	ds_load_b64 v[28:29], v34 offset:176
	v_fmac_f64_e32 v[32:33], v[16:17], v[30:31]
	s_wait_dscnt 0x1
	s_delay_alu instid0(VALU_DEP_1) | instskip(NEXT) | instid1(VALU_DEP_1)
	v_fmac_f64_e32 v[32:33], v[18:19], v[24:25]
	v_fmac_f64_e32 v[32:33], v[20:21], v[26:27]
	s_wait_dscnt 0x0
	s_delay_alu instid0(VALU_DEP_1) | instskip(NEXT) | instid1(VALU_DEP_1)
	v_fmac_f64_e32 v[32:33], v[22:23], v[28:29]
	v_add_f64_e64 v[8:9], v[8:9], -v[32:33]
	v_cmpx_lt_u32_e32 2, v0
	s_cbranch_execz .LBB74_84
; %bb.83:
	v_dual_mov_b32 v30, v2 :: v_dual_mov_b32 v31, v3
	s_delay_alu instid0(VALU_DEP_3) | instskip(NEXT) | instid1(VALU_DEP_4)
	v_dual_mov_b32 v35, v34 :: v_dual_mov_b32 v36, v8
	v_dual_mov_b32 v37, v9 :: v_dual_mov_b32 v38, v10
	;; [unrolled: 1-line block ×9, first 2 shown]
	v_mov_b32_e32 v33, v5
	ds_store_b64 v1, v[6:7]
	v_mov_b64_e32 v[2:3], v[30:31]
	v_mov_b64_e32 v[4:5], v[32:33]
	;; [unrolled: 1-line block ×16, first 2 shown]
.LBB74_84:
	s_or_b32 exec_lo, exec_lo, s0
	s_wait_dscnt 0x0
	s_barrier_signal -1
	s_barrier_wait -1
	ds_load_2addr_b64 v[24:27], v34 offset0:15 offset1:16
	ds_load_2addr_b64 v[28:31], v34 offset0:17 offset1:18
	s_mov_b32 s0, exec_lo
	s_wait_dscnt 0x1
	v_fma_f64 v[32:33], v[8:9], v[24:25], 0
	s_delay_alu instid0(VALU_DEP_1) | instskip(SKIP_1) | instid1(VALU_DEP_1)
	v_fmac_f64_e32 v[32:33], v[10:11], v[26:27]
	s_wait_dscnt 0x0
	v_fmac_f64_e32 v[32:33], v[12:13], v[28:29]
	s_delay_alu instid0(VALU_DEP_1) | instskip(SKIP_4) | instid1(VALU_DEP_1)
	v_fmac_f64_e32 v[32:33], v[14:15], v[30:31]
	ds_load_2addr_b64 v[24:27], v34 offset0:19 offset1:20
	ds_load_2addr_b64 v[28:31], v34 offset0:21 offset1:22
	s_wait_dscnt 0x1
	v_fmac_f64_e32 v[32:33], v[16:17], v[24:25]
	v_fmac_f64_e32 v[32:33], v[18:19], v[26:27]
	s_wait_dscnt 0x0
	s_delay_alu instid0(VALU_DEP_1) | instskip(NEXT) | instid1(VALU_DEP_1)
	v_fmac_f64_e32 v[32:33], v[20:21], v[28:29]
	v_fmac_f64_e32 v[32:33], v[22:23], v[30:31]
	s_delay_alu instid0(VALU_DEP_1)
	v_add_f64_e64 v[6:7], v[6:7], -v[32:33]
	v_cmpx_lt_u32_e32 1, v0
	s_cbranch_execz .LBB74_86
; %bb.85:
	v_dual_mov_b32 v26, 0 :: v_dual_mov_b32 v24, v2
	s_delay_alu instid0(VALU_DEP_3)
	v_dual_mov_b32 v25, v3 :: v_dual_mov_b32 v28, v6
	v_dual_mov_b32 v34, v12 :: v_dual_mov_b32 v35, v13
	;; [unrolled: 1-line block ×10, first 2 shown]
	ds_store_b64 v1, v[4:5]
	v_mov_b64_e32 v[2:3], v[24:25]
	v_mov_b64_e32 v[4:5], v[26:27]
	;; [unrolled: 1-line block ×16, first 2 shown]
.LBB74_86:
	s_or_b32 exec_lo, exec_lo, s0
	v_mov_b32_e32 v34, 0
	s_wait_dscnt 0x0
	s_barrier_signal -1
	s_barrier_wait -1
	ds_load_b128 v[24:27], v34 offset:112
	ds_load_b128 v[28:31], v34 offset:128
	v_dual_ashrrev_i32 v57, 31, v56 :: v_dual_ashrrev_i32 v59, 31, v58
	v_dual_ashrrev_i32 v61, 31, v60 :: v_dual_ashrrev_i32 v67, 31, v66
	;; [unrolled: 1-line block ×4, first 2 shown]
	v_ashrrev_i32_e32 v77, 31, v76
	s_mov_b32 s0, exec_lo
	s_wait_dscnt 0x1
	v_fma_f64 v[32:33], v[6:7], v[24:25], 0
	s_delay_alu instid0(VALU_DEP_1) | instskip(SKIP_1) | instid1(VALU_DEP_1)
	v_fmac_f64_e32 v[32:33], v[8:9], v[26:27]
	s_wait_dscnt 0x0
	v_fmac_f64_e32 v[32:33], v[10:11], v[28:29]
	s_delay_alu instid0(VALU_DEP_1)
	v_fmac_f64_e32 v[32:33], v[12:13], v[30:31]
	ds_load_b128 v[24:27], v34 offset:144
	ds_load_b128 v[28:31], v34 offset:160
	s_wait_dscnt 0x1
	v_fmac_f64_e32 v[32:33], v[14:15], v[24:25]
	ds_load_b64 v[24:25], v34 offset:176
	v_fmac_f64_e32 v[32:33], v[16:17], v[26:27]
	s_wait_dscnt 0x1
	s_delay_alu instid0(VALU_DEP_1) | instskip(NEXT) | instid1(VALU_DEP_1)
	v_fmac_f64_e32 v[32:33], v[18:19], v[28:29]
	v_fmac_f64_e32 v[32:33], v[20:21], v[30:31]
	s_wait_dscnt 0x0
	s_delay_alu instid0(VALU_DEP_1) | instskip(NEXT) | instid1(VALU_DEP_1)
	v_fmac_f64_e32 v[32:33], v[22:23], v[24:25]
	v_add_f64_e64 v[4:5], v[4:5], -v[32:33]
	v_cmpx_ne_u32_e32 0, v0
	s_cbranch_execz .LBB74_88
; %bb.87:
	s_delay_alu instid0(VALU_DEP_2) | instskip(NEXT) | instid1(VALU_DEP_3)
	v_dual_mov_b32 v35, v34 :: v_dual_mov_b32 v36, v4
	v_dual_mov_b32 v37, v5 :: v_dual_mov_b32 v38, v6
	;; [unrolled: 1-line block ×10, first 2 shown]
	v_mov_b32_e32 v55, v23
	ds_store_b64 v1, v[2:3]
	v_mov_b64_e32 v[2:3], v[34:35]
	v_mov_b64_e32 v[4:5], v[36:37]
	;; [unrolled: 1-line block ×16, first 2 shown]
.LBB74_88:
	s_or_b32 exec_lo, exec_lo, s0
	s_wait_dscnt 0x0
	s_barrier_signal -1
	s_barrier_wait -1
	ds_load_2addr_b64 v[24:27], v34 offset0:13 offset1:14
	ds_load_2addr_b64 v[28:31], v34 offset0:15 offset1:16
	s_and_b32 vcc_lo, exec_lo, s11
	s_wait_dscnt 0x1
	v_fma_f64 v[0:1], v[4:5], v[24:25], 0
	s_delay_alu instid0(VALU_DEP_1) | instskip(SKIP_1) | instid1(VALU_DEP_1)
	v_fmac_f64_e32 v[0:1], v[6:7], v[26:27]
	s_wait_dscnt 0x0
	v_fmac_f64_e32 v[0:1], v[8:9], v[28:29]
	s_delay_alu instid0(VALU_DEP_1) | instskip(SKIP_4) | instid1(VALU_DEP_1)
	v_fmac_f64_e32 v[0:1], v[10:11], v[30:31]
	ds_load_2addr_b64 v[24:27], v34 offset0:17 offset1:18
	ds_load_2addr_b64 v[28:31], v34 offset0:19 offset1:20
	s_wait_dscnt 0x1
	v_fmac_f64_e32 v[0:1], v[12:13], v[24:25]
	v_fmac_f64_e32 v[0:1], v[14:15], v[26:27]
	ds_load_2addr_b64 v[24:27], v34 offset0:21 offset1:22
	s_wait_dscnt 0x1
	v_fmac_f64_e32 v[0:1], v[16:17], v[28:29]
	s_delay_alu instid0(VALU_DEP_1) | instskip(SKIP_1) | instid1(VALU_DEP_1)
	v_fmac_f64_e32 v[0:1], v[18:19], v[30:31]
	s_wait_dscnt 0x0
	v_fmac_f64_e32 v[0:1], v[20:21], v[24:25]
	s_delay_alu instid0(VALU_DEP_1) | instskip(NEXT) | instid1(VALU_DEP_1)
	v_fmac_f64_e32 v[0:1], v[22:23], v[26:27]
	v_add_f64_e64 v[2:3], v[2:3], -v[0:1]
	s_cbranch_vccz .LBB74_109
; %bb.89:
	v_mov_b32_e32 v0, 0
	global_load_b32 v1, v0, s[16:17] offset:36
	s_wait_loadcnt 0x0
	v_readfirstlane_b32 s0, v1
	s_add_co_i32 s0, s0, -1
	s_delay_alu instid0(SALU_CYCLE_1)
	s_cmp_lg_u32 s0, 9
	s_cbranch_scc0 .LBB74_91
; %bb.90:
	s_lshl_b32 m0, s0, 1
	v_movrels_b32_e32 v1, v2
	v_movrels_b32_e32 v54, v3
	v_mov_b64_e32 v[52:53], v[32:33]
	v_mov_b64_e32 v[50:51], v[30:31]
	;; [unrolled: 1-line block ×16, first 2 shown]
	v_dual_mov_b32 v40, v1 :: v_dual_mov_b32 v41, v54
	s_delay_alu instid0(VALU_DEP_2) | instskip(NEXT) | instid1(VALU_DEP_3)
	v_movreld_b32_e32 v22, v20
	v_movreld_b32_e32 v23, v21
	v_mov_b64_e32 v[2:3], v[22:23]
	v_mov_b64_e32 v[4:5], v[24:25]
	;; [unrolled: 1-line block ×16, first 2 shown]
.LBB74_91:
	global_load_b32 v0, v0, s[16:17] offset:32
	s_wait_loadcnt 0x0
	v_readfirstlane_b32 s0, v0
	s_add_co_i32 s0, s0, -1
	s_delay_alu instid0(SALU_CYCLE_1)
	s_cmp_eq_u32 s0, 8
	s_cbranch_scc1 .LBB74_93
; %bb.92:
	s_lshl_b32 m0, s0, 1
	v_movrels_b32_e32 v0, v2
	v_movrels_b32_e32 v1, v3
	v_mov_b64_e32 v[50:51], v[32:33]
	v_mov_b64_e32 v[48:49], v[30:31]
	v_mov_b64_e32 v[46:47], v[28:29]
	v_mov_b64_e32 v[44:45], v[26:27]
	v_mov_b64_e32 v[42:43], v[24:25]
	v_mov_b64_e32 v[40:41], v[22:23]
	v_mov_b64_e32 v[38:39], v[20:21]
	v_mov_b64_e32 v[36:37], v[18:19]
	v_mov_b64_e32 v[34:35], v[16:17]
	v_mov_b64_e32 v[32:33], v[14:15]
	v_mov_b64_e32 v[30:31], v[12:13]
	v_mov_b64_e32 v[28:29], v[10:11]
	v_mov_b64_e32 v[26:27], v[8:9]
	v_mov_b64_e32 v[24:25], v[6:7]
	v_mov_b64_e32 v[22:23], v[4:5]
	v_mov_b64_e32 v[20:21], v[2:3]
	v_dual_mov_b32 v36, v0 :: v_dual_mov_b32 v37, v1
	s_delay_alu instid0(VALU_DEP_2) | instskip(NEXT) | instid1(VALU_DEP_3)
	v_movreld_b32_e32 v20, v18
	v_movreld_b32_e32 v21, v19
	v_mov_b64_e32 v[2:3], v[20:21]
	v_mov_b64_e32 v[4:5], v[22:23]
	;; [unrolled: 1-line block ×16, first 2 shown]
.LBB74_93:
	v_mov_b32_e32 v0, 0
	global_load_b32 v1, v0, s[16:17] offset:28
	s_wait_loadcnt 0x0
	v_readfirstlane_b32 s0, v1
	s_add_co_i32 s0, s0, -1
	s_delay_alu instid0(SALU_CYCLE_1)
	s_cmp_eq_u32 s0, 7
	s_cbranch_scc1 .LBB74_95
; %bb.94:
	s_lshl_b32 m0, s0, 1
	v_movrels_b32_e32 v1, v2
	v_movrels_b32_e32 v50, v3
	v_mov_b64_e32 v[48:49], v[32:33]
	v_mov_b64_e32 v[46:47], v[30:31]
	;; [unrolled: 1-line block ×16, first 2 shown]
	v_dual_mov_b32 v32, v1 :: v_dual_mov_b32 v33, v50
	s_delay_alu instid0(VALU_DEP_2) | instskip(NEXT) | instid1(VALU_DEP_3)
	v_movreld_b32_e32 v18, v16
	v_movreld_b32_e32 v19, v17
	v_mov_b64_e32 v[2:3], v[18:19]
	v_mov_b64_e32 v[4:5], v[20:21]
	;; [unrolled: 1-line block ×16, first 2 shown]
.LBB74_95:
	global_load_b32 v0, v0, s[16:17] offset:24
	s_wait_loadcnt 0x0
	v_readfirstlane_b32 s0, v0
	s_add_co_i32 s0, s0, -1
	s_delay_alu instid0(SALU_CYCLE_1)
	s_cmp_eq_u32 s0, 6
	s_cbranch_scc1 .LBB74_97
; %bb.96:
	s_lshl_b32 m0, s0, 1
	v_movrels_b32_e32 v0, v2
	v_movrels_b32_e32 v1, v3
	v_mov_b64_e32 v[46:47], v[32:33]
	v_mov_b64_e32 v[44:45], v[30:31]
	v_mov_b64_e32 v[42:43], v[28:29]
	v_mov_b64_e32 v[40:41], v[26:27]
	v_mov_b64_e32 v[38:39], v[24:25]
	v_mov_b64_e32 v[36:37], v[22:23]
	v_mov_b64_e32 v[34:35], v[20:21]
	v_mov_b64_e32 v[32:33], v[18:19]
	v_mov_b64_e32 v[30:31], v[16:17]
	v_mov_b64_e32 v[28:29], v[14:15]
	v_mov_b64_e32 v[26:27], v[12:13]
	v_mov_b64_e32 v[24:25], v[10:11]
	v_mov_b64_e32 v[22:23], v[8:9]
	v_mov_b64_e32 v[20:21], v[6:7]
	v_mov_b64_e32 v[18:19], v[4:5]
	v_mov_b64_e32 v[16:17], v[2:3]
	v_dual_mov_b32 v28, v0 :: v_dual_mov_b32 v29, v1
	s_delay_alu instid0(VALU_DEP_2) | instskip(NEXT) | instid1(VALU_DEP_3)
	v_movreld_b32_e32 v16, v14
	v_movreld_b32_e32 v17, v15
	v_mov_b64_e32 v[2:3], v[16:17]
	v_mov_b64_e32 v[4:5], v[18:19]
	;; [unrolled: 1-line block ×16, first 2 shown]
.LBB74_97:
	v_mov_b32_e32 v0, 0
	global_load_b32 v1, v0, s[16:17] offset:20
	s_wait_loadcnt 0x0
	v_readfirstlane_b32 s0, v1
	s_add_co_i32 s0, s0, -1
	s_delay_alu instid0(SALU_CYCLE_1)
	s_cmp_eq_u32 s0, 5
	s_cbranch_scc1 .LBB74_99
; %bb.98:
	s_lshl_b32 m0, s0, 1
	v_movrels_b32_e32 v1, v2
	v_movrels_b32_e32 v46, v3
	v_mov_b64_e32 v[44:45], v[32:33]
	v_mov_b64_e32 v[42:43], v[30:31]
	;; [unrolled: 1-line block ×16, first 2 shown]
	v_dual_mov_b32 v24, v1 :: v_dual_mov_b32 v25, v46
	s_delay_alu instid0(VALU_DEP_2) | instskip(NEXT) | instid1(VALU_DEP_3)
	v_movreld_b32_e32 v14, v12
	v_movreld_b32_e32 v15, v13
	v_mov_b64_e32 v[2:3], v[14:15]
	v_mov_b64_e32 v[4:5], v[16:17]
	;; [unrolled: 1-line block ×16, first 2 shown]
.LBB74_99:
	global_load_b32 v0, v0, s[16:17] offset:16
	s_wait_loadcnt 0x0
	v_readfirstlane_b32 s0, v0
	s_add_co_i32 s0, s0, -1
	s_delay_alu instid0(SALU_CYCLE_1)
	s_cmp_eq_u32 s0, 4
	s_cbranch_scc1 .LBB74_101
; %bb.100:
	s_lshl_b32 m0, s0, 1
	v_movrels_b32_e32 v0, v2
	v_movrels_b32_e32 v1, v3
	v_mov_b64_e32 v[42:43], v[32:33]
	v_mov_b64_e32 v[40:41], v[30:31]
	;; [unrolled: 1-line block ×16, first 2 shown]
	v_dual_mov_b32 v20, v0 :: v_dual_mov_b32 v21, v1
	s_delay_alu instid0(VALU_DEP_2) | instskip(NEXT) | instid1(VALU_DEP_3)
	v_movreld_b32_e32 v12, v10
	v_movreld_b32_e32 v13, v11
	v_mov_b64_e32 v[2:3], v[12:13]
	v_mov_b64_e32 v[4:5], v[14:15]
	;; [unrolled: 1-line block ×16, first 2 shown]
.LBB74_101:
	v_mov_b32_e32 v0, 0
	global_load_b32 v1, v0, s[16:17] offset:12
	s_wait_loadcnt 0x0
	v_readfirstlane_b32 s0, v1
	s_add_co_i32 s0, s0, -1
	s_delay_alu instid0(SALU_CYCLE_1)
	s_cmp_eq_u32 s0, 3
	s_cbranch_scc1 .LBB74_103
; %bb.102:
	s_lshl_b32 m0, s0, 1
	v_movrels_b32_e32 v1, v2
	v_movrels_b32_e32 v42, v3
	v_mov_b64_e32 v[40:41], v[32:33]
	v_mov_b64_e32 v[38:39], v[30:31]
	;; [unrolled: 1-line block ×16, first 2 shown]
	v_dual_mov_b32 v16, v1 :: v_dual_mov_b32 v17, v42
	s_delay_alu instid0(VALU_DEP_2) | instskip(NEXT) | instid1(VALU_DEP_3)
	v_movreld_b32_e32 v10, v8
	v_movreld_b32_e32 v11, v9
	v_mov_b64_e32 v[2:3], v[10:11]
	v_mov_b64_e32 v[4:5], v[12:13]
	;; [unrolled: 1-line block ×16, first 2 shown]
.LBB74_103:
	global_load_b32 v0, v0, s[16:17] offset:8
	s_wait_loadcnt 0x0
	v_readfirstlane_b32 s0, v0
	s_add_co_i32 s0, s0, -1
	s_delay_alu instid0(SALU_CYCLE_1)
	s_cmp_eq_u32 s0, 2
	s_cbranch_scc1 .LBB74_105
; %bb.104:
	s_lshl_b32 m0, s0, 1
	v_movrels_b32_e32 v0, v2
	v_movrels_b32_e32 v1, v3
	v_mov_b64_e32 v[38:39], v[32:33]
	v_mov_b64_e32 v[36:37], v[30:31]
	;; [unrolled: 1-line block ×16, first 2 shown]
	v_dual_mov_b32 v12, v0 :: v_dual_mov_b32 v13, v1
	s_delay_alu instid0(VALU_DEP_2) | instskip(NEXT) | instid1(VALU_DEP_3)
	v_movreld_b32_e32 v8, v6
	v_movreld_b32_e32 v9, v7
	v_mov_b64_e32 v[2:3], v[8:9]
	v_mov_b64_e32 v[4:5], v[10:11]
	;; [unrolled: 1-line block ×16, first 2 shown]
.LBB74_105:
	v_mov_b32_e32 v0, 0
	global_load_b32 v1, v0, s[16:17] offset:4
	s_wait_loadcnt 0x0
	v_readfirstlane_b32 s0, v1
	s_add_co_i32 s0, s0, -1
	s_delay_alu instid0(SALU_CYCLE_1)
	s_cmp_eq_u32 s0, 1
	s_cbranch_scc1 .LBB74_107
; %bb.106:
	s_lshl_b32 m0, s0, 1
	v_movrels_b32_e32 v1, v2
	v_movrels_b32_e32 v38, v3
	v_mov_b64_e32 v[36:37], v[32:33]
	v_mov_b64_e32 v[34:35], v[30:31]
	;; [unrolled: 1-line block ×16, first 2 shown]
	v_dual_mov_b32 v8, v1 :: v_dual_mov_b32 v9, v38
	s_delay_alu instid0(VALU_DEP_2) | instskip(NEXT) | instid1(VALU_DEP_3)
	v_movreld_b32_e32 v6, v4
	v_movreld_b32_e32 v7, v5
	v_mov_b64_e32 v[2:3], v[6:7]
	s_delay_alu instid0(VALU_DEP_4)
	v_mov_b64_e32 v[4:5], v[8:9]
	v_mov_b64_e32 v[6:7], v[10:11]
	;; [unrolled: 1-line block ×15, first 2 shown]
.LBB74_107:
	global_load_b32 v0, v0, s[16:17]
	s_wait_loadcnt 0x0
	v_readfirstlane_b32 s0, v0
	s_add_co_i32 s0, s0, -1
	s_delay_alu instid0(SALU_CYCLE_1)
	s_cmp_eq_u32 s0, 0
	s_cbranch_scc1 .LBB74_109
; %bb.108:
	s_lshl_b32 m0, s0, 1
	v_movrels_b32_e32 v0, v2
	v_movrels_b32_e32 v1, v3
	v_mov_b64_e32 v[34:35], v[32:33]
	v_mov_b64_e32 v[32:33], v[30:31]
	;; [unrolled: 1-line block ×16, first 2 shown]
	v_dual_mov_b32 v4, v0 :: v_dual_mov_b32 v5, v1
	s_delay_alu instid0(VALU_DEP_1) | instskip(NEXT) | instid1(VALU_DEP_2)
	v_movreld_b32_e32 v4, v2
	v_movreld_b32_e32 v5, v3
	v_mov_b64_e32 v[2:3], v[4:5]
	v_mov_b64_e32 v[4:5], v[6:7]
	;; [unrolled: 1-line block ×16, first 2 shown]
.LBB74_109:
	v_lshl_add_u64 v[38:39], v[56:57], 3, s[12:13]
	v_lshl_add_u64 v[36:37], v[58:59], 3, s[12:13]
	v_lshl_add_u64 v[34:35], v[60:61], 3, s[12:13]
	v_lshl_add_u64 v[32:33], v[66:67], 3, s[12:13]
	v_lshl_add_u64 v[30:31], v[68:69], 3, s[12:13]
	v_lshl_add_u64 v[28:29], v[70:71], 3, s[12:13]
	v_lshl_add_u64 v[26:27], v[72:73], 3, s[12:13]
	v_lshl_add_u64 v[24:25], v[74:75], 3, s[12:13]
	v_lshl_add_u64 v[0:1], v[76:77], 3, s[12:13]
	s_clause 0xa
	flat_store_b64 v[62:63], v[2:3]
	flat_store_b64 v[64:65], v[4:5]
	flat_store_b64 v[38:39], v[6:7]
	flat_store_b64 v[36:37], v[8:9]
	flat_store_b64 v[34:35], v[10:11]
	flat_store_b64 v[32:33], v[12:13]
	flat_store_b64 v[30:31], v[14:15]
	flat_store_b64 v[28:29], v[16:17]
	flat_store_b64 v[26:27], v[18:19]
	flat_store_b64 v[24:25], v[20:21]
	flat_store_b64 v[0:1], v[22:23]
	s_sendmsg sendmsg(MSG_DEALLOC_VGPRS)
	s_endpgm
	.section	.rodata,"a",@progbits
	.p2align	6, 0x0
	.amdhsa_kernel _ZN9rocsolver6v33100L18getri_kernel_smallILi11EdPKPdEEvT1_iilPiilS6_bb
		.amdhsa_group_segment_fixed_size 184
		.amdhsa_private_segment_fixed_size 0
		.amdhsa_kernarg_size 60
		.amdhsa_user_sgpr_count 2
		.amdhsa_user_sgpr_dispatch_ptr 0
		.amdhsa_user_sgpr_queue_ptr 0
		.amdhsa_user_sgpr_kernarg_segment_ptr 1
		.amdhsa_user_sgpr_dispatch_id 0
		.amdhsa_user_sgpr_kernarg_preload_length 0
		.amdhsa_user_sgpr_kernarg_preload_offset 0
		.amdhsa_user_sgpr_private_segment_size 0
		.amdhsa_wavefront_size32 1
		.amdhsa_uses_dynamic_stack 0
		.amdhsa_enable_private_segment 0
		.amdhsa_system_sgpr_workgroup_id_x 1
		.amdhsa_system_sgpr_workgroup_id_y 0
		.amdhsa_system_sgpr_workgroup_id_z 0
		.amdhsa_system_sgpr_workgroup_info 0
		.amdhsa_system_vgpr_workitem_id 0
		.amdhsa_next_free_vgpr 78
		.amdhsa_next_free_sgpr 20
		.amdhsa_named_barrier_count 0
		.amdhsa_reserve_vcc 1
		.amdhsa_float_round_mode_32 0
		.amdhsa_float_round_mode_16_64 0
		.amdhsa_float_denorm_mode_32 3
		.amdhsa_float_denorm_mode_16_64 3
		.amdhsa_fp16_overflow 0
		.amdhsa_memory_ordered 1
		.amdhsa_forward_progress 1
		.amdhsa_inst_pref_size 88
		.amdhsa_round_robin_scheduling 0
		.amdhsa_exception_fp_ieee_invalid_op 0
		.amdhsa_exception_fp_denorm_src 0
		.amdhsa_exception_fp_ieee_div_zero 0
		.amdhsa_exception_fp_ieee_overflow 0
		.amdhsa_exception_fp_ieee_underflow 0
		.amdhsa_exception_fp_ieee_inexact 0
		.amdhsa_exception_int_div_zero 0
	.end_amdhsa_kernel
	.section	.text._ZN9rocsolver6v33100L18getri_kernel_smallILi11EdPKPdEEvT1_iilPiilS6_bb,"axG",@progbits,_ZN9rocsolver6v33100L18getri_kernel_smallILi11EdPKPdEEvT1_iilPiilS6_bb,comdat
.Lfunc_end74:
	.size	_ZN9rocsolver6v33100L18getri_kernel_smallILi11EdPKPdEEvT1_iilPiilS6_bb, .Lfunc_end74-_ZN9rocsolver6v33100L18getri_kernel_smallILi11EdPKPdEEvT1_iilPiilS6_bb
                                        ; -- End function
	.set _ZN9rocsolver6v33100L18getri_kernel_smallILi11EdPKPdEEvT1_iilPiilS6_bb.num_vgpr, 78
	.set _ZN9rocsolver6v33100L18getri_kernel_smallILi11EdPKPdEEvT1_iilPiilS6_bb.num_agpr, 0
	.set _ZN9rocsolver6v33100L18getri_kernel_smallILi11EdPKPdEEvT1_iilPiilS6_bb.numbered_sgpr, 20
	.set _ZN9rocsolver6v33100L18getri_kernel_smallILi11EdPKPdEEvT1_iilPiilS6_bb.num_named_barrier, 0
	.set _ZN9rocsolver6v33100L18getri_kernel_smallILi11EdPKPdEEvT1_iilPiilS6_bb.private_seg_size, 0
	.set _ZN9rocsolver6v33100L18getri_kernel_smallILi11EdPKPdEEvT1_iilPiilS6_bb.uses_vcc, 1
	.set _ZN9rocsolver6v33100L18getri_kernel_smallILi11EdPKPdEEvT1_iilPiilS6_bb.uses_flat_scratch, 1
	.set _ZN9rocsolver6v33100L18getri_kernel_smallILi11EdPKPdEEvT1_iilPiilS6_bb.has_dyn_sized_stack, 0
	.set _ZN9rocsolver6v33100L18getri_kernel_smallILi11EdPKPdEEvT1_iilPiilS6_bb.has_recursion, 0
	.set _ZN9rocsolver6v33100L18getri_kernel_smallILi11EdPKPdEEvT1_iilPiilS6_bb.has_indirect_call, 0
	.section	.AMDGPU.csdata,"",@progbits
; Kernel info:
; codeLenInByte = 11152
; TotalNumSgprs: 22
; NumVgprs: 78
; ScratchSize: 0
; MemoryBound: 0
; FloatMode: 240
; IeeeMode: 1
; LDSByteSize: 184 bytes/workgroup (compile time only)
; SGPRBlocks: 0
; VGPRBlocks: 4
; NumSGPRsForWavesPerEU: 22
; NumVGPRsForWavesPerEU: 78
; NamedBarCnt: 0
; Occupancy: 12
; WaveLimiterHint : 1
; COMPUTE_PGM_RSRC2:SCRATCH_EN: 0
; COMPUTE_PGM_RSRC2:USER_SGPR: 2
; COMPUTE_PGM_RSRC2:TRAP_HANDLER: 0
; COMPUTE_PGM_RSRC2:TGID_X_EN: 1
; COMPUTE_PGM_RSRC2:TGID_Y_EN: 0
; COMPUTE_PGM_RSRC2:TGID_Z_EN: 0
; COMPUTE_PGM_RSRC2:TIDIG_COMP_CNT: 0
	.section	.text._ZN9rocsolver6v33100L18getri_kernel_smallILi12EdPKPdEEvT1_iilPiilS6_bb,"axG",@progbits,_ZN9rocsolver6v33100L18getri_kernel_smallILi12EdPKPdEEvT1_iilPiilS6_bb,comdat
	.globl	_ZN9rocsolver6v33100L18getri_kernel_smallILi12EdPKPdEEvT1_iilPiilS6_bb ; -- Begin function _ZN9rocsolver6v33100L18getri_kernel_smallILi12EdPKPdEEvT1_iilPiilS6_bb
	.p2align	8
	.type	_ZN9rocsolver6v33100L18getri_kernel_smallILi12EdPKPdEEvT1_iilPiilS6_bb,@function
_ZN9rocsolver6v33100L18getri_kernel_smallILi12EdPKPdEEvT1_iilPiilS6_bb: ; @_ZN9rocsolver6v33100L18getri_kernel_smallILi12EdPKPdEEvT1_iilPiilS6_bb
; %bb.0:
	s_mov_b32 s2, exec_lo
	v_cmpx_gt_u32_e32 12, v0
	s_cbranch_execz .LBB75_16
; %bb.1:
	s_clause 0x1
	s_load_b32 s6, s[0:1], 0x38
	s_load_b64 s[2:3], s[0:1], 0x0
	s_getreg_b32 s7, hwreg(HW_REG_IB_STS2, 6, 4)
	s_load_b128 s[12:15], s[0:1], 0x28
                                        ; implicit-def: $sgpr16_sgpr17
	s_wait_kmcnt 0x0
	s_bitcmp1_b32 s6, 8
	s_cselect_b32 s20, -1, 0
	s_bfe_u32 s4, ttmp6, 0x4000c
	s_and_b32 s5, ttmp6, 15
	s_add_co_i32 s4, s4, 1
	s_delay_alu instid0(SALU_CYCLE_1) | instskip(NEXT) | instid1(SALU_CYCLE_1)
	s_mul_i32 s4, ttmp9, s4
	s_add_co_i32 s5, s5, s4
	s_cmp_eq_u32 s7, 0
	s_cselect_b32 s18, ttmp9, s5
	s_delay_alu instid0(SALU_CYCLE_1) | instskip(NEXT) | instid1(SALU_CYCLE_1)
	s_ashr_i32 s19, s18, 31
	s_lshl_b64 s[4:5], s[18:19], 3
	s_delay_alu instid0(SALU_CYCLE_1)
	s_add_nc_u64 s[2:3], s[2:3], s[4:5]
	s_bfe_u32 s4, s6, 0x10008
	s_load_b64 s[2:3], s[2:3], 0x0
	s_cmp_eq_u32 s4, 0
	s_cbranch_scc1 .LBB75_3
; %bb.2:
	s_load_b96 s[4:6], s[0:1], 0x18
	s_mul_u64 s[8:9], s[12:13], s[18:19]
	s_delay_alu instid0(SALU_CYCLE_1) | instskip(SKIP_4) | instid1(SALU_CYCLE_1)
	s_lshl_b64 s[8:9], s[8:9], 2
	s_wait_kmcnt 0x0
	s_ashr_i32 s7, s6, 31
	s_add_nc_u64 s[4:5], s[4:5], s[8:9]
	s_lshl_b64 s[6:7], s[6:7], 2
	s_add_nc_u64 s[16:17], s[4:5], s[6:7]
.LBB75_3:
	s_clause 0x1
	s_load_b64 s[4:5], s[0:1], 0x8
	s_load_b32 s6, s[0:1], 0x38
	v_dual_mov_b32 v1, 0 :: v_dual_lshlrev_b32 v26, 3, v0
	s_delay_alu instid0(VALU_DEP_1) | instskip(SKIP_4) | instid1(SALU_CYCLE_1)
	v_mov_b32_e32 v27, v1
	s_wait_kmcnt 0x0
	v_add3_u32 v56, s5, s5, v0
	s_ashr_i32 s1, s4, 31
	s_mov_b32 s0, s4
	s_lshl_b64 s[0:1], s[0:1], 3
	s_delay_alu instid0(VALU_DEP_1)
	v_add_nc_u32_e32 v60, s5, v56
	s_add_nc_u64 s[12:13], s[2:3], s[0:1]
	s_ashr_i32 s1, s5, 31
	s_mov_b32 s0, s5
	s_bitcmp0_b32 s6, 0
	v_add_nc_u32_e32 v62, s5, v60
	v_add_nc_u64_e32 v[58:59], s[12:13], v[26:27]
	s_delay_alu instid0(VALU_DEP_2) | instskip(NEXT) | instid1(VALU_DEP_2)
	v_add_nc_u32_e32 v64, s5, v62
	v_lshl_add_u64 v[66:67], s[0:1], 3, v[58:59]
	s_mov_b32 s0, -1
	s_delay_alu instid0(VALU_DEP_2)
	v_add_nc_u32_e32 v68, s5, v64
	s_clause 0x4
	flat_load_b64 v[4:5], v[66:67]
	flat_load_b64 v[6:7], v56, s[12:13] scale_offset
	flat_load_b64 v[8:9], v60, s[12:13] scale_offset
	;; [unrolled: 1-line block ×4, first 2 shown]
	v_add_nc_u32_e32 v70, s5, v68
	s_delay_alu instid0(VALU_DEP_1) | instskip(NEXT) | instid1(VALU_DEP_1)
	v_add_nc_u32_e32 v72, s5, v70
	v_add_nc_u32_e32 v74, s5, v72
	s_delay_alu instid0(VALU_DEP_1) | instskip(NEXT) | instid1(VALU_DEP_1)
	v_add_nc_u32_e32 v76, s5, v74
	v_add_nc_u32_e32 v78, s5, v76
	s_clause 0x6
	flat_load_b64 v[14:15], v68, s[12:13] scale_offset
	flat_load_b64 v[16:17], v70, s[12:13] scale_offset
	;; [unrolled: 1-line block ×7, first 2 shown]
	s_cbranch_scc1 .LBB75_14
; %bb.4:
	v_cmp_eq_u32_e64 s0, 0, v0
	s_wait_xcnt 0x0
	s_and_saveexec_b32 s1, s0
; %bb.5:
	v_mov_b32_e32 v27, 0
	ds_store_b32 v27, v27 offset:192
; %bb.6:
	s_or_b32 exec_lo, exec_lo, s1
	v_cmp_eq_u32_e32 vcc_lo, 1, v0
	s_mov_b32 s2, exec_lo
	s_wait_loadcnt_dscnt 0x0
	s_barrier_signal -1
	s_barrier_wait -1
	v_dual_cndmask_b32 v27, v3, v5 :: v_dual_cndmask_b32 v28, v2, v4
	v_cmp_eq_u32_e32 vcc_lo, 2, v0
	s_delay_alu instid0(VALU_DEP_2) | instskip(SKIP_1) | instid1(VALU_DEP_2)
	v_dual_cndmask_b32 v27, v27, v7 :: v_dual_cndmask_b32 v28, v28, v6
	v_cmp_eq_u32_e32 vcc_lo, 3, v0
	v_dual_cndmask_b32 v27, v27, v9 :: v_dual_cndmask_b32 v28, v28, v8
	v_cmp_eq_u32_e32 vcc_lo, 4, v0
	s_delay_alu instid0(VALU_DEP_2) | instskip(SKIP_1) | instid1(VALU_DEP_2)
	v_dual_cndmask_b32 v27, v27, v11 :: v_dual_cndmask_b32 v28, v28, v10
	v_cmp_eq_u32_e32 vcc_lo, 5, v0
	;; [unrolled: 5-line block ×5, first 2 shown]
	v_dual_cndmask_b32 v29, v27, v25 :: v_dual_cndmask_b32 v28, v28, v24
	s_delay_alu instid0(VALU_DEP_1)
	v_cmpx_eq_f64_e32 0, v[28:29]
	s_cbranch_execz .LBB75_10
; %bb.7:
	v_mov_b32_e32 v27, 0
	s_mov_b32 s3, 0
	ds_load_b32 v30, v27 offset:192
	s_wait_dscnt 0x0
	v_readfirstlane_b32 s1, v30
	v_add_nc_u32_e32 v30, 1, v0
	s_cmp_eq_u32 s1, 0
	s_delay_alu instid0(VALU_DEP_1) | instskip(SKIP_1) | instid1(SALU_CYCLE_1)
	v_cmp_gt_i32_e32 vcc_lo, s1, v30
	s_cselect_b32 s4, -1, 0
	s_or_b32 s4, s4, vcc_lo
	s_delay_alu instid0(SALU_CYCLE_1)
	s_and_b32 exec_lo, exec_lo, s4
	s_cbranch_execz .LBB75_10
; %bb.8:
	v_mov_b32_e32 v31, s1
.LBB75_9:                               ; =>This Inner Loop Header: Depth=1
	ds_cmpstore_rtn_b32 v31, v27, v30, v31 offset:192
	s_wait_dscnt 0x0
	v_cmp_ne_u32_e32 vcc_lo, 0, v31
	v_cmp_le_i32_e64 s1, v31, v30
	s_and_b32 s1, vcc_lo, s1
	s_delay_alu instid0(SALU_CYCLE_1) | instskip(NEXT) | instid1(SALU_CYCLE_1)
	s_and_b32 s1, exec_lo, s1
	s_or_b32 s3, s1, s3
	s_delay_alu instid0(SALU_CYCLE_1)
	s_and_not1_b32 exec_lo, exec_lo, s3
	s_cbranch_execnz .LBB75_9
.LBB75_10:
	s_or_b32 exec_lo, exec_lo, s2
	v_mov_b32_e32 v27, 0
	s_barrier_signal -1
	s_barrier_wait -1
	ds_load_b32 v30, v27 offset:192
	s_and_saveexec_b32 s1, s0
	s_cbranch_execz .LBB75_12
; %bb.11:
	s_lshl_b64 s[2:3], s[18:19], 2
	s_delay_alu instid0(SALU_CYCLE_1)
	s_add_nc_u64 s[2:3], s[14:15], s[2:3]
	s_wait_dscnt 0x0
	global_store_b32 v27, v30, s[2:3]
.LBB75_12:
	s_wait_xcnt 0x0
	s_or_b32 exec_lo, exec_lo, s1
	s_wait_dscnt 0x0
	v_cmp_ne_u32_e32 vcc_lo, 0, v30
	s_cbranch_vccz .LBB75_17
; %bb.13:
	s_mov_b32 s0, 0
                                        ; implicit-def: $vgpr2_vgpr3_vgpr4_vgpr5_vgpr6_vgpr7_vgpr8_vgpr9_vgpr10_vgpr11_vgpr12_vgpr13_vgpr14_vgpr15_vgpr16_vgpr17_vgpr18_vgpr19_vgpr20_vgpr21_vgpr22_vgpr23_vgpr24_vgpr25_vgpr26_vgpr27_vgpr28_vgpr29_vgpr30_vgpr31_vgpr32_vgpr33
.LBB75_14:
	s_delay_alu instid0(SALU_CYCLE_1)
	s_and_b32 vcc_lo, exec_lo, s0
	s_cbranch_vccz .LBB75_16
.LBB75_15:
	v_mov_b32_e32 v1, 0
	s_lshl_b64 s[0:1], s[18:19], 2
	s_delay_alu instid0(SALU_CYCLE_1)
	s_add_nc_u64 s[0:1], s[14:15], s[0:1]
	global_load_b32 v1, v1, s[0:1]
	s_wait_loadcnt 0x0
	v_cmp_ne_u32_e32 vcc_lo, 0, v1
	s_cbranch_vccz .LBB75_72
.LBB75_16:
	s_sendmsg sendmsg(MSG_DEALLOC_VGPRS)
	s_endpgm
.LBB75_17:
	v_div_scale_f64 v[30:31], null, v[28:29], v[28:29], 1.0
	v_div_scale_f64 v[36:37], vcc_lo, 1.0, v[28:29], 1.0
	v_cmp_eq_u32_e64 s1, 10, v0
	v_cmp_eq_u32_e64 s2, 9, v0
	;; [unrolled: 1-line block ×11, first 2 shown]
	v_rcp_f64_e32 v[32:33], v[30:31]
	v_nop
	s_delay_alu instid0(TRANS32_DEP_1) | instskip(NEXT) | instid1(VALU_DEP_1)
	v_fma_f64 v[34:35], -v[30:31], v[32:33], 1.0
	v_fmac_f64_e32 v[32:33], v[32:33], v[34:35]
	s_delay_alu instid0(VALU_DEP_1) | instskip(NEXT) | instid1(VALU_DEP_1)
	v_fma_f64 v[34:35], -v[30:31], v[32:33], 1.0
	v_fmac_f64_e32 v[32:33], v[32:33], v[34:35]
	s_delay_alu instid0(VALU_DEP_1) | instskip(NEXT) | instid1(VALU_DEP_1)
	v_mul_f64_e32 v[34:35], v[36:37], v[32:33]
	v_fma_f64 v[30:31], -v[30:31], v[34:35], v[36:37]
	s_delay_alu instid0(VALU_DEP_1) | instskip(SKIP_1) | instid1(VALU_DEP_2)
	v_div_fmas_f64 v[30:31], v[30:31], v[32:33], v[34:35]
	v_cmp_eq_u32_e32 vcc_lo, 11, v0
	v_div_fixup_f64 v[28:29], v[30:31], v[28:29], 1.0
	s_delay_alu instid0(VALU_DEP_1) | instskip(NEXT) | instid1(VALU_DEP_2)
	v_dual_cndmask_b32 v25, v25, v29 :: v_dual_add_nc_u32 v30, 0x60, v26
	v_dual_cndmask_b32 v24, v24, v28, vcc_lo :: v_dual_cndmask_b32 v23, v23, v29, s1
	v_dual_cndmask_b32 v22, v22, v28, s1 :: v_dual_cndmask_b32 v21, v21, v29, s2
	v_dual_cndmask_b32 v20, v20, v28, s2 :: v_dual_cndmask_b32 v19, v19, v29, s3
	;; [unrolled: 1-line block ×9, first 2 shown]
	v_xor_b32_e32 v33, 0x80000000, v29
	v_dual_mov_b32 v32, v28 :: v_dual_cndmask_b32 v6, v6, v28, s9
	v_dual_cndmask_b32 v3, v3, v29, s11 :: v_dual_cndmask_b32 v2, v2, v28, s11
	ds_store_2addr_b64 v26, v[32:33], v[4:5] offset1:12
	s_wait_storecnt_dscnt 0x0
	s_barrier_signal -1
	s_barrier_wait -1
	s_and_saveexec_b32 s1, s0
	s_cbranch_execz .LBB75_19
; %bb.18:
	ds_load_b64 v[4:5], v30
	v_mov_b32_e32 v26, 0
	ds_load_b64 v[26:27], v26 offset:8
	s_wait_dscnt 0x1
	v_fma_f64 v[4:5], v[28:29], v[4:5], 0
	s_wait_dscnt 0x0
	s_delay_alu instid0(VALU_DEP_1)
	v_mul_f64_e32 v[4:5], v[4:5], v[26:27]
.LBB75_19:
	s_or_b32 exec_lo, exec_lo, s1
	v_cmp_gt_u32_e32 vcc_lo, 2, v0
	s_barrier_signal -1
	s_barrier_wait -1
	ds_store_b64 v30, v[6:7]
	s_wait_dscnt 0x0
	s_barrier_signal -1
	s_barrier_wait -1
	s_and_saveexec_b32 s3, vcc_lo
	s_cbranch_execz .LBB75_23
; %bb.20:
	v_cmp_eq_u32_e64 s1, 1, v0
	v_cmp_eq_u32_e64 s2, 9, v0
	s_delay_alu instid0(VALU_DEP_2) | instskip(SKIP_1) | instid1(VALU_DEP_1)
	v_dual_cndmask_b32 v26, v3, v5, s1 :: v_dual_cndmask_b32 v27, v2, v4, s1
	v_cmp_eq_u32_e64 s1, 2, v0
	v_dual_cndmask_b32 v7, v26, v7, s1 :: v_dual_cndmask_b32 v6, v27, v6, s1
	v_cmp_eq_u32_e64 s1, 3, v0
	s_delay_alu instid0(VALU_DEP_1) | instskip(SKIP_1) | instid1(VALU_DEP_1)
	v_dual_cndmask_b32 v7, v7, v9, s1 :: v_dual_cndmask_b32 v6, v6, v8, s1
	v_cmp_eq_u32_e64 s1, 4, v0
	v_dual_cndmask_b32 v7, v7, v11, s1 :: v_dual_cndmask_b32 v6, v6, v10, s1
	v_cmp_eq_u32_e64 s1, 5, v0
	s_delay_alu instid0(VALU_DEP_1) | instskip(SKIP_1) | instid1(VALU_DEP_1)
	;; [unrolled: 5-line block ×3, first 2 shown]
	v_dual_cndmask_b32 v7, v7, v17, s1 :: v_dual_cndmask_b32 v6, v6, v16, s1
	v_cmp_eq_u32_e64 s1, 8, v0
	v_dual_cndmask_b32 v26, v7, v19, s1 :: v_dual_cndmask_b32 v27, v6, v18, s1
	ds_load_b64 v[6:7], v30
	v_cmp_eq_u32_e64 s1, 10, v0
	v_dual_cndmask_b32 v26, v26, v21, s2 :: v_dual_cndmask_b32 v27, v27, v20, s2
	s_delay_alu instid0(VALU_DEP_1) | instskip(SKIP_1) | instid1(VALU_DEP_1)
	v_dual_cndmask_b32 v26, v26, v23, s1 :: v_dual_cndmask_b32 v28, v27, v22, s1
	v_cmp_eq_u32_e64 s1, 11, v0
	v_dual_cndmask_b32 v27, v26, v25, s1 :: v_dual_cndmask_b32 v26, v28, v24, s1
	s_wait_dscnt 0x0
	s_delay_alu instid0(VALU_DEP_1)
	v_fma_f64 v[6:7], v[26:27], v[6:7], 0
	s_and_saveexec_b32 s1, s0
	s_cbranch_execz .LBB75_22
; %bb.21:
	v_mov_b32_e32 v26, 0
	ds_load_b64 v[26:27], v26 offset:104
	s_wait_dscnt 0x0
	v_fmac_f64_e32 v[6:7], v[4:5], v[26:27]
.LBB75_22:
	s_or_b32 exec_lo, exec_lo, s1
	v_mov_b32_e32 v26, 0
	ds_load_b64 v[26:27], v26 offset:16
	s_wait_dscnt 0x0
	v_mul_f64_e32 v[6:7], v[6:7], v[26:27]
.LBB75_23:
	s_or_b32 exec_lo, exec_lo, s3
	s_delay_alu instid0(SALU_CYCLE_1)
	s_mov_b32 s3, exec_lo
	s_barrier_signal -1
	s_barrier_wait -1
	ds_store_b64 v30, v[8:9]
	s_wait_dscnt 0x0
	s_barrier_signal -1
	s_barrier_wait -1
	v_cmpx_gt_u32_e32 3, v0
	s_cbranch_execz .LBB75_27
; %bb.24:
	v_mov_b64_e32 v[26:27], 0
	v_mov_b64_e32 v[28:29], v[0:1]
	v_lshl_add_u32 v31, v0, 3, 0x60
	s_mov_b32 s4, 0
.LBB75_25:                              ; =>This Inner Loop Header: Depth=1
	s_delay_alu instid0(VALU_DEP_2) | instskip(SKIP_1) | instid1(VALU_DEP_2)
	v_cmp_eq_u32_e64 s1, 1, v28
	v_cmp_eq_u32_e64 s2, 2, v28
	v_dual_cndmask_b32 v32, v3, v5, s1 :: v_dual_cndmask_b32 v33, v2, v4, s1
	v_cmp_eq_u32_e64 s1, 3, v28
	s_delay_alu instid0(VALU_DEP_2) | instskip(SKIP_1) | instid1(VALU_DEP_2)
	v_dual_cndmask_b32 v32, v32, v7, s2 :: v_dual_cndmask_b32 v33, v33, v6, s2
	v_cmp_eq_u32_e64 s2, 4, v28
	v_dual_cndmask_b32 v32, v32, v9, s1 :: v_dual_cndmask_b32 v33, v33, v8, s1
	v_cmp_eq_u32_e64 s1, 5, v28
	s_delay_alu instid0(VALU_DEP_2) | instskip(SKIP_1) | instid1(VALU_DEP_2)
	v_dual_cndmask_b32 v32, v32, v11, s2 :: v_dual_cndmask_b32 v33, v33, v10, s2
	v_cmp_eq_u32_e64 s2, 6, v28
	v_dual_cndmask_b32 v32, v32, v13, s1 :: v_dual_cndmask_b32 v33, v33, v12, s1
	v_cmp_eq_u32_e64 s1, 7, v28
	s_delay_alu instid0(VALU_DEP_2) | instskip(SKIP_1) | instid1(VALU_DEP_2)
	v_dual_cndmask_b32 v32, v32, v15, s2 :: v_dual_cndmask_b32 v33, v33, v14, s2
	v_cmp_eq_u32_e64 s2, 8, v28
	v_dual_cndmask_b32 v34, v32, v17, s1 :: v_dual_cndmask_b32 v35, v33, v16, s1
	ds_load_b64 v[32:33], v31
	v_cmp_eq_u32_e64 s1, 9, v28
	v_add_nc_u32_e32 v31, 8, v31
	v_dual_cndmask_b32 v34, v34, v19, s2 :: v_dual_cndmask_b32 v35, v35, v18, s2
	v_cmp_eq_u32_e64 s2, 10, v28
	s_delay_alu instid0(VALU_DEP_2) | instskip(SKIP_2) | instid1(VALU_DEP_3)
	v_dual_cndmask_b32 v34, v34, v21, s1 :: v_dual_cndmask_b32 v35, v35, v20, s1
	v_cmp_eq_u32_e64 s1, 11, v28
	v_add_nc_u64_e32 v[28:29], 1, v[28:29]
	v_dual_cndmask_b32 v34, v34, v23, s2 :: v_dual_cndmask_b32 v36, v35, v22, s2
	s_delay_alu instid0(VALU_DEP_1) | instskip(SKIP_1) | instid1(VALU_DEP_1)
	v_dual_cndmask_b32 v35, v34, v25, s1 :: v_dual_cndmask_b32 v34, v36, v24, s1
	s_wait_dscnt 0x0
	v_fmac_f64_e32 v[26:27], v[34:35], v[32:33]
	s_delay_alu instid0(VALU_DEP_4) | instskip(NEXT) | instid1(VALU_DEP_1)
	v_add_nc_u32_e32 v32, -1, v28
	v_cmp_lt_u32_e64 s1, 1, v32
	s_or_b32 s4, s1, s4
	s_delay_alu instid0(SALU_CYCLE_1)
	s_and_not1_b32 exec_lo, exec_lo, s4
	s_cbranch_execnz .LBB75_25
; %bb.26:
	s_or_b32 exec_lo, exec_lo, s4
	v_mov_b32_e32 v8, 0
	ds_load_b64 v[8:9], v8 offset:24
	s_wait_dscnt 0x0
	v_mul_f64_e32 v[8:9], v[26:27], v[8:9]
.LBB75_27:
	s_or_b32 exec_lo, exec_lo, s3
	v_cmp_gt_u32_e64 s1, 4, v0
	s_barrier_signal -1
	s_barrier_wait -1
	ds_store_b64 v30, v[10:11]
	s_wait_dscnt 0x0
	s_barrier_signal -1
	s_barrier_wait -1
	s_and_saveexec_b32 s4, s1
	s_cbranch_execz .LBB75_31
; %bb.28:
	v_mov_b64_e32 v[26:27], 0
	v_mov_b64_e32 v[28:29], v[0:1]
	v_lshl_add_u32 v31, v0, 3, 0x60
	s_mov_b32 s5, 0
.LBB75_29:                              ; =>This Inner Loop Header: Depth=1
	s_delay_alu instid0(VALU_DEP_2) | instskip(SKIP_1) | instid1(VALU_DEP_2)
	v_cmp_eq_u32_e64 s2, 1, v28
	v_cmp_eq_u32_e64 s3, 2, v28
	v_dual_cndmask_b32 v32, v3, v5, s2 :: v_dual_cndmask_b32 v33, v2, v4, s2
	v_cmp_eq_u32_e64 s2, 3, v28
	s_delay_alu instid0(VALU_DEP_2) | instskip(SKIP_1) | instid1(VALU_DEP_2)
	v_dual_cndmask_b32 v32, v32, v7, s3 :: v_dual_cndmask_b32 v33, v33, v6, s3
	v_cmp_eq_u32_e64 s3, 4, v28
	v_dual_cndmask_b32 v32, v32, v9, s2 :: v_dual_cndmask_b32 v33, v33, v8, s2
	v_cmp_eq_u32_e64 s2, 5, v28
	s_delay_alu instid0(VALU_DEP_2) | instskip(SKIP_1) | instid1(VALU_DEP_2)
	v_dual_cndmask_b32 v32, v32, v11, s3 :: v_dual_cndmask_b32 v33, v33, v10, s3
	;; [unrolled: 5-line block ×3, first 2 shown]
	v_cmp_eq_u32_e64 s3, 8, v28
	v_dual_cndmask_b32 v34, v32, v17, s2 :: v_dual_cndmask_b32 v35, v33, v16, s2
	ds_load_b64 v[32:33], v31
	v_cmp_eq_u32_e64 s2, 9, v28
	v_add_nc_u32_e32 v31, 8, v31
	v_dual_cndmask_b32 v34, v34, v19, s3 :: v_dual_cndmask_b32 v35, v35, v18, s3
	v_cmp_eq_u32_e64 s3, 10, v28
	s_delay_alu instid0(VALU_DEP_2) | instskip(SKIP_2) | instid1(VALU_DEP_3)
	v_dual_cndmask_b32 v34, v34, v21, s2 :: v_dual_cndmask_b32 v35, v35, v20, s2
	v_cmp_eq_u32_e64 s2, 11, v28
	v_add_nc_u64_e32 v[28:29], 1, v[28:29]
	v_dual_cndmask_b32 v34, v34, v23, s3 :: v_dual_cndmask_b32 v36, v35, v22, s3
	s_delay_alu instid0(VALU_DEP_1) | instskip(SKIP_1) | instid1(VALU_DEP_1)
	v_dual_cndmask_b32 v35, v34, v25, s2 :: v_dual_cndmask_b32 v34, v36, v24, s2
	s_wait_dscnt 0x0
	v_fmac_f64_e32 v[26:27], v[34:35], v[32:33]
	s_delay_alu instid0(VALU_DEP_4) | instskip(NEXT) | instid1(VALU_DEP_1)
	v_add_nc_u32_e32 v32, -1, v28
	v_cmp_lt_u32_e64 s2, 2, v32
	s_or_b32 s5, s2, s5
	s_delay_alu instid0(SALU_CYCLE_1)
	s_and_not1_b32 exec_lo, exec_lo, s5
	s_cbranch_execnz .LBB75_29
; %bb.30:
	s_or_b32 exec_lo, exec_lo, s5
	v_mov_b32_e32 v10, 0
	ds_load_b64 v[10:11], v10 offset:32
	s_wait_dscnt 0x0
	v_mul_f64_e32 v[10:11], v[26:27], v[10:11]
.LBB75_31:
	s_or_b32 exec_lo, exec_lo, s4
	s_delay_alu instid0(SALU_CYCLE_1)
	s_mov_b32 s4, exec_lo
	s_barrier_signal -1
	s_barrier_wait -1
	ds_store_b64 v30, v[12:13]
	s_wait_dscnt 0x0
	s_barrier_signal -1
	s_barrier_wait -1
	v_cmpx_gt_u32_e32 5, v0
	s_cbranch_execz .LBB75_35
; %bb.32:
	v_mov_b64_e32 v[26:27], 0
	v_mov_b64_e32 v[28:29], v[0:1]
	v_lshl_add_u32 v31, v0, 3, 0x60
	s_mov_b32 s5, 0
.LBB75_33:                              ; =>This Inner Loop Header: Depth=1
	s_delay_alu instid0(VALU_DEP_2) | instskip(SKIP_1) | instid1(VALU_DEP_2)
	v_cmp_eq_u32_e64 s2, 1, v28
	v_cmp_eq_u32_e64 s3, 2, v28
	v_dual_cndmask_b32 v32, v3, v5, s2 :: v_dual_cndmask_b32 v33, v2, v4, s2
	v_cmp_eq_u32_e64 s2, 3, v28
	s_delay_alu instid0(VALU_DEP_2) | instskip(SKIP_1) | instid1(VALU_DEP_2)
	v_dual_cndmask_b32 v32, v32, v7, s3 :: v_dual_cndmask_b32 v33, v33, v6, s3
	v_cmp_eq_u32_e64 s3, 4, v28
	v_dual_cndmask_b32 v32, v32, v9, s2 :: v_dual_cndmask_b32 v33, v33, v8, s2
	v_cmp_eq_u32_e64 s2, 5, v28
	s_delay_alu instid0(VALU_DEP_2) | instskip(SKIP_1) | instid1(VALU_DEP_2)
	v_dual_cndmask_b32 v32, v32, v11, s3 :: v_dual_cndmask_b32 v33, v33, v10, s3
	;; [unrolled: 5-line block ×3, first 2 shown]
	v_cmp_eq_u32_e64 s3, 8, v28
	v_dual_cndmask_b32 v34, v32, v17, s2 :: v_dual_cndmask_b32 v35, v33, v16, s2
	ds_load_b64 v[32:33], v31
	v_cmp_eq_u32_e64 s2, 9, v28
	v_add_nc_u32_e32 v31, 8, v31
	v_dual_cndmask_b32 v34, v34, v19, s3 :: v_dual_cndmask_b32 v35, v35, v18, s3
	v_cmp_eq_u32_e64 s3, 10, v28
	s_delay_alu instid0(VALU_DEP_2) | instskip(SKIP_2) | instid1(VALU_DEP_3)
	v_dual_cndmask_b32 v34, v34, v21, s2 :: v_dual_cndmask_b32 v35, v35, v20, s2
	v_cmp_eq_u32_e64 s2, 11, v28
	v_add_nc_u64_e32 v[28:29], 1, v[28:29]
	v_dual_cndmask_b32 v34, v34, v23, s3 :: v_dual_cndmask_b32 v36, v35, v22, s3
	s_delay_alu instid0(VALU_DEP_1) | instskip(SKIP_1) | instid1(VALU_DEP_1)
	v_dual_cndmask_b32 v35, v34, v25, s2 :: v_dual_cndmask_b32 v34, v36, v24, s2
	s_wait_dscnt 0x0
	v_fmac_f64_e32 v[26:27], v[34:35], v[32:33]
	s_delay_alu instid0(VALU_DEP_4) | instskip(NEXT) | instid1(VALU_DEP_1)
	v_add_nc_u32_e32 v32, -1, v28
	v_cmp_lt_u32_e64 s2, 3, v32
	s_or_b32 s5, s2, s5
	s_delay_alu instid0(SALU_CYCLE_1)
	s_and_not1_b32 exec_lo, exec_lo, s5
	s_cbranch_execnz .LBB75_33
; %bb.34:
	s_or_b32 exec_lo, exec_lo, s5
	v_mov_b32_e32 v12, 0
	ds_load_b64 v[12:13], v12 offset:40
	s_wait_dscnt 0x0
	v_mul_f64_e32 v[12:13], v[26:27], v[12:13]
.LBB75_35:
	s_or_b32 exec_lo, exec_lo, s4
	v_cmp_gt_u32_e64 s2, 6, v0
	s_barrier_signal -1
	s_barrier_wait -1
	ds_store_b64 v30, v[14:15]
	s_wait_dscnt 0x0
	s_barrier_signal -1
	s_barrier_wait -1
	s_and_saveexec_b32 s5, s2
	s_cbranch_execz .LBB75_39
; %bb.36:
	v_mov_b64_e32 v[26:27], 0
	v_mov_b64_e32 v[28:29], v[0:1]
	v_lshl_add_u32 v31, v0, 3, 0x60
	s_mov_b32 s6, 0
.LBB75_37:                              ; =>This Inner Loop Header: Depth=1
	s_delay_alu instid0(VALU_DEP_2) | instskip(SKIP_1) | instid1(VALU_DEP_2)
	v_cmp_eq_u32_e64 s3, 1, v28
	v_cmp_eq_u32_e64 s4, 2, v28
	v_dual_cndmask_b32 v32, v3, v5, s3 :: v_dual_cndmask_b32 v33, v2, v4, s3
	v_cmp_eq_u32_e64 s3, 3, v28
	s_delay_alu instid0(VALU_DEP_2) | instskip(SKIP_1) | instid1(VALU_DEP_2)
	v_dual_cndmask_b32 v32, v32, v7, s4 :: v_dual_cndmask_b32 v33, v33, v6, s4
	v_cmp_eq_u32_e64 s4, 4, v28
	v_dual_cndmask_b32 v32, v32, v9, s3 :: v_dual_cndmask_b32 v33, v33, v8, s3
	v_cmp_eq_u32_e64 s3, 5, v28
	s_delay_alu instid0(VALU_DEP_2) | instskip(SKIP_1) | instid1(VALU_DEP_2)
	v_dual_cndmask_b32 v32, v32, v11, s4 :: v_dual_cndmask_b32 v33, v33, v10, s4
	;; [unrolled: 5-line block ×3, first 2 shown]
	v_cmp_eq_u32_e64 s4, 8, v28
	v_dual_cndmask_b32 v34, v32, v17, s3 :: v_dual_cndmask_b32 v35, v33, v16, s3
	ds_load_b64 v[32:33], v31
	v_cmp_eq_u32_e64 s3, 9, v28
	v_add_nc_u32_e32 v31, 8, v31
	v_dual_cndmask_b32 v34, v34, v19, s4 :: v_dual_cndmask_b32 v35, v35, v18, s4
	v_cmp_eq_u32_e64 s4, 10, v28
	s_delay_alu instid0(VALU_DEP_2) | instskip(SKIP_2) | instid1(VALU_DEP_3)
	v_dual_cndmask_b32 v34, v34, v21, s3 :: v_dual_cndmask_b32 v35, v35, v20, s3
	v_cmp_eq_u32_e64 s3, 11, v28
	v_add_nc_u64_e32 v[28:29], 1, v[28:29]
	v_dual_cndmask_b32 v34, v34, v23, s4 :: v_dual_cndmask_b32 v36, v35, v22, s4
	s_delay_alu instid0(VALU_DEP_1) | instskip(SKIP_1) | instid1(VALU_DEP_1)
	v_dual_cndmask_b32 v35, v34, v25, s3 :: v_dual_cndmask_b32 v34, v36, v24, s3
	s_wait_dscnt 0x0
	v_fmac_f64_e32 v[26:27], v[34:35], v[32:33]
	s_delay_alu instid0(VALU_DEP_4) | instskip(NEXT) | instid1(VALU_DEP_1)
	v_add_nc_u32_e32 v32, -1, v28
	v_cmp_lt_u32_e64 s3, 4, v32
	s_or_b32 s6, s3, s6
	s_delay_alu instid0(SALU_CYCLE_1)
	s_and_not1_b32 exec_lo, exec_lo, s6
	s_cbranch_execnz .LBB75_37
; %bb.38:
	s_or_b32 exec_lo, exec_lo, s6
	v_mov_b32_e32 v14, 0
	ds_load_b64 v[14:15], v14 offset:48
	s_wait_dscnt 0x0
	v_mul_f64_e32 v[14:15], v[26:27], v[14:15]
.LBB75_39:
	s_or_b32 exec_lo, exec_lo, s5
	s_delay_alu instid0(SALU_CYCLE_1)
	s_mov_b32 s5, exec_lo
	s_barrier_signal -1
	s_barrier_wait -1
	ds_store_b64 v30, v[16:17]
	s_wait_dscnt 0x0
	s_barrier_signal -1
	s_barrier_wait -1
	v_cmpx_gt_u32_e32 7, v0
	s_cbranch_execz .LBB75_43
; %bb.40:
	v_mov_b64_e32 v[26:27], 0
	v_mov_b64_e32 v[28:29], v[0:1]
	v_lshl_add_u32 v31, v0, 3, 0x60
	s_mov_b32 s6, 0
.LBB75_41:                              ; =>This Inner Loop Header: Depth=1
	s_delay_alu instid0(VALU_DEP_2) | instskip(SKIP_1) | instid1(VALU_DEP_2)
	v_cmp_eq_u32_e64 s3, 1, v28
	v_cmp_eq_u32_e64 s4, 2, v28
	v_dual_cndmask_b32 v32, v3, v5, s3 :: v_dual_cndmask_b32 v33, v2, v4, s3
	v_cmp_eq_u32_e64 s3, 3, v28
	s_delay_alu instid0(VALU_DEP_2) | instskip(SKIP_1) | instid1(VALU_DEP_2)
	v_dual_cndmask_b32 v32, v32, v7, s4 :: v_dual_cndmask_b32 v33, v33, v6, s4
	v_cmp_eq_u32_e64 s4, 4, v28
	v_dual_cndmask_b32 v32, v32, v9, s3 :: v_dual_cndmask_b32 v33, v33, v8, s3
	v_cmp_eq_u32_e64 s3, 5, v28
	s_delay_alu instid0(VALU_DEP_2) | instskip(SKIP_1) | instid1(VALU_DEP_2)
	v_dual_cndmask_b32 v32, v32, v11, s4 :: v_dual_cndmask_b32 v33, v33, v10, s4
	;; [unrolled: 5-line block ×3, first 2 shown]
	v_cmp_eq_u32_e64 s4, 8, v28
	v_dual_cndmask_b32 v34, v32, v17, s3 :: v_dual_cndmask_b32 v35, v33, v16, s3
	ds_load_b64 v[32:33], v31
	v_cmp_eq_u32_e64 s3, 9, v28
	v_add_nc_u32_e32 v31, 8, v31
	v_dual_cndmask_b32 v34, v34, v19, s4 :: v_dual_cndmask_b32 v35, v35, v18, s4
	v_cmp_eq_u32_e64 s4, 10, v28
	s_delay_alu instid0(VALU_DEP_2) | instskip(SKIP_2) | instid1(VALU_DEP_3)
	v_dual_cndmask_b32 v34, v34, v21, s3 :: v_dual_cndmask_b32 v35, v35, v20, s3
	v_cmp_eq_u32_e64 s3, 11, v28
	v_add_nc_u64_e32 v[28:29], 1, v[28:29]
	v_dual_cndmask_b32 v34, v34, v23, s4 :: v_dual_cndmask_b32 v36, v35, v22, s4
	s_delay_alu instid0(VALU_DEP_1) | instskip(SKIP_1) | instid1(VALU_DEP_1)
	v_dual_cndmask_b32 v35, v34, v25, s3 :: v_dual_cndmask_b32 v34, v36, v24, s3
	s_wait_dscnt 0x0
	v_fmac_f64_e32 v[26:27], v[34:35], v[32:33]
	s_delay_alu instid0(VALU_DEP_4) | instskip(NEXT) | instid1(VALU_DEP_1)
	v_add_nc_u32_e32 v32, -1, v28
	v_cmp_lt_u32_e64 s3, 5, v32
	s_or_b32 s6, s3, s6
	s_delay_alu instid0(SALU_CYCLE_1)
	s_and_not1_b32 exec_lo, exec_lo, s6
	s_cbranch_execnz .LBB75_41
; %bb.42:
	s_or_b32 exec_lo, exec_lo, s6
	v_mov_b32_e32 v16, 0
	ds_load_b64 v[16:17], v16 offset:56
	s_wait_dscnt 0x0
	v_mul_f64_e32 v[16:17], v[26:27], v[16:17]
.LBB75_43:
	s_or_b32 exec_lo, exec_lo, s5
	s_delay_alu instid0(SALU_CYCLE_1)
	s_mov_b32 s5, exec_lo
	s_barrier_signal -1
	s_barrier_wait -1
	ds_store_b64 v30, v[18:19]
	s_wait_dscnt 0x0
	s_barrier_signal -1
	s_barrier_wait -1
	v_cmpx_gt_u32_e32 8, v0
	s_cbranch_execz .LBB75_59
; %bb.44:
	v_cmp_eq_u32_e64 s3, 1, v0
	v_cmp_eq_u32_e64 s4, 9, v0
	s_mov_b32 s6, exec_lo
	v_dual_cndmask_b32 v26, v3, v5, s3 :: v_dual_cndmask_b32 v27, v2, v4, s3
	v_cmp_eq_u32_e64 s3, 2, v0
	s_delay_alu instid0(VALU_DEP_1) | instskip(SKIP_1) | instid1(VALU_DEP_1)
	v_dual_cndmask_b32 v26, v26, v7, s3 :: v_dual_cndmask_b32 v27, v27, v6, s3
	v_cmp_eq_u32_e64 s3, 3, v0
	v_dual_cndmask_b32 v26, v26, v9, s3 :: v_dual_cndmask_b32 v27, v27, v8, s3
	v_cmp_eq_u32_e64 s3, 4, v0
	s_delay_alu instid0(VALU_DEP_1) | instskip(SKIP_1) | instid1(VALU_DEP_1)
	v_dual_cndmask_b32 v26, v26, v11, s3 :: v_dual_cndmask_b32 v27, v27, v10, s3
	v_cmp_eq_u32_e64 s3, 5, v0
	;; [unrolled: 5-line block ×3, first 2 shown]
	v_dual_cndmask_b32 v26, v26, v17, s3 :: v_dual_cndmask_b32 v27, v27, v16, s3
	v_cmp_eq_u32_e64 s3, 8, v0
	s_delay_alu instid0(VALU_DEP_1) | instskip(SKIP_3) | instid1(VALU_DEP_1)
	v_dual_cndmask_b32 v28, v26, v19, s3 :: v_dual_cndmask_b32 v29, v27, v18, s3
	ds_load_b64 v[26:27], v30
	v_cmp_eq_u32_e64 s3, 10, v0
	v_dual_cndmask_b32 v28, v28, v21, s4 :: v_dual_cndmask_b32 v29, v29, v20, s4
	v_dual_cndmask_b32 v28, v28, v23, s3 :: v_dual_cndmask_b32 v31, v29, v22, s3
	v_cmp_eq_u32_e64 s3, 11, v0
	s_delay_alu instid0(VALU_DEP_1) | instskip(SKIP_1) | instid1(VALU_DEP_1)
	v_dual_cndmask_b32 v29, v28, v25, s3 :: v_dual_cndmask_b32 v28, v31, v24, s3
	s_wait_dscnt 0x0
	v_fma_f64 v[26:27], v[28:29], v[26:27], 0
	v_cmpx_ne_u32_e32 7, v0
	s_cbranch_execz .LBB75_58
; %bb.45:
	v_add_nc_u32_e32 v31, 1, v0
	s_delay_alu instid0(VALU_DEP_1) | instskip(NEXT) | instid1(VALU_DEP_1)
	v_cmp_eq_u32_e64 s3, 1, v31
	v_dual_cndmask_b32 v28, v3, v5, s3 :: v_dual_cndmask_b32 v29, v2, v4, s3
	v_cmp_eq_u32_e64 s3, 2, v31
	v_cmp_eq_u32_e64 s4, 9, v31
	s_delay_alu instid0(VALU_DEP_2) | instskip(SKIP_1) | instid1(VALU_DEP_1)
	v_dual_cndmask_b32 v28, v28, v7, s3 :: v_dual_cndmask_b32 v29, v29, v6, s3
	v_cmp_eq_u32_e64 s3, 3, v31
	v_dual_cndmask_b32 v28, v28, v9, s3 :: v_dual_cndmask_b32 v29, v29, v8, s3
	v_cmp_eq_u32_e64 s3, 4, v31
	s_delay_alu instid0(VALU_DEP_1) | instskip(SKIP_1) | instid1(VALU_DEP_1)
	v_dual_cndmask_b32 v28, v28, v11, s3 :: v_dual_cndmask_b32 v29, v29, v10, s3
	v_cmp_eq_u32_e64 s3, 5, v31
	v_dual_cndmask_b32 v28, v28, v13, s3 :: v_dual_cndmask_b32 v29, v29, v12, s3
	v_cmp_eq_u32_e64 s3, 6, v31
	s_delay_alu instid0(VALU_DEP_1) | instskip(SKIP_1) | instid1(VALU_DEP_1)
	v_dual_cndmask_b32 v28, v28, v15, s3 :: v_dual_cndmask_b32 v29, v29, v14, s3
	v_cmp_eq_u32_e64 s3, 7, v31
	v_dual_cndmask_b32 v28, v28, v17, s3 :: v_dual_cndmask_b32 v29, v29, v16, s3
	v_cmp_eq_u32_e64 s3, 8, v31
	s_delay_alu instid0(VALU_DEP_1) | instskip(SKIP_3) | instid1(VALU_DEP_1)
	v_dual_cndmask_b32 v32, v28, v19, s3 :: v_dual_cndmask_b32 v33, v29, v18, s3
	ds_load_b64 v[28:29], v30 offset:8
	v_cmp_eq_u32_e64 s3, 10, v31
	v_dual_cndmask_b32 v32, v32, v21, s4 :: v_dual_cndmask_b32 v33, v33, v20, s4
	v_dual_cndmask_b32 v32, v32, v23, s3 :: v_dual_cndmask_b32 v34, v33, v22, s3
	v_cmp_eq_u32_e64 s3, 11, v31
	s_delay_alu instid0(VALU_DEP_1) | instskip(SKIP_1) | instid1(VALU_DEP_1)
	v_dual_cndmask_b32 v33, v32, v25, s3 :: v_dual_cndmask_b32 v32, v34, v24, s3
	s_wait_dscnt 0x0
	v_fmac_f64_e32 v[26:27], v[32:33], v[28:29]
	s_and_saveexec_b32 s4, s2
	s_cbranch_execz .LBB75_57
; %bb.46:
	v_add_nc_u32_e32 v31, 2, v0
	s_mov_b32 s7, exec_lo
	s_delay_alu instid0(VALU_DEP_1) | instskip(NEXT) | instid1(VALU_DEP_1)
	v_cmp_eq_u32_e64 s2, 1, v31
	v_dual_cndmask_b32 v28, v3, v5, s2 :: v_dual_cndmask_b32 v29, v2, v4, s2
	v_cmp_eq_u32_e64 s2, 2, v31
	v_cmp_eq_u32_e64 s3, 9, v31
	s_delay_alu instid0(VALU_DEP_2) | instskip(SKIP_1) | instid1(VALU_DEP_1)
	v_dual_cndmask_b32 v28, v28, v7, s2 :: v_dual_cndmask_b32 v29, v29, v6, s2
	v_cmp_eq_u32_e64 s2, 3, v31
	v_dual_cndmask_b32 v28, v28, v9, s2 :: v_dual_cndmask_b32 v29, v29, v8, s2
	v_cmp_eq_u32_e64 s2, 4, v31
	s_delay_alu instid0(VALU_DEP_1) | instskip(SKIP_1) | instid1(VALU_DEP_1)
	v_dual_cndmask_b32 v28, v28, v11, s2 :: v_dual_cndmask_b32 v29, v29, v10, s2
	v_cmp_eq_u32_e64 s2, 5, v31
	v_dual_cndmask_b32 v28, v28, v13, s2 :: v_dual_cndmask_b32 v29, v29, v12, s2
	v_cmp_eq_u32_e64 s2, 6, v31
	s_delay_alu instid0(VALU_DEP_1) | instskip(SKIP_1) | instid1(VALU_DEP_1)
	v_dual_cndmask_b32 v28, v28, v15, s2 :: v_dual_cndmask_b32 v29, v29, v14, s2
	v_cmp_eq_u32_e64 s2, 7, v31
	v_dual_cndmask_b32 v28, v28, v17, s2 :: v_dual_cndmask_b32 v29, v29, v16, s2
	v_cmp_eq_u32_e64 s2, 8, v31
	s_delay_alu instid0(VALU_DEP_1) | instskip(SKIP_3) | instid1(VALU_DEP_1)
	v_dual_cndmask_b32 v32, v28, v19, s2 :: v_dual_cndmask_b32 v33, v29, v18, s2
	ds_load_b64 v[28:29], v30 offset:16
	v_cmp_eq_u32_e64 s2, 10, v31
	v_dual_cndmask_b32 v32, v32, v21, s3 :: v_dual_cndmask_b32 v33, v33, v20, s3
	v_dual_cndmask_b32 v32, v32, v23, s2 :: v_dual_cndmask_b32 v34, v33, v22, s2
	v_cmp_eq_u32_e64 s2, 11, v31
	s_delay_alu instid0(VALU_DEP_1) | instskip(SKIP_1) | instid1(VALU_DEP_1)
	v_dual_cndmask_b32 v33, v32, v25, s2 :: v_dual_cndmask_b32 v32, v34, v24, s2
	s_wait_dscnt 0x0
	v_fmac_f64_e32 v[26:27], v[32:33], v[28:29]
	v_cmpx_ne_u32_e32 5, v0
	s_cbranch_execz .LBB75_56
; %bb.47:
	v_add_nc_u32_e32 v31, 3, v0
	s_delay_alu instid0(VALU_DEP_1) | instskip(NEXT) | instid1(VALU_DEP_1)
	v_cmp_eq_u32_e64 s2, 1, v31
	v_dual_cndmask_b32 v28, v3, v5, s2 :: v_dual_cndmask_b32 v29, v2, v4, s2
	v_cmp_eq_u32_e64 s2, 2, v31
	v_cmp_eq_u32_e64 s3, 9, v31
	s_delay_alu instid0(VALU_DEP_2) | instskip(SKIP_1) | instid1(VALU_DEP_1)
	v_dual_cndmask_b32 v28, v28, v7, s2 :: v_dual_cndmask_b32 v29, v29, v6, s2
	v_cmp_eq_u32_e64 s2, 3, v31
	v_dual_cndmask_b32 v28, v28, v9, s2 :: v_dual_cndmask_b32 v29, v29, v8, s2
	v_cmp_eq_u32_e64 s2, 4, v31
	s_delay_alu instid0(VALU_DEP_1) | instskip(SKIP_1) | instid1(VALU_DEP_1)
	v_dual_cndmask_b32 v28, v28, v11, s2 :: v_dual_cndmask_b32 v29, v29, v10, s2
	v_cmp_eq_u32_e64 s2, 5, v31
	v_dual_cndmask_b32 v28, v28, v13, s2 :: v_dual_cndmask_b32 v29, v29, v12, s2
	v_cmp_eq_u32_e64 s2, 6, v31
	s_delay_alu instid0(VALU_DEP_1) | instskip(SKIP_1) | instid1(VALU_DEP_1)
	v_dual_cndmask_b32 v28, v28, v15, s2 :: v_dual_cndmask_b32 v29, v29, v14, s2
	v_cmp_eq_u32_e64 s2, 7, v31
	v_dual_cndmask_b32 v28, v28, v17, s2 :: v_dual_cndmask_b32 v29, v29, v16, s2
	v_cmp_eq_u32_e64 s2, 8, v31
	s_delay_alu instid0(VALU_DEP_1) | instskip(SKIP_3) | instid1(VALU_DEP_1)
	v_dual_cndmask_b32 v32, v28, v19, s2 :: v_dual_cndmask_b32 v33, v29, v18, s2
	ds_load_b64 v[28:29], v30 offset:24
	v_cmp_eq_u32_e64 s2, 10, v31
	v_dual_cndmask_b32 v32, v32, v21, s3 :: v_dual_cndmask_b32 v33, v33, v20, s3
	v_dual_cndmask_b32 v32, v32, v23, s2 :: v_dual_cndmask_b32 v34, v33, v22, s2
	v_cmp_eq_u32_e64 s2, 11, v31
	s_delay_alu instid0(VALU_DEP_1) | instskip(SKIP_1) | instid1(VALU_DEP_1)
	v_dual_cndmask_b32 v33, v32, v25, s2 :: v_dual_cndmask_b32 v32, v34, v24, s2
	s_wait_dscnt 0x0
	v_fmac_f64_e32 v[26:27], v[32:33], v[28:29]
	s_and_saveexec_b32 s3, s1
	s_cbranch_execz .LBB75_55
; %bb.48:
	v_or_b32_e32 v31, 4, v0
	s_mov_b32 s8, exec_lo
	s_delay_alu instid0(VALU_DEP_1) | instskip(NEXT) | instid1(VALU_DEP_1)
	v_cmp_eq_u32_e64 s1, 1, v31
	v_dual_cndmask_b32 v28, v3, v5, s1 :: v_dual_cndmask_b32 v29, v2, v4, s1
	v_cmp_eq_u32_e64 s1, 2, v31
	v_cmp_eq_u32_e64 s2, 9, v31
	s_delay_alu instid0(VALU_DEP_2) | instskip(SKIP_1) | instid1(VALU_DEP_1)
	v_dual_cndmask_b32 v28, v28, v7, s1 :: v_dual_cndmask_b32 v29, v29, v6, s1
	v_cmp_eq_u32_e64 s1, 3, v31
	v_dual_cndmask_b32 v28, v28, v9, s1 :: v_dual_cndmask_b32 v29, v29, v8, s1
	v_cmp_eq_u32_e64 s1, 4, v31
	s_delay_alu instid0(VALU_DEP_1) | instskip(SKIP_1) | instid1(VALU_DEP_1)
	v_dual_cndmask_b32 v28, v28, v11, s1 :: v_dual_cndmask_b32 v29, v29, v10, s1
	v_cmp_eq_u32_e64 s1, 5, v31
	v_dual_cndmask_b32 v28, v28, v13, s1 :: v_dual_cndmask_b32 v29, v29, v12, s1
	v_cmp_eq_u32_e64 s1, 6, v31
	s_delay_alu instid0(VALU_DEP_1) | instskip(SKIP_1) | instid1(VALU_DEP_1)
	v_dual_cndmask_b32 v28, v28, v15, s1 :: v_dual_cndmask_b32 v29, v29, v14, s1
	v_cmp_eq_u32_e64 s1, 7, v31
	v_dual_cndmask_b32 v28, v28, v17, s1 :: v_dual_cndmask_b32 v29, v29, v16, s1
	v_cmp_eq_u32_e64 s1, 8, v31
	s_delay_alu instid0(VALU_DEP_1) | instskip(SKIP_3) | instid1(VALU_DEP_1)
	v_dual_cndmask_b32 v32, v28, v19, s1 :: v_dual_cndmask_b32 v33, v29, v18, s1
	ds_load_b64 v[28:29], v30 offset:32
	v_cmp_eq_u32_e64 s1, 10, v31
	v_dual_cndmask_b32 v32, v32, v21, s2 :: v_dual_cndmask_b32 v33, v33, v20, s2
	v_dual_cndmask_b32 v32, v32, v23, s1 :: v_dual_cndmask_b32 v34, v33, v22, s1
	v_cmp_eq_u32_e64 s1, 11, v31
	s_delay_alu instid0(VALU_DEP_1) | instskip(SKIP_1) | instid1(VALU_DEP_1)
	v_dual_cndmask_b32 v33, v32, v25, s1 :: v_dual_cndmask_b32 v32, v34, v24, s1
	s_wait_dscnt 0x0
	v_fmac_f64_e32 v[26:27], v[32:33], v[28:29]
	v_cmpx_ne_u32_e32 3, v0
	s_cbranch_execz .LBB75_54
; %bb.49:
	v_add_nc_u32_e32 v31, 5, v0
	s_delay_alu instid0(VALU_DEP_1) | instskip(NEXT) | instid1(VALU_DEP_1)
	v_cmp_eq_u32_e64 s1, 1, v31
	v_dual_cndmask_b32 v28, v3, v5, s1 :: v_dual_cndmask_b32 v29, v2, v4, s1
	v_cmp_eq_u32_e64 s1, 2, v31
	v_cmp_eq_u32_e64 s2, 9, v31
	s_delay_alu instid0(VALU_DEP_2) | instskip(SKIP_1) | instid1(VALU_DEP_1)
	v_dual_cndmask_b32 v28, v28, v7, s1 :: v_dual_cndmask_b32 v29, v29, v6, s1
	v_cmp_eq_u32_e64 s1, 3, v31
	v_dual_cndmask_b32 v28, v28, v9, s1 :: v_dual_cndmask_b32 v29, v29, v8, s1
	v_cmp_eq_u32_e64 s1, 4, v31
	s_delay_alu instid0(VALU_DEP_1) | instskip(SKIP_1) | instid1(VALU_DEP_1)
	v_dual_cndmask_b32 v28, v28, v11, s1 :: v_dual_cndmask_b32 v29, v29, v10, s1
	v_cmp_eq_u32_e64 s1, 5, v31
	v_dual_cndmask_b32 v28, v28, v13, s1 :: v_dual_cndmask_b32 v29, v29, v12, s1
	v_cmp_eq_u32_e64 s1, 6, v31
	s_delay_alu instid0(VALU_DEP_1) | instskip(SKIP_1) | instid1(VALU_DEP_1)
	v_dual_cndmask_b32 v28, v28, v15, s1 :: v_dual_cndmask_b32 v29, v29, v14, s1
	v_cmp_eq_u32_e64 s1, 7, v31
	v_dual_cndmask_b32 v28, v28, v17, s1 :: v_dual_cndmask_b32 v29, v29, v16, s1
	v_cmp_eq_u32_e64 s1, 8, v31
	s_delay_alu instid0(VALU_DEP_1) | instskip(SKIP_3) | instid1(VALU_DEP_1)
	v_dual_cndmask_b32 v32, v28, v19, s1 :: v_dual_cndmask_b32 v33, v29, v18, s1
	ds_load_b64 v[28:29], v30 offset:40
	v_cmp_eq_u32_e64 s1, 10, v31
	v_dual_cndmask_b32 v32, v32, v21, s2 :: v_dual_cndmask_b32 v33, v33, v20, s2
	v_dual_cndmask_b32 v32, v32, v23, s1 :: v_dual_cndmask_b32 v34, v33, v22, s1
	v_cmp_eq_u32_e64 s1, 11, v31
	s_delay_alu instid0(VALU_DEP_1) | instskip(SKIP_1) | instid1(VALU_DEP_1)
	v_dual_cndmask_b32 v33, v32, v25, s1 :: v_dual_cndmask_b32 v32, v34, v24, s1
	s_wait_dscnt 0x0
	v_fmac_f64_e32 v[26:27], v[32:33], v[28:29]
	s_and_saveexec_b32 s2, vcc_lo
	s_cbranch_execz .LBB75_53
; %bb.50:
	v_or_b32_e32 v28, 6, v0
	s_delay_alu instid0(VALU_DEP_1) | instskip(SKIP_3) | instid1(VALU_DEP_3)
	v_cmp_eq_u32_e32 vcc_lo, 1, v28
	v_dual_cndmask_b32 v29, v3, v5, vcc_lo :: v_dual_cndmask_b32 v31, v2, v4, vcc_lo
	v_cmp_eq_u32_e32 vcc_lo, 2, v28
	v_cmp_eq_u32_e64 s1, 9, v28
	v_dual_cndmask_b32 v29, v29, v7, vcc_lo :: v_dual_cndmask_b32 v31, v31, v6, vcc_lo
	v_cmp_eq_u32_e32 vcc_lo, 3, v28
	s_delay_alu instid0(VALU_DEP_2) | instskip(SKIP_1) | instid1(VALU_DEP_2)
	v_dual_cndmask_b32 v29, v29, v9, vcc_lo :: v_dual_cndmask_b32 v31, v31, v8, vcc_lo
	v_cmp_eq_u32_e32 vcc_lo, 4, v28
	v_dual_cndmask_b32 v29, v29, v11, vcc_lo :: v_dual_cndmask_b32 v31, v31, v10, vcc_lo
	v_cmp_eq_u32_e32 vcc_lo, 5, v28
	s_delay_alu instid0(VALU_DEP_2) | instskip(SKIP_1) | instid1(VALU_DEP_2)
	v_dual_cndmask_b32 v29, v29, v13, vcc_lo :: v_dual_cndmask_b32 v31, v31, v12, vcc_lo
	v_cmp_eq_u32_e32 vcc_lo, 6, v28
	;; [unrolled: 5-line block ×3, first 2 shown]
	v_dual_cndmask_b32 v29, v29, v19, vcc_lo :: v_dual_cndmask_b32 v31, v31, v18, vcc_lo
	ds_load_b64 v[18:19], v30 offset:48
	v_cmp_eq_u32_e32 vcc_lo, 10, v28
	v_dual_cndmask_b32 v29, v29, v21, s1 :: v_dual_cndmask_b32 v31, v31, v20, s1
	s_delay_alu instid0(VALU_DEP_1) | instskip(SKIP_1) | instid1(VALU_DEP_2)
	v_dual_cndmask_b32 v29, v29, v23, vcc_lo :: v_dual_cndmask_b32 v31, v31, v22, vcc_lo
	v_cmp_eq_u32_e32 vcc_lo, 11, v28
	v_dual_cndmask_b32 v29, v29, v25 :: v_dual_cndmask_b32 v28, v31, v24
	s_wait_dscnt 0x0
	s_delay_alu instid0(VALU_DEP_1)
	v_fmac_f64_e32 v[26:27], v[28:29], v[18:19]
	s_and_saveexec_b32 s1, s0
	s_cbranch_execz .LBB75_52
; %bb.51:
	ds_load_b64 v[18:19], v30 offset:56
	s_wait_dscnt 0x0
	v_fmac_f64_e32 v[26:27], v[16:17], v[18:19]
.LBB75_52:
	s_or_b32 exec_lo, exec_lo, s1
.LBB75_53:
	s_delay_alu instid0(SALU_CYCLE_1)
	s_or_b32 exec_lo, exec_lo, s2
.LBB75_54:
	s_delay_alu instid0(SALU_CYCLE_1)
	s_or_b32 exec_lo, exec_lo, s8
.LBB75_55:
	s_delay_alu instid0(SALU_CYCLE_1)
	s_or_b32 exec_lo, exec_lo, s3
.LBB75_56:
	s_delay_alu instid0(SALU_CYCLE_1)
	s_or_b32 exec_lo, exec_lo, s7
.LBB75_57:
	s_delay_alu instid0(SALU_CYCLE_1)
	s_or_b32 exec_lo, exec_lo, s4
.LBB75_58:
	s_delay_alu instid0(SALU_CYCLE_1)
	s_or_b32 exec_lo, exec_lo, s6
	v_mov_b32_e32 v18, 0
	ds_load_b64 v[18:19], v18 offset:64
	s_wait_dscnt 0x0
	v_mul_f64_e32 v[18:19], v[26:27], v[18:19]
.LBB75_59:
	s_or_b32 exec_lo, exec_lo, s5
	s_delay_alu instid0(SALU_CYCLE_1)
	s_mov_b32 s1, exec_lo
	s_barrier_signal -1
	s_barrier_wait -1
	ds_store_b64 v30, v[20:21]
	s_wait_dscnt 0x0
	s_barrier_signal -1
	s_barrier_wait -1
	v_cmpx_gt_u32_e32 9, v0
	s_cbranch_execz .LBB75_63
; %bb.60:
	v_mov_b64_e32 v[26:27], 0
	v_mov_b64_e32 v[28:29], v[0:1]
	v_lshl_add_u32 v31, v0, 3, 0x60
	s_mov_b32 s2, 0
.LBB75_61:                              ; =>This Inner Loop Header: Depth=1
	s_delay_alu instid0(VALU_DEP_2) | instskip(SKIP_3) | instid1(VALU_DEP_2)
	v_cmp_eq_u32_e32 vcc_lo, 1, v28
	v_cmp_eq_u32_e64 s0, 2, v28
	v_dual_cndmask_b32 v32, v3, v5 :: v_dual_cndmask_b32 v33, v2, v4
	v_cmp_eq_u32_e32 vcc_lo, 3, v28
	v_dual_cndmask_b32 v32, v32, v7, s0 :: v_dual_cndmask_b32 v33, v33, v6, s0
	v_cmp_eq_u32_e64 s0, 4, v28
	s_delay_alu instid0(VALU_DEP_2) | instskip(SKIP_1) | instid1(VALU_DEP_2)
	v_dual_cndmask_b32 v32, v32, v9 :: v_dual_cndmask_b32 v33, v33, v8
	v_cmp_eq_u32_e32 vcc_lo, 5, v28
	v_dual_cndmask_b32 v32, v32, v11, s0 :: v_dual_cndmask_b32 v33, v33, v10, s0
	v_cmp_eq_u32_e64 s0, 6, v28
	s_delay_alu instid0(VALU_DEP_2) | instskip(SKIP_1) | instid1(VALU_DEP_2)
	v_dual_cndmask_b32 v32, v32, v13 :: v_dual_cndmask_b32 v33, v33, v12
	v_cmp_eq_u32_e32 vcc_lo, 7, v28
	v_dual_cndmask_b32 v32, v32, v15, s0 :: v_dual_cndmask_b32 v33, v33, v14, s0
	v_cmp_eq_u32_e64 s0, 8, v28
	s_delay_alu instid0(VALU_DEP_2)
	v_dual_cndmask_b32 v34, v32, v17 :: v_dual_cndmask_b32 v35, v33, v16
	ds_load_b64 v[32:33], v31
	v_cmp_eq_u32_e32 vcc_lo, 9, v28
	v_add_nc_u32_e32 v31, 8, v31
	v_dual_cndmask_b32 v34, v34, v19, s0 :: v_dual_cndmask_b32 v35, v35, v18, s0
	v_cmp_eq_u32_e64 s0, 10, v28
	s_delay_alu instid0(VALU_DEP_2) | instskip(SKIP_2) | instid1(VALU_DEP_3)
	v_dual_cndmask_b32 v34, v34, v21 :: v_dual_cndmask_b32 v35, v35, v20
	v_cmp_eq_u32_e32 vcc_lo, 11, v28
	v_add_nc_u64_e32 v[28:29], 1, v[28:29]
	v_dual_cndmask_b32 v34, v34, v23, s0 :: v_dual_cndmask_b32 v36, v35, v22, s0
	s_delay_alu instid0(VALU_DEP_1) | instskip(SKIP_1) | instid1(VALU_DEP_1)
	v_dual_cndmask_b32 v35, v34, v25 :: v_dual_cndmask_b32 v34, v36, v24
	s_wait_dscnt 0x0
	v_fmac_f64_e32 v[26:27], v[34:35], v[32:33]
	s_delay_alu instid0(VALU_DEP_4) | instskip(NEXT) | instid1(VALU_DEP_1)
	v_add_nc_u32_e32 v32, -1, v28
	v_cmp_lt_u32_e32 vcc_lo, 7, v32
	s_or_b32 s2, vcc_lo, s2
	s_delay_alu instid0(SALU_CYCLE_1)
	s_and_not1_b32 exec_lo, exec_lo, s2
	s_cbranch_execnz .LBB75_61
; %bb.62:
	s_or_b32 exec_lo, exec_lo, s2
	v_mov_b32_e32 v20, 0
	ds_load_b64 v[20:21], v20 offset:72
	s_wait_dscnt 0x0
	v_mul_f64_e32 v[20:21], v[26:27], v[20:21]
.LBB75_63:
	s_or_b32 exec_lo, exec_lo, s1
	s_delay_alu instid0(SALU_CYCLE_1)
	s_mov_b32 s1, exec_lo
	s_barrier_signal -1
	s_barrier_wait -1
	ds_store_b64 v30, v[22:23]
	s_wait_dscnt 0x0
	s_barrier_signal -1
	s_barrier_wait -1
	v_cmpx_gt_u32_e32 10, v0
	s_cbranch_execz .LBB75_67
; %bb.64:
	v_mov_b64_e32 v[26:27], 0
	v_mov_b64_e32 v[28:29], v[0:1]
	v_lshl_add_u32 v31, v0, 3, 0x60
	s_mov_b32 s2, 0
.LBB75_65:                              ; =>This Inner Loop Header: Depth=1
	s_delay_alu instid0(VALU_DEP_2) | instskip(SKIP_3) | instid1(VALU_DEP_2)
	v_cmp_eq_u32_e32 vcc_lo, 1, v28
	v_cmp_eq_u32_e64 s0, 2, v28
	v_dual_cndmask_b32 v32, v3, v5 :: v_dual_cndmask_b32 v33, v2, v4
	v_cmp_eq_u32_e32 vcc_lo, 3, v28
	v_dual_cndmask_b32 v32, v32, v7, s0 :: v_dual_cndmask_b32 v33, v33, v6, s0
	v_cmp_eq_u32_e64 s0, 4, v28
	s_delay_alu instid0(VALU_DEP_2) | instskip(SKIP_1) | instid1(VALU_DEP_2)
	v_dual_cndmask_b32 v32, v32, v9 :: v_dual_cndmask_b32 v33, v33, v8
	v_cmp_eq_u32_e32 vcc_lo, 5, v28
	v_dual_cndmask_b32 v32, v32, v11, s0 :: v_dual_cndmask_b32 v33, v33, v10, s0
	v_cmp_eq_u32_e64 s0, 6, v28
	s_delay_alu instid0(VALU_DEP_2) | instskip(SKIP_1) | instid1(VALU_DEP_2)
	v_dual_cndmask_b32 v32, v32, v13 :: v_dual_cndmask_b32 v33, v33, v12
	v_cmp_eq_u32_e32 vcc_lo, 7, v28
	v_dual_cndmask_b32 v32, v32, v15, s0 :: v_dual_cndmask_b32 v33, v33, v14, s0
	v_cmp_eq_u32_e64 s0, 8, v28
	s_delay_alu instid0(VALU_DEP_2)
	v_dual_cndmask_b32 v34, v32, v17 :: v_dual_cndmask_b32 v35, v33, v16
	ds_load_b64 v[32:33], v31
	v_cmp_eq_u32_e32 vcc_lo, 9, v28
	v_add_nc_u32_e32 v31, 8, v31
	v_dual_cndmask_b32 v34, v34, v19, s0 :: v_dual_cndmask_b32 v35, v35, v18, s0
	v_cmp_eq_u32_e64 s0, 10, v28
	s_delay_alu instid0(VALU_DEP_2) | instskip(SKIP_2) | instid1(VALU_DEP_3)
	v_dual_cndmask_b32 v34, v34, v21 :: v_dual_cndmask_b32 v35, v35, v20
	v_cmp_eq_u32_e32 vcc_lo, 11, v28
	v_add_nc_u64_e32 v[28:29], 1, v[28:29]
	v_dual_cndmask_b32 v34, v34, v23, s0 :: v_dual_cndmask_b32 v36, v35, v22, s0
	s_delay_alu instid0(VALU_DEP_1) | instskip(SKIP_1) | instid1(VALU_DEP_1)
	v_dual_cndmask_b32 v35, v34, v25 :: v_dual_cndmask_b32 v34, v36, v24
	s_wait_dscnt 0x0
	v_fmac_f64_e32 v[26:27], v[34:35], v[32:33]
	s_delay_alu instid0(VALU_DEP_4) | instskip(NEXT) | instid1(VALU_DEP_1)
	v_add_nc_u32_e32 v32, -1, v28
	v_cmp_lt_u32_e32 vcc_lo, 8, v32
	s_or_b32 s2, vcc_lo, s2
	s_delay_alu instid0(SALU_CYCLE_1)
	s_and_not1_b32 exec_lo, exec_lo, s2
	s_cbranch_execnz .LBB75_65
; %bb.66:
	s_or_b32 exec_lo, exec_lo, s2
	v_mov_b32_e32 v22, 0
	ds_load_b64 v[22:23], v22 offset:80
	s_wait_dscnt 0x0
	v_mul_f64_e32 v[22:23], v[26:27], v[22:23]
.LBB75_67:
	s_or_b32 exec_lo, exec_lo, s1
	s_delay_alu instid0(SALU_CYCLE_1)
	s_mov_b32 s1, exec_lo
	s_barrier_signal -1
	s_barrier_wait -1
	ds_store_b64 v30, v[24:25]
	s_wait_dscnt 0x0
	s_barrier_signal -1
	s_barrier_wait -1
	v_cmpx_ne_u32_e32 11, v0
	s_cbranch_execz .LBB75_71
; %bb.68:
	v_mov_b64_e32 v[26:27], 0
	v_mov_b64_e32 v[28:29], v[0:1]
	v_lshl_add_u32 v30, v0, 3, 0x60
	s_mov_b32 s2, 0
.LBB75_69:                              ; =>This Inner Loop Header: Depth=1
	s_delay_alu instid0(VALU_DEP_2)
	v_cmp_eq_u32_e32 vcc_lo, 1, v28
	v_cmp_eq_u32_e64 s0, 2, v28
	ds_load_b64 v[32:33], v30
	v_dual_cndmask_b32 v1, v3, v5 :: v_dual_add_nc_u32 v30, 8, v30
	v_cndmask_b32_e32 v31, v2, v4, vcc_lo
	v_cmp_eq_u32_e32 vcc_lo, 3, v28
	s_delay_alu instid0(VALU_DEP_2) | instskip(SKIP_1) | instid1(VALU_DEP_2)
	v_dual_cndmask_b32 v1, v1, v7, s0 :: v_dual_cndmask_b32 v31, v31, v6, s0
	v_cmp_eq_u32_e64 s0, 4, v28
	v_dual_cndmask_b32 v1, v1, v9, vcc_lo :: v_dual_cndmask_b32 v31, v31, v8, vcc_lo
	v_cmp_eq_u32_e32 vcc_lo, 5, v28
	s_delay_alu instid0(VALU_DEP_2) | instskip(SKIP_1) | instid1(VALU_DEP_2)
	v_dual_cndmask_b32 v1, v1, v11, s0 :: v_dual_cndmask_b32 v31, v31, v10, s0
	v_cmp_eq_u32_e64 s0, 6, v28
	v_dual_cndmask_b32 v1, v1, v13, vcc_lo :: v_dual_cndmask_b32 v31, v31, v12, vcc_lo
	;; [unrolled: 5-line block ×4, first 2 shown]
	v_cmp_eq_u32_e32 vcc_lo, 11, v28
	v_add_nc_u64_e32 v[28:29], 1, v[28:29]
	s_delay_alu instid0(VALU_DEP_3) | instskip(NEXT) | instid1(VALU_DEP_1)
	v_dual_cndmask_b32 v1, v1, v23, s0 :: v_dual_cndmask_b32 v31, v31, v22, s0
	v_dual_cndmask_b32 v35, v1, v25 :: v_dual_cndmask_b32 v34, v31, v24
	s_delay_alu instid0(VALU_DEP_3) | instskip(SKIP_1) | instid1(VALU_DEP_2)
	v_add_nc_u32_e32 v1, -1, v28
	s_wait_dscnt 0x0
	v_fmac_f64_e32 v[26:27], v[34:35], v[32:33]
	s_delay_alu instid0(VALU_DEP_2) | instskip(SKIP_1) | instid1(SALU_CYCLE_1)
	v_cmp_lt_u32_e32 vcc_lo, 9, v1
	s_or_b32 s2, vcc_lo, s2
	s_and_not1_b32 exec_lo, exec_lo, s2
	s_cbranch_execnz .LBB75_69
; %bb.70:
	s_or_b32 exec_lo, exec_lo, s2
	v_mov_b32_e32 v1, 0
	ds_load_b64 v[24:25], v1 offset:88
	s_wait_dscnt 0x0
	v_mul_f64_e32 v[24:25], v[26:27], v[24:25]
.LBB75_71:
	s_or_b32 exec_lo, exec_lo, s1
	s_barrier_signal -1
	s_barrier_wait -1
	s_cbranch_execnz .LBB75_15
	s_branch .LBB75_16
.LBB75_72:
	s_wait_xcnt 0x0
	v_lshl_add_u32 v1, v0, 3, 0x60
	s_mov_b32 s0, exec_lo
	v_cmpx_eq_u32_e32 11, v0
	s_cbranch_execz .LBB75_74
; %bb.73:
	s_wait_dscnt 0x3
	v_dual_mov_b32 v46, 0 :: v_dual_mov_b32 v44, v20
	s_wait_dscnt 0x2
	v_dual_mov_b32 v26, v2 :: v_dual_mov_b32 v27, v3
	v_dual_mov_b32 v34, v10 :: v_dual_mov_b32 v35, v11
	;; [unrolled: 1-line block ×6, first 2 shown]
	s_wait_dscnt 0x0
	v_dual_mov_b32 v45, v21 :: v_dual_mov_b32 v48, v24
	v_dual_mov_b32 v49, v25 :: v_dual_mov_b32 v47, v46
	;; [unrolled: 1-line block ×5, first 2 shown]
	ds_store_b64 v1, v[22:23]
	v_mov_b64_e32 v[2:3], v[26:27]
	v_mov_b64_e32 v[4:5], v[28:29]
	;; [unrolled: 1-line block ×16, first 2 shown]
.LBB75_74:
	s_or_b32 exec_lo, exec_lo, s0
	v_mov_b32_e32 v44, 0
	s_wait_storecnt_dscnt 0x0
	s_barrier_signal -1
	s_barrier_wait -1
	ds_load_b64 v[26:27], v44 offset:184
	s_mov_b32 s0, exec_lo
	s_wait_dscnt 0x0
	v_fma_f64 v[26:27], v[24:25], v[26:27], 0
	s_delay_alu instid0(VALU_DEP_1)
	v_add_f64_e64 v[22:23], v[22:23], -v[26:27]
	v_cmpx_lt_u32_e32 9, v0
	s_cbranch_execz .LBB75_76
; %bb.75:
	v_dual_mov_b32 v26, v2 :: v_dual_mov_b32 v27, v3
	v_dual_mov_b32 v34, v10 :: v_dual_mov_b32 v35, v11
	;; [unrolled: 1-line block ×11, first 2 shown]
	v_mov_b32_e32 v33, v9
	ds_store_b64 v1, v[20:21]
	v_mov_b64_e32 v[2:3], v[26:27]
	v_mov_b64_e32 v[4:5], v[28:29]
	;; [unrolled: 1-line block ×16, first 2 shown]
.LBB75_76:
	s_or_b32 exec_lo, exec_lo, s0
	s_wait_dscnt 0x0
	s_barrier_signal -1
	s_barrier_wait -1
	ds_load_b128 v[26:29], v44 offset:176
	s_mov_b32 s0, exec_lo
	s_wait_dscnt 0x0
	v_fma_f64 v[26:27], v[22:23], v[26:27], 0
	s_delay_alu instid0(VALU_DEP_1) | instskip(NEXT) | instid1(VALU_DEP_1)
	v_fmac_f64_e32 v[26:27], v[24:25], v[28:29]
	v_add_f64_e64 v[20:21], v[20:21], -v[26:27]
	v_cmpx_lt_u32_e32 8, v0
	s_cbranch_execz .LBB75_78
; %bb.77:
	v_dual_mov_b32 v42, 0 :: v_dual_mov_b32 v26, v2
	v_dual_mov_b32 v27, v3 :: v_dual_mov_b32 v28, v4
	;; [unrolled: 1-line block ×12, first 2 shown]
	ds_store_b64 v1, v[18:19]
	v_mov_b64_e32 v[2:3], v[26:27]
	v_mov_b64_e32 v[4:5], v[28:29]
	;; [unrolled: 1-line block ×16, first 2 shown]
.LBB75_78:
	s_or_b32 exec_lo, exec_lo, s0
	v_mov_b32_e32 v40, 0
	s_wait_dscnt 0x0
	s_barrier_signal -1
	s_barrier_wait -1
	ds_load_2addr_b64 v[26:29], v40 offset0:21 offset1:22
	ds_load_b64 v[30:31], v40 offset:184
	s_mov_b32 s0, exec_lo
	s_wait_dscnt 0x1
	v_fma_f64 v[26:27], v[20:21], v[26:27], 0
	s_delay_alu instid0(VALU_DEP_1) | instskip(SKIP_1) | instid1(VALU_DEP_1)
	v_fmac_f64_e32 v[26:27], v[22:23], v[28:29]
	s_wait_dscnt 0x0
	v_fmac_f64_e32 v[26:27], v[24:25], v[30:31]
	s_delay_alu instid0(VALU_DEP_1)
	v_add_f64_e64 v[18:19], v[18:19], -v[26:27]
	v_cmpx_lt_u32_e32 7, v0
	s_cbranch_execz .LBB75_80
; %bb.79:
	v_dual_mov_b32 v26, v2 :: v_dual_mov_b32 v27, v3
	v_dual_mov_b32 v34, v10 :: v_dual_mov_b32 v35, v11
	;; [unrolled: 1-line block ×11, first 2 shown]
	v_mov_b32_e32 v33, v9
	ds_store_b64 v1, v[16:17]
	v_mov_b64_e32 v[2:3], v[26:27]
	v_mov_b64_e32 v[4:5], v[28:29]
	;; [unrolled: 1-line block ×16, first 2 shown]
.LBB75_80:
	s_or_b32 exec_lo, exec_lo, s0
	s_wait_dscnt 0x0
	s_barrier_signal -1
	s_barrier_wait -1
	ds_load_b128 v[26:29], v40 offset:160
	ds_load_b128 v[30:33], v40 offset:176
	s_mov_b32 s0, exec_lo
	s_wait_dscnt 0x1
	v_fma_f64 v[26:27], v[18:19], v[26:27], 0
	s_delay_alu instid0(VALU_DEP_1) | instskip(SKIP_1) | instid1(VALU_DEP_1)
	v_fmac_f64_e32 v[26:27], v[20:21], v[28:29]
	s_wait_dscnt 0x0
	v_fmac_f64_e32 v[26:27], v[22:23], v[30:31]
	s_delay_alu instid0(VALU_DEP_1) | instskip(NEXT) | instid1(VALU_DEP_1)
	v_fmac_f64_e32 v[26:27], v[24:25], v[32:33]
	v_add_f64_e64 v[16:17], v[16:17], -v[26:27]
	v_cmpx_lt_u32_e32 6, v0
	s_cbranch_execz .LBB75_82
; %bb.81:
	v_dual_mov_b32 v38, 0 :: v_dual_mov_b32 v26, v2
	v_dual_mov_b32 v27, v3 :: v_dual_mov_b32 v28, v4
	;; [unrolled: 1-line block ×4, first 2 shown]
	s_delay_alu instid0(VALU_DEP_4)
	v_dual_mov_b32 v37, v13 :: v_dual_mov_b32 v39, v38
	v_dual_mov_b32 v40, v16 :: v_dual_mov_b32 v41, v17
	;; [unrolled: 1-line block ×8, first 2 shown]
	ds_store_b64 v1, v[14:15]
	v_mov_b64_e32 v[2:3], v[26:27]
	v_mov_b64_e32 v[4:5], v[28:29]
	;; [unrolled: 1-line block ×16, first 2 shown]
.LBB75_82:
	s_or_b32 exec_lo, exec_lo, s0
	v_mov_b32_e32 v36, 0
	s_wait_dscnt 0x0
	s_barrier_signal -1
	s_barrier_wait -1
	ds_load_2addr_b64 v[26:29], v36 offset0:19 offset1:20
	ds_load_2addr_b64 v[30:33], v36 offset0:21 offset1:22
	s_mov_b32 s0, exec_lo
	s_wait_dscnt 0x1
	v_fma_f64 v[26:27], v[16:17], v[26:27], 0
	s_delay_alu instid0(VALU_DEP_1) | instskip(SKIP_3) | instid1(VALU_DEP_1)
	v_fmac_f64_e32 v[26:27], v[18:19], v[28:29]
	ds_load_b64 v[28:29], v36 offset:184
	s_wait_dscnt 0x1
	v_fmac_f64_e32 v[26:27], v[20:21], v[30:31]
	v_fmac_f64_e32 v[26:27], v[22:23], v[32:33]
	s_wait_dscnt 0x0
	s_delay_alu instid0(VALU_DEP_1) | instskip(NEXT) | instid1(VALU_DEP_1)
	v_fmac_f64_e32 v[26:27], v[24:25], v[28:29]
	v_add_f64_e64 v[14:15], v[14:15], -v[26:27]
	v_cmpx_lt_u32_e32 5, v0
	s_cbranch_execz .LBB75_84
; %bb.83:
	v_dual_mov_b32 v26, v2 :: v_dual_mov_b32 v27, v3
	v_dual_mov_b32 v34, v10 :: v_dual_mov_b32 v35, v11
	s_delay_alu instid0(VALU_DEP_4)
	v_dual_mov_b32 v37, v36 :: v_dual_mov_b32 v38, v14
	v_dual_mov_b32 v39, v15 :: v_dual_mov_b32 v40, v16
	;; [unrolled: 1-line block ×9, first 2 shown]
	v_mov_b32_e32 v33, v9
	ds_store_b64 v1, v[12:13]
	v_mov_b64_e32 v[2:3], v[26:27]
	v_mov_b64_e32 v[4:5], v[28:29]
	v_mov_b64_e32 v[6:7], v[30:31]
	v_mov_b64_e32 v[8:9], v[32:33]
	v_mov_b64_e32 v[10:11], v[34:35]
	v_mov_b64_e32 v[12:13], v[36:37]
	v_mov_b64_e32 v[14:15], v[38:39]
	v_mov_b64_e32 v[16:17], v[40:41]
	v_mov_b64_e32 v[18:19], v[42:43]
	v_mov_b64_e32 v[20:21], v[44:45]
	v_mov_b64_e32 v[22:23], v[46:47]
	v_mov_b64_e32 v[24:25], v[48:49]
	v_mov_b64_e32 v[26:27], v[50:51]
	v_mov_b64_e32 v[28:29], v[52:53]
	v_mov_b64_e32 v[30:31], v[54:55]
	v_mov_b64_e32 v[32:33], v[56:57]
.LBB75_84:
	s_or_b32 exec_lo, exec_lo, s0
	s_wait_dscnt 0x0
	s_barrier_signal -1
	s_barrier_wait -1
	ds_load_b128 v[26:29], v36 offset:144
	ds_load_b128 v[30:33], v36 offset:160
	s_mov_b32 s0, exec_lo
	s_wait_dscnt 0x1
	v_fma_f64 v[34:35], v[14:15], v[26:27], 0
	s_delay_alu instid0(VALU_DEP_1) | instskip(SKIP_3) | instid1(VALU_DEP_1)
	v_fmac_f64_e32 v[34:35], v[16:17], v[28:29]
	ds_load_b128 v[26:29], v36 offset:176
	s_wait_dscnt 0x1
	v_fmac_f64_e32 v[34:35], v[18:19], v[30:31]
	v_fmac_f64_e32 v[34:35], v[20:21], v[32:33]
	s_wait_dscnt 0x0
	s_delay_alu instid0(VALU_DEP_1) | instskip(NEXT) | instid1(VALU_DEP_1)
	v_fmac_f64_e32 v[34:35], v[22:23], v[26:27]
	v_fmac_f64_e32 v[34:35], v[24:25], v[28:29]
	s_delay_alu instid0(VALU_DEP_1)
	v_add_f64_e64 v[12:13], v[12:13], -v[34:35]
	v_cmpx_lt_u32_e32 4, v0
	s_cbranch_execz .LBB75_86
; %bb.85:
	v_dual_mov_b32 v34, 0 :: v_dual_mov_b32 v26, v2
	v_dual_mov_b32 v27, v3 :: v_dual_mov_b32 v28, v4
	s_delay_alu instid0(VALU_DEP_2)
	v_dual_mov_b32 v33, v9 :: v_dual_mov_b32 v35, v34
	v_dual_mov_b32 v36, v12 :: v_dual_mov_b32 v37, v13
	;; [unrolled: 1-line block ×10, first 2 shown]
	ds_store_b64 v1, v[10:11]
	v_mov_b64_e32 v[2:3], v[26:27]
	v_mov_b64_e32 v[4:5], v[28:29]
	;; [unrolled: 1-line block ×16, first 2 shown]
.LBB75_86:
	s_or_b32 exec_lo, exec_lo, s0
	v_mov_b32_e32 v34, 0
	s_wait_dscnt 0x0
	s_barrier_signal -1
	s_barrier_wait -1
	ds_load_2addr_b64 v[26:29], v34 offset0:17 offset1:18
	ds_load_2addr_b64 v[30:33], v34 offset0:19 offset1:20
	s_mov_b32 s0, exec_lo
	s_wait_dscnt 0x1
	v_fma_f64 v[36:37], v[12:13], v[26:27], 0
	s_delay_alu instid0(VALU_DEP_1) | instskip(SKIP_1) | instid1(VALU_DEP_1)
	v_fmac_f64_e32 v[36:37], v[14:15], v[28:29]
	s_wait_dscnt 0x0
	v_fmac_f64_e32 v[36:37], v[16:17], v[30:31]
	ds_load_2addr_b64 v[26:29], v34 offset0:21 offset1:22
	ds_load_b64 v[30:31], v34 offset:184
	v_fmac_f64_e32 v[36:37], v[18:19], v[32:33]
	s_wait_dscnt 0x1
	s_delay_alu instid0(VALU_DEP_1) | instskip(NEXT) | instid1(VALU_DEP_1)
	v_fmac_f64_e32 v[36:37], v[20:21], v[26:27]
	v_fmac_f64_e32 v[36:37], v[22:23], v[28:29]
	s_wait_dscnt 0x0
	s_delay_alu instid0(VALU_DEP_1) | instskip(NEXT) | instid1(VALU_DEP_1)
	v_fmac_f64_e32 v[36:37], v[24:25], v[30:31]
	v_add_f64_e64 v[10:11], v[10:11], -v[36:37]
	v_cmpx_lt_u32_e32 3, v0
	s_cbranch_execz .LBB75_88
; %bb.87:
	v_dual_mov_b32 v28, v2 :: v_dual_mov_b32 v29, v3
	s_delay_alu instid0(VALU_DEP_3) | instskip(NEXT) | instid1(VALU_DEP_4)
	v_dual_mov_b32 v35, v34 :: v_dual_mov_b32 v36, v10
	v_dual_mov_b32 v37, v11 :: v_dual_mov_b32 v38, v12
	;; [unrolled: 1-line block ×10, first 2 shown]
	v_mov_b32_e32 v33, v7
	ds_store_b64 v1, v[8:9]
	v_mov_b64_e32 v[2:3], v[28:29]
	v_mov_b64_e32 v[4:5], v[30:31]
	;; [unrolled: 1-line block ×16, first 2 shown]
.LBB75_88:
	s_or_b32 exec_lo, exec_lo, s0
	s_wait_dscnt 0x0
	s_barrier_signal -1
	s_barrier_wait -1
	ds_load_b128 v[26:29], v34 offset:128
	ds_load_b128 v[30:33], v34 offset:144
	s_mov_b32 s0, exec_lo
	s_wait_dscnt 0x1
	v_fma_f64 v[36:37], v[10:11], v[26:27], 0
	s_delay_alu instid0(VALU_DEP_1) | instskip(SKIP_1) | instid1(VALU_DEP_1)
	v_fmac_f64_e32 v[36:37], v[12:13], v[28:29]
	s_wait_dscnt 0x0
	v_fmac_f64_e32 v[36:37], v[14:15], v[30:31]
	s_delay_alu instid0(VALU_DEP_1) | instskip(SKIP_4) | instid1(VALU_DEP_1)
	v_fmac_f64_e32 v[36:37], v[16:17], v[32:33]
	ds_load_b128 v[26:29], v34 offset:160
	ds_load_b128 v[30:33], v34 offset:176
	s_wait_dscnt 0x1
	v_fmac_f64_e32 v[36:37], v[18:19], v[26:27]
	v_fmac_f64_e32 v[36:37], v[20:21], v[28:29]
	s_wait_dscnt 0x0
	s_delay_alu instid0(VALU_DEP_1) | instskip(NEXT) | instid1(VALU_DEP_1)
	v_fmac_f64_e32 v[36:37], v[22:23], v[30:31]
	v_fmac_f64_e32 v[36:37], v[24:25], v[32:33]
	s_delay_alu instid0(VALU_DEP_1)
	v_add_f64_e64 v[8:9], v[8:9], -v[36:37]
	v_cmpx_lt_u32_e32 2, v0
	s_cbranch_execz .LBB75_90
; %bb.89:
	v_dual_mov_b32 v30, 0 :: v_dual_mov_b32 v26, v2
	v_dual_mov_b32 v27, v3 :: v_dual_mov_b32 v28, v4
	;; [unrolled: 1-line block ×12, first 2 shown]
	ds_store_b64 v1, v[6:7]
	v_mov_b64_e32 v[2:3], v[26:27]
	v_mov_b64_e32 v[4:5], v[28:29]
	;; [unrolled: 1-line block ×16, first 2 shown]
.LBB75_90:
	s_or_b32 exec_lo, exec_lo, s0
	v_mov_b32_e32 v34, 0
	s_wait_dscnt 0x0
	s_barrier_signal -1
	s_barrier_wait -1
	ds_load_2addr_b64 v[26:29], v34 offset0:15 offset1:16
	ds_load_2addr_b64 v[30:33], v34 offset0:17 offset1:18
	s_mov_b32 s0, exec_lo
	s_wait_dscnt 0x1
	v_fma_f64 v[36:37], v[8:9], v[26:27], 0
	s_delay_alu instid0(VALU_DEP_1) | instskip(SKIP_1) | instid1(VALU_DEP_1)
	v_fmac_f64_e32 v[36:37], v[10:11], v[28:29]
	s_wait_dscnt 0x0
	v_fmac_f64_e32 v[36:37], v[12:13], v[30:31]
	s_delay_alu instid0(VALU_DEP_1)
	v_fmac_f64_e32 v[36:37], v[14:15], v[32:33]
	ds_load_2addr_b64 v[26:29], v34 offset0:19 offset1:20
	ds_load_2addr_b64 v[30:33], v34 offset0:21 offset1:22
	s_wait_dscnt 0x1
	v_fmac_f64_e32 v[36:37], v[16:17], v[26:27]
	ds_load_b64 v[26:27], v34 offset:184
	v_fmac_f64_e32 v[36:37], v[18:19], v[28:29]
	s_wait_dscnt 0x1
	s_delay_alu instid0(VALU_DEP_1) | instskip(NEXT) | instid1(VALU_DEP_1)
	v_fmac_f64_e32 v[36:37], v[20:21], v[30:31]
	v_fmac_f64_e32 v[36:37], v[22:23], v[32:33]
	s_wait_dscnt 0x0
	s_delay_alu instid0(VALU_DEP_1) | instskip(NEXT) | instid1(VALU_DEP_1)
	v_fmac_f64_e32 v[36:37], v[24:25], v[26:27]
	v_add_f64_e64 v[6:7], v[6:7], -v[36:37]
	v_cmpx_lt_u32_e32 1, v0
	s_cbranch_execz .LBB75_92
; %bb.91:
	v_dual_mov_b32 v32, v2 :: v_dual_mov_b32 v33, v3
	s_delay_alu instid0(VALU_DEP_3) | instskip(NEXT) | instid1(VALU_DEP_4)
	v_dual_mov_b32 v35, v34 :: v_dual_mov_b32 v36, v6
	v_dual_mov_b32 v37, v7 :: v_dual_mov_b32 v38, v8
	;; [unrolled: 1-line block ×10, first 2 shown]
	v_mov_b32_e32 v55, v25
	ds_store_b64 v1, v[4:5]
	v_mov_b64_e32 v[2:3], v[32:33]
	v_mov_b64_e32 v[4:5], v[34:35]
	;; [unrolled: 1-line block ×16, first 2 shown]
.LBB75_92:
	s_or_b32 exec_lo, exec_lo, s0
	s_wait_dscnt 0x0
	s_barrier_signal -1
	s_barrier_wait -1
	ds_load_b128 v[26:29], v34 offset:112
	ds_load_b128 v[30:33], v34 offset:128
	v_dual_ashrrev_i32 v57, 31, v56 :: v_dual_ashrrev_i32 v71, 31, v70
	v_dual_ashrrev_i32 v61, 31, v60 :: v_dual_ashrrev_i32 v75, 31, v74
	;; [unrolled: 1-line block ×3, first 2 shown]
	v_ashrrev_i32_e32 v69, 31, v68
	v_ashrrev_i32_e32 v73, 31, v72
	;; [unrolled: 1-line block ×3, first 2 shown]
	s_mov_b32 s0, exec_lo
	v_ashrrev_i32_e32 v63, 31, v62
	s_wait_dscnt 0x1
	v_fma_f64 v[36:37], v[6:7], v[26:27], 0
	s_delay_alu instid0(VALU_DEP_1) | instskip(SKIP_1) | instid1(VALU_DEP_1)
	v_fmac_f64_e32 v[36:37], v[8:9], v[28:29]
	s_wait_dscnt 0x0
	v_fmac_f64_e32 v[36:37], v[10:11], v[30:31]
	s_delay_alu instid0(VALU_DEP_1) | instskip(SKIP_4) | instid1(VALU_DEP_1)
	v_fmac_f64_e32 v[36:37], v[12:13], v[32:33]
	ds_load_b128 v[26:29], v34 offset:144
	ds_load_b128 v[30:33], v34 offset:160
	s_wait_dscnt 0x1
	v_fmac_f64_e32 v[36:37], v[14:15], v[26:27]
	v_fmac_f64_e32 v[36:37], v[16:17], v[28:29]
	ds_load_b128 v[26:29], v34 offset:176
	s_wait_dscnt 0x1
	v_fmac_f64_e32 v[36:37], v[18:19], v[30:31]
	s_delay_alu instid0(VALU_DEP_1) | instskip(SKIP_1) | instid1(VALU_DEP_1)
	v_fmac_f64_e32 v[36:37], v[20:21], v[32:33]
	s_wait_dscnt 0x0
	v_fmac_f64_e32 v[36:37], v[22:23], v[26:27]
	s_delay_alu instid0(VALU_DEP_1) | instskip(NEXT) | instid1(VALU_DEP_1)
	v_fmac_f64_e32 v[36:37], v[24:25], v[28:29]
	v_add_f64_e64 v[4:5], v[4:5], -v[36:37]
	v_cmpx_ne_u32_e32 0, v0
	s_cbranch_execz .LBB75_94
; %bb.93:
	s_delay_alu instid0(VALU_DEP_2) | instskip(SKIP_1) | instid1(VALU_DEP_2)
	v_dual_mov_b32 v26, 0 :: v_dual_mov_b32 v28, v4
	v_dual_mov_b32 v31, v7 :: v_dual_mov_b32 v34, v10
	;; [unrolled: 1-line block ×13, first 2 shown]
	v_mov_b64_e32 v[2:3], v[26:27]
	s_delay_alu instid0(VALU_DEP_4)
	v_mov_b64_e32 v[4:5], v[28:29]
	v_mov_b64_e32 v[6:7], v[30:31]
	;; [unrolled: 1-line block ×15, first 2 shown]
	ds_store_b64 v1, v[50:51]
.LBB75_94:
	s_or_b32 exec_lo, exec_lo, s0
	v_mov_b32_e32 v0, 0
	s_wait_dscnt 0x0
	s_barrier_signal -1
	s_barrier_wait -1
	ds_load_2addr_b64 v[26:29], v0 offset0:13 offset1:14
	ds_load_2addr_b64 v[30:33], v0 offset0:15 offset1:16
	s_and_b32 vcc_lo, exec_lo, s20
	s_wait_dscnt 0x1
	v_fma_f64 v[34:35], v[4:5], v[26:27], 0
	s_delay_alu instid0(VALU_DEP_1) | instskip(SKIP_1) | instid1(VALU_DEP_1)
	v_fmac_f64_e32 v[34:35], v[6:7], v[28:29]
	s_wait_dscnt 0x0
	v_fmac_f64_e32 v[34:35], v[8:9], v[30:31]
	s_delay_alu instid0(VALU_DEP_1) | instskip(SKIP_4) | instid1(VALU_DEP_1)
	v_fmac_f64_e32 v[34:35], v[10:11], v[32:33]
	ds_load_2addr_b64 v[26:29], v0 offset0:17 offset1:18
	ds_load_2addr_b64 v[30:33], v0 offset0:19 offset1:20
	s_wait_dscnt 0x1
	v_fmac_f64_e32 v[34:35], v[12:13], v[26:27]
	v_fmac_f64_e32 v[34:35], v[14:15], v[28:29]
	s_wait_dscnt 0x0
	s_delay_alu instid0(VALU_DEP_1) | instskip(SKIP_4) | instid1(VALU_DEP_1)
	v_fmac_f64_e32 v[34:35], v[16:17], v[30:31]
	ds_load_2addr_b64 v[26:29], v0 offset0:21 offset1:22
	ds_load_b64 v[30:31], v0 offset:184
	v_fmac_f64_e32 v[34:35], v[18:19], v[32:33]
	s_wait_dscnt 0x1
	v_fmac_f64_e32 v[34:35], v[20:21], v[26:27]
	s_delay_alu instid0(VALU_DEP_1) | instskip(SKIP_1) | instid1(VALU_DEP_1)
	v_fmac_f64_e32 v[34:35], v[22:23], v[28:29]
	s_wait_dscnt 0x0
	v_fmac_f64_e32 v[34:35], v[24:25], v[30:31]
	s_delay_alu instid0(VALU_DEP_1)
	v_add_f64_e64 v[2:3], v[2:3], -v[34:35]
	s_cbranch_vccz .LBB75_117
; %bb.95:
	global_load_b32 v0, v0, s[16:17] offset:40
	s_wait_loadcnt 0x0
	v_readfirstlane_b32 s0, v0
	s_add_co_i32 s0, s0, -1
	s_delay_alu instid0(SALU_CYCLE_1)
	s_cmp_lg_u32 s0, 10
	s_cbranch_scc0 .LBB75_97
; %bb.96:
	s_lshl_b32 m0, s0, 1
	v_movrels_b32_e32 v0, v2
	v_movrels_b32_e32 v1, v3
	v_mov_b64_e32 v[54:55], v[32:33]
	v_mov_b64_e32 v[52:53], v[30:31]
	;; [unrolled: 1-line block ×16, first 2 shown]
	v_dual_mov_b32 v44, v0 :: v_dual_mov_b32 v45, v1
	s_delay_alu instid0(VALU_DEP_2) | instskip(NEXT) | instid1(VALU_DEP_3)
	v_movreld_b32_e32 v24, v22
	v_movreld_b32_e32 v25, v23
	v_mov_b64_e32 v[2:3], v[24:25]
	v_mov_b64_e32 v[4:5], v[26:27]
	;; [unrolled: 1-line block ×16, first 2 shown]
.LBB75_97:
	v_mov_b32_e32 v0, 0
	global_load_b32 v1, v0, s[16:17] offset:36
	s_wait_loadcnt 0x0
	v_readfirstlane_b32 s0, v1
	s_add_co_i32 s0, s0, -1
	s_delay_alu instid0(SALU_CYCLE_1)
	s_cmp_eq_u32 s0, 9
	s_cbranch_scc1 .LBB75_99
; %bb.98:
	s_lshl_b32 m0, s0, 1
	v_movrels_b32_e32 v1, v2
	v_movrels_b32_e32 v54, v3
	v_mov_b64_e32 v[52:53], v[32:33]
	v_mov_b64_e32 v[50:51], v[30:31]
	;; [unrolled: 1-line block ×16, first 2 shown]
	v_dual_mov_b32 v40, v1 :: v_dual_mov_b32 v41, v54
	s_delay_alu instid0(VALU_DEP_2) | instskip(NEXT) | instid1(VALU_DEP_3)
	v_movreld_b32_e32 v22, v20
	v_movreld_b32_e32 v23, v21
	v_mov_b64_e32 v[2:3], v[22:23]
	v_mov_b64_e32 v[4:5], v[24:25]
	;; [unrolled: 1-line block ×16, first 2 shown]
.LBB75_99:
	global_load_b32 v0, v0, s[16:17] offset:32
	s_wait_loadcnt 0x0
	v_readfirstlane_b32 s0, v0
	s_add_co_i32 s0, s0, -1
	s_delay_alu instid0(SALU_CYCLE_1)
	s_cmp_eq_u32 s0, 8
	s_cbranch_scc1 .LBB75_101
; %bb.100:
	s_lshl_b32 m0, s0, 1
	v_movrels_b32_e32 v0, v2
	v_movrels_b32_e32 v1, v3
	v_mov_b64_e32 v[50:51], v[32:33]
	v_mov_b64_e32 v[48:49], v[30:31]
	;; [unrolled: 1-line block ×16, first 2 shown]
	v_dual_mov_b32 v36, v0 :: v_dual_mov_b32 v37, v1
	s_delay_alu instid0(VALU_DEP_2) | instskip(NEXT) | instid1(VALU_DEP_3)
	v_movreld_b32_e32 v20, v18
	v_movreld_b32_e32 v21, v19
	v_mov_b64_e32 v[2:3], v[20:21]
	v_mov_b64_e32 v[4:5], v[22:23]
	;; [unrolled: 1-line block ×16, first 2 shown]
.LBB75_101:
	v_mov_b32_e32 v0, 0
	global_load_b32 v1, v0, s[16:17] offset:28
	s_wait_loadcnt 0x0
	v_readfirstlane_b32 s0, v1
	s_add_co_i32 s0, s0, -1
	s_delay_alu instid0(SALU_CYCLE_1)
	s_cmp_eq_u32 s0, 7
	s_cbranch_scc1 .LBB75_103
; %bb.102:
	s_lshl_b32 m0, s0, 1
	v_movrels_b32_e32 v1, v2
	v_movrels_b32_e32 v50, v3
	v_mov_b64_e32 v[48:49], v[32:33]
	v_mov_b64_e32 v[46:47], v[30:31]
	;; [unrolled: 1-line block ×16, first 2 shown]
	v_dual_mov_b32 v32, v1 :: v_dual_mov_b32 v33, v50
	s_delay_alu instid0(VALU_DEP_2) | instskip(NEXT) | instid1(VALU_DEP_3)
	v_movreld_b32_e32 v18, v16
	v_movreld_b32_e32 v19, v17
	v_mov_b64_e32 v[2:3], v[18:19]
	v_mov_b64_e32 v[4:5], v[20:21]
	;; [unrolled: 1-line block ×16, first 2 shown]
.LBB75_103:
	global_load_b32 v0, v0, s[16:17] offset:24
	s_wait_loadcnt 0x0
	v_readfirstlane_b32 s0, v0
	s_add_co_i32 s0, s0, -1
	s_delay_alu instid0(SALU_CYCLE_1)
	s_cmp_eq_u32 s0, 6
	s_cbranch_scc1 .LBB75_105
; %bb.104:
	s_lshl_b32 m0, s0, 1
	v_movrels_b32_e32 v0, v2
	v_movrels_b32_e32 v1, v3
	v_mov_b64_e32 v[46:47], v[32:33]
	v_mov_b64_e32 v[44:45], v[30:31]
	;; [unrolled: 1-line block ×16, first 2 shown]
	v_dual_mov_b32 v28, v0 :: v_dual_mov_b32 v29, v1
	s_delay_alu instid0(VALU_DEP_2) | instskip(NEXT) | instid1(VALU_DEP_3)
	v_movreld_b32_e32 v16, v14
	v_movreld_b32_e32 v17, v15
	v_mov_b64_e32 v[2:3], v[16:17]
	v_mov_b64_e32 v[4:5], v[18:19]
	;; [unrolled: 1-line block ×16, first 2 shown]
.LBB75_105:
	v_mov_b32_e32 v0, 0
	global_load_b32 v1, v0, s[16:17] offset:20
	s_wait_loadcnt 0x0
	v_readfirstlane_b32 s0, v1
	s_add_co_i32 s0, s0, -1
	s_delay_alu instid0(SALU_CYCLE_1)
	s_cmp_eq_u32 s0, 5
	s_cbranch_scc1 .LBB75_107
; %bb.106:
	s_lshl_b32 m0, s0, 1
	v_movrels_b32_e32 v1, v2
	v_movrels_b32_e32 v46, v3
	v_mov_b64_e32 v[44:45], v[32:33]
	v_mov_b64_e32 v[42:43], v[30:31]
	;; [unrolled: 1-line block ×16, first 2 shown]
	v_dual_mov_b32 v24, v1 :: v_dual_mov_b32 v25, v46
	s_delay_alu instid0(VALU_DEP_2) | instskip(NEXT) | instid1(VALU_DEP_3)
	v_movreld_b32_e32 v14, v12
	v_movreld_b32_e32 v15, v13
	v_mov_b64_e32 v[2:3], v[14:15]
	v_mov_b64_e32 v[4:5], v[16:17]
	;; [unrolled: 1-line block ×16, first 2 shown]
.LBB75_107:
	global_load_b32 v0, v0, s[16:17] offset:16
	s_wait_loadcnt 0x0
	v_readfirstlane_b32 s0, v0
	s_add_co_i32 s0, s0, -1
	s_delay_alu instid0(SALU_CYCLE_1)
	s_cmp_eq_u32 s0, 4
	s_cbranch_scc1 .LBB75_109
; %bb.108:
	s_lshl_b32 m0, s0, 1
	v_movrels_b32_e32 v0, v2
	v_movrels_b32_e32 v1, v3
	v_mov_b64_e32 v[42:43], v[32:33]
	v_mov_b64_e32 v[40:41], v[30:31]
	;; [unrolled: 1-line block ×16, first 2 shown]
	v_dual_mov_b32 v20, v0 :: v_dual_mov_b32 v21, v1
	s_delay_alu instid0(VALU_DEP_2) | instskip(NEXT) | instid1(VALU_DEP_3)
	v_movreld_b32_e32 v12, v10
	v_movreld_b32_e32 v13, v11
	v_mov_b64_e32 v[2:3], v[12:13]
	v_mov_b64_e32 v[4:5], v[14:15]
	;; [unrolled: 1-line block ×16, first 2 shown]
.LBB75_109:
	v_mov_b32_e32 v0, 0
	global_load_b32 v1, v0, s[16:17] offset:12
	s_wait_loadcnt 0x0
	v_readfirstlane_b32 s0, v1
	s_add_co_i32 s0, s0, -1
	s_delay_alu instid0(SALU_CYCLE_1)
	s_cmp_eq_u32 s0, 3
	s_cbranch_scc1 .LBB75_111
; %bb.110:
	s_lshl_b32 m0, s0, 1
	v_movrels_b32_e32 v1, v2
	v_movrels_b32_e32 v42, v3
	v_mov_b64_e32 v[40:41], v[32:33]
	v_mov_b64_e32 v[38:39], v[30:31]
	v_mov_b64_e32 v[36:37], v[28:29]
	v_mov_b64_e32 v[34:35], v[26:27]
	v_mov_b64_e32 v[32:33], v[24:25]
	v_mov_b64_e32 v[30:31], v[22:23]
	v_mov_b64_e32 v[28:29], v[20:21]
	v_mov_b64_e32 v[26:27], v[18:19]
	v_mov_b64_e32 v[24:25], v[16:17]
	v_mov_b64_e32 v[22:23], v[14:15]
	v_mov_b64_e32 v[20:21], v[12:13]
	v_mov_b64_e32 v[18:19], v[10:11]
	v_mov_b64_e32 v[16:17], v[8:9]
	v_mov_b64_e32 v[14:15], v[6:7]
	v_mov_b64_e32 v[12:13], v[4:5]
	v_mov_b64_e32 v[10:11], v[2:3]
	v_dual_mov_b32 v16, v1 :: v_dual_mov_b32 v17, v42
	s_delay_alu instid0(VALU_DEP_2) | instskip(NEXT) | instid1(VALU_DEP_3)
	v_movreld_b32_e32 v10, v8
	v_movreld_b32_e32 v11, v9
	v_mov_b64_e32 v[2:3], v[10:11]
	v_mov_b64_e32 v[4:5], v[12:13]
	;; [unrolled: 1-line block ×16, first 2 shown]
.LBB75_111:
	global_load_b32 v0, v0, s[16:17] offset:8
	s_wait_loadcnt 0x0
	v_readfirstlane_b32 s0, v0
	s_add_co_i32 s0, s0, -1
	s_delay_alu instid0(SALU_CYCLE_1)
	s_cmp_eq_u32 s0, 2
	s_cbranch_scc1 .LBB75_113
; %bb.112:
	s_lshl_b32 m0, s0, 1
	v_movrels_b32_e32 v0, v2
	v_movrels_b32_e32 v1, v3
	v_mov_b64_e32 v[38:39], v[32:33]
	v_mov_b64_e32 v[36:37], v[30:31]
	;; [unrolled: 1-line block ×16, first 2 shown]
	v_dual_mov_b32 v12, v0 :: v_dual_mov_b32 v13, v1
	s_delay_alu instid0(VALU_DEP_2) | instskip(NEXT) | instid1(VALU_DEP_3)
	v_movreld_b32_e32 v8, v6
	v_movreld_b32_e32 v9, v7
	v_mov_b64_e32 v[2:3], v[8:9]
	v_mov_b64_e32 v[4:5], v[10:11]
	;; [unrolled: 1-line block ×16, first 2 shown]
.LBB75_113:
	v_mov_b32_e32 v0, 0
	global_load_b32 v1, v0, s[16:17] offset:4
	s_wait_loadcnt 0x0
	v_readfirstlane_b32 s0, v1
	s_add_co_i32 s0, s0, -1
	s_delay_alu instid0(SALU_CYCLE_1)
	s_cmp_eq_u32 s0, 1
	s_cbranch_scc1 .LBB75_115
; %bb.114:
	s_lshl_b32 m0, s0, 1
	v_movrels_b32_e32 v1, v2
	v_movrels_b32_e32 v38, v3
	v_mov_b64_e32 v[36:37], v[32:33]
	v_mov_b64_e32 v[34:35], v[30:31]
	;; [unrolled: 1-line block ×16, first 2 shown]
	v_dual_mov_b32 v8, v1 :: v_dual_mov_b32 v9, v38
	s_delay_alu instid0(VALU_DEP_2) | instskip(NEXT) | instid1(VALU_DEP_3)
	v_movreld_b32_e32 v6, v4
	v_movreld_b32_e32 v7, v5
	v_mov_b64_e32 v[2:3], v[6:7]
	s_delay_alu instid0(VALU_DEP_4)
	v_mov_b64_e32 v[4:5], v[8:9]
	v_mov_b64_e32 v[6:7], v[10:11]
	;; [unrolled: 1-line block ×15, first 2 shown]
.LBB75_115:
	global_load_b32 v0, v0, s[16:17]
	s_wait_loadcnt 0x0
	v_readfirstlane_b32 s0, v0
	s_add_co_i32 s0, s0, -1
	s_delay_alu instid0(SALU_CYCLE_1)
	s_cmp_eq_u32 s0, 0
	s_cbranch_scc1 .LBB75_117
; %bb.116:
	s_lshl_b32 m0, s0, 1
	v_movrels_b32_e32 v0, v2
	v_movrels_b32_e32 v1, v3
	v_mov_b64_e32 v[34:35], v[32:33]
	v_mov_b64_e32 v[32:33], v[30:31]
	;; [unrolled: 1-line block ×16, first 2 shown]
	v_dual_mov_b32 v4, v0 :: v_dual_mov_b32 v5, v1
	s_delay_alu instid0(VALU_DEP_1) | instskip(NEXT) | instid1(VALU_DEP_2)
	v_movreld_b32_e32 v4, v2
	v_movreld_b32_e32 v5, v3
	v_mov_b64_e32 v[2:3], v[4:5]
	v_mov_b64_e32 v[4:5], v[6:7]
	;; [unrolled: 1-line block ×16, first 2 shown]
.LBB75_117:
	v_lshl_add_u64 v[34:35], v[56:57], 3, s[12:13]
	s_clause 0x1
	flat_store_b64 v[58:59], v[2:3]
	flat_store_b64 v[66:67], v[4:5]
	s_wait_xcnt 0x1
	v_dual_mov_b32 v2, v6 :: v_dual_mov_b32 v3, v7
	v_lshl_add_u64 v[36:37], v[60:61], 3, s[12:13]
	s_wait_xcnt 0x0
	v_dual_mov_b32 v4, v8 :: v_dual_mov_b32 v5, v9
	v_lshl_add_u64 v[38:39], v[62:63], 3, s[12:13]
	v_dual_mov_b32 v6, v10 :: v_dual_mov_b32 v7, v11
	v_lshl_add_u64 v[40:41], v[64:65], 3, s[12:13]
	;; [unrolled: 2-line block ×4, first 2 shown]
	s_clause 0x4
	flat_store_b64 v[34:35], v[2:3]
	flat_store_b64 v[36:37], v[4:5]
	;; [unrolled: 1-line block ×5, first 2 shown]
	s_wait_xcnt 0x4
	v_dual_mov_b32 v2, v16 :: v_dual_mov_b32 v3, v17
	v_lshl_add_u64 v[26:27], v[72:73], 3, s[12:13]
	s_wait_xcnt 0x3
	v_dual_mov_b32 v4, v18 :: v_dual_mov_b32 v5, v19
	v_lshl_add_u64 v[28:29], v[74:75], 3, s[12:13]
	;; [unrolled: 3-line block ×4, first 2 shown]
	s_wait_xcnt 0x0
	v_dual_mov_b32 v10, v24 :: v_dual_mov_b32 v11, v25
	s_clause 0x4
	flat_store_b64 v[0:1], v[2:3]
	flat_store_b64 v[26:27], v[4:5]
	;; [unrolled: 1-line block ×5, first 2 shown]
	s_sendmsg sendmsg(MSG_DEALLOC_VGPRS)
	s_endpgm
	.section	.rodata,"a",@progbits
	.p2align	6, 0x0
	.amdhsa_kernel _ZN9rocsolver6v33100L18getri_kernel_smallILi12EdPKPdEEvT1_iilPiilS6_bb
		.amdhsa_group_segment_fixed_size 200
		.amdhsa_private_segment_fixed_size 0
		.amdhsa_kernarg_size 60
		.amdhsa_user_sgpr_count 2
		.amdhsa_user_sgpr_dispatch_ptr 0
		.amdhsa_user_sgpr_queue_ptr 0
		.amdhsa_user_sgpr_kernarg_segment_ptr 1
		.amdhsa_user_sgpr_dispatch_id 0
		.amdhsa_user_sgpr_kernarg_preload_length 0
		.amdhsa_user_sgpr_kernarg_preload_offset 0
		.amdhsa_user_sgpr_private_segment_size 0
		.amdhsa_wavefront_size32 1
		.amdhsa_uses_dynamic_stack 0
		.amdhsa_enable_private_segment 0
		.amdhsa_system_sgpr_workgroup_id_x 1
		.amdhsa_system_sgpr_workgroup_id_y 0
		.amdhsa_system_sgpr_workgroup_id_z 0
		.amdhsa_system_sgpr_workgroup_info 0
		.amdhsa_system_vgpr_workitem_id 0
		.amdhsa_next_free_vgpr 80
		.amdhsa_next_free_sgpr 21
		.amdhsa_named_barrier_count 0
		.amdhsa_reserve_vcc 1
		.amdhsa_float_round_mode_32 0
		.amdhsa_float_round_mode_16_64 0
		.amdhsa_float_denorm_mode_32 3
		.amdhsa_float_denorm_mode_16_64 3
		.amdhsa_fp16_overflow 0
		.amdhsa_memory_ordered 1
		.amdhsa_forward_progress 1
		.amdhsa_inst_pref_size 99
		.amdhsa_round_robin_scheduling 0
		.amdhsa_exception_fp_ieee_invalid_op 0
		.amdhsa_exception_fp_denorm_src 0
		.amdhsa_exception_fp_ieee_div_zero 0
		.amdhsa_exception_fp_ieee_overflow 0
		.amdhsa_exception_fp_ieee_underflow 0
		.amdhsa_exception_fp_ieee_inexact 0
		.amdhsa_exception_int_div_zero 0
	.end_amdhsa_kernel
	.section	.text._ZN9rocsolver6v33100L18getri_kernel_smallILi12EdPKPdEEvT1_iilPiilS6_bb,"axG",@progbits,_ZN9rocsolver6v33100L18getri_kernel_smallILi12EdPKPdEEvT1_iilPiilS6_bb,comdat
.Lfunc_end75:
	.size	_ZN9rocsolver6v33100L18getri_kernel_smallILi12EdPKPdEEvT1_iilPiilS6_bb, .Lfunc_end75-_ZN9rocsolver6v33100L18getri_kernel_smallILi12EdPKPdEEvT1_iilPiilS6_bb
                                        ; -- End function
	.set _ZN9rocsolver6v33100L18getri_kernel_smallILi12EdPKPdEEvT1_iilPiilS6_bb.num_vgpr, 80
	.set _ZN9rocsolver6v33100L18getri_kernel_smallILi12EdPKPdEEvT1_iilPiilS6_bb.num_agpr, 0
	.set _ZN9rocsolver6v33100L18getri_kernel_smallILi12EdPKPdEEvT1_iilPiilS6_bb.numbered_sgpr, 21
	.set _ZN9rocsolver6v33100L18getri_kernel_smallILi12EdPKPdEEvT1_iilPiilS6_bb.num_named_barrier, 0
	.set _ZN9rocsolver6v33100L18getri_kernel_smallILi12EdPKPdEEvT1_iilPiilS6_bb.private_seg_size, 0
	.set _ZN9rocsolver6v33100L18getri_kernel_smallILi12EdPKPdEEvT1_iilPiilS6_bb.uses_vcc, 1
	.set _ZN9rocsolver6v33100L18getri_kernel_smallILi12EdPKPdEEvT1_iilPiilS6_bb.uses_flat_scratch, 1
	.set _ZN9rocsolver6v33100L18getri_kernel_smallILi12EdPKPdEEvT1_iilPiilS6_bb.has_dyn_sized_stack, 0
	.set _ZN9rocsolver6v33100L18getri_kernel_smallILi12EdPKPdEEvT1_iilPiilS6_bb.has_recursion, 0
	.set _ZN9rocsolver6v33100L18getri_kernel_smallILi12EdPKPdEEvT1_iilPiilS6_bb.has_indirect_call, 0
	.section	.AMDGPU.csdata,"",@progbits
; Kernel info:
; codeLenInByte = 12604
; TotalNumSgprs: 23
; NumVgprs: 80
; ScratchSize: 0
; MemoryBound: 0
; FloatMode: 240
; IeeeMode: 1
; LDSByteSize: 200 bytes/workgroup (compile time only)
; SGPRBlocks: 0
; VGPRBlocks: 4
; NumSGPRsForWavesPerEU: 23
; NumVGPRsForWavesPerEU: 80
; NamedBarCnt: 0
; Occupancy: 12
; WaveLimiterHint : 1
; COMPUTE_PGM_RSRC2:SCRATCH_EN: 0
; COMPUTE_PGM_RSRC2:USER_SGPR: 2
; COMPUTE_PGM_RSRC2:TRAP_HANDLER: 0
; COMPUTE_PGM_RSRC2:TGID_X_EN: 1
; COMPUTE_PGM_RSRC2:TGID_Y_EN: 0
; COMPUTE_PGM_RSRC2:TGID_Z_EN: 0
; COMPUTE_PGM_RSRC2:TIDIG_COMP_CNT: 0
	.section	.text._ZN9rocsolver6v33100L18getri_kernel_smallILi13EdPKPdEEvT1_iilPiilS6_bb,"axG",@progbits,_ZN9rocsolver6v33100L18getri_kernel_smallILi13EdPKPdEEvT1_iilPiilS6_bb,comdat
	.globl	_ZN9rocsolver6v33100L18getri_kernel_smallILi13EdPKPdEEvT1_iilPiilS6_bb ; -- Begin function _ZN9rocsolver6v33100L18getri_kernel_smallILi13EdPKPdEEvT1_iilPiilS6_bb
	.p2align	8
	.type	_ZN9rocsolver6v33100L18getri_kernel_smallILi13EdPKPdEEvT1_iilPiilS6_bb,@function
_ZN9rocsolver6v33100L18getri_kernel_smallILi13EdPKPdEEvT1_iilPiilS6_bb: ; @_ZN9rocsolver6v33100L18getri_kernel_smallILi13EdPKPdEEvT1_iilPiilS6_bb
; %bb.0:
	s_mov_b32 s2, exec_lo
	v_cmpx_gt_u32_e32 13, v0
	s_cbranch_execz .LBB76_16
; %bb.1:
	s_clause 0x1
	s_load_b32 s6, s[0:1], 0x38
	s_load_b64 s[2:3], s[0:1], 0x0
	s_getreg_b32 s7, hwreg(HW_REG_IB_STS2, 6, 4)
	s_load_b128 s[12:15], s[0:1], 0x28
                                        ; implicit-def: $sgpr16_sgpr17
	s_wait_kmcnt 0x0
	s_bitcmp1_b32 s6, 8
	s_cselect_b32 s22, -1, 0
	s_bfe_u32 s4, ttmp6, 0x4000c
	s_and_b32 s5, ttmp6, 15
	s_add_co_i32 s4, s4, 1
	s_delay_alu instid0(SALU_CYCLE_1) | instskip(NEXT) | instid1(SALU_CYCLE_1)
	s_mul_i32 s4, ttmp9, s4
	s_add_co_i32 s5, s5, s4
	s_cmp_eq_u32 s7, 0
	s_cselect_b32 s20, ttmp9, s5
	s_delay_alu instid0(SALU_CYCLE_1) | instskip(NEXT) | instid1(SALU_CYCLE_1)
	s_ashr_i32 s21, s20, 31
	s_lshl_b64 s[4:5], s[20:21], 3
	s_delay_alu instid0(SALU_CYCLE_1)
	s_add_nc_u64 s[2:3], s[2:3], s[4:5]
	s_bfe_u32 s4, s6, 0x10008
	s_load_b64 s[2:3], s[2:3], 0x0
	s_cmp_eq_u32 s4, 0
	s_cbranch_scc1 .LBB76_3
; %bb.2:
	s_load_b96 s[4:6], s[0:1], 0x18
	s_mul_u64 s[8:9], s[12:13], s[20:21]
	s_delay_alu instid0(SALU_CYCLE_1) | instskip(SKIP_4) | instid1(SALU_CYCLE_1)
	s_lshl_b64 s[8:9], s[8:9], 2
	s_wait_kmcnt 0x0
	s_ashr_i32 s7, s6, 31
	s_add_nc_u64 s[4:5], s[4:5], s[8:9]
	s_lshl_b64 s[6:7], s[6:7], 2
	s_add_nc_u64 s[16:17], s[4:5], s[6:7]
.LBB76_3:
	s_clause 0x1
	s_load_b64 s[4:5], s[0:1], 0x8
	s_load_b32 s6, s[0:1], 0x38
	v_dual_mov_b32 v1, 0 :: v_dual_lshlrev_b32 v28, 3, v0
	s_delay_alu instid0(VALU_DEP_1) | instskip(SKIP_4) | instid1(SALU_CYCLE_1)
	v_mov_b32_e32 v29, v1
	s_wait_kmcnt 0x0
	v_add3_u32 v60, s5, s5, v0
	s_ashr_i32 s1, s4, 31
	s_mov_b32 s0, s4
	s_lshl_b64 s[0:1], s[0:1], 3
	s_delay_alu instid0(VALU_DEP_1)
	v_add_nc_u32_e32 v62, s5, v60
	s_add_nc_u64 s[18:19], s[2:3], s[0:1]
	s_ashr_i32 s1, s5, 31
	s_mov_b32 s0, s5
	s_bitcmp0_b32 s6, 0
	v_add_nc_u32_e32 v64, s5, v62
	v_add_nc_u64_e32 v[68:69], s[18:19], v[28:29]
	s_delay_alu instid0(VALU_DEP_2) | instskip(NEXT) | instid1(VALU_DEP_2)
	v_add_nc_u32_e32 v66, s5, v64
	v_lshl_add_u64 v[72:73], s[0:1], 3, v[68:69]
	s_mov_b32 s0, -1
	s_delay_alu instid0(VALU_DEP_2)
	v_add_nc_u32_e32 v70, s5, v66
	flat_load_b64 v[4:5], v[72:73]
	v_add_nc_u32_e32 v74, s5, v70
	s_clause 0x3
	flat_load_b64 v[6:7], v60, s[18:19] scale_offset
	flat_load_b64 v[8:9], v62, s[18:19] scale_offset
	;; [unrolled: 1-line block ×4, first 2 shown]
	v_add_nc_u32_e32 v76, s5, v74
	s_delay_alu instid0(VALU_DEP_1) | instskip(NEXT) | instid1(VALU_DEP_1)
	v_add_nc_u32_e32 v78, s5, v76
	v_add_nc_u32_e32 v80, s5, v78
	s_delay_alu instid0(VALU_DEP_1) | instskip(NEXT) | instid1(VALU_DEP_1)
	v_add_nc_u32_e32 v82, s5, v80
	v_add_nc_u32_e32 v84, s5, v82
	s_clause 0x7
	flat_load_b64 v[14:15], v70, s[18:19] scale_offset
	flat_load_b64 v[16:17], v74, s[18:19] scale_offset
	;; [unrolled: 1-line block ×8, first 2 shown]
	s_cbranch_scc1 .LBB76_14
; %bb.4:
	v_cmp_eq_u32_e64 s0, 0, v0
	s_wait_xcnt 0x0
	s_and_saveexec_b32 s1, s0
; %bb.5:
	v_mov_b32_e32 v29, 0
	ds_store_b32 v29, v29 offset:104
; %bb.6:
	s_or_b32 exec_lo, exec_lo, s1
	v_cmp_eq_u32_e32 vcc_lo, 1, v0
	s_mov_b32 s2, exec_lo
	s_wait_loadcnt_dscnt 0x0
	s_barrier_signal -1
	s_barrier_wait -1
	v_dual_cndmask_b32 v29, v3, v5 :: v_dual_cndmask_b32 v30, v2, v4
	v_cmp_eq_u32_e32 vcc_lo, 2, v0
	s_delay_alu instid0(VALU_DEP_2) | instskip(SKIP_1) | instid1(VALU_DEP_2)
	v_dual_cndmask_b32 v29, v29, v7 :: v_dual_cndmask_b32 v30, v30, v6
	v_cmp_eq_u32_e32 vcc_lo, 3, v0
	v_dual_cndmask_b32 v29, v29, v9 :: v_dual_cndmask_b32 v30, v30, v8
	v_cmp_eq_u32_e32 vcc_lo, 4, v0
	s_delay_alu instid0(VALU_DEP_2) | instskip(SKIP_1) | instid1(VALU_DEP_2)
	v_dual_cndmask_b32 v29, v29, v11 :: v_dual_cndmask_b32 v30, v30, v10
	v_cmp_eq_u32_e32 vcc_lo, 5, v0
	;; [unrolled: 5-line block ×5, first 2 shown]
	v_dual_cndmask_b32 v29, v29, v25 :: v_dual_cndmask_b32 v30, v30, v24
	v_cmp_eq_u32_e32 vcc_lo, 12, v0
	s_delay_alu instid0(VALU_DEP_2) | instskip(NEXT) | instid1(VALU_DEP_1)
	v_dual_cndmask_b32 v31, v29, v27 :: v_dual_cndmask_b32 v30, v30, v26
	v_cmpx_eq_f64_e32 0, v[30:31]
	s_cbranch_execz .LBB76_10
; %bb.7:
	v_mov_b32_e32 v29, 0
	s_mov_b32 s3, 0
	ds_load_b32 v32, v29 offset:104
	s_wait_dscnt 0x0
	v_readfirstlane_b32 s1, v32
	v_add_nc_u32_e32 v32, 1, v0
	s_cmp_eq_u32 s1, 0
	s_delay_alu instid0(VALU_DEP_1) | instskip(SKIP_1) | instid1(SALU_CYCLE_1)
	v_cmp_gt_i32_e32 vcc_lo, s1, v32
	s_cselect_b32 s4, -1, 0
	s_or_b32 s4, s4, vcc_lo
	s_delay_alu instid0(SALU_CYCLE_1)
	s_and_b32 exec_lo, exec_lo, s4
	s_cbranch_execz .LBB76_10
; %bb.8:
	v_mov_b32_e32 v33, s1
.LBB76_9:                               ; =>This Inner Loop Header: Depth=1
	ds_cmpstore_rtn_b32 v33, v29, v32, v33 offset:104
	s_wait_dscnt 0x0
	v_cmp_ne_u32_e32 vcc_lo, 0, v33
	v_cmp_le_i32_e64 s1, v33, v32
	s_and_b32 s1, vcc_lo, s1
	s_delay_alu instid0(SALU_CYCLE_1) | instskip(NEXT) | instid1(SALU_CYCLE_1)
	s_and_b32 s1, exec_lo, s1
	s_or_b32 s3, s1, s3
	s_delay_alu instid0(SALU_CYCLE_1)
	s_and_not1_b32 exec_lo, exec_lo, s3
	s_cbranch_execnz .LBB76_9
.LBB76_10:
	s_or_b32 exec_lo, exec_lo, s2
	v_mov_b32_e32 v29, 0
	s_barrier_signal -1
	s_barrier_wait -1
	ds_load_b32 v32, v29 offset:104
	s_and_saveexec_b32 s1, s0
	s_cbranch_execz .LBB76_12
; %bb.11:
	s_lshl_b64 s[2:3], s[20:21], 2
	s_delay_alu instid0(SALU_CYCLE_1)
	s_add_nc_u64 s[2:3], s[14:15], s[2:3]
	s_wait_dscnt 0x0
	global_store_b32 v29, v32, s[2:3]
.LBB76_12:
	s_wait_xcnt 0x0
	s_or_b32 exec_lo, exec_lo, s1
	s_wait_dscnt 0x0
	v_cmp_ne_u32_e32 vcc_lo, 0, v32
	s_cbranch_vccz .LBB76_17
; %bb.13:
	s_mov_b32 s0, 0
                                        ; implicit-def: $vgpr2_vgpr3_vgpr4_vgpr5_vgpr6_vgpr7_vgpr8_vgpr9_vgpr10_vgpr11_vgpr12_vgpr13_vgpr14_vgpr15_vgpr16_vgpr17_vgpr18_vgpr19_vgpr20_vgpr21_vgpr22_vgpr23_vgpr24_vgpr25_vgpr26_vgpr27_vgpr28_vgpr29_vgpr30_vgpr31_vgpr32_vgpr33
.LBB76_14:
	s_delay_alu instid0(SALU_CYCLE_1)
	s_and_b32 vcc_lo, exec_lo, s0
	s_cbranch_vccz .LBB76_16
.LBB76_15:
	v_mov_b32_e32 v1, 0
	s_lshl_b64 s[0:1], s[20:21], 2
	s_delay_alu instid0(SALU_CYCLE_1)
	s_add_nc_u64 s[0:1], s[14:15], s[0:1]
	global_load_b32 v1, v1, s[0:1]
	s_wait_loadcnt 0x0
	v_cmp_ne_u32_e32 vcc_lo, 0, v1
	s_cbranch_vccz .LBB76_76
.LBB76_16:
	s_sendmsg sendmsg(MSG_DEALLOC_VGPRS)
	s_endpgm
.LBB76_17:
	v_div_scale_f64 v[32:33], null, v[30:31], v[30:31], 1.0
	v_div_scale_f64 v[38:39], vcc_lo, 1.0, v[30:31], 1.0
	v_cmp_eq_u32_e64 s1, 11, v0
	v_cmp_eq_u32_e64 s2, 10, v0
	;; [unrolled: 1-line block ×12, first 2 shown]
	v_rcp_f64_e32 v[34:35], v[32:33]
	v_nop
	s_delay_alu instid0(TRANS32_DEP_1) | instskip(NEXT) | instid1(VALU_DEP_1)
	v_fma_f64 v[36:37], -v[32:33], v[34:35], 1.0
	v_fmac_f64_e32 v[34:35], v[34:35], v[36:37]
	s_delay_alu instid0(VALU_DEP_1) | instskip(NEXT) | instid1(VALU_DEP_1)
	v_fma_f64 v[36:37], -v[32:33], v[34:35], 1.0
	v_fmac_f64_e32 v[34:35], v[34:35], v[36:37]
	s_delay_alu instid0(VALU_DEP_1) | instskip(NEXT) | instid1(VALU_DEP_1)
	v_mul_f64_e32 v[36:37], v[38:39], v[34:35]
	v_fma_f64 v[32:33], -v[32:33], v[36:37], v[38:39]
	s_delay_alu instid0(VALU_DEP_1) | instskip(SKIP_1) | instid1(VALU_DEP_2)
	v_div_fmas_f64 v[32:33], v[32:33], v[34:35], v[36:37]
	v_cmp_eq_u32_e32 vcc_lo, 12, v0
	v_div_fixup_f64 v[30:31], v[32:33], v[30:31], 1.0
	s_delay_alu instid0(VALU_DEP_1) | instskip(NEXT) | instid1(VALU_DEP_2)
	v_dual_cndmask_b32 v27, v27, v31 :: v_dual_add_nc_u32 v32, 0x70, v28
	v_dual_cndmask_b32 v26, v26, v30, vcc_lo :: v_dual_cndmask_b32 v25, v25, v31, s1
	v_dual_cndmask_b32 v24, v24, v30, s1 :: v_dual_cndmask_b32 v23, v23, v31, s2
	v_dual_cndmask_b32 v22, v22, v30, s2 :: v_dual_cndmask_b32 v21, v21, v31, s3
	;; [unrolled: 1-line block ×9, first 2 shown]
	v_dual_cndmask_b32 v4, v4, v30, s11 :: v_dual_mov_b32 v34, v30
	v_xor_b32_e32 v35, 0x80000000, v31
	v_dual_cndmask_b32 v7, v7, v31, s10 :: v_dual_cndmask_b32 v6, v6, v30, s10
	v_dual_cndmask_b32 v3, v3, v31, s12 :: v_dual_cndmask_b32 v2, v2, v30, s12
	ds_store_2addr_b64 v28, v[34:35], v[4:5] offset1:14
	s_wait_storecnt_dscnt 0x0
	s_barrier_signal -1
	s_barrier_wait -1
	s_and_saveexec_b32 s1, s0
	s_cbranch_execz .LBB76_19
; %bb.18:
	ds_load_b64 v[4:5], v32
	v_mov_b32_e32 v28, 0
	ds_load_b64 v[28:29], v28 offset:8
	s_wait_dscnt 0x1
	v_fma_f64 v[4:5], v[30:31], v[4:5], 0
	s_wait_dscnt 0x0
	s_delay_alu instid0(VALU_DEP_1)
	v_mul_f64_e32 v[4:5], v[4:5], v[28:29]
.LBB76_19:
	s_or_b32 exec_lo, exec_lo, s1
	v_cmp_gt_u32_e32 vcc_lo, 2, v0
	s_barrier_signal -1
	s_barrier_wait -1
	ds_store_b64 v32, v[6:7]
	s_wait_dscnt 0x0
	s_barrier_signal -1
	s_barrier_wait -1
	s_and_saveexec_b32 s3, vcc_lo
	s_cbranch_execz .LBB76_23
; %bb.20:
	v_cmp_eq_u32_e64 s1, 1, v0
	v_cmp_eq_u32_e64 s2, 10, v0
	s_delay_alu instid0(VALU_DEP_2) | instskip(SKIP_1) | instid1(VALU_DEP_1)
	v_dual_cndmask_b32 v28, v3, v5, s1 :: v_dual_cndmask_b32 v29, v2, v4, s1
	v_cmp_eq_u32_e64 s1, 2, v0
	v_dual_cndmask_b32 v7, v28, v7, s1 :: v_dual_cndmask_b32 v6, v29, v6, s1
	v_cmp_eq_u32_e64 s1, 3, v0
	s_delay_alu instid0(VALU_DEP_1) | instskip(SKIP_1) | instid1(VALU_DEP_1)
	v_dual_cndmask_b32 v7, v7, v9, s1 :: v_dual_cndmask_b32 v6, v6, v8, s1
	v_cmp_eq_u32_e64 s1, 4, v0
	v_dual_cndmask_b32 v7, v7, v11, s1 :: v_dual_cndmask_b32 v6, v6, v10, s1
	v_cmp_eq_u32_e64 s1, 5, v0
	s_delay_alu instid0(VALU_DEP_1) | instskip(SKIP_1) | instid1(VALU_DEP_1)
	;; [unrolled: 5-line block ×3, first 2 shown]
	v_dual_cndmask_b32 v7, v7, v17, s1 :: v_dual_cndmask_b32 v6, v6, v16, s1
	v_cmp_eq_u32_e64 s1, 8, v0
	v_dual_cndmask_b32 v7, v7, v19, s1 :: v_dual_cndmask_b32 v6, v6, v18, s1
	v_cmp_eq_u32_e64 s1, 9, v0
	s_delay_alu instid0(VALU_DEP_1) | instskip(SKIP_3) | instid1(VALU_DEP_1)
	v_dual_cndmask_b32 v28, v7, v21, s1 :: v_dual_cndmask_b32 v29, v6, v20, s1
	ds_load_b64 v[6:7], v32
	v_cmp_eq_u32_e64 s1, 11, v0
	v_dual_cndmask_b32 v28, v28, v23, s2 :: v_dual_cndmask_b32 v29, v29, v22, s2
	v_dual_cndmask_b32 v28, v28, v25, s1 :: v_dual_cndmask_b32 v30, v29, v24, s1
	v_cmp_eq_u32_e64 s1, 12, v0
	s_delay_alu instid0(VALU_DEP_1) | instskip(SKIP_1) | instid1(VALU_DEP_1)
	v_dual_cndmask_b32 v29, v28, v27, s1 :: v_dual_cndmask_b32 v28, v30, v26, s1
	s_wait_dscnt 0x0
	v_fma_f64 v[6:7], v[28:29], v[6:7], 0
	s_and_saveexec_b32 s1, s0
	s_cbranch_execz .LBB76_22
; %bb.21:
	v_mov_b32_e32 v28, 0
	ds_load_b64 v[28:29], v28 offset:120
	s_wait_dscnt 0x0
	v_fmac_f64_e32 v[6:7], v[4:5], v[28:29]
.LBB76_22:
	s_or_b32 exec_lo, exec_lo, s1
	v_mov_b32_e32 v28, 0
	ds_load_b64 v[28:29], v28 offset:16
	s_wait_dscnt 0x0
	v_mul_f64_e32 v[6:7], v[6:7], v[28:29]
.LBB76_23:
	s_or_b32 exec_lo, exec_lo, s3
	s_delay_alu instid0(SALU_CYCLE_1)
	s_mov_b32 s3, exec_lo
	s_barrier_signal -1
	s_barrier_wait -1
	ds_store_b64 v32, v[8:9]
	s_wait_dscnt 0x0
	s_barrier_signal -1
	s_barrier_wait -1
	v_cmpx_gt_u32_e32 3, v0
	s_cbranch_execz .LBB76_27
; %bb.24:
	v_mov_b64_e32 v[28:29], 0
	v_mov_b64_e32 v[30:31], v[0:1]
	v_lshl_add_u32 v33, v0, 3, 0x70
	s_mov_b32 s4, 0
.LBB76_25:                              ; =>This Inner Loop Header: Depth=1
	s_delay_alu instid0(VALU_DEP_2) | instskip(SKIP_1) | instid1(VALU_DEP_2)
	v_cmp_eq_u32_e64 s1, 1, v30
	v_cmp_eq_u32_e64 s2, 2, v30
	v_dual_cndmask_b32 v34, v3, v5, s1 :: v_dual_cndmask_b32 v35, v2, v4, s1
	v_cmp_eq_u32_e64 s1, 3, v30
	s_delay_alu instid0(VALU_DEP_2) | instskip(SKIP_1) | instid1(VALU_DEP_2)
	v_dual_cndmask_b32 v34, v34, v7, s2 :: v_dual_cndmask_b32 v35, v35, v6, s2
	v_cmp_eq_u32_e64 s2, 4, v30
	v_dual_cndmask_b32 v34, v34, v9, s1 :: v_dual_cndmask_b32 v35, v35, v8, s1
	v_cmp_eq_u32_e64 s1, 5, v30
	s_delay_alu instid0(VALU_DEP_2) | instskip(SKIP_1) | instid1(VALU_DEP_2)
	v_dual_cndmask_b32 v34, v34, v11, s2 :: v_dual_cndmask_b32 v35, v35, v10, s2
	;; [unrolled: 5-line block ×3, first 2 shown]
	v_cmp_eq_u32_e64 s2, 8, v30
	v_dual_cndmask_b32 v34, v34, v17, s1 :: v_dual_cndmask_b32 v35, v35, v16, s1
	v_cmp_eq_u32_e64 s1, 9, v30
	s_delay_alu instid0(VALU_DEP_2)
	v_dual_cndmask_b32 v36, v34, v19, s2 :: v_dual_cndmask_b32 v37, v35, v18, s2
	ds_load_b64 v[34:35], v33
	v_cmp_eq_u32_e64 s2, 10, v30
	v_add_nc_u32_e32 v33, 8, v33
	v_dual_cndmask_b32 v36, v36, v21, s1 :: v_dual_cndmask_b32 v37, v37, v20, s1
	v_cmp_eq_u32_e64 s1, 11, v30
	s_delay_alu instid0(VALU_DEP_2) | instskip(SKIP_2) | instid1(VALU_DEP_3)
	v_dual_cndmask_b32 v36, v36, v23, s2 :: v_dual_cndmask_b32 v37, v37, v22, s2
	v_cmp_eq_u32_e64 s2, 12, v30
	v_add_nc_u64_e32 v[30:31], 1, v[30:31]
	v_dual_cndmask_b32 v36, v36, v25, s1 :: v_dual_cndmask_b32 v38, v37, v24, s1
	s_delay_alu instid0(VALU_DEP_1) | instskip(SKIP_1) | instid1(VALU_DEP_1)
	v_dual_cndmask_b32 v37, v36, v27, s2 :: v_dual_cndmask_b32 v36, v38, v26, s2
	s_wait_dscnt 0x0
	v_fmac_f64_e32 v[28:29], v[36:37], v[34:35]
	s_delay_alu instid0(VALU_DEP_4) | instskip(NEXT) | instid1(VALU_DEP_1)
	v_add_nc_u32_e32 v34, -1, v30
	v_cmp_lt_u32_e64 s1, 1, v34
	s_or_b32 s4, s1, s4
	s_delay_alu instid0(SALU_CYCLE_1)
	s_and_not1_b32 exec_lo, exec_lo, s4
	s_cbranch_execnz .LBB76_25
; %bb.26:
	s_or_b32 exec_lo, exec_lo, s4
	v_mov_b32_e32 v8, 0
	ds_load_b64 v[8:9], v8 offset:24
	s_wait_dscnt 0x0
	v_mul_f64_e32 v[8:9], v[28:29], v[8:9]
.LBB76_27:
	s_or_b32 exec_lo, exec_lo, s3
	v_cmp_gt_u32_e64 s1, 4, v0
	s_barrier_signal -1
	s_barrier_wait -1
	ds_store_b64 v32, v[10:11]
	s_wait_dscnt 0x0
	s_barrier_signal -1
	s_barrier_wait -1
	s_and_saveexec_b32 s4, s1
	s_cbranch_execz .LBB76_31
; %bb.28:
	v_mov_b64_e32 v[28:29], 0
	v_mov_b64_e32 v[30:31], v[0:1]
	v_lshl_add_u32 v33, v0, 3, 0x70
	s_mov_b32 s5, 0
.LBB76_29:                              ; =>This Inner Loop Header: Depth=1
	s_delay_alu instid0(VALU_DEP_2) | instskip(SKIP_1) | instid1(VALU_DEP_2)
	v_cmp_eq_u32_e64 s2, 1, v30
	v_cmp_eq_u32_e64 s3, 2, v30
	v_dual_cndmask_b32 v34, v3, v5, s2 :: v_dual_cndmask_b32 v35, v2, v4, s2
	v_cmp_eq_u32_e64 s2, 3, v30
	s_delay_alu instid0(VALU_DEP_2) | instskip(SKIP_1) | instid1(VALU_DEP_2)
	v_dual_cndmask_b32 v34, v34, v7, s3 :: v_dual_cndmask_b32 v35, v35, v6, s3
	v_cmp_eq_u32_e64 s3, 4, v30
	v_dual_cndmask_b32 v34, v34, v9, s2 :: v_dual_cndmask_b32 v35, v35, v8, s2
	v_cmp_eq_u32_e64 s2, 5, v30
	s_delay_alu instid0(VALU_DEP_2) | instskip(SKIP_1) | instid1(VALU_DEP_2)
	v_dual_cndmask_b32 v34, v34, v11, s3 :: v_dual_cndmask_b32 v35, v35, v10, s3
	;; [unrolled: 5-line block ×3, first 2 shown]
	v_cmp_eq_u32_e64 s3, 8, v30
	v_dual_cndmask_b32 v34, v34, v17, s2 :: v_dual_cndmask_b32 v35, v35, v16, s2
	v_cmp_eq_u32_e64 s2, 9, v30
	s_delay_alu instid0(VALU_DEP_2)
	v_dual_cndmask_b32 v36, v34, v19, s3 :: v_dual_cndmask_b32 v37, v35, v18, s3
	ds_load_b64 v[34:35], v33
	v_cmp_eq_u32_e64 s3, 10, v30
	v_add_nc_u32_e32 v33, 8, v33
	v_dual_cndmask_b32 v36, v36, v21, s2 :: v_dual_cndmask_b32 v37, v37, v20, s2
	v_cmp_eq_u32_e64 s2, 11, v30
	s_delay_alu instid0(VALU_DEP_2) | instskip(SKIP_2) | instid1(VALU_DEP_3)
	v_dual_cndmask_b32 v36, v36, v23, s3 :: v_dual_cndmask_b32 v37, v37, v22, s3
	v_cmp_eq_u32_e64 s3, 12, v30
	v_add_nc_u64_e32 v[30:31], 1, v[30:31]
	v_dual_cndmask_b32 v36, v36, v25, s2 :: v_dual_cndmask_b32 v38, v37, v24, s2
	s_delay_alu instid0(VALU_DEP_1) | instskip(SKIP_1) | instid1(VALU_DEP_1)
	v_dual_cndmask_b32 v37, v36, v27, s3 :: v_dual_cndmask_b32 v36, v38, v26, s3
	s_wait_dscnt 0x0
	v_fmac_f64_e32 v[28:29], v[36:37], v[34:35]
	s_delay_alu instid0(VALU_DEP_4) | instskip(NEXT) | instid1(VALU_DEP_1)
	v_add_nc_u32_e32 v34, -1, v30
	v_cmp_lt_u32_e64 s2, 2, v34
	s_or_b32 s5, s2, s5
	s_delay_alu instid0(SALU_CYCLE_1)
	s_and_not1_b32 exec_lo, exec_lo, s5
	s_cbranch_execnz .LBB76_29
; %bb.30:
	s_or_b32 exec_lo, exec_lo, s5
	v_mov_b32_e32 v10, 0
	ds_load_b64 v[10:11], v10 offset:32
	s_wait_dscnt 0x0
	v_mul_f64_e32 v[10:11], v[28:29], v[10:11]
.LBB76_31:
	s_or_b32 exec_lo, exec_lo, s4
	s_delay_alu instid0(SALU_CYCLE_1)
	s_mov_b32 s4, exec_lo
	s_barrier_signal -1
	s_barrier_wait -1
	ds_store_b64 v32, v[12:13]
	s_wait_dscnt 0x0
	s_barrier_signal -1
	s_barrier_wait -1
	v_cmpx_gt_u32_e32 5, v0
	s_cbranch_execz .LBB76_35
; %bb.32:
	v_mov_b64_e32 v[28:29], 0
	v_mov_b64_e32 v[30:31], v[0:1]
	v_lshl_add_u32 v33, v0, 3, 0x70
	s_mov_b32 s5, 0
.LBB76_33:                              ; =>This Inner Loop Header: Depth=1
	s_delay_alu instid0(VALU_DEP_2) | instskip(SKIP_1) | instid1(VALU_DEP_2)
	v_cmp_eq_u32_e64 s2, 1, v30
	v_cmp_eq_u32_e64 s3, 2, v30
	v_dual_cndmask_b32 v34, v3, v5, s2 :: v_dual_cndmask_b32 v35, v2, v4, s2
	v_cmp_eq_u32_e64 s2, 3, v30
	s_delay_alu instid0(VALU_DEP_2) | instskip(SKIP_1) | instid1(VALU_DEP_2)
	v_dual_cndmask_b32 v34, v34, v7, s3 :: v_dual_cndmask_b32 v35, v35, v6, s3
	v_cmp_eq_u32_e64 s3, 4, v30
	v_dual_cndmask_b32 v34, v34, v9, s2 :: v_dual_cndmask_b32 v35, v35, v8, s2
	v_cmp_eq_u32_e64 s2, 5, v30
	s_delay_alu instid0(VALU_DEP_2) | instskip(SKIP_1) | instid1(VALU_DEP_2)
	v_dual_cndmask_b32 v34, v34, v11, s3 :: v_dual_cndmask_b32 v35, v35, v10, s3
	;; [unrolled: 5-line block ×3, first 2 shown]
	v_cmp_eq_u32_e64 s3, 8, v30
	v_dual_cndmask_b32 v34, v34, v17, s2 :: v_dual_cndmask_b32 v35, v35, v16, s2
	v_cmp_eq_u32_e64 s2, 9, v30
	s_delay_alu instid0(VALU_DEP_2)
	v_dual_cndmask_b32 v36, v34, v19, s3 :: v_dual_cndmask_b32 v37, v35, v18, s3
	ds_load_b64 v[34:35], v33
	v_cmp_eq_u32_e64 s3, 10, v30
	v_add_nc_u32_e32 v33, 8, v33
	v_dual_cndmask_b32 v36, v36, v21, s2 :: v_dual_cndmask_b32 v37, v37, v20, s2
	v_cmp_eq_u32_e64 s2, 11, v30
	s_delay_alu instid0(VALU_DEP_2) | instskip(SKIP_2) | instid1(VALU_DEP_3)
	v_dual_cndmask_b32 v36, v36, v23, s3 :: v_dual_cndmask_b32 v37, v37, v22, s3
	v_cmp_eq_u32_e64 s3, 12, v30
	v_add_nc_u64_e32 v[30:31], 1, v[30:31]
	v_dual_cndmask_b32 v36, v36, v25, s2 :: v_dual_cndmask_b32 v38, v37, v24, s2
	s_delay_alu instid0(VALU_DEP_1) | instskip(SKIP_1) | instid1(VALU_DEP_1)
	v_dual_cndmask_b32 v37, v36, v27, s3 :: v_dual_cndmask_b32 v36, v38, v26, s3
	s_wait_dscnt 0x0
	v_fmac_f64_e32 v[28:29], v[36:37], v[34:35]
	s_delay_alu instid0(VALU_DEP_4) | instskip(NEXT) | instid1(VALU_DEP_1)
	v_add_nc_u32_e32 v34, -1, v30
	v_cmp_lt_u32_e64 s2, 3, v34
	s_or_b32 s5, s2, s5
	s_delay_alu instid0(SALU_CYCLE_1)
	s_and_not1_b32 exec_lo, exec_lo, s5
	s_cbranch_execnz .LBB76_33
; %bb.34:
	s_or_b32 exec_lo, exec_lo, s5
	v_mov_b32_e32 v12, 0
	ds_load_b64 v[12:13], v12 offset:40
	s_wait_dscnt 0x0
	v_mul_f64_e32 v[12:13], v[28:29], v[12:13]
.LBB76_35:
	s_or_b32 exec_lo, exec_lo, s4
	v_cmp_gt_u32_e64 s2, 6, v0
	s_barrier_signal -1
	s_barrier_wait -1
	ds_store_b64 v32, v[14:15]
	s_wait_dscnt 0x0
	s_barrier_signal -1
	s_barrier_wait -1
	s_and_saveexec_b32 s5, s2
	s_cbranch_execz .LBB76_39
; %bb.36:
	v_mov_b64_e32 v[28:29], 0
	v_mov_b64_e32 v[30:31], v[0:1]
	v_lshl_add_u32 v33, v0, 3, 0x70
	s_mov_b32 s6, 0
.LBB76_37:                              ; =>This Inner Loop Header: Depth=1
	s_delay_alu instid0(VALU_DEP_2) | instskip(SKIP_1) | instid1(VALU_DEP_2)
	v_cmp_eq_u32_e64 s3, 1, v30
	v_cmp_eq_u32_e64 s4, 2, v30
	v_dual_cndmask_b32 v34, v3, v5, s3 :: v_dual_cndmask_b32 v35, v2, v4, s3
	v_cmp_eq_u32_e64 s3, 3, v30
	s_delay_alu instid0(VALU_DEP_2) | instskip(SKIP_1) | instid1(VALU_DEP_2)
	v_dual_cndmask_b32 v34, v34, v7, s4 :: v_dual_cndmask_b32 v35, v35, v6, s4
	v_cmp_eq_u32_e64 s4, 4, v30
	v_dual_cndmask_b32 v34, v34, v9, s3 :: v_dual_cndmask_b32 v35, v35, v8, s3
	v_cmp_eq_u32_e64 s3, 5, v30
	s_delay_alu instid0(VALU_DEP_2) | instskip(SKIP_1) | instid1(VALU_DEP_2)
	v_dual_cndmask_b32 v34, v34, v11, s4 :: v_dual_cndmask_b32 v35, v35, v10, s4
	;; [unrolled: 5-line block ×3, first 2 shown]
	v_cmp_eq_u32_e64 s4, 8, v30
	v_dual_cndmask_b32 v34, v34, v17, s3 :: v_dual_cndmask_b32 v35, v35, v16, s3
	v_cmp_eq_u32_e64 s3, 9, v30
	s_delay_alu instid0(VALU_DEP_2)
	v_dual_cndmask_b32 v36, v34, v19, s4 :: v_dual_cndmask_b32 v37, v35, v18, s4
	ds_load_b64 v[34:35], v33
	v_cmp_eq_u32_e64 s4, 10, v30
	v_add_nc_u32_e32 v33, 8, v33
	v_dual_cndmask_b32 v36, v36, v21, s3 :: v_dual_cndmask_b32 v37, v37, v20, s3
	v_cmp_eq_u32_e64 s3, 11, v30
	s_delay_alu instid0(VALU_DEP_2) | instskip(SKIP_2) | instid1(VALU_DEP_3)
	v_dual_cndmask_b32 v36, v36, v23, s4 :: v_dual_cndmask_b32 v37, v37, v22, s4
	v_cmp_eq_u32_e64 s4, 12, v30
	v_add_nc_u64_e32 v[30:31], 1, v[30:31]
	v_dual_cndmask_b32 v36, v36, v25, s3 :: v_dual_cndmask_b32 v38, v37, v24, s3
	s_delay_alu instid0(VALU_DEP_1) | instskip(SKIP_1) | instid1(VALU_DEP_1)
	v_dual_cndmask_b32 v37, v36, v27, s4 :: v_dual_cndmask_b32 v36, v38, v26, s4
	s_wait_dscnt 0x0
	v_fmac_f64_e32 v[28:29], v[36:37], v[34:35]
	s_delay_alu instid0(VALU_DEP_4) | instskip(NEXT) | instid1(VALU_DEP_1)
	v_add_nc_u32_e32 v34, -1, v30
	v_cmp_lt_u32_e64 s3, 4, v34
	s_or_b32 s6, s3, s6
	s_delay_alu instid0(SALU_CYCLE_1)
	s_and_not1_b32 exec_lo, exec_lo, s6
	s_cbranch_execnz .LBB76_37
; %bb.38:
	s_or_b32 exec_lo, exec_lo, s6
	v_mov_b32_e32 v14, 0
	ds_load_b64 v[14:15], v14 offset:48
	s_wait_dscnt 0x0
	v_mul_f64_e32 v[14:15], v[28:29], v[14:15]
.LBB76_39:
	s_or_b32 exec_lo, exec_lo, s5
	s_delay_alu instid0(SALU_CYCLE_1)
	s_mov_b32 s5, exec_lo
	s_barrier_signal -1
	s_barrier_wait -1
	ds_store_b64 v32, v[16:17]
	s_wait_dscnt 0x0
	s_barrier_signal -1
	s_barrier_wait -1
	v_cmpx_gt_u32_e32 7, v0
	s_cbranch_execz .LBB76_43
; %bb.40:
	v_mov_b64_e32 v[28:29], 0
	v_mov_b64_e32 v[30:31], v[0:1]
	v_lshl_add_u32 v33, v0, 3, 0x70
	s_mov_b32 s6, 0
.LBB76_41:                              ; =>This Inner Loop Header: Depth=1
	s_delay_alu instid0(VALU_DEP_2) | instskip(SKIP_1) | instid1(VALU_DEP_2)
	v_cmp_eq_u32_e64 s3, 1, v30
	v_cmp_eq_u32_e64 s4, 2, v30
	v_dual_cndmask_b32 v34, v3, v5, s3 :: v_dual_cndmask_b32 v35, v2, v4, s3
	v_cmp_eq_u32_e64 s3, 3, v30
	s_delay_alu instid0(VALU_DEP_2) | instskip(SKIP_1) | instid1(VALU_DEP_2)
	v_dual_cndmask_b32 v34, v34, v7, s4 :: v_dual_cndmask_b32 v35, v35, v6, s4
	v_cmp_eq_u32_e64 s4, 4, v30
	v_dual_cndmask_b32 v34, v34, v9, s3 :: v_dual_cndmask_b32 v35, v35, v8, s3
	v_cmp_eq_u32_e64 s3, 5, v30
	s_delay_alu instid0(VALU_DEP_2) | instskip(SKIP_1) | instid1(VALU_DEP_2)
	v_dual_cndmask_b32 v34, v34, v11, s4 :: v_dual_cndmask_b32 v35, v35, v10, s4
	;; [unrolled: 5-line block ×3, first 2 shown]
	v_cmp_eq_u32_e64 s4, 8, v30
	v_dual_cndmask_b32 v34, v34, v17, s3 :: v_dual_cndmask_b32 v35, v35, v16, s3
	v_cmp_eq_u32_e64 s3, 9, v30
	s_delay_alu instid0(VALU_DEP_2)
	v_dual_cndmask_b32 v36, v34, v19, s4 :: v_dual_cndmask_b32 v37, v35, v18, s4
	ds_load_b64 v[34:35], v33
	v_cmp_eq_u32_e64 s4, 10, v30
	v_add_nc_u32_e32 v33, 8, v33
	v_dual_cndmask_b32 v36, v36, v21, s3 :: v_dual_cndmask_b32 v37, v37, v20, s3
	v_cmp_eq_u32_e64 s3, 11, v30
	s_delay_alu instid0(VALU_DEP_2) | instskip(SKIP_2) | instid1(VALU_DEP_3)
	v_dual_cndmask_b32 v36, v36, v23, s4 :: v_dual_cndmask_b32 v37, v37, v22, s4
	v_cmp_eq_u32_e64 s4, 12, v30
	v_add_nc_u64_e32 v[30:31], 1, v[30:31]
	v_dual_cndmask_b32 v36, v36, v25, s3 :: v_dual_cndmask_b32 v38, v37, v24, s3
	s_delay_alu instid0(VALU_DEP_1) | instskip(SKIP_1) | instid1(VALU_DEP_1)
	v_dual_cndmask_b32 v37, v36, v27, s4 :: v_dual_cndmask_b32 v36, v38, v26, s4
	s_wait_dscnt 0x0
	v_fmac_f64_e32 v[28:29], v[36:37], v[34:35]
	s_delay_alu instid0(VALU_DEP_4) | instskip(NEXT) | instid1(VALU_DEP_1)
	v_add_nc_u32_e32 v34, -1, v30
	v_cmp_lt_u32_e64 s3, 5, v34
	s_or_b32 s6, s3, s6
	s_delay_alu instid0(SALU_CYCLE_1)
	s_and_not1_b32 exec_lo, exec_lo, s6
	s_cbranch_execnz .LBB76_41
; %bb.42:
	s_or_b32 exec_lo, exec_lo, s6
	v_mov_b32_e32 v16, 0
	ds_load_b64 v[16:17], v16 offset:56
	s_wait_dscnt 0x0
	v_mul_f64_e32 v[16:17], v[28:29], v[16:17]
.LBB76_43:
	s_or_b32 exec_lo, exec_lo, s5
	s_delay_alu instid0(SALU_CYCLE_1)
	s_mov_b32 s5, exec_lo
	s_barrier_signal -1
	s_barrier_wait -1
	ds_store_b64 v32, v[18:19]
	s_wait_dscnt 0x0
	s_barrier_signal -1
	s_barrier_wait -1
	v_cmpx_gt_u32_e32 8, v0
	s_cbranch_execz .LBB76_59
; %bb.44:
	v_cmp_eq_u32_e64 s3, 1, v0
	v_cmp_eq_u32_e64 s4, 10, v0
	s_mov_b32 s6, exec_lo
	v_dual_cndmask_b32 v28, v3, v5, s3 :: v_dual_cndmask_b32 v29, v2, v4, s3
	v_cmp_eq_u32_e64 s3, 2, v0
	s_delay_alu instid0(VALU_DEP_1) | instskip(SKIP_1) | instid1(VALU_DEP_1)
	v_dual_cndmask_b32 v28, v28, v7, s3 :: v_dual_cndmask_b32 v29, v29, v6, s3
	v_cmp_eq_u32_e64 s3, 3, v0
	v_dual_cndmask_b32 v28, v28, v9, s3 :: v_dual_cndmask_b32 v29, v29, v8, s3
	v_cmp_eq_u32_e64 s3, 4, v0
	s_delay_alu instid0(VALU_DEP_1) | instskip(SKIP_1) | instid1(VALU_DEP_1)
	v_dual_cndmask_b32 v28, v28, v11, s3 :: v_dual_cndmask_b32 v29, v29, v10, s3
	v_cmp_eq_u32_e64 s3, 5, v0
	;; [unrolled: 5-line block ×4, first 2 shown]
	v_dual_cndmask_b32 v30, v28, v21, s3 :: v_dual_cndmask_b32 v31, v29, v20, s3
	ds_load_b64 v[28:29], v32
	v_cmp_eq_u32_e64 s3, 11, v0
	v_dual_cndmask_b32 v30, v30, v23, s4 :: v_dual_cndmask_b32 v31, v31, v22, s4
	s_delay_alu instid0(VALU_DEP_1) | instskip(SKIP_1) | instid1(VALU_DEP_1)
	v_dual_cndmask_b32 v30, v30, v25, s3 :: v_dual_cndmask_b32 v33, v31, v24, s3
	v_cmp_eq_u32_e64 s3, 12, v0
	v_dual_cndmask_b32 v31, v30, v27, s3 :: v_dual_cndmask_b32 v30, v33, v26, s3
	s_wait_dscnt 0x0
	s_delay_alu instid0(VALU_DEP_1)
	v_fma_f64 v[28:29], v[30:31], v[28:29], 0
	v_cmpx_ne_u32_e32 7, v0
	s_cbranch_execz .LBB76_58
; %bb.45:
	v_add_nc_u32_e32 v33, 1, v0
	s_delay_alu instid0(VALU_DEP_1) | instskip(NEXT) | instid1(VALU_DEP_1)
	v_cmp_eq_u32_e64 s3, 1, v33
	v_cndmask_b32_e64 v30, v3, v5, s3
	v_cmp_eq_u32_e64 s4, 10, v33
	v_cndmask_b32_e64 v31, v2, v4, s3
	v_cmp_eq_u32_e64 s3, 2, v33
	s_delay_alu instid0(VALU_DEP_1) | instskip(SKIP_1) | instid1(VALU_DEP_1)
	v_dual_cndmask_b32 v30, v30, v7, s3 :: v_dual_cndmask_b32 v31, v31, v6, s3
	v_cmp_eq_u32_e64 s3, 3, v33
	v_dual_cndmask_b32 v30, v30, v9, s3 :: v_dual_cndmask_b32 v31, v31, v8, s3
	v_cmp_eq_u32_e64 s3, 4, v33
	s_delay_alu instid0(VALU_DEP_1) | instskip(SKIP_1) | instid1(VALU_DEP_1)
	v_dual_cndmask_b32 v30, v30, v11, s3 :: v_dual_cndmask_b32 v31, v31, v10, s3
	v_cmp_eq_u32_e64 s3, 5, v33
	v_dual_cndmask_b32 v30, v30, v13, s3 :: v_dual_cndmask_b32 v31, v31, v12, s3
	;; [unrolled: 5-line block ×4, first 2 shown]
	ds_load_b64 v[30:31], v32 offset:8
	v_cmp_eq_u32_e64 s3, 11, v33
	v_dual_cndmask_b32 v35, v35, v22, s4 :: v_dual_cndmask_b32 v34, v34, v23, s4
	s_delay_alu instid0(VALU_DEP_1) | instskip(SKIP_1) | instid1(VALU_DEP_1)
	v_dual_cndmask_b32 v36, v35, v24, s3 :: v_dual_cndmask_b32 v34, v34, v25, s3
	v_cmp_eq_u32_e64 s3, 12, v33
	v_dual_cndmask_b32 v35, v34, v27, s3 :: v_dual_cndmask_b32 v34, v36, v26, s3
	s_wait_dscnt 0x0
	s_delay_alu instid0(VALU_DEP_1)
	v_fmac_f64_e32 v[28:29], v[34:35], v[30:31]
	s_and_saveexec_b32 s4, s2
	s_cbranch_execz .LBB76_57
; %bb.46:
	v_add_nc_u32_e32 v33, 2, v0
	s_mov_b32 s7, exec_lo
	s_delay_alu instid0(VALU_DEP_1) | instskip(NEXT) | instid1(VALU_DEP_1)
	v_cmp_eq_u32_e64 s2, 1, v33
	v_cndmask_b32_e64 v30, v3, v5, s2
	v_cmp_eq_u32_e64 s3, 10, v33
	v_cndmask_b32_e64 v31, v2, v4, s2
	v_cmp_eq_u32_e64 s2, 2, v33
	s_delay_alu instid0(VALU_DEP_1) | instskip(SKIP_1) | instid1(VALU_DEP_1)
	v_dual_cndmask_b32 v30, v30, v7, s2 :: v_dual_cndmask_b32 v31, v31, v6, s2
	v_cmp_eq_u32_e64 s2, 3, v33
	v_dual_cndmask_b32 v30, v30, v9, s2 :: v_dual_cndmask_b32 v31, v31, v8, s2
	v_cmp_eq_u32_e64 s2, 4, v33
	s_delay_alu instid0(VALU_DEP_1) | instskip(SKIP_1) | instid1(VALU_DEP_1)
	v_dual_cndmask_b32 v30, v30, v11, s2 :: v_dual_cndmask_b32 v31, v31, v10, s2
	v_cmp_eq_u32_e64 s2, 5, v33
	v_dual_cndmask_b32 v30, v30, v13, s2 :: v_dual_cndmask_b32 v31, v31, v12, s2
	;; [unrolled: 5-line block ×4, first 2 shown]
	ds_load_b64 v[30:31], v32 offset:16
	v_cmp_eq_u32_e64 s2, 11, v33
	v_dual_cndmask_b32 v35, v35, v22, s3 :: v_dual_cndmask_b32 v34, v34, v23, s3
	s_delay_alu instid0(VALU_DEP_1) | instskip(SKIP_1) | instid1(VALU_DEP_1)
	v_dual_cndmask_b32 v36, v35, v24, s2 :: v_dual_cndmask_b32 v34, v34, v25, s2
	v_cmp_eq_u32_e64 s2, 12, v33
	v_dual_cndmask_b32 v35, v34, v27, s2 :: v_dual_cndmask_b32 v34, v36, v26, s2
	s_wait_dscnt 0x0
	s_delay_alu instid0(VALU_DEP_1)
	v_fmac_f64_e32 v[28:29], v[34:35], v[30:31]
	v_cmpx_ne_u32_e32 5, v0
	s_cbranch_execz .LBB76_56
; %bb.47:
	v_add_nc_u32_e32 v33, 3, v0
	s_delay_alu instid0(VALU_DEP_1) | instskip(NEXT) | instid1(VALU_DEP_1)
	v_cmp_eq_u32_e64 s2, 1, v33
	v_cndmask_b32_e64 v30, v3, v5, s2
	v_cmp_eq_u32_e64 s3, 10, v33
	v_cndmask_b32_e64 v31, v2, v4, s2
	v_cmp_eq_u32_e64 s2, 2, v33
	s_delay_alu instid0(VALU_DEP_1) | instskip(SKIP_1) | instid1(VALU_DEP_1)
	v_dual_cndmask_b32 v30, v30, v7, s2 :: v_dual_cndmask_b32 v31, v31, v6, s2
	v_cmp_eq_u32_e64 s2, 3, v33
	v_dual_cndmask_b32 v30, v30, v9, s2 :: v_dual_cndmask_b32 v31, v31, v8, s2
	v_cmp_eq_u32_e64 s2, 4, v33
	s_delay_alu instid0(VALU_DEP_1) | instskip(SKIP_1) | instid1(VALU_DEP_1)
	v_dual_cndmask_b32 v30, v30, v11, s2 :: v_dual_cndmask_b32 v31, v31, v10, s2
	v_cmp_eq_u32_e64 s2, 5, v33
	v_dual_cndmask_b32 v30, v30, v13, s2 :: v_dual_cndmask_b32 v31, v31, v12, s2
	;; [unrolled: 5-line block ×4, first 2 shown]
	ds_load_b64 v[30:31], v32 offset:24
	v_cmp_eq_u32_e64 s2, 11, v33
	v_dual_cndmask_b32 v35, v35, v22, s3 :: v_dual_cndmask_b32 v34, v34, v23, s3
	s_delay_alu instid0(VALU_DEP_1) | instskip(SKIP_1) | instid1(VALU_DEP_1)
	v_dual_cndmask_b32 v36, v35, v24, s2 :: v_dual_cndmask_b32 v34, v34, v25, s2
	v_cmp_eq_u32_e64 s2, 12, v33
	v_dual_cndmask_b32 v35, v34, v27, s2 :: v_dual_cndmask_b32 v34, v36, v26, s2
	s_wait_dscnt 0x0
	s_delay_alu instid0(VALU_DEP_1)
	v_fmac_f64_e32 v[28:29], v[34:35], v[30:31]
	s_and_saveexec_b32 s3, s1
	s_cbranch_execz .LBB76_55
; %bb.48:
	v_or_b32_e32 v33, 4, v0
	s_mov_b32 s8, exec_lo
	s_delay_alu instid0(VALU_DEP_1) | instskip(NEXT) | instid1(VALU_DEP_1)
	v_cmp_eq_u32_e64 s1, 1, v33
	v_cndmask_b32_e64 v30, v3, v5, s1
	v_cmp_eq_u32_e64 s2, 10, v33
	v_cndmask_b32_e64 v31, v2, v4, s1
	v_cmp_eq_u32_e64 s1, 2, v33
	s_delay_alu instid0(VALU_DEP_1) | instskip(SKIP_1) | instid1(VALU_DEP_1)
	v_dual_cndmask_b32 v30, v30, v7, s1 :: v_dual_cndmask_b32 v31, v31, v6, s1
	v_cmp_eq_u32_e64 s1, 3, v33
	v_dual_cndmask_b32 v30, v30, v9, s1 :: v_dual_cndmask_b32 v31, v31, v8, s1
	v_cmp_eq_u32_e64 s1, 4, v33
	s_delay_alu instid0(VALU_DEP_1) | instskip(SKIP_1) | instid1(VALU_DEP_1)
	v_dual_cndmask_b32 v30, v30, v11, s1 :: v_dual_cndmask_b32 v31, v31, v10, s1
	v_cmp_eq_u32_e64 s1, 5, v33
	v_dual_cndmask_b32 v30, v30, v13, s1 :: v_dual_cndmask_b32 v31, v31, v12, s1
	;; [unrolled: 5-line block ×4, first 2 shown]
	ds_load_b64 v[30:31], v32 offset:32
	v_cmp_eq_u32_e64 s1, 11, v33
	v_dual_cndmask_b32 v35, v35, v22, s2 :: v_dual_cndmask_b32 v34, v34, v23, s2
	s_delay_alu instid0(VALU_DEP_1) | instskip(SKIP_1) | instid1(VALU_DEP_1)
	v_dual_cndmask_b32 v36, v35, v24, s1 :: v_dual_cndmask_b32 v34, v34, v25, s1
	v_cmp_eq_u32_e64 s1, 12, v33
	v_dual_cndmask_b32 v35, v34, v27, s1 :: v_dual_cndmask_b32 v34, v36, v26, s1
	s_wait_dscnt 0x0
	s_delay_alu instid0(VALU_DEP_1)
	v_fmac_f64_e32 v[28:29], v[34:35], v[30:31]
	v_cmpx_ne_u32_e32 3, v0
	s_cbranch_execz .LBB76_54
; %bb.49:
	v_add_nc_u32_e32 v33, 5, v0
	s_delay_alu instid0(VALU_DEP_1) | instskip(NEXT) | instid1(VALU_DEP_1)
	v_cmp_eq_u32_e64 s1, 1, v33
	v_cndmask_b32_e64 v30, v3, v5, s1
	v_cmp_eq_u32_e64 s2, 10, v33
	v_cndmask_b32_e64 v31, v2, v4, s1
	v_cmp_eq_u32_e64 s1, 2, v33
	s_delay_alu instid0(VALU_DEP_1) | instskip(SKIP_1) | instid1(VALU_DEP_1)
	v_dual_cndmask_b32 v30, v30, v7, s1 :: v_dual_cndmask_b32 v31, v31, v6, s1
	v_cmp_eq_u32_e64 s1, 3, v33
	v_dual_cndmask_b32 v30, v30, v9, s1 :: v_dual_cndmask_b32 v31, v31, v8, s1
	v_cmp_eq_u32_e64 s1, 4, v33
	s_delay_alu instid0(VALU_DEP_1) | instskip(SKIP_1) | instid1(VALU_DEP_1)
	v_dual_cndmask_b32 v30, v30, v11, s1 :: v_dual_cndmask_b32 v31, v31, v10, s1
	v_cmp_eq_u32_e64 s1, 5, v33
	v_dual_cndmask_b32 v30, v30, v13, s1 :: v_dual_cndmask_b32 v31, v31, v12, s1
	;; [unrolled: 5-line block ×4, first 2 shown]
	ds_load_b64 v[30:31], v32 offset:40
	v_cmp_eq_u32_e64 s1, 11, v33
	v_dual_cndmask_b32 v35, v35, v22, s2 :: v_dual_cndmask_b32 v34, v34, v23, s2
	s_delay_alu instid0(VALU_DEP_1) | instskip(SKIP_1) | instid1(VALU_DEP_1)
	v_dual_cndmask_b32 v36, v35, v24, s1 :: v_dual_cndmask_b32 v34, v34, v25, s1
	v_cmp_eq_u32_e64 s1, 12, v33
	v_dual_cndmask_b32 v35, v34, v27, s1 :: v_dual_cndmask_b32 v34, v36, v26, s1
	s_wait_dscnt 0x0
	s_delay_alu instid0(VALU_DEP_1)
	v_fmac_f64_e32 v[28:29], v[34:35], v[30:31]
	s_and_saveexec_b32 s2, vcc_lo
	s_cbranch_execz .LBB76_53
; %bb.50:
	v_or_b32_e32 v30, 6, v0
	s_delay_alu instid0(VALU_DEP_1) | instskip(SKIP_3) | instid1(VALU_DEP_3)
	v_cmp_eq_u32_e32 vcc_lo, 1, v30
	v_dual_cndmask_b32 v31, v3, v5, vcc_lo :: v_dual_cndmask_b32 v33, v2, v4, vcc_lo
	v_cmp_eq_u32_e32 vcc_lo, 2, v30
	v_cmp_eq_u32_e64 s1, 10, v30
	v_dual_cndmask_b32 v31, v31, v7, vcc_lo :: v_dual_cndmask_b32 v33, v33, v6, vcc_lo
	v_cmp_eq_u32_e32 vcc_lo, 3, v30
	s_delay_alu instid0(VALU_DEP_2) | instskip(SKIP_1) | instid1(VALU_DEP_2)
	v_dual_cndmask_b32 v31, v31, v9, vcc_lo :: v_dual_cndmask_b32 v33, v33, v8, vcc_lo
	v_cmp_eq_u32_e32 vcc_lo, 4, v30
	v_dual_cndmask_b32 v31, v31, v11, vcc_lo :: v_dual_cndmask_b32 v33, v33, v10, vcc_lo
	v_cmp_eq_u32_e32 vcc_lo, 5, v30
	s_delay_alu instid0(VALU_DEP_2) | instskip(SKIP_1) | instid1(VALU_DEP_2)
	v_dual_cndmask_b32 v31, v31, v13, vcc_lo :: v_dual_cndmask_b32 v33, v33, v12, vcc_lo
	v_cmp_eq_u32_e32 vcc_lo, 6, v30
	;; [unrolled: 5-line block ×3, first 2 shown]
	v_dual_cndmask_b32 v19, v31, v19 :: v_dual_cndmask_b32 v18, v33, v18
	v_cmp_eq_u32_e32 vcc_lo, 9, v30
	s_delay_alu instid0(VALU_DEP_2) | instskip(SKIP_3) | instid1(VALU_DEP_1)
	v_dual_cndmask_b32 v31, v19, v21, vcc_lo :: v_dual_cndmask_b32 v33, v18, v20, vcc_lo
	ds_load_b64 v[18:19], v32 offset:48
	v_cmp_eq_u32_e32 vcc_lo, 11, v30
	v_dual_cndmask_b32 v31, v31, v23, s1 :: v_dual_cndmask_b32 v33, v33, v22, s1
	v_dual_cndmask_b32 v31, v31, v25, vcc_lo :: v_dual_cndmask_b32 v33, v33, v24, vcc_lo
	v_cmp_eq_u32_e32 vcc_lo, 12, v30
	s_delay_alu instid0(VALU_DEP_2) | instskip(SKIP_1) | instid1(VALU_DEP_1)
	v_dual_cndmask_b32 v31, v31, v27 :: v_dual_cndmask_b32 v30, v33, v26
	s_wait_dscnt 0x0
	v_fmac_f64_e32 v[28:29], v[30:31], v[18:19]
	s_and_saveexec_b32 s1, s0
	s_cbranch_execz .LBB76_52
; %bb.51:
	ds_load_b64 v[18:19], v32 offset:56
	s_wait_dscnt 0x0
	v_fmac_f64_e32 v[28:29], v[16:17], v[18:19]
.LBB76_52:
	s_or_b32 exec_lo, exec_lo, s1
.LBB76_53:
	s_delay_alu instid0(SALU_CYCLE_1)
	s_or_b32 exec_lo, exec_lo, s2
.LBB76_54:
	s_delay_alu instid0(SALU_CYCLE_1)
	s_or_b32 exec_lo, exec_lo, s8
.LBB76_55:
	s_delay_alu instid0(SALU_CYCLE_1)
	s_or_b32 exec_lo, exec_lo, s3
.LBB76_56:
	s_delay_alu instid0(SALU_CYCLE_1)
	s_or_b32 exec_lo, exec_lo, s7
.LBB76_57:
	s_delay_alu instid0(SALU_CYCLE_1)
	s_or_b32 exec_lo, exec_lo, s4
.LBB76_58:
	s_delay_alu instid0(SALU_CYCLE_1)
	s_or_b32 exec_lo, exec_lo, s6
	v_mov_b32_e32 v18, 0
	ds_load_b64 v[18:19], v18 offset:64
	s_wait_dscnt 0x0
	v_mul_f64_e32 v[18:19], v[28:29], v[18:19]
.LBB76_59:
	s_or_b32 exec_lo, exec_lo, s5
	s_delay_alu instid0(SALU_CYCLE_1)
	s_mov_b32 s1, exec_lo
	s_barrier_signal -1
	s_barrier_wait -1
	ds_store_b64 v32, v[20:21]
	s_wait_dscnt 0x0
	s_barrier_signal -1
	s_barrier_wait -1
	v_cmpx_gt_u32_e32 9, v0
	s_cbranch_execz .LBB76_63
; %bb.60:
	v_mov_b64_e32 v[28:29], 0
	v_mov_b64_e32 v[30:31], v[0:1]
	v_lshl_add_u32 v33, v0, 3, 0x70
	s_mov_b32 s2, 0
.LBB76_61:                              ; =>This Inner Loop Header: Depth=1
	s_delay_alu instid0(VALU_DEP_2) | instskip(SKIP_3) | instid1(VALU_DEP_2)
	v_cmp_eq_u32_e32 vcc_lo, 1, v30
	v_cmp_eq_u32_e64 s0, 2, v30
	v_dual_cndmask_b32 v34, v3, v5 :: v_dual_cndmask_b32 v35, v2, v4
	v_cmp_eq_u32_e32 vcc_lo, 3, v30
	v_dual_cndmask_b32 v34, v34, v7, s0 :: v_dual_cndmask_b32 v35, v35, v6, s0
	v_cmp_eq_u32_e64 s0, 4, v30
	s_delay_alu instid0(VALU_DEP_2) | instskip(SKIP_1) | instid1(VALU_DEP_2)
	v_dual_cndmask_b32 v34, v34, v9 :: v_dual_cndmask_b32 v35, v35, v8
	v_cmp_eq_u32_e32 vcc_lo, 5, v30
	v_dual_cndmask_b32 v34, v34, v11, s0 :: v_dual_cndmask_b32 v35, v35, v10, s0
	v_cmp_eq_u32_e64 s0, 6, v30
	s_delay_alu instid0(VALU_DEP_2) | instskip(SKIP_1) | instid1(VALU_DEP_2)
	;; [unrolled: 5-line block ×3, first 2 shown]
	v_dual_cndmask_b32 v34, v34, v17 :: v_dual_cndmask_b32 v35, v35, v16
	v_cmp_eq_u32_e32 vcc_lo, 9, v30
	v_dual_cndmask_b32 v36, v34, v19, s0 :: v_dual_cndmask_b32 v37, v35, v18, s0
	ds_load_b64 v[34:35], v33
	v_cmp_eq_u32_e64 s0, 10, v30
	v_add_nc_u32_e32 v33, 8, v33
	v_dual_cndmask_b32 v36, v36, v21 :: v_dual_cndmask_b32 v37, v37, v20
	v_cmp_eq_u32_e32 vcc_lo, 11, v30
	s_delay_alu instid0(VALU_DEP_2) | instskip(SKIP_2) | instid1(VALU_DEP_3)
	v_dual_cndmask_b32 v36, v36, v23, s0 :: v_dual_cndmask_b32 v37, v37, v22, s0
	v_cmp_eq_u32_e64 s0, 12, v30
	v_add_nc_u64_e32 v[30:31], 1, v[30:31]
	v_dual_cndmask_b32 v36, v36, v25, vcc_lo :: v_dual_cndmask_b32 v38, v37, v24, vcc_lo
	s_delay_alu instid0(VALU_DEP_1) | instskip(SKIP_1) | instid1(VALU_DEP_1)
	v_dual_cndmask_b32 v37, v36, v27, s0 :: v_dual_cndmask_b32 v36, v38, v26, s0
	s_wait_dscnt 0x0
	v_fmac_f64_e32 v[28:29], v[36:37], v[34:35]
	s_delay_alu instid0(VALU_DEP_4) | instskip(NEXT) | instid1(VALU_DEP_1)
	v_add_nc_u32_e32 v34, -1, v30
	v_cmp_lt_u32_e32 vcc_lo, 7, v34
	s_or_b32 s2, vcc_lo, s2
	s_delay_alu instid0(SALU_CYCLE_1)
	s_and_not1_b32 exec_lo, exec_lo, s2
	s_cbranch_execnz .LBB76_61
; %bb.62:
	s_or_b32 exec_lo, exec_lo, s2
	v_mov_b32_e32 v20, 0
	ds_load_b64 v[20:21], v20 offset:72
	s_wait_dscnt 0x0
	v_mul_f64_e32 v[20:21], v[28:29], v[20:21]
.LBB76_63:
	s_or_b32 exec_lo, exec_lo, s1
	s_delay_alu instid0(SALU_CYCLE_1)
	s_mov_b32 s1, exec_lo
	s_barrier_signal -1
	s_barrier_wait -1
	ds_store_b64 v32, v[22:23]
	s_wait_dscnt 0x0
	s_barrier_signal -1
	s_barrier_wait -1
	v_cmpx_gt_u32_e32 10, v0
	s_cbranch_execz .LBB76_67
; %bb.64:
	v_mov_b64_e32 v[28:29], 0
	v_mov_b64_e32 v[30:31], v[0:1]
	v_lshl_add_u32 v33, v0, 3, 0x70
	s_mov_b32 s2, 0
.LBB76_65:                              ; =>This Inner Loop Header: Depth=1
	s_delay_alu instid0(VALU_DEP_2) | instskip(SKIP_3) | instid1(VALU_DEP_2)
	v_cmp_eq_u32_e32 vcc_lo, 1, v30
	v_cmp_eq_u32_e64 s0, 2, v30
	v_dual_cndmask_b32 v34, v3, v5 :: v_dual_cndmask_b32 v35, v2, v4
	v_cmp_eq_u32_e32 vcc_lo, 3, v30
	v_dual_cndmask_b32 v34, v34, v7, s0 :: v_dual_cndmask_b32 v35, v35, v6, s0
	v_cmp_eq_u32_e64 s0, 4, v30
	s_delay_alu instid0(VALU_DEP_2) | instskip(SKIP_1) | instid1(VALU_DEP_2)
	v_dual_cndmask_b32 v34, v34, v9 :: v_dual_cndmask_b32 v35, v35, v8
	v_cmp_eq_u32_e32 vcc_lo, 5, v30
	v_dual_cndmask_b32 v34, v34, v11, s0 :: v_dual_cndmask_b32 v35, v35, v10, s0
	v_cmp_eq_u32_e64 s0, 6, v30
	s_delay_alu instid0(VALU_DEP_2) | instskip(SKIP_1) | instid1(VALU_DEP_2)
	;; [unrolled: 5-line block ×3, first 2 shown]
	v_dual_cndmask_b32 v34, v34, v17 :: v_dual_cndmask_b32 v35, v35, v16
	v_cmp_eq_u32_e32 vcc_lo, 9, v30
	v_dual_cndmask_b32 v36, v34, v19, s0 :: v_dual_cndmask_b32 v37, v35, v18, s0
	ds_load_b64 v[34:35], v33
	v_cmp_eq_u32_e64 s0, 10, v30
	v_add_nc_u32_e32 v33, 8, v33
	v_dual_cndmask_b32 v36, v36, v21 :: v_dual_cndmask_b32 v37, v37, v20
	v_cmp_eq_u32_e32 vcc_lo, 11, v30
	s_delay_alu instid0(VALU_DEP_2) | instskip(SKIP_2) | instid1(VALU_DEP_3)
	v_dual_cndmask_b32 v36, v36, v23, s0 :: v_dual_cndmask_b32 v37, v37, v22, s0
	v_cmp_eq_u32_e64 s0, 12, v30
	v_add_nc_u64_e32 v[30:31], 1, v[30:31]
	v_dual_cndmask_b32 v36, v36, v25, vcc_lo :: v_dual_cndmask_b32 v38, v37, v24, vcc_lo
	s_delay_alu instid0(VALU_DEP_1) | instskip(SKIP_1) | instid1(VALU_DEP_1)
	v_dual_cndmask_b32 v37, v36, v27, s0 :: v_dual_cndmask_b32 v36, v38, v26, s0
	s_wait_dscnt 0x0
	v_fmac_f64_e32 v[28:29], v[36:37], v[34:35]
	s_delay_alu instid0(VALU_DEP_4) | instskip(NEXT) | instid1(VALU_DEP_1)
	v_add_nc_u32_e32 v34, -1, v30
	v_cmp_lt_u32_e32 vcc_lo, 8, v34
	s_or_b32 s2, vcc_lo, s2
	s_delay_alu instid0(SALU_CYCLE_1)
	s_and_not1_b32 exec_lo, exec_lo, s2
	s_cbranch_execnz .LBB76_65
; %bb.66:
	s_or_b32 exec_lo, exec_lo, s2
	v_mov_b32_e32 v22, 0
	ds_load_b64 v[22:23], v22 offset:80
	s_wait_dscnt 0x0
	v_mul_f64_e32 v[22:23], v[28:29], v[22:23]
.LBB76_67:
	s_or_b32 exec_lo, exec_lo, s1
	s_delay_alu instid0(SALU_CYCLE_1)
	s_mov_b32 s1, exec_lo
	s_barrier_signal -1
	s_barrier_wait -1
	ds_store_b64 v32, v[24:25]
	s_wait_dscnt 0x0
	s_barrier_signal -1
	s_barrier_wait -1
	v_cmpx_gt_u32_e32 11, v0
	s_cbranch_execz .LBB76_71
; %bb.68:
	v_mov_b64_e32 v[28:29], 0
	v_mov_b64_e32 v[30:31], v[0:1]
	v_lshl_add_u32 v33, v0, 3, 0x70
	s_mov_b32 s2, 0
.LBB76_69:                              ; =>This Inner Loop Header: Depth=1
	s_delay_alu instid0(VALU_DEP_2) | instskip(SKIP_3) | instid1(VALU_DEP_2)
	v_cmp_eq_u32_e32 vcc_lo, 1, v30
	v_cmp_eq_u32_e64 s0, 2, v30
	v_dual_cndmask_b32 v34, v3, v5 :: v_dual_cndmask_b32 v35, v2, v4
	v_cmp_eq_u32_e32 vcc_lo, 3, v30
	v_dual_cndmask_b32 v34, v34, v7, s0 :: v_dual_cndmask_b32 v35, v35, v6, s0
	v_cmp_eq_u32_e64 s0, 4, v30
	s_delay_alu instid0(VALU_DEP_2) | instskip(SKIP_1) | instid1(VALU_DEP_2)
	v_dual_cndmask_b32 v34, v34, v9 :: v_dual_cndmask_b32 v35, v35, v8
	v_cmp_eq_u32_e32 vcc_lo, 5, v30
	v_dual_cndmask_b32 v34, v34, v11, s0 :: v_dual_cndmask_b32 v35, v35, v10, s0
	v_cmp_eq_u32_e64 s0, 6, v30
	s_delay_alu instid0(VALU_DEP_2) | instskip(SKIP_1) | instid1(VALU_DEP_2)
	v_dual_cndmask_b32 v34, v34, v13 :: v_dual_cndmask_b32 v35, v35, v12
	v_cmp_eq_u32_e32 vcc_lo, 7, v30
	v_dual_cndmask_b32 v34, v34, v15, s0 :: v_dual_cndmask_b32 v35, v35, v14, s0
	v_cmp_eq_u32_e64 s0, 8, v30
	s_delay_alu instid0(VALU_DEP_2) | instskip(SKIP_1) | instid1(VALU_DEP_2)
	v_dual_cndmask_b32 v34, v34, v17 :: v_dual_cndmask_b32 v35, v35, v16
	v_cmp_eq_u32_e32 vcc_lo, 9, v30
	v_dual_cndmask_b32 v36, v34, v19, s0 :: v_dual_cndmask_b32 v37, v35, v18, s0
	ds_load_b64 v[34:35], v33
	v_cmp_eq_u32_e64 s0, 10, v30
	v_add_nc_u32_e32 v33, 8, v33
	v_dual_cndmask_b32 v36, v36, v21 :: v_dual_cndmask_b32 v37, v37, v20
	v_cmp_eq_u32_e32 vcc_lo, 11, v30
	s_delay_alu instid0(VALU_DEP_2) | instskip(SKIP_2) | instid1(VALU_DEP_3)
	v_dual_cndmask_b32 v36, v36, v23, s0 :: v_dual_cndmask_b32 v37, v37, v22, s0
	v_cmp_eq_u32_e64 s0, 12, v30
	v_add_nc_u64_e32 v[30:31], 1, v[30:31]
	v_dual_cndmask_b32 v36, v36, v25, vcc_lo :: v_dual_cndmask_b32 v38, v37, v24, vcc_lo
	s_delay_alu instid0(VALU_DEP_1) | instskip(SKIP_1) | instid1(VALU_DEP_1)
	v_dual_cndmask_b32 v37, v36, v27, s0 :: v_dual_cndmask_b32 v36, v38, v26, s0
	s_wait_dscnt 0x0
	v_fmac_f64_e32 v[28:29], v[36:37], v[34:35]
	s_delay_alu instid0(VALU_DEP_4) | instskip(NEXT) | instid1(VALU_DEP_1)
	v_add_nc_u32_e32 v34, -1, v30
	v_cmp_lt_u32_e32 vcc_lo, 9, v34
	s_or_b32 s2, vcc_lo, s2
	s_delay_alu instid0(SALU_CYCLE_1)
	s_and_not1_b32 exec_lo, exec_lo, s2
	s_cbranch_execnz .LBB76_69
; %bb.70:
	s_or_b32 exec_lo, exec_lo, s2
	v_mov_b32_e32 v24, 0
	ds_load_b64 v[24:25], v24 offset:88
	s_wait_dscnt 0x0
	v_mul_f64_e32 v[24:25], v[28:29], v[24:25]
.LBB76_71:
	s_or_b32 exec_lo, exec_lo, s1
	s_delay_alu instid0(SALU_CYCLE_1)
	s_mov_b32 s1, exec_lo
	s_barrier_signal -1
	s_barrier_wait -1
	ds_store_b64 v32, v[26:27]
	s_wait_dscnt 0x0
	s_barrier_signal -1
	s_barrier_wait -1
	v_cmpx_ne_u32_e32 12, v0
	s_cbranch_execz .LBB76_75
; %bb.72:
	v_mov_b64_e32 v[28:29], 0
	v_mov_b64_e32 v[30:31], v[0:1]
	v_lshl_add_u32 v32, v0, 3, 0x70
	s_mov_b32 s2, 0
.LBB76_73:                              ; =>This Inner Loop Header: Depth=1
	s_delay_alu instid0(VALU_DEP_2)
	v_cmp_eq_u32_e32 vcc_lo, 1, v30
	v_cmp_eq_u32_e64 s0, 2, v30
	ds_load_b64 v[34:35], v32
	v_dual_cndmask_b32 v1, v3, v5 :: v_dual_add_nc_u32 v32, 8, v32
	v_cndmask_b32_e32 v33, v2, v4, vcc_lo
	v_cmp_eq_u32_e32 vcc_lo, 3, v30
	s_delay_alu instid0(VALU_DEP_3) | instskip(NEXT) | instid1(VALU_DEP_3)
	v_cndmask_b32_e64 v1, v1, v7, s0
	v_cndmask_b32_e64 v33, v33, v6, s0
	v_cmp_eq_u32_e64 s0, 4, v30
	s_delay_alu instid0(VALU_DEP_3) | instskip(NEXT) | instid1(VALU_DEP_3)
	v_cndmask_b32_e32 v1, v1, v9, vcc_lo
	v_cndmask_b32_e32 v33, v33, v8, vcc_lo
	v_cmp_eq_u32_e32 vcc_lo, 5, v30
	s_delay_alu instid0(VALU_DEP_3) | instskip(NEXT) | instid1(VALU_DEP_3)
	v_cndmask_b32_e64 v1, v1, v11, s0
	v_cndmask_b32_e64 v33, v33, v10, s0
	v_cmp_eq_u32_e64 s0, 6, v30
	s_delay_alu instid0(VALU_DEP_3) | instskip(NEXT) | instid1(VALU_DEP_3)
	v_cndmask_b32_e32 v1, v1, v13, vcc_lo
	;; [unrolled: 8-line block ×4, first 2 shown]
	v_cndmask_b32_e32 v33, v33, v20, vcc_lo
	v_cmp_eq_u32_e32 vcc_lo, 11, v30
	s_delay_alu instid0(VALU_DEP_3) | instskip(NEXT) | instid1(VALU_DEP_3)
	v_cndmask_b32_e64 v1, v1, v23, s0
	v_cndmask_b32_e64 v33, v33, v22, s0
	v_cmp_eq_u32_e64 s0, 12, v30
	v_add_nc_u64_e32 v[30:31], 1, v[30:31]
	s_delay_alu instid0(VALU_DEP_4) | instskip(NEXT) | instid1(VALU_DEP_4)
	v_cndmask_b32_e32 v1, v1, v25, vcc_lo
	v_cndmask_b32_e32 v33, v33, v24, vcc_lo
	s_delay_alu instid0(VALU_DEP_2) | instskip(NEXT) | instid1(VALU_DEP_2)
	v_cndmask_b32_e64 v37, v1, v27, s0
	v_cndmask_b32_e64 v36, v33, v26, s0
	v_add_nc_u32_e32 v1, -1, v30
	s_wait_dscnt 0x0
	s_delay_alu instid0(VALU_DEP_2) | instskip(NEXT) | instid1(VALU_DEP_2)
	v_fmac_f64_e32 v[28:29], v[36:37], v[34:35]
	v_cmp_lt_u32_e32 vcc_lo, 10, v1
	s_or_b32 s2, vcc_lo, s2
	s_delay_alu instid0(SALU_CYCLE_1)
	s_and_not1_b32 exec_lo, exec_lo, s2
	s_cbranch_execnz .LBB76_73
; %bb.74:
	s_or_b32 exec_lo, exec_lo, s2
	v_mov_b32_e32 v1, 0
	ds_load_b64 v[26:27], v1 offset:96
	s_wait_dscnt 0x0
	v_mul_f64_e32 v[26:27], v[28:29], v[26:27]
.LBB76_75:
	s_or_b32 exec_lo, exec_lo, s1
	s_barrier_signal -1
	s_barrier_wait -1
	s_cbranch_execnz .LBB76_15
	s_branch .LBB76_16
.LBB76_76:
	s_wait_xcnt 0x0
	v_lshl_add_u32 v1, v0, 3, 0x70
	s_mov_b32 s0, exec_lo
	v_cmpx_eq_u32_e32 12, v0
	s_cbranch_execz .LBB76_78
; %bb.77:
	s_wait_dscnt 0x2
	v_dual_mov_b32 v50, 0 :: v_dual_mov_b32 v48, v22
	v_dual_mov_b32 v28, v2 :: v_dual_mov_b32 v29, v3
	;; [unrolled: 1-line block ×9, first 2 shown]
	s_wait_dscnt 0x0
	v_dual_mov_b32 v49, v23 :: v_dual_mov_b32 v52, v26
	v_dual_mov_b32 v53, v27 :: v_dual_mov_b32 v51, v50
	;; [unrolled: 1-line block ×4, first 2 shown]
	ds_store_b64 v1, v[24:25]
	v_mov_b64_e32 v[2:3], v[28:29]
	v_mov_b64_e32 v[4:5], v[30:31]
	;; [unrolled: 1-line block ×16, first 2 shown]
.LBB76_78:
	s_or_b32 exec_lo, exec_lo, s0
	v_mov_b32_e32 v48, 0
	s_wait_storecnt_dscnt 0x0
	s_barrier_signal -1
	s_barrier_wait -1
	ds_load_b64 v[28:29], v48 offset:208
	s_mov_b32 s0, exec_lo
	s_wait_dscnt 0x0
	v_fma_f64 v[28:29], v[26:27], v[28:29], 0
	s_delay_alu instid0(VALU_DEP_1)
	v_add_f64_e64 v[24:25], v[24:25], -v[28:29]
	v_cmpx_lt_u32_e32 10, v0
	s_cbranch_execz .LBB76_80
; %bb.79:
	v_dual_mov_b32 v28, v2 :: v_dual_mov_b32 v29, v3
	v_dual_mov_b32 v34, v8 :: v_dual_mov_b32 v35, v9
	;; [unrolled: 1-line block ×12, first 2 shown]
	v_mov_b32_e32 v33, v7
	ds_store_b64 v1, v[22:23]
	v_mov_b64_e32 v[2:3], v[28:29]
	v_mov_b64_e32 v[4:5], v[30:31]
	;; [unrolled: 1-line block ×16, first 2 shown]
.LBB76_80:
	s_or_b32 exec_lo, exec_lo, s0
	s_wait_dscnt 0x0
	s_barrier_signal -1
	s_barrier_wait -1
	ds_load_2addr_b64 v[28:31], v48 offset0:25 offset1:26
	s_mov_b32 s0, exec_lo
	s_wait_dscnt 0x0
	v_fma_f64 v[28:29], v[24:25], v[28:29], 0
	s_delay_alu instid0(VALU_DEP_1) | instskip(NEXT) | instid1(VALU_DEP_1)
	v_fmac_f64_e32 v[28:29], v[26:27], v[30:31]
	v_add_f64_e64 v[22:23], v[22:23], -v[28:29]
	v_cmpx_lt_u32_e32 9, v0
	s_cbranch_execz .LBB76_82
; %bb.81:
	v_dual_mov_b32 v46, 0 :: v_dual_mov_b32 v28, v2
	v_dual_mov_b32 v29, v3 :: v_dual_mov_b32 v30, v4
	;; [unrolled: 1-line block ×13, first 2 shown]
	ds_store_b64 v1, v[20:21]
	v_mov_b64_e32 v[2:3], v[28:29]
	v_mov_b64_e32 v[4:5], v[30:31]
	;; [unrolled: 1-line block ×16, first 2 shown]
.LBB76_82:
	s_or_b32 exec_lo, exec_lo, s0
	v_mov_b32_e32 v44, 0
	s_wait_dscnt 0x0
	s_barrier_signal -1
	s_barrier_wait -1
	ds_load_b128 v[28:31], v44 offset:192
	ds_load_b64 v[32:33], v44 offset:208
	s_mov_b32 s0, exec_lo
	s_wait_dscnt 0x1
	v_fma_f64 v[28:29], v[22:23], v[28:29], 0
	s_delay_alu instid0(VALU_DEP_1) | instskip(SKIP_1) | instid1(VALU_DEP_1)
	v_fmac_f64_e32 v[28:29], v[24:25], v[30:31]
	s_wait_dscnt 0x0
	v_fmac_f64_e32 v[28:29], v[26:27], v[32:33]
	s_delay_alu instid0(VALU_DEP_1)
	v_add_f64_e64 v[20:21], v[20:21], -v[28:29]
	v_cmpx_lt_u32_e32 8, v0
	s_cbranch_execz .LBB76_84
; %bb.83:
	v_dual_mov_b32 v28, v2 :: v_dual_mov_b32 v29, v3
	v_dual_mov_b32 v34, v8 :: v_dual_mov_b32 v35, v9
	;; [unrolled: 1-line block ×12, first 2 shown]
	v_mov_b32_e32 v33, v7
	ds_store_b64 v1, v[18:19]
	v_mov_b64_e32 v[2:3], v[28:29]
	v_mov_b64_e32 v[4:5], v[30:31]
	;; [unrolled: 1-line block ×16, first 2 shown]
.LBB76_84:
	s_or_b32 exec_lo, exec_lo, s0
	s_wait_dscnt 0x0
	s_barrier_signal -1
	s_barrier_wait -1
	ds_load_2addr_b64 v[28:31], v44 offset0:23 offset1:24
	ds_load_2addr_b64 v[32:35], v44 offset0:25 offset1:26
	s_mov_b32 s0, exec_lo
	s_wait_dscnt 0x1
	v_fma_f64 v[28:29], v[20:21], v[28:29], 0
	s_delay_alu instid0(VALU_DEP_1) | instskip(SKIP_1) | instid1(VALU_DEP_1)
	v_fmac_f64_e32 v[28:29], v[22:23], v[30:31]
	s_wait_dscnt 0x0
	v_fmac_f64_e32 v[28:29], v[24:25], v[32:33]
	s_delay_alu instid0(VALU_DEP_1) | instskip(NEXT) | instid1(VALU_DEP_1)
	v_fmac_f64_e32 v[28:29], v[26:27], v[34:35]
	v_add_f64_e64 v[18:19], v[18:19], -v[28:29]
	v_cmpx_lt_u32_e32 7, v0
	s_cbranch_execz .LBB76_86
; %bb.85:
	v_dual_mov_b32 v42, 0 :: v_dual_mov_b32 v28, v2
	v_dual_mov_b32 v29, v3 :: v_dual_mov_b32 v30, v4
	;; [unrolled: 1-line block ×13, first 2 shown]
	ds_store_b64 v1, v[16:17]
	v_mov_b64_e32 v[2:3], v[28:29]
	v_mov_b64_e32 v[4:5], v[30:31]
	;; [unrolled: 1-line block ×16, first 2 shown]
.LBB76_86:
	s_or_b32 exec_lo, exec_lo, s0
	v_mov_b32_e32 v40, 0
	s_wait_dscnt 0x0
	s_barrier_signal -1
	s_barrier_wait -1
	ds_load_b128 v[28:31], v40 offset:176
	ds_load_b128 v[32:35], v40 offset:192
	s_mov_b32 s0, exec_lo
	s_wait_dscnt 0x1
	v_fma_f64 v[28:29], v[18:19], v[28:29], 0
	s_delay_alu instid0(VALU_DEP_1) | instskip(SKIP_3) | instid1(VALU_DEP_1)
	v_fmac_f64_e32 v[28:29], v[20:21], v[30:31]
	ds_load_b64 v[30:31], v40 offset:208
	s_wait_dscnt 0x1
	v_fmac_f64_e32 v[28:29], v[22:23], v[32:33]
	v_fmac_f64_e32 v[28:29], v[24:25], v[34:35]
	s_wait_dscnt 0x0
	s_delay_alu instid0(VALU_DEP_1) | instskip(NEXT) | instid1(VALU_DEP_1)
	v_fmac_f64_e32 v[28:29], v[26:27], v[30:31]
	v_add_f64_e64 v[16:17], v[16:17], -v[28:29]
	v_cmpx_lt_u32_e32 6, v0
	s_cbranch_execz .LBB76_88
; %bb.87:
	v_dual_mov_b32 v28, v2 :: v_dual_mov_b32 v29, v3
	v_dual_mov_b32 v34, v8 :: v_dual_mov_b32 v35, v9
	;; [unrolled: 1-line block ×12, first 2 shown]
	v_mov_b32_e32 v33, v7
	ds_store_b64 v1, v[14:15]
	v_mov_b64_e32 v[2:3], v[28:29]
	v_mov_b64_e32 v[4:5], v[30:31]
	;; [unrolled: 1-line block ×16, first 2 shown]
.LBB76_88:
	s_or_b32 exec_lo, exec_lo, s0
	s_wait_dscnt 0x0
	s_barrier_signal -1
	s_barrier_wait -1
	ds_load_2addr_b64 v[28:31], v40 offset0:21 offset1:22
	ds_load_2addr_b64 v[32:35], v40 offset0:23 offset1:24
	s_mov_b32 s0, exec_lo
	s_wait_dscnt 0x1
	v_fma_f64 v[36:37], v[16:17], v[28:29], 0
	s_delay_alu instid0(VALU_DEP_1) | instskip(SKIP_3) | instid1(VALU_DEP_1)
	v_fmac_f64_e32 v[36:37], v[18:19], v[30:31]
	ds_load_2addr_b64 v[28:31], v40 offset0:25 offset1:26
	s_wait_dscnt 0x1
	v_fmac_f64_e32 v[36:37], v[20:21], v[32:33]
	v_fmac_f64_e32 v[36:37], v[22:23], v[34:35]
	s_wait_dscnt 0x0
	s_delay_alu instid0(VALU_DEP_1) | instskip(NEXT) | instid1(VALU_DEP_1)
	v_fmac_f64_e32 v[36:37], v[24:25], v[28:29]
	v_fmac_f64_e32 v[36:37], v[26:27], v[30:31]
	s_delay_alu instid0(VALU_DEP_1)
	v_add_f64_e64 v[14:15], v[14:15], -v[36:37]
	v_cmpx_lt_u32_e32 5, v0
	s_cbranch_execz .LBB76_90
; %bb.89:
	v_dual_mov_b32 v38, 0 :: v_dual_mov_b32 v28, v2
	v_dual_mov_b32 v29, v3 :: v_dual_mov_b32 v30, v4
	;; [unrolled: 1-line block ×4, first 2 shown]
	s_delay_alu instid0(VALU_DEP_4)
	v_dual_mov_b32 v37, v11 :: v_dual_mov_b32 v39, v38
	v_dual_mov_b32 v40, v14 :: v_dual_mov_b32 v41, v15
	;; [unrolled: 1-line block ×9, first 2 shown]
	ds_store_b64 v1, v[12:13]
	v_mov_b64_e32 v[2:3], v[28:29]
	v_mov_b64_e32 v[4:5], v[30:31]
	;; [unrolled: 1-line block ×16, first 2 shown]
.LBB76_90:
	s_or_b32 exec_lo, exec_lo, s0
	v_mov_b32_e32 v36, 0
	s_wait_dscnt 0x0
	s_barrier_signal -1
	s_barrier_wait -1
	ds_load_b128 v[28:31], v36 offset:160
	ds_load_b128 v[32:35], v36 offset:176
	s_mov_b32 s0, exec_lo
	s_wait_dscnt 0x1
	v_fma_f64 v[38:39], v[14:15], v[28:29], 0
	s_delay_alu instid0(VALU_DEP_1) | instskip(SKIP_1) | instid1(VALU_DEP_1)
	v_fmac_f64_e32 v[38:39], v[16:17], v[30:31]
	s_wait_dscnt 0x0
	v_fmac_f64_e32 v[38:39], v[18:19], v[32:33]
	ds_load_b128 v[28:31], v36 offset:192
	ds_load_b64 v[32:33], v36 offset:208
	v_fmac_f64_e32 v[38:39], v[20:21], v[34:35]
	s_wait_dscnt 0x1
	s_delay_alu instid0(VALU_DEP_1) | instskip(NEXT) | instid1(VALU_DEP_1)
	v_fmac_f64_e32 v[38:39], v[22:23], v[28:29]
	v_fmac_f64_e32 v[38:39], v[24:25], v[30:31]
	s_wait_dscnt 0x0
	s_delay_alu instid0(VALU_DEP_1) | instskip(NEXT) | instid1(VALU_DEP_1)
	v_fmac_f64_e32 v[38:39], v[26:27], v[32:33]
	v_add_f64_e64 v[12:13], v[12:13], -v[38:39]
	v_cmpx_lt_u32_e32 4, v0
	s_cbranch_execz .LBB76_92
; %bb.91:
	v_dual_mov_b32 v28, v2 :: v_dual_mov_b32 v29, v3
	v_dual_mov_b32 v34, v8 :: v_dual_mov_b32 v35, v9
	s_delay_alu instid0(VALU_DEP_4)
	v_dual_mov_b32 v37, v36 :: v_dual_mov_b32 v38, v12
	v_dual_mov_b32 v39, v13 :: v_dual_mov_b32 v40, v14
	;; [unrolled: 1-line block ×10, first 2 shown]
	v_mov_b32_e32 v33, v7
	ds_store_b64 v1, v[10:11]
	v_mov_b64_e32 v[2:3], v[28:29]
	v_mov_b64_e32 v[4:5], v[30:31]
	;; [unrolled: 1-line block ×16, first 2 shown]
.LBB76_92:
	s_or_b32 exec_lo, exec_lo, s0
	s_wait_dscnt 0x0
	s_barrier_signal -1
	s_barrier_wait -1
	ds_load_2addr_b64 v[28:31], v36 offset0:19 offset1:20
	ds_load_2addr_b64 v[32:35], v36 offset0:21 offset1:22
	s_mov_b32 s0, exec_lo
	s_wait_dscnt 0x1
	v_fma_f64 v[38:39], v[12:13], v[28:29], 0
	s_delay_alu instid0(VALU_DEP_1) | instskip(SKIP_1) | instid1(VALU_DEP_1)
	v_fmac_f64_e32 v[38:39], v[14:15], v[30:31]
	s_wait_dscnt 0x0
	v_fmac_f64_e32 v[38:39], v[16:17], v[32:33]
	s_delay_alu instid0(VALU_DEP_1) | instskip(SKIP_4) | instid1(VALU_DEP_1)
	v_fmac_f64_e32 v[38:39], v[18:19], v[34:35]
	ds_load_2addr_b64 v[28:31], v36 offset0:23 offset1:24
	ds_load_2addr_b64 v[32:35], v36 offset0:25 offset1:26
	s_wait_dscnt 0x1
	v_fmac_f64_e32 v[38:39], v[20:21], v[28:29]
	v_fmac_f64_e32 v[38:39], v[22:23], v[30:31]
	s_wait_dscnt 0x0
	s_delay_alu instid0(VALU_DEP_1) | instskip(NEXT) | instid1(VALU_DEP_1)
	v_fmac_f64_e32 v[38:39], v[24:25], v[32:33]
	v_fmac_f64_e32 v[38:39], v[26:27], v[34:35]
	s_delay_alu instid0(VALU_DEP_1)
	v_add_f64_e64 v[10:11], v[10:11], -v[38:39]
	v_cmpx_lt_u32_e32 3, v0
	s_cbranch_execz .LBB76_94
; %bb.93:
	v_dual_mov_b32 v34, 0 :: v_dual_mov_b32 v28, v2
	v_dual_mov_b32 v29, v3 :: v_dual_mov_b32 v30, v4
	s_delay_alu instid0(VALU_DEP_2)
	v_dual_mov_b32 v33, v7 :: v_dual_mov_b32 v35, v34
	v_dual_mov_b32 v36, v10 :: v_dual_mov_b32 v37, v11
	;; [unrolled: 1-line block ×11, first 2 shown]
	ds_store_b64 v1, v[8:9]
	v_mov_b64_e32 v[2:3], v[28:29]
	v_mov_b64_e32 v[4:5], v[30:31]
	;; [unrolled: 1-line block ×16, first 2 shown]
.LBB76_94:
	s_or_b32 exec_lo, exec_lo, s0
	v_mov_b32_e32 v34, 0
	s_wait_dscnt 0x0
	s_barrier_signal -1
	s_barrier_wait -1
	ds_load_b128 v[28:31], v34 offset:144
	ds_load_b128 v[36:39], v34 offset:160
	s_mov_b32 s0, exec_lo
	s_wait_dscnt 0x1
	v_fma_f64 v[32:33], v[10:11], v[28:29], 0
	s_delay_alu instid0(VALU_DEP_1) | instskip(SKIP_1) | instid1(VALU_DEP_1)
	v_fmac_f64_e32 v[32:33], v[12:13], v[30:31]
	s_wait_dscnt 0x0
	v_fmac_f64_e32 v[32:33], v[14:15], v[36:37]
	s_delay_alu instid0(VALU_DEP_1)
	v_fmac_f64_e32 v[32:33], v[16:17], v[38:39]
	ds_load_b128 v[28:31], v34 offset:176
	ds_load_b128 v[36:39], v34 offset:192
	s_wait_dscnt 0x1
	v_fmac_f64_e32 v[32:33], v[18:19], v[28:29]
	ds_load_b64 v[28:29], v34 offset:208
	v_fmac_f64_e32 v[32:33], v[20:21], v[30:31]
	s_wait_dscnt 0x1
	s_delay_alu instid0(VALU_DEP_1) | instskip(NEXT) | instid1(VALU_DEP_1)
	v_fmac_f64_e32 v[32:33], v[22:23], v[36:37]
	v_fmac_f64_e32 v[32:33], v[24:25], v[38:39]
	s_wait_dscnt 0x0
	s_delay_alu instid0(VALU_DEP_1) | instskip(NEXT) | instid1(VALU_DEP_1)
	v_fmac_f64_e32 v[32:33], v[26:27], v[28:29]
	v_add_f64_e64 v[8:9], v[8:9], -v[32:33]
	v_cmpx_lt_u32_e32 2, v0
	s_cbranch_execz .LBB76_96
; %bb.95:
	v_dual_mov_b32 v30, v2 :: v_dual_mov_b32 v31, v3
	s_delay_alu instid0(VALU_DEP_3) | instskip(NEXT) | instid1(VALU_DEP_4)
	v_dual_mov_b32 v35, v34 :: v_dual_mov_b32 v36, v8
	v_dual_mov_b32 v37, v9 :: v_dual_mov_b32 v38, v10
	v_dual_mov_b32 v39, v11 :: v_dual_mov_b32 v40, v12
	v_dual_mov_b32 v41, v13 :: v_dual_mov_b32 v42, v14
	v_dual_mov_b32 v43, v15 :: v_dual_mov_b32 v44, v16
	v_dual_mov_b32 v45, v17 :: v_dual_mov_b32 v46, v18
	v_dual_mov_b32 v47, v19 :: v_dual_mov_b32 v48, v20
	v_dual_mov_b32 v49, v21 :: v_dual_mov_b32 v50, v22
	v_dual_mov_b32 v51, v23 :: v_dual_mov_b32 v52, v24
	v_dual_mov_b32 v53, v25 :: v_dual_mov_b32 v54, v26
	v_dual_mov_b32 v55, v27 :: v_dual_mov_b32 v56, v6
	v_dual_mov_b32 v32, v4 :: v_dual_mov_b32 v33, v5
	v_mov_b32_e32 v57, v7
	v_mov_b64_e32 v[2:3], v[30:31]
	s_delay_alu instid0(VALU_DEP_3)
	v_mov_b64_e32 v[4:5], v[32:33]
	v_mov_b64_e32 v[6:7], v[34:35]
	;; [unrolled: 1-line block ×15, first 2 shown]
	ds_store_b64 v1, v[56:57]
.LBB76_96:
	s_or_b32 exec_lo, exec_lo, s0
	s_wait_dscnt 0x0
	s_barrier_signal -1
	s_barrier_wait -1
	ds_load_2addr_b64 v[28:31], v34 offset0:17 offset1:18
	ds_load_2addr_b64 v[36:39], v34 offset0:19 offset1:20
	s_mov_b32 s0, exec_lo
	s_wait_dscnt 0x1
	v_fma_f64 v[32:33], v[8:9], v[28:29], 0
	s_delay_alu instid0(VALU_DEP_1) | instskip(SKIP_1) | instid1(VALU_DEP_1)
	v_fmac_f64_e32 v[32:33], v[10:11], v[30:31]
	s_wait_dscnt 0x0
	v_fmac_f64_e32 v[32:33], v[12:13], v[36:37]
	s_delay_alu instid0(VALU_DEP_1) | instskip(SKIP_4) | instid1(VALU_DEP_1)
	v_fmac_f64_e32 v[32:33], v[14:15], v[38:39]
	ds_load_2addr_b64 v[28:31], v34 offset0:21 offset1:22
	ds_load_2addr_b64 v[36:39], v34 offset0:23 offset1:24
	s_wait_dscnt 0x1
	v_fmac_f64_e32 v[32:33], v[16:17], v[28:29]
	v_fmac_f64_e32 v[32:33], v[18:19], v[30:31]
	ds_load_2addr_b64 v[28:31], v34 offset0:25 offset1:26
	s_wait_dscnt 0x1
	v_fmac_f64_e32 v[32:33], v[20:21], v[36:37]
	s_delay_alu instid0(VALU_DEP_1) | instskip(SKIP_1) | instid1(VALU_DEP_1)
	v_fmac_f64_e32 v[32:33], v[22:23], v[38:39]
	s_wait_dscnt 0x0
	v_fmac_f64_e32 v[32:33], v[24:25], v[28:29]
	s_delay_alu instid0(VALU_DEP_1) | instskip(NEXT) | instid1(VALU_DEP_1)
	v_fmac_f64_e32 v[32:33], v[26:27], v[30:31]
	v_add_f64_e64 v[6:7], v[6:7], -v[32:33]
	v_cmpx_lt_u32_e32 1, v0
	s_cbranch_execz .LBB76_98
; %bb.97:
	v_dual_mov_b32 v30, 0 :: v_dual_mov_b32 v28, v2
	s_delay_alu instid0(VALU_DEP_3)
	v_dual_mov_b32 v29, v3 :: v_dual_mov_b32 v32, v6
	v_dual_mov_b32 v34, v8 :: v_dual_mov_b32 v35, v9
	v_dual_mov_b32 v36, v10 :: v_dual_mov_b32 v37, v11
	v_dual_mov_b32 v38, v12 :: v_dual_mov_b32 v39, v13
	v_dual_mov_b32 v40, v14 :: v_dual_mov_b32 v41, v15
	v_dual_mov_b32 v42, v16 :: v_dual_mov_b32 v43, v17
	v_dual_mov_b32 v44, v18 :: v_dual_mov_b32 v45, v19
	v_dual_mov_b32 v46, v20 :: v_dual_mov_b32 v47, v21
	v_dual_mov_b32 v48, v22 :: v_dual_mov_b32 v49, v23
	v_dual_mov_b32 v50, v24 :: v_dual_mov_b32 v51, v25
	v_dual_mov_b32 v52, v26 :: v_dual_mov_b32 v53, v27
	v_dual_mov_b32 v33, v7 :: v_dual_mov_b32 v31, v30
	v_dual_mov_b32 v54, v4 :: v_dual_mov_b32 v55, v5
	v_mov_b64_e32 v[2:3], v[28:29]
	s_delay_alu instid0(VALU_DEP_3) | instskip(NEXT) | instid1(VALU_DEP_4)
	v_mov_b64_e32 v[4:5], v[30:31]
	v_mov_b64_e32 v[6:7], v[32:33]
	;; [unrolled: 1-line block ×15, first 2 shown]
	ds_store_b64 v1, v[54:55]
.LBB76_98:
	s_or_b32 exec_lo, exec_lo, s0
	v_mov_b32_e32 v34, 0
	s_wait_dscnt 0x0
	s_barrier_signal -1
	s_barrier_wait -1
	ds_load_b128 v[28:31], v34 offset:128
	ds_load_b128 v[36:39], v34 offset:144
	v_dual_ashrrev_i32 v61, 31, v60 :: v_dual_ashrrev_i32 v63, 31, v62
	v_dual_ashrrev_i32 v65, 31, v64 :: v_dual_ashrrev_i32 v67, 31, v66
	;; [unrolled: 1-line block ×5, first 2 shown]
	v_ashrrev_i32_e32 v83, 31, v82
	s_mov_b32 s0, exec_lo
	s_wait_dscnt 0x1
	v_fma_f64 v[32:33], v[6:7], v[28:29], 0
	s_delay_alu instid0(VALU_DEP_1) | instskip(SKIP_1) | instid1(VALU_DEP_1)
	v_fmac_f64_e32 v[32:33], v[8:9], v[30:31]
	s_wait_dscnt 0x0
	v_fmac_f64_e32 v[32:33], v[10:11], v[36:37]
	s_delay_alu instid0(VALU_DEP_1) | instskip(SKIP_4) | instid1(VALU_DEP_1)
	v_fmac_f64_e32 v[32:33], v[12:13], v[38:39]
	ds_load_b128 v[28:31], v34 offset:160
	ds_load_b128 v[36:39], v34 offset:176
	s_wait_dscnt 0x1
	v_fmac_f64_e32 v[32:33], v[14:15], v[28:29]
	v_fmac_f64_e32 v[32:33], v[16:17], v[30:31]
	ds_load_b128 v[28:31], v34 offset:192
	s_wait_dscnt 0x1
	v_fmac_f64_e32 v[32:33], v[18:19], v[36:37]
	s_delay_alu instid0(VALU_DEP_1) | instskip(SKIP_1) | instid1(VALU_DEP_1)
	v_fmac_f64_e32 v[32:33], v[20:21], v[38:39]
	s_wait_dscnt 0x0
	v_fmac_f64_e32 v[32:33], v[22:23], v[28:29]
	ds_load_b64 v[28:29], v34 offset:208
	v_fmac_f64_e32 v[32:33], v[24:25], v[30:31]
	s_wait_dscnt 0x0
	s_delay_alu instid0(VALU_DEP_1) | instskip(NEXT) | instid1(VALU_DEP_1)
	v_fmac_f64_e32 v[32:33], v[26:27], v[28:29]
	v_add_f64_e64 v[4:5], v[4:5], -v[32:33]
	v_cmpx_ne_u32_e32 0, v0
	s_cbranch_execz .LBB76_100
; %bb.99:
	s_delay_alu instid0(VALU_DEP_2) | instskip(NEXT) | instid1(VALU_DEP_3)
	v_dual_mov_b32 v35, v34 :: v_dual_mov_b32 v36, v4
	v_dual_mov_b32 v37, v5 :: v_dual_mov_b32 v38, v6
	;; [unrolled: 1-line block ×13, first 2 shown]
	v_mov_b32_e32 v87, v3
	v_mov_b64_e32 v[2:3], v[34:35]
	v_mov_b64_e32 v[4:5], v[36:37]
	;; [unrolled: 1-line block ×16, first 2 shown]
	ds_store_b64 v1, v[86:87]
.LBB76_100:
	s_or_b32 exec_lo, exec_lo, s0
	s_wait_dscnt 0x0
	s_barrier_signal -1
	s_barrier_wait -1
	ds_load_2addr_b64 v[28:31], v34 offset0:15 offset1:16
	ds_load_2addr_b64 v[36:39], v34 offset0:17 offset1:18
	s_and_b32 vcc_lo, exec_lo, s22
	s_wait_dscnt 0x1
	v_fma_f64 v[0:1], v[4:5], v[28:29], 0
	s_delay_alu instid0(VALU_DEP_1) | instskip(SKIP_1) | instid1(VALU_DEP_1)
	v_fmac_f64_e32 v[0:1], v[6:7], v[30:31]
	s_wait_dscnt 0x0
	v_fmac_f64_e32 v[0:1], v[8:9], v[36:37]
	s_delay_alu instid0(VALU_DEP_1) | instskip(SKIP_4) | instid1(VALU_DEP_1)
	v_fmac_f64_e32 v[0:1], v[10:11], v[38:39]
	ds_load_2addr_b64 v[28:31], v34 offset0:19 offset1:20
	ds_load_2addr_b64 v[36:39], v34 offset0:21 offset1:22
	s_wait_dscnt 0x1
	v_fmac_f64_e32 v[0:1], v[12:13], v[28:29]
	v_fmac_f64_e32 v[0:1], v[14:15], v[30:31]
	ds_load_2addr_b64 v[28:31], v34 offset0:23 offset1:24
	ds_load_2addr_b64 v[32:35], v34 offset0:25 offset1:26
	s_wait_dscnt 0x2
	v_fmac_f64_e32 v[0:1], v[16:17], v[36:37]
	s_delay_alu instid0(VALU_DEP_1) | instskip(SKIP_1) | instid1(VALU_DEP_1)
	v_fmac_f64_e32 v[0:1], v[18:19], v[38:39]
	s_wait_dscnt 0x1
	v_fmac_f64_e32 v[0:1], v[20:21], v[28:29]
	s_delay_alu instid0(VALU_DEP_1) | instskip(SKIP_1) | instid1(VALU_DEP_1)
	v_fmac_f64_e32 v[0:1], v[22:23], v[30:31]
	s_wait_dscnt 0x0
	v_fmac_f64_e32 v[0:1], v[24:25], v[32:33]
	s_delay_alu instid0(VALU_DEP_1) | instskip(NEXT) | instid1(VALU_DEP_1)
	v_fmac_f64_e32 v[0:1], v[26:27], v[34:35]
	v_add_f64_e64 v[2:3], v[2:3], -v[0:1]
	s_cbranch_vccz .LBB76_125
; %bb.101:
	v_mov_b32_e32 v0, 0
	global_load_b32 v1, v0, s[16:17] offset:44
	s_wait_loadcnt 0x0
	v_readfirstlane_b32 s0, v1
	s_add_co_i32 s0, s0, -1
	s_delay_alu instid0(SALU_CYCLE_1)
	s_cmp_lg_u32 s0, 11
	s_cbranch_scc0 .LBB76_103
; %bb.102:
	s_lshl_b32 m0, s0, 1
	v_movrels_b32_e32 v1, v2
	v_movrels_b32_e32 v58, v3
	v_mov_b64_e32 v[56:57], v[32:33]
	v_mov_b64_e32 v[54:55], v[30:31]
	;; [unrolled: 1-line block ×16, first 2 shown]
	v_dual_mov_b32 v48, v1 :: v_dual_mov_b32 v49, v58
	s_delay_alu instid0(VALU_DEP_2) | instskip(NEXT) | instid1(VALU_DEP_3)
	v_movreld_b32_e32 v26, v24
	v_movreld_b32_e32 v27, v25
	v_mov_b64_e32 v[2:3], v[26:27]
	v_mov_b64_e32 v[4:5], v[28:29]
	;; [unrolled: 1-line block ×16, first 2 shown]
.LBB76_103:
	global_load_b32 v0, v0, s[16:17] offset:40
	s_wait_loadcnt 0x0
	v_readfirstlane_b32 s0, v0
	s_add_co_i32 s0, s0, -1
	s_delay_alu instid0(SALU_CYCLE_1)
	s_cmp_eq_u32 s0, 10
	s_cbranch_scc1 .LBB76_105
; %bb.104:
	s_lshl_b32 m0, s0, 1
	v_movrels_b32_e32 v0, v2
	v_movrels_b32_e32 v1, v3
	v_mov_b64_e32 v[54:55], v[32:33]
	v_mov_b64_e32 v[52:53], v[30:31]
	;; [unrolled: 1-line block ×16, first 2 shown]
	v_dual_mov_b32 v44, v0 :: v_dual_mov_b32 v45, v1
	s_delay_alu instid0(VALU_DEP_2) | instskip(NEXT) | instid1(VALU_DEP_3)
	v_movreld_b32_e32 v24, v22
	v_movreld_b32_e32 v25, v23
	v_mov_b64_e32 v[2:3], v[24:25]
	v_mov_b64_e32 v[4:5], v[26:27]
	;; [unrolled: 1-line block ×16, first 2 shown]
.LBB76_105:
	v_mov_b32_e32 v0, 0
	global_load_b32 v1, v0, s[16:17] offset:36
	s_wait_loadcnt 0x0
	v_readfirstlane_b32 s0, v1
	s_add_co_i32 s0, s0, -1
	s_delay_alu instid0(SALU_CYCLE_1)
	s_cmp_eq_u32 s0, 9
	s_cbranch_scc1 .LBB76_107
; %bb.106:
	s_lshl_b32 m0, s0, 1
	v_movrels_b32_e32 v1, v2
	v_movrels_b32_e32 v54, v3
	v_mov_b64_e32 v[52:53], v[32:33]
	v_mov_b64_e32 v[50:51], v[30:31]
	;; [unrolled: 1-line block ×16, first 2 shown]
	v_dual_mov_b32 v40, v1 :: v_dual_mov_b32 v41, v54
	s_delay_alu instid0(VALU_DEP_2) | instskip(NEXT) | instid1(VALU_DEP_3)
	v_movreld_b32_e32 v22, v20
	v_movreld_b32_e32 v23, v21
	v_mov_b64_e32 v[2:3], v[22:23]
	v_mov_b64_e32 v[4:5], v[24:25]
	v_mov_b64_e32 v[6:7], v[26:27]
	v_mov_b64_e32 v[8:9], v[28:29]
	v_mov_b64_e32 v[10:11], v[30:31]
	v_mov_b64_e32 v[12:13], v[32:33]
	v_mov_b64_e32 v[14:15], v[34:35]
	v_mov_b64_e32 v[16:17], v[36:37]
	v_mov_b64_e32 v[18:19], v[38:39]
	v_mov_b64_e32 v[20:21], v[40:41]
	v_mov_b64_e32 v[22:23], v[42:43]
	v_mov_b64_e32 v[24:25], v[44:45]
	v_mov_b64_e32 v[26:27], v[46:47]
	v_mov_b64_e32 v[28:29], v[48:49]
	v_mov_b64_e32 v[30:31], v[50:51]
	v_mov_b64_e32 v[32:33], v[52:53]
.LBB76_107:
	global_load_b32 v0, v0, s[16:17] offset:32
	s_wait_loadcnt 0x0
	v_readfirstlane_b32 s0, v0
	s_add_co_i32 s0, s0, -1
	s_delay_alu instid0(SALU_CYCLE_1)
	s_cmp_eq_u32 s0, 8
	s_cbranch_scc1 .LBB76_109
; %bb.108:
	s_lshl_b32 m0, s0, 1
	v_movrels_b32_e32 v0, v2
	v_movrels_b32_e32 v1, v3
	v_mov_b64_e32 v[50:51], v[32:33]
	v_mov_b64_e32 v[48:49], v[30:31]
	;; [unrolled: 1-line block ×16, first 2 shown]
	v_dual_mov_b32 v36, v0 :: v_dual_mov_b32 v37, v1
	s_delay_alu instid0(VALU_DEP_2) | instskip(NEXT) | instid1(VALU_DEP_3)
	v_movreld_b32_e32 v20, v18
	v_movreld_b32_e32 v21, v19
	v_mov_b64_e32 v[2:3], v[20:21]
	v_mov_b64_e32 v[4:5], v[22:23]
	;; [unrolled: 1-line block ×16, first 2 shown]
.LBB76_109:
	v_mov_b32_e32 v0, 0
	global_load_b32 v1, v0, s[16:17] offset:28
	s_wait_loadcnt 0x0
	v_readfirstlane_b32 s0, v1
	s_add_co_i32 s0, s0, -1
	s_delay_alu instid0(SALU_CYCLE_1)
	s_cmp_eq_u32 s0, 7
	s_cbranch_scc1 .LBB76_111
; %bb.110:
	s_lshl_b32 m0, s0, 1
	v_movrels_b32_e32 v1, v2
	v_movrels_b32_e32 v50, v3
	v_mov_b64_e32 v[48:49], v[32:33]
	v_mov_b64_e32 v[46:47], v[30:31]
	;; [unrolled: 1-line block ×16, first 2 shown]
	v_dual_mov_b32 v32, v1 :: v_dual_mov_b32 v33, v50
	s_delay_alu instid0(VALU_DEP_2) | instskip(NEXT) | instid1(VALU_DEP_3)
	v_movreld_b32_e32 v18, v16
	v_movreld_b32_e32 v19, v17
	v_mov_b64_e32 v[2:3], v[18:19]
	v_mov_b64_e32 v[4:5], v[20:21]
	;; [unrolled: 1-line block ×16, first 2 shown]
.LBB76_111:
	global_load_b32 v0, v0, s[16:17] offset:24
	s_wait_loadcnt 0x0
	v_readfirstlane_b32 s0, v0
	s_add_co_i32 s0, s0, -1
	s_delay_alu instid0(SALU_CYCLE_1)
	s_cmp_eq_u32 s0, 6
	s_cbranch_scc1 .LBB76_113
; %bb.112:
	s_lshl_b32 m0, s0, 1
	v_movrels_b32_e32 v0, v2
	v_movrels_b32_e32 v1, v3
	v_mov_b64_e32 v[46:47], v[32:33]
	v_mov_b64_e32 v[44:45], v[30:31]
	;; [unrolled: 1-line block ×16, first 2 shown]
	v_dual_mov_b32 v28, v0 :: v_dual_mov_b32 v29, v1
	s_delay_alu instid0(VALU_DEP_2) | instskip(NEXT) | instid1(VALU_DEP_3)
	v_movreld_b32_e32 v16, v14
	v_movreld_b32_e32 v17, v15
	v_mov_b64_e32 v[2:3], v[16:17]
	v_mov_b64_e32 v[4:5], v[18:19]
	;; [unrolled: 1-line block ×16, first 2 shown]
.LBB76_113:
	v_mov_b32_e32 v0, 0
	global_load_b32 v1, v0, s[16:17] offset:20
	s_wait_loadcnt 0x0
	v_readfirstlane_b32 s0, v1
	s_add_co_i32 s0, s0, -1
	s_delay_alu instid0(SALU_CYCLE_1)
	s_cmp_eq_u32 s0, 5
	s_cbranch_scc1 .LBB76_115
; %bb.114:
	s_lshl_b32 m0, s0, 1
	v_movrels_b32_e32 v1, v2
	v_movrels_b32_e32 v46, v3
	v_mov_b64_e32 v[44:45], v[32:33]
	v_mov_b64_e32 v[42:43], v[30:31]
	;; [unrolled: 1-line block ×16, first 2 shown]
	v_dual_mov_b32 v24, v1 :: v_dual_mov_b32 v25, v46
	s_delay_alu instid0(VALU_DEP_2) | instskip(NEXT) | instid1(VALU_DEP_3)
	v_movreld_b32_e32 v14, v12
	v_movreld_b32_e32 v15, v13
	v_mov_b64_e32 v[2:3], v[14:15]
	v_mov_b64_e32 v[4:5], v[16:17]
	;; [unrolled: 1-line block ×16, first 2 shown]
.LBB76_115:
	global_load_b32 v0, v0, s[16:17] offset:16
	s_wait_loadcnt 0x0
	v_readfirstlane_b32 s0, v0
	s_add_co_i32 s0, s0, -1
	s_delay_alu instid0(SALU_CYCLE_1)
	s_cmp_eq_u32 s0, 4
	s_cbranch_scc1 .LBB76_117
; %bb.116:
	s_lshl_b32 m0, s0, 1
	v_movrels_b32_e32 v0, v2
	v_movrels_b32_e32 v1, v3
	v_mov_b64_e32 v[42:43], v[32:33]
	v_mov_b64_e32 v[40:41], v[30:31]
	v_mov_b64_e32 v[38:39], v[28:29]
	v_mov_b64_e32 v[36:37], v[26:27]
	v_mov_b64_e32 v[34:35], v[24:25]
	v_mov_b64_e32 v[32:33], v[22:23]
	v_mov_b64_e32 v[30:31], v[20:21]
	v_mov_b64_e32 v[28:29], v[18:19]
	v_mov_b64_e32 v[26:27], v[16:17]
	v_mov_b64_e32 v[24:25], v[14:15]
	v_mov_b64_e32 v[22:23], v[12:13]
	v_mov_b64_e32 v[20:21], v[10:11]
	v_mov_b64_e32 v[18:19], v[8:9]
	v_mov_b64_e32 v[16:17], v[6:7]
	v_mov_b64_e32 v[14:15], v[4:5]
	v_mov_b64_e32 v[12:13], v[2:3]
	v_dual_mov_b32 v20, v0 :: v_dual_mov_b32 v21, v1
	s_delay_alu instid0(VALU_DEP_2) | instskip(NEXT) | instid1(VALU_DEP_3)
	v_movreld_b32_e32 v12, v10
	v_movreld_b32_e32 v13, v11
	v_mov_b64_e32 v[2:3], v[12:13]
	v_mov_b64_e32 v[4:5], v[14:15]
	;; [unrolled: 1-line block ×16, first 2 shown]
.LBB76_117:
	v_mov_b32_e32 v0, 0
	global_load_b32 v1, v0, s[16:17] offset:12
	s_wait_loadcnt 0x0
	v_readfirstlane_b32 s0, v1
	s_add_co_i32 s0, s0, -1
	s_delay_alu instid0(SALU_CYCLE_1)
	s_cmp_eq_u32 s0, 3
	s_cbranch_scc1 .LBB76_119
; %bb.118:
	s_lshl_b32 m0, s0, 1
	v_movrels_b32_e32 v1, v2
	v_movrels_b32_e32 v42, v3
	v_mov_b64_e32 v[40:41], v[32:33]
	v_mov_b64_e32 v[38:39], v[30:31]
	;; [unrolled: 1-line block ×16, first 2 shown]
	v_dual_mov_b32 v16, v1 :: v_dual_mov_b32 v17, v42
	s_delay_alu instid0(VALU_DEP_2) | instskip(NEXT) | instid1(VALU_DEP_3)
	v_movreld_b32_e32 v10, v8
	v_movreld_b32_e32 v11, v9
	v_mov_b64_e32 v[2:3], v[10:11]
	v_mov_b64_e32 v[4:5], v[12:13]
	;; [unrolled: 1-line block ×16, first 2 shown]
.LBB76_119:
	global_load_b32 v0, v0, s[16:17] offset:8
	s_wait_loadcnt 0x0
	v_readfirstlane_b32 s0, v0
	s_add_co_i32 s0, s0, -1
	s_delay_alu instid0(SALU_CYCLE_1)
	s_cmp_eq_u32 s0, 2
	s_cbranch_scc1 .LBB76_121
; %bb.120:
	s_lshl_b32 m0, s0, 1
	v_movrels_b32_e32 v0, v2
	v_movrels_b32_e32 v1, v3
	v_mov_b64_e32 v[38:39], v[32:33]
	v_mov_b64_e32 v[36:37], v[30:31]
	;; [unrolled: 1-line block ×16, first 2 shown]
	v_dual_mov_b32 v12, v0 :: v_dual_mov_b32 v13, v1
	s_delay_alu instid0(VALU_DEP_2) | instskip(NEXT) | instid1(VALU_DEP_3)
	v_movreld_b32_e32 v8, v6
	v_movreld_b32_e32 v9, v7
	v_mov_b64_e32 v[2:3], v[8:9]
	v_mov_b64_e32 v[4:5], v[10:11]
	v_mov_b64_e32 v[6:7], v[12:13]
	v_mov_b64_e32 v[8:9], v[14:15]
	v_mov_b64_e32 v[10:11], v[16:17]
	v_mov_b64_e32 v[12:13], v[18:19]
	v_mov_b64_e32 v[14:15], v[20:21]
	v_mov_b64_e32 v[16:17], v[22:23]
	v_mov_b64_e32 v[18:19], v[24:25]
	v_mov_b64_e32 v[20:21], v[26:27]
	v_mov_b64_e32 v[22:23], v[28:29]
	v_mov_b64_e32 v[24:25], v[30:31]
	v_mov_b64_e32 v[26:27], v[32:33]
	v_mov_b64_e32 v[28:29], v[34:35]
	v_mov_b64_e32 v[30:31], v[36:37]
	v_mov_b64_e32 v[32:33], v[38:39]
.LBB76_121:
	v_mov_b32_e32 v0, 0
	global_load_b32 v1, v0, s[16:17] offset:4
	s_wait_loadcnt 0x0
	v_readfirstlane_b32 s0, v1
	s_add_co_i32 s0, s0, -1
	s_delay_alu instid0(SALU_CYCLE_1)
	s_cmp_eq_u32 s0, 1
	s_cbranch_scc1 .LBB76_123
; %bb.122:
	s_lshl_b32 m0, s0, 1
	v_movrels_b32_e32 v1, v2
	v_movrels_b32_e32 v38, v3
	v_mov_b64_e32 v[36:37], v[32:33]
	v_mov_b64_e32 v[34:35], v[30:31]
	;; [unrolled: 1-line block ×16, first 2 shown]
	v_dual_mov_b32 v8, v1 :: v_dual_mov_b32 v9, v38
	s_delay_alu instid0(VALU_DEP_2) | instskip(NEXT) | instid1(VALU_DEP_3)
	v_movreld_b32_e32 v6, v4
	v_movreld_b32_e32 v7, v5
	v_mov_b64_e32 v[2:3], v[6:7]
	s_delay_alu instid0(VALU_DEP_4)
	v_mov_b64_e32 v[4:5], v[8:9]
	v_mov_b64_e32 v[6:7], v[10:11]
	;; [unrolled: 1-line block ×15, first 2 shown]
.LBB76_123:
	global_load_b32 v0, v0, s[16:17]
	s_wait_loadcnt 0x0
	v_readfirstlane_b32 s0, v0
	s_add_co_i32 s0, s0, -1
	s_delay_alu instid0(SALU_CYCLE_1)
	s_cmp_eq_u32 s0, 0
	s_cbranch_scc1 .LBB76_125
; %bb.124:
	s_lshl_b32 m0, s0, 1
	v_movrels_b32_e32 v0, v2
	v_movrels_b32_e32 v1, v3
	v_mov_b64_e32 v[34:35], v[32:33]
	v_mov_b64_e32 v[32:33], v[30:31]
	;; [unrolled: 1-line block ×16, first 2 shown]
	v_dual_mov_b32 v4, v0 :: v_dual_mov_b32 v5, v1
	s_delay_alu instid0(VALU_DEP_1) | instskip(NEXT) | instid1(VALU_DEP_2)
	v_movreld_b32_e32 v4, v2
	v_movreld_b32_e32 v5, v3
	v_mov_b64_e32 v[2:3], v[4:5]
	v_mov_b64_e32 v[4:5], v[6:7]
	;; [unrolled: 1-line block ×16, first 2 shown]
.LBB76_125:
	v_lshl_add_u64 v[46:47], v[60:61], 3, s[18:19]
	v_lshl_add_u64 v[36:37], v[62:63], 3, s[18:19]
	;; [unrolled: 1-line block ×3, first 2 shown]
	s_clause 0x2
	flat_store_b64 v[68:69], v[2:3]
	flat_store_b64 v[72:73], v[4:5]
	;; [unrolled: 1-line block ×3, first 2 shown]
	s_wait_xcnt 0x2
	v_dual_mov_b32 v2, v8 :: v_dual_mov_b32 v3, v9
	s_wait_xcnt 0x1
	v_dual_mov_b32 v4, v10 :: v_dual_mov_b32 v5, v11
	v_lshl_add_u64 v[40:41], v[66:67], 3, s[18:19]
	s_wait_xcnt 0x0
	v_dual_mov_b32 v6, v12 :: v_dual_mov_b32 v7, v13
	v_lshl_add_u64 v[42:43], v[70:71], 3, s[18:19]
	v_dual_mov_b32 v8, v14 :: v_dual_mov_b32 v9, v15
	v_lshl_add_u64 v[44:45], v[74:75], 3, s[18:19]
	;; [unrolled: 2-line block ×3, first 2 shown]
	s_clause 0x4
	flat_store_b64 v[36:37], v[2:3]
	flat_store_b64 v[38:39], v[4:5]
	;; [unrolled: 1-line block ×5, first 2 shown]
	s_wait_xcnt 0x4
	v_dual_mov_b32 v2, v18 :: v_dual_mov_b32 v3, v19
	v_lshl_add_u64 v[28:29], v[78:79], 3, s[18:19]
	s_wait_xcnt 0x3
	v_dual_mov_b32 v4, v20 :: v_dual_mov_b32 v5, v21
	v_lshl_add_u64 v[30:31], v[80:81], 3, s[18:19]
	;; [unrolled: 3-line block ×4, first 2 shown]
	s_wait_xcnt 0x0
	v_dual_mov_b32 v10, v26 :: v_dual_mov_b32 v11, v27
	s_clause 0x4
	flat_store_b64 v[0:1], v[2:3]
	flat_store_b64 v[28:29], v[4:5]
	;; [unrolled: 1-line block ×5, first 2 shown]
	s_sendmsg sendmsg(MSG_DEALLOC_VGPRS)
	s_endpgm
	.section	.rodata,"a",@progbits
	.p2align	6, 0x0
	.amdhsa_kernel _ZN9rocsolver6v33100L18getri_kernel_smallILi13EdPKPdEEvT1_iilPiilS6_bb
		.amdhsa_group_segment_fixed_size 216
		.amdhsa_private_segment_fixed_size 0
		.amdhsa_kernarg_size 60
		.amdhsa_user_sgpr_count 2
		.amdhsa_user_sgpr_dispatch_ptr 0
		.amdhsa_user_sgpr_queue_ptr 0
		.amdhsa_user_sgpr_kernarg_segment_ptr 1
		.amdhsa_user_sgpr_dispatch_id 0
		.amdhsa_user_sgpr_kernarg_preload_length 0
		.amdhsa_user_sgpr_kernarg_preload_offset 0
		.amdhsa_user_sgpr_private_segment_size 0
		.amdhsa_wavefront_size32 1
		.amdhsa_uses_dynamic_stack 0
		.amdhsa_enable_private_segment 0
		.amdhsa_system_sgpr_workgroup_id_x 1
		.amdhsa_system_sgpr_workgroup_id_y 0
		.amdhsa_system_sgpr_workgroup_id_z 0
		.amdhsa_system_sgpr_workgroup_info 0
		.amdhsa_system_vgpr_workitem_id 0
		.amdhsa_next_free_vgpr 88
		.amdhsa_next_free_sgpr 23
		.amdhsa_named_barrier_count 0
		.amdhsa_reserve_vcc 1
		.amdhsa_float_round_mode_32 0
		.amdhsa_float_round_mode_16_64 0
		.amdhsa_float_denorm_mode_32 3
		.amdhsa_float_denorm_mode_16_64 3
		.amdhsa_fp16_overflow 0
		.amdhsa_memory_ordered 1
		.amdhsa_forward_progress 1
		.amdhsa_inst_pref_size 111
		.amdhsa_round_robin_scheduling 0
		.amdhsa_exception_fp_ieee_invalid_op 0
		.amdhsa_exception_fp_denorm_src 0
		.amdhsa_exception_fp_ieee_div_zero 0
		.amdhsa_exception_fp_ieee_overflow 0
		.amdhsa_exception_fp_ieee_underflow 0
		.amdhsa_exception_fp_ieee_inexact 0
		.amdhsa_exception_int_div_zero 0
	.end_amdhsa_kernel
	.section	.text._ZN9rocsolver6v33100L18getri_kernel_smallILi13EdPKPdEEvT1_iilPiilS6_bb,"axG",@progbits,_ZN9rocsolver6v33100L18getri_kernel_smallILi13EdPKPdEEvT1_iilPiilS6_bb,comdat
.Lfunc_end76:
	.size	_ZN9rocsolver6v33100L18getri_kernel_smallILi13EdPKPdEEvT1_iilPiilS6_bb, .Lfunc_end76-_ZN9rocsolver6v33100L18getri_kernel_smallILi13EdPKPdEEvT1_iilPiilS6_bb
                                        ; -- End function
	.set _ZN9rocsolver6v33100L18getri_kernel_smallILi13EdPKPdEEvT1_iilPiilS6_bb.num_vgpr, 88
	.set _ZN9rocsolver6v33100L18getri_kernel_smallILi13EdPKPdEEvT1_iilPiilS6_bb.num_agpr, 0
	.set _ZN9rocsolver6v33100L18getri_kernel_smallILi13EdPKPdEEvT1_iilPiilS6_bb.numbered_sgpr, 23
	.set _ZN9rocsolver6v33100L18getri_kernel_smallILi13EdPKPdEEvT1_iilPiilS6_bb.num_named_barrier, 0
	.set _ZN9rocsolver6v33100L18getri_kernel_smallILi13EdPKPdEEvT1_iilPiilS6_bb.private_seg_size, 0
	.set _ZN9rocsolver6v33100L18getri_kernel_smallILi13EdPKPdEEvT1_iilPiilS6_bb.uses_vcc, 1
	.set _ZN9rocsolver6v33100L18getri_kernel_smallILi13EdPKPdEEvT1_iilPiilS6_bb.uses_flat_scratch, 1
	.set _ZN9rocsolver6v33100L18getri_kernel_smallILi13EdPKPdEEvT1_iilPiilS6_bb.has_dyn_sized_stack, 0
	.set _ZN9rocsolver6v33100L18getri_kernel_smallILi13EdPKPdEEvT1_iilPiilS6_bb.has_recursion, 0
	.set _ZN9rocsolver6v33100L18getri_kernel_smallILi13EdPKPdEEvT1_iilPiilS6_bb.has_indirect_call, 0
	.section	.AMDGPU.csdata,"",@progbits
; Kernel info:
; codeLenInByte = 14124
; TotalNumSgprs: 25
; NumVgprs: 88
; ScratchSize: 0
; MemoryBound: 0
; FloatMode: 240
; IeeeMode: 1
; LDSByteSize: 216 bytes/workgroup (compile time only)
; SGPRBlocks: 0
; VGPRBlocks: 5
; NumSGPRsForWavesPerEU: 25
; NumVGPRsForWavesPerEU: 88
; NamedBarCnt: 0
; Occupancy: 10
; WaveLimiterHint : 1
; COMPUTE_PGM_RSRC2:SCRATCH_EN: 0
; COMPUTE_PGM_RSRC2:USER_SGPR: 2
; COMPUTE_PGM_RSRC2:TRAP_HANDLER: 0
; COMPUTE_PGM_RSRC2:TGID_X_EN: 1
; COMPUTE_PGM_RSRC2:TGID_Y_EN: 0
; COMPUTE_PGM_RSRC2:TGID_Z_EN: 0
; COMPUTE_PGM_RSRC2:TIDIG_COMP_CNT: 0
	.section	.text._ZN9rocsolver6v33100L18getri_kernel_smallILi14EdPKPdEEvT1_iilPiilS6_bb,"axG",@progbits,_ZN9rocsolver6v33100L18getri_kernel_smallILi14EdPKPdEEvT1_iilPiilS6_bb,comdat
	.globl	_ZN9rocsolver6v33100L18getri_kernel_smallILi14EdPKPdEEvT1_iilPiilS6_bb ; -- Begin function _ZN9rocsolver6v33100L18getri_kernel_smallILi14EdPKPdEEvT1_iilPiilS6_bb
	.p2align	8
	.type	_ZN9rocsolver6v33100L18getri_kernel_smallILi14EdPKPdEEvT1_iilPiilS6_bb,@function
_ZN9rocsolver6v33100L18getri_kernel_smallILi14EdPKPdEEvT1_iilPiilS6_bb: ; @_ZN9rocsolver6v33100L18getri_kernel_smallILi14EdPKPdEEvT1_iilPiilS6_bb
; %bb.0:
	s_mov_b32 s2, exec_lo
	v_cmpx_gt_u32_e32 14, v0
	s_cbranch_execz .LBB77_16
; %bb.1:
	s_clause 0x1
	s_load_b32 s6, s[0:1], 0x38
	s_load_b64 s[2:3], s[0:1], 0x0
	s_getreg_b32 s7, hwreg(HW_REG_IB_STS2, 6, 4)
	s_load_b128 s[12:15], s[0:1], 0x28
                                        ; implicit-def: $sgpr16_sgpr17
	s_wait_kmcnt 0x0
	s_bitcmp1_b32 s6, 8
	s_cselect_b32 s22, -1, 0
	s_bfe_u32 s4, ttmp6, 0x4000c
	s_and_b32 s5, ttmp6, 15
	s_add_co_i32 s4, s4, 1
	s_delay_alu instid0(SALU_CYCLE_1) | instskip(NEXT) | instid1(SALU_CYCLE_1)
	s_mul_i32 s4, ttmp9, s4
	s_add_co_i32 s5, s5, s4
	s_cmp_eq_u32 s7, 0
	s_cselect_b32 s20, ttmp9, s5
	s_delay_alu instid0(SALU_CYCLE_1) | instskip(NEXT) | instid1(SALU_CYCLE_1)
	s_ashr_i32 s21, s20, 31
	s_lshl_b64 s[4:5], s[20:21], 3
	s_delay_alu instid0(SALU_CYCLE_1)
	s_add_nc_u64 s[2:3], s[2:3], s[4:5]
	s_bfe_u32 s4, s6, 0x10008
	s_load_b64 s[2:3], s[2:3], 0x0
	s_cmp_eq_u32 s4, 0
	s_cbranch_scc1 .LBB77_3
; %bb.2:
	s_load_b96 s[4:6], s[0:1], 0x18
	s_mul_u64 s[8:9], s[12:13], s[20:21]
	s_delay_alu instid0(SALU_CYCLE_1) | instskip(SKIP_4) | instid1(SALU_CYCLE_1)
	s_lshl_b64 s[8:9], s[8:9], 2
	s_wait_kmcnt 0x0
	s_ashr_i32 s7, s6, 31
	s_add_nc_u64 s[4:5], s[4:5], s[8:9]
	s_lshl_b64 s[6:7], s[6:7], 2
	s_add_nc_u64 s[16:17], s[4:5], s[6:7]
.LBB77_3:
	s_clause 0x1
	s_load_b64 s[4:5], s[0:1], 0x8
	s_load_b32 s6, s[0:1], 0x38
	v_dual_mov_b32 v1, 0 :: v_dual_lshlrev_b32 v30, 3, v0
	s_delay_alu instid0(VALU_DEP_1) | instskip(SKIP_4) | instid1(SALU_CYCLE_1)
	v_mov_b32_e32 v31, v1
	s_wait_kmcnt 0x0
	v_add3_u32 v60, s5, s5, v0
	s_ashr_i32 s1, s4, 31
	s_mov_b32 s0, s4
	s_lshl_b64 s[0:1], s[0:1], 3
	s_delay_alu instid0(VALU_DEP_1)
	v_add_nc_u32_e32 v62, s5, v60
	s_add_nc_u64 s[18:19], s[2:3], s[0:1]
	s_ashr_i32 s1, s5, 31
	s_mov_b32 s0, s5
	s_bitcmp0_b32 s6, 0
	v_add_nc_u32_e32 v64, s5, v62
	v_add_nc_u64_e32 v[68:69], s[18:19], v[30:31]
	s_delay_alu instid0(VALU_DEP_2) | instskip(NEXT) | instid1(VALU_DEP_2)
	v_add_nc_u32_e32 v66, s5, v64
	v_lshl_add_u64 v[74:75], s[0:1], 3, v[68:69]
	s_mov_b32 s0, -1
	s_delay_alu instid0(VALU_DEP_2)
	v_add_nc_u32_e32 v70, s5, v66
	s_clause 0x1
	flat_load_b64 v[2:3], v0, s[18:19] scale_offset
	flat_load_b64 v[4:5], v[74:75]
	v_add_nc_u32_e32 v72, s5, v70
	s_clause 0x3
	flat_load_b64 v[6:7], v60, s[18:19] scale_offset
	flat_load_b64 v[8:9], v62, s[18:19] scale_offset
	;; [unrolled: 1-line block ×4, first 2 shown]
	v_add_nc_u32_e32 v76, s5, v72
	s_delay_alu instid0(VALU_DEP_1) | instskip(NEXT) | instid1(VALU_DEP_1)
	v_add_nc_u32_e32 v78, s5, v76
	v_add_nc_u32_e32 v80, s5, v78
	s_delay_alu instid0(VALU_DEP_1) | instskip(NEXT) | instid1(VALU_DEP_1)
	v_add_nc_u32_e32 v82, s5, v80
	v_add_nc_u32_e32 v84, s5, v82
	s_delay_alu instid0(VALU_DEP_1)
	v_add_nc_u32_e32 v86, s5, v84
	s_clause 0x7
	flat_load_b64 v[14:15], v70, s[18:19] scale_offset
	flat_load_b64 v[16:17], v72, s[18:19] scale_offset
	;; [unrolled: 1-line block ×8, first 2 shown]
	s_cbranch_scc1 .LBB77_14
; %bb.4:
	v_cmp_eq_u32_e64 s0, 0, v0
	s_wait_xcnt 0x0
	s_and_saveexec_b32 s1, s0
; %bb.5:
	v_mov_b32_e32 v31, 0
	ds_store_b32 v31, v31 offset:224
; %bb.6:
	s_or_b32 exec_lo, exec_lo, s1
	v_cmp_eq_u32_e32 vcc_lo, 1, v0
	s_mov_b32 s2, exec_lo
	s_wait_loadcnt_dscnt 0x0
	s_barrier_signal -1
	s_barrier_wait -1
	v_dual_cndmask_b32 v31, v3, v5 :: v_dual_cndmask_b32 v32, v2, v4
	v_cmp_eq_u32_e32 vcc_lo, 2, v0
	s_delay_alu instid0(VALU_DEP_2) | instskip(SKIP_1) | instid1(VALU_DEP_2)
	v_dual_cndmask_b32 v31, v31, v7 :: v_dual_cndmask_b32 v32, v32, v6
	v_cmp_eq_u32_e32 vcc_lo, 3, v0
	v_dual_cndmask_b32 v31, v31, v9 :: v_dual_cndmask_b32 v32, v32, v8
	v_cmp_eq_u32_e32 vcc_lo, 4, v0
	s_delay_alu instid0(VALU_DEP_2) | instskip(SKIP_1) | instid1(VALU_DEP_2)
	v_dual_cndmask_b32 v31, v31, v11 :: v_dual_cndmask_b32 v32, v32, v10
	v_cmp_eq_u32_e32 vcc_lo, 5, v0
	;; [unrolled: 5-line block ×6, first 2 shown]
	v_dual_cndmask_b32 v33, v31, v29 :: v_dual_cndmask_b32 v32, v32, v28
	s_delay_alu instid0(VALU_DEP_1)
	v_cmpx_eq_f64_e32 0, v[32:33]
	s_cbranch_execz .LBB77_10
; %bb.7:
	v_mov_b32_e32 v31, 0
	s_mov_b32 s3, 0
	ds_load_b32 v34, v31 offset:224
	s_wait_dscnt 0x0
	v_readfirstlane_b32 s1, v34
	v_add_nc_u32_e32 v34, 1, v0
	s_cmp_eq_u32 s1, 0
	s_delay_alu instid0(VALU_DEP_1) | instskip(SKIP_1) | instid1(SALU_CYCLE_1)
	v_cmp_gt_i32_e32 vcc_lo, s1, v34
	s_cselect_b32 s4, -1, 0
	s_or_b32 s4, s4, vcc_lo
	s_delay_alu instid0(SALU_CYCLE_1)
	s_and_b32 exec_lo, exec_lo, s4
	s_cbranch_execz .LBB77_10
; %bb.8:
	v_mov_b32_e32 v35, s1
.LBB77_9:                               ; =>This Inner Loop Header: Depth=1
	ds_cmpstore_rtn_b32 v35, v31, v34, v35 offset:224
	s_wait_dscnt 0x0
	v_cmp_ne_u32_e32 vcc_lo, 0, v35
	v_cmp_le_i32_e64 s1, v35, v34
	s_and_b32 s1, vcc_lo, s1
	s_delay_alu instid0(SALU_CYCLE_1) | instskip(NEXT) | instid1(SALU_CYCLE_1)
	s_and_b32 s1, exec_lo, s1
	s_or_b32 s3, s1, s3
	s_delay_alu instid0(SALU_CYCLE_1)
	s_and_not1_b32 exec_lo, exec_lo, s3
	s_cbranch_execnz .LBB77_9
.LBB77_10:
	s_or_b32 exec_lo, exec_lo, s2
	v_mov_b32_e32 v31, 0
	s_barrier_signal -1
	s_barrier_wait -1
	ds_load_b32 v34, v31 offset:224
	s_and_saveexec_b32 s1, s0
	s_cbranch_execz .LBB77_12
; %bb.11:
	s_lshl_b64 s[2:3], s[20:21], 2
	s_delay_alu instid0(SALU_CYCLE_1)
	s_add_nc_u64 s[2:3], s[14:15], s[2:3]
	s_wait_dscnt 0x0
	global_store_b32 v31, v34, s[2:3]
.LBB77_12:
	s_wait_xcnt 0x0
	s_or_b32 exec_lo, exec_lo, s1
	s_wait_dscnt 0x0
	v_cmp_ne_u32_e32 vcc_lo, 0, v34
	s_cbranch_vccz .LBB77_17
; %bb.13:
	s_mov_b32 s0, 0
                                        ; implicit-def: $vgpr2_vgpr3_vgpr4_vgpr5_vgpr6_vgpr7_vgpr8_vgpr9_vgpr10_vgpr11_vgpr12_vgpr13_vgpr14_vgpr15_vgpr16_vgpr17_vgpr18_vgpr19_vgpr20_vgpr21_vgpr22_vgpr23_vgpr24_vgpr25_vgpr26_vgpr27_vgpr28_vgpr29_vgpr30_vgpr31_vgpr32_vgpr33
.LBB77_14:
	s_delay_alu instid0(SALU_CYCLE_1)
	s_and_b32 vcc_lo, exec_lo, s0
	s_cbranch_vccz .LBB77_16
.LBB77_15:
	v_mov_b32_e32 v1, 0
	s_lshl_b64 s[0:1], s[20:21], 2
	s_delay_alu instid0(SALU_CYCLE_1)
	s_add_nc_u64 s[0:1], s[14:15], s[0:1]
	global_load_b32 v1, v1, s[0:1]
	s_wait_loadcnt 0x0
	v_cmp_ne_u32_e32 vcc_lo, 0, v1
	s_cbranch_vccz .LBB77_80
.LBB77_16:
	s_sendmsg sendmsg(MSG_DEALLOC_VGPRS)
	s_endpgm
.LBB77_17:
	v_div_scale_f64 v[34:35], null, v[32:33], v[32:33], 1.0
	v_div_scale_f64 v[40:41], vcc_lo, 1.0, v[32:33], 1.0
	v_cmp_eq_u32_e64 s1, 12, v0
	v_cmp_eq_u32_e64 s2, 11, v0
	;; [unrolled: 1-line block ×13, first 2 shown]
	v_rcp_f64_e32 v[36:37], v[34:35]
	v_nop
	s_delay_alu instid0(TRANS32_DEP_1) | instskip(NEXT) | instid1(VALU_DEP_1)
	v_fma_f64 v[38:39], -v[34:35], v[36:37], 1.0
	v_fmac_f64_e32 v[36:37], v[36:37], v[38:39]
	s_delay_alu instid0(VALU_DEP_1) | instskip(NEXT) | instid1(VALU_DEP_1)
	v_fma_f64 v[38:39], -v[34:35], v[36:37], 1.0
	v_fmac_f64_e32 v[36:37], v[36:37], v[38:39]
	s_delay_alu instid0(VALU_DEP_1) | instskip(NEXT) | instid1(VALU_DEP_1)
	v_mul_f64_e32 v[38:39], v[40:41], v[36:37]
	v_fma_f64 v[34:35], -v[34:35], v[38:39], v[40:41]
	s_delay_alu instid0(VALU_DEP_1) | instskip(SKIP_1) | instid1(VALU_DEP_2)
	v_div_fmas_f64 v[34:35], v[34:35], v[36:37], v[38:39]
	v_cmp_eq_u32_e32 vcc_lo, 13, v0
	v_div_fixup_f64 v[32:33], v[34:35], v[32:33], 1.0
	s_delay_alu instid0(VALU_DEP_1) | instskip(NEXT) | instid1(VALU_DEP_2)
	v_dual_cndmask_b32 v29, v29, v33 :: v_dual_add_nc_u32 v34, 0x70, v30
	v_dual_cndmask_b32 v28, v28, v32, vcc_lo :: v_dual_cndmask_b32 v27, v27, v33, s1
	v_dual_cndmask_b32 v26, v26, v32, s1 :: v_dual_cndmask_b32 v25, v25, v33, s2
	v_dual_cndmask_b32 v24, v24, v32, s2 :: v_dual_cndmask_b32 v23, v23, v33, s3
	;; [unrolled: 1-line block ×11, first 2 shown]
	v_xor_b32_e32 v37, 0x80000000, v33
	v_dual_mov_b32 v36, v32 :: v_dual_cndmask_b32 v6, v6, v32, s11
	v_dual_cndmask_b32 v3, v3, v33, s13 :: v_dual_cndmask_b32 v2, v2, v32, s13
	ds_store_2addr_b64 v30, v[36:37], v[4:5] offset1:14
	s_wait_storecnt_dscnt 0x0
	s_barrier_signal -1
	s_barrier_wait -1
	s_and_saveexec_b32 s1, s0
	s_cbranch_execz .LBB77_19
; %bb.18:
	ds_load_b64 v[4:5], v34
	v_mov_b32_e32 v30, 0
	ds_load_b64 v[30:31], v30 offset:8
	s_wait_dscnt 0x1
	v_fma_f64 v[4:5], v[32:33], v[4:5], 0
	s_wait_dscnt 0x0
	s_delay_alu instid0(VALU_DEP_1)
	v_mul_f64_e32 v[4:5], v[4:5], v[30:31]
.LBB77_19:
	s_or_b32 exec_lo, exec_lo, s1
	v_cmp_gt_u32_e32 vcc_lo, 2, v0
	s_barrier_signal -1
	s_barrier_wait -1
	ds_store_b64 v34, v[6:7]
	s_wait_dscnt 0x0
	s_barrier_signal -1
	s_barrier_wait -1
	s_and_saveexec_b32 s3, vcc_lo
	s_cbranch_execz .LBB77_23
; %bb.20:
	v_cmp_eq_u32_e64 s1, 1, v0
	v_cmp_eq_u32_e64 s2, 11, v0
	s_delay_alu instid0(VALU_DEP_2) | instskip(SKIP_1) | instid1(VALU_DEP_1)
	v_dual_cndmask_b32 v30, v3, v5, s1 :: v_dual_cndmask_b32 v31, v2, v4, s1
	v_cmp_eq_u32_e64 s1, 2, v0
	v_dual_cndmask_b32 v7, v30, v7, s1 :: v_dual_cndmask_b32 v6, v31, v6, s1
	v_cmp_eq_u32_e64 s1, 3, v0
	s_delay_alu instid0(VALU_DEP_1) | instskip(SKIP_1) | instid1(VALU_DEP_1)
	v_dual_cndmask_b32 v7, v7, v9, s1 :: v_dual_cndmask_b32 v6, v6, v8, s1
	v_cmp_eq_u32_e64 s1, 4, v0
	v_dual_cndmask_b32 v7, v7, v11, s1 :: v_dual_cndmask_b32 v6, v6, v10, s1
	v_cmp_eq_u32_e64 s1, 5, v0
	s_delay_alu instid0(VALU_DEP_1) | instskip(SKIP_1) | instid1(VALU_DEP_1)
	;; [unrolled: 5-line block ×4, first 2 shown]
	v_dual_cndmask_b32 v7, v7, v21, s1 :: v_dual_cndmask_b32 v6, v6, v20, s1
	v_cmp_eq_u32_e64 s1, 10, v0
	v_dual_cndmask_b32 v30, v7, v23, s1 :: v_dual_cndmask_b32 v31, v6, v22, s1
	ds_load_b64 v[6:7], v34
	v_cmp_eq_u32_e64 s1, 12, v0
	v_dual_cndmask_b32 v30, v30, v25, s2 :: v_dual_cndmask_b32 v31, v31, v24, s2
	s_delay_alu instid0(VALU_DEP_1) | instskip(SKIP_1) | instid1(VALU_DEP_1)
	v_dual_cndmask_b32 v30, v30, v27, s1 :: v_dual_cndmask_b32 v32, v31, v26, s1
	v_cmp_eq_u32_e64 s1, 13, v0
	v_dual_cndmask_b32 v31, v30, v29, s1 :: v_dual_cndmask_b32 v30, v32, v28, s1
	s_wait_dscnt 0x0
	s_delay_alu instid0(VALU_DEP_1)
	v_fma_f64 v[6:7], v[30:31], v[6:7], 0
	s_and_saveexec_b32 s1, s0
	s_cbranch_execz .LBB77_22
; %bb.21:
	v_mov_b32_e32 v30, 0
	ds_load_b64 v[30:31], v30 offset:120
	s_wait_dscnt 0x0
	v_fmac_f64_e32 v[6:7], v[4:5], v[30:31]
.LBB77_22:
	s_or_b32 exec_lo, exec_lo, s1
	v_mov_b32_e32 v30, 0
	ds_load_b64 v[30:31], v30 offset:16
	s_wait_dscnt 0x0
	v_mul_f64_e32 v[6:7], v[6:7], v[30:31]
.LBB77_23:
	s_or_b32 exec_lo, exec_lo, s3
	s_delay_alu instid0(SALU_CYCLE_1)
	s_mov_b32 s3, exec_lo
	s_barrier_signal -1
	s_barrier_wait -1
	ds_store_b64 v34, v[8:9]
	s_wait_dscnt 0x0
	s_barrier_signal -1
	s_barrier_wait -1
	v_cmpx_gt_u32_e32 3, v0
	s_cbranch_execz .LBB77_27
; %bb.24:
	v_mov_b64_e32 v[30:31], 0
	v_mov_b64_e32 v[32:33], v[0:1]
	v_lshl_add_u32 v35, v0, 3, 0x70
	s_mov_b32 s4, 0
.LBB77_25:                              ; =>This Inner Loop Header: Depth=1
	s_delay_alu instid0(VALU_DEP_2) | instskip(SKIP_1) | instid1(VALU_DEP_2)
	v_cmp_eq_u32_e64 s1, 1, v32
	v_cmp_eq_u32_e64 s2, 2, v32
	v_dual_cndmask_b32 v36, v3, v5, s1 :: v_dual_cndmask_b32 v37, v2, v4, s1
	v_cmp_eq_u32_e64 s1, 3, v32
	s_delay_alu instid0(VALU_DEP_2) | instskip(SKIP_1) | instid1(VALU_DEP_2)
	v_dual_cndmask_b32 v36, v36, v7, s2 :: v_dual_cndmask_b32 v37, v37, v6, s2
	v_cmp_eq_u32_e64 s2, 4, v32
	v_dual_cndmask_b32 v36, v36, v9, s1 :: v_dual_cndmask_b32 v37, v37, v8, s1
	v_cmp_eq_u32_e64 s1, 5, v32
	s_delay_alu instid0(VALU_DEP_2) | instskip(SKIP_1) | instid1(VALU_DEP_2)
	v_dual_cndmask_b32 v36, v36, v11, s2 :: v_dual_cndmask_b32 v37, v37, v10, s2
	;; [unrolled: 5-line block ×4, first 2 shown]
	v_cmp_eq_u32_e64 s2, 10, v32
	v_dual_cndmask_b32 v38, v36, v21, s1 :: v_dual_cndmask_b32 v39, v37, v20, s1
	ds_load_b64 v[36:37], v35
	v_cmp_eq_u32_e64 s1, 11, v32
	v_add_nc_u32_e32 v35, 8, v35
	v_dual_cndmask_b32 v38, v38, v23, s2 :: v_dual_cndmask_b32 v39, v39, v22, s2
	v_cmp_eq_u32_e64 s2, 12, v32
	s_delay_alu instid0(VALU_DEP_2) | instskip(SKIP_2) | instid1(VALU_DEP_3)
	v_dual_cndmask_b32 v38, v38, v25, s1 :: v_dual_cndmask_b32 v39, v39, v24, s1
	v_cmp_eq_u32_e64 s1, 13, v32
	v_add_nc_u64_e32 v[32:33], 1, v[32:33]
	v_dual_cndmask_b32 v38, v38, v27, s2 :: v_dual_cndmask_b32 v40, v39, v26, s2
	s_delay_alu instid0(VALU_DEP_1) | instskip(SKIP_1) | instid1(VALU_DEP_1)
	v_dual_cndmask_b32 v39, v38, v29, s1 :: v_dual_cndmask_b32 v38, v40, v28, s1
	s_wait_dscnt 0x0
	v_fmac_f64_e32 v[30:31], v[38:39], v[36:37]
	s_delay_alu instid0(VALU_DEP_4) | instskip(NEXT) | instid1(VALU_DEP_1)
	v_add_nc_u32_e32 v36, -1, v32
	v_cmp_lt_u32_e64 s1, 1, v36
	s_or_b32 s4, s1, s4
	s_delay_alu instid0(SALU_CYCLE_1)
	s_and_not1_b32 exec_lo, exec_lo, s4
	s_cbranch_execnz .LBB77_25
; %bb.26:
	s_or_b32 exec_lo, exec_lo, s4
	v_mov_b32_e32 v8, 0
	ds_load_b64 v[8:9], v8 offset:24
	s_wait_dscnt 0x0
	v_mul_f64_e32 v[8:9], v[30:31], v[8:9]
.LBB77_27:
	s_or_b32 exec_lo, exec_lo, s3
	v_cmp_gt_u32_e64 s1, 4, v0
	s_barrier_signal -1
	s_barrier_wait -1
	ds_store_b64 v34, v[10:11]
	s_wait_dscnt 0x0
	s_barrier_signal -1
	s_barrier_wait -1
	s_and_saveexec_b32 s4, s1
	s_cbranch_execz .LBB77_31
; %bb.28:
	v_mov_b64_e32 v[30:31], 0
	v_mov_b64_e32 v[32:33], v[0:1]
	v_lshl_add_u32 v35, v0, 3, 0x70
	s_mov_b32 s5, 0
.LBB77_29:                              ; =>This Inner Loop Header: Depth=1
	s_delay_alu instid0(VALU_DEP_2) | instskip(SKIP_1) | instid1(VALU_DEP_2)
	v_cmp_eq_u32_e64 s2, 1, v32
	v_cmp_eq_u32_e64 s3, 2, v32
	v_dual_cndmask_b32 v36, v3, v5, s2 :: v_dual_cndmask_b32 v37, v2, v4, s2
	v_cmp_eq_u32_e64 s2, 3, v32
	s_delay_alu instid0(VALU_DEP_2) | instskip(SKIP_1) | instid1(VALU_DEP_2)
	v_dual_cndmask_b32 v36, v36, v7, s3 :: v_dual_cndmask_b32 v37, v37, v6, s3
	v_cmp_eq_u32_e64 s3, 4, v32
	v_dual_cndmask_b32 v36, v36, v9, s2 :: v_dual_cndmask_b32 v37, v37, v8, s2
	v_cmp_eq_u32_e64 s2, 5, v32
	s_delay_alu instid0(VALU_DEP_2) | instskip(SKIP_1) | instid1(VALU_DEP_2)
	v_dual_cndmask_b32 v36, v36, v11, s3 :: v_dual_cndmask_b32 v37, v37, v10, s3
	;; [unrolled: 5-line block ×4, first 2 shown]
	v_cmp_eq_u32_e64 s3, 10, v32
	v_dual_cndmask_b32 v38, v36, v21, s2 :: v_dual_cndmask_b32 v39, v37, v20, s2
	ds_load_b64 v[36:37], v35
	v_cmp_eq_u32_e64 s2, 11, v32
	v_add_nc_u32_e32 v35, 8, v35
	v_dual_cndmask_b32 v38, v38, v23, s3 :: v_dual_cndmask_b32 v39, v39, v22, s3
	v_cmp_eq_u32_e64 s3, 12, v32
	s_delay_alu instid0(VALU_DEP_2) | instskip(SKIP_2) | instid1(VALU_DEP_3)
	v_dual_cndmask_b32 v38, v38, v25, s2 :: v_dual_cndmask_b32 v39, v39, v24, s2
	v_cmp_eq_u32_e64 s2, 13, v32
	v_add_nc_u64_e32 v[32:33], 1, v[32:33]
	v_dual_cndmask_b32 v38, v38, v27, s3 :: v_dual_cndmask_b32 v40, v39, v26, s3
	s_delay_alu instid0(VALU_DEP_1) | instskip(SKIP_1) | instid1(VALU_DEP_1)
	v_dual_cndmask_b32 v39, v38, v29, s2 :: v_dual_cndmask_b32 v38, v40, v28, s2
	s_wait_dscnt 0x0
	v_fmac_f64_e32 v[30:31], v[38:39], v[36:37]
	s_delay_alu instid0(VALU_DEP_4) | instskip(NEXT) | instid1(VALU_DEP_1)
	v_add_nc_u32_e32 v36, -1, v32
	v_cmp_lt_u32_e64 s2, 2, v36
	s_or_b32 s5, s2, s5
	s_delay_alu instid0(SALU_CYCLE_1)
	s_and_not1_b32 exec_lo, exec_lo, s5
	s_cbranch_execnz .LBB77_29
; %bb.30:
	s_or_b32 exec_lo, exec_lo, s5
	v_mov_b32_e32 v10, 0
	ds_load_b64 v[10:11], v10 offset:32
	s_wait_dscnt 0x0
	v_mul_f64_e32 v[10:11], v[30:31], v[10:11]
.LBB77_31:
	s_or_b32 exec_lo, exec_lo, s4
	s_delay_alu instid0(SALU_CYCLE_1)
	s_mov_b32 s4, exec_lo
	s_barrier_signal -1
	s_barrier_wait -1
	ds_store_b64 v34, v[12:13]
	s_wait_dscnt 0x0
	s_barrier_signal -1
	s_barrier_wait -1
	v_cmpx_gt_u32_e32 5, v0
	s_cbranch_execz .LBB77_35
; %bb.32:
	v_mov_b64_e32 v[30:31], 0
	v_mov_b64_e32 v[32:33], v[0:1]
	v_lshl_add_u32 v35, v0, 3, 0x70
	s_mov_b32 s5, 0
.LBB77_33:                              ; =>This Inner Loop Header: Depth=1
	s_delay_alu instid0(VALU_DEP_2) | instskip(SKIP_1) | instid1(VALU_DEP_2)
	v_cmp_eq_u32_e64 s2, 1, v32
	v_cmp_eq_u32_e64 s3, 2, v32
	v_dual_cndmask_b32 v36, v3, v5, s2 :: v_dual_cndmask_b32 v37, v2, v4, s2
	v_cmp_eq_u32_e64 s2, 3, v32
	s_delay_alu instid0(VALU_DEP_2) | instskip(SKIP_1) | instid1(VALU_DEP_2)
	v_dual_cndmask_b32 v36, v36, v7, s3 :: v_dual_cndmask_b32 v37, v37, v6, s3
	v_cmp_eq_u32_e64 s3, 4, v32
	v_dual_cndmask_b32 v36, v36, v9, s2 :: v_dual_cndmask_b32 v37, v37, v8, s2
	v_cmp_eq_u32_e64 s2, 5, v32
	s_delay_alu instid0(VALU_DEP_2) | instskip(SKIP_1) | instid1(VALU_DEP_2)
	v_dual_cndmask_b32 v36, v36, v11, s3 :: v_dual_cndmask_b32 v37, v37, v10, s3
	;; [unrolled: 5-line block ×4, first 2 shown]
	v_cmp_eq_u32_e64 s3, 10, v32
	v_dual_cndmask_b32 v38, v36, v21, s2 :: v_dual_cndmask_b32 v39, v37, v20, s2
	ds_load_b64 v[36:37], v35
	v_cmp_eq_u32_e64 s2, 11, v32
	v_add_nc_u32_e32 v35, 8, v35
	v_dual_cndmask_b32 v38, v38, v23, s3 :: v_dual_cndmask_b32 v39, v39, v22, s3
	v_cmp_eq_u32_e64 s3, 12, v32
	s_delay_alu instid0(VALU_DEP_2) | instskip(SKIP_2) | instid1(VALU_DEP_3)
	v_dual_cndmask_b32 v38, v38, v25, s2 :: v_dual_cndmask_b32 v39, v39, v24, s2
	v_cmp_eq_u32_e64 s2, 13, v32
	v_add_nc_u64_e32 v[32:33], 1, v[32:33]
	v_dual_cndmask_b32 v38, v38, v27, s3 :: v_dual_cndmask_b32 v40, v39, v26, s3
	s_delay_alu instid0(VALU_DEP_1) | instskip(SKIP_1) | instid1(VALU_DEP_1)
	v_dual_cndmask_b32 v39, v38, v29, s2 :: v_dual_cndmask_b32 v38, v40, v28, s2
	s_wait_dscnt 0x0
	v_fmac_f64_e32 v[30:31], v[38:39], v[36:37]
	s_delay_alu instid0(VALU_DEP_4) | instskip(NEXT) | instid1(VALU_DEP_1)
	v_add_nc_u32_e32 v36, -1, v32
	v_cmp_lt_u32_e64 s2, 3, v36
	s_or_b32 s5, s2, s5
	s_delay_alu instid0(SALU_CYCLE_1)
	s_and_not1_b32 exec_lo, exec_lo, s5
	s_cbranch_execnz .LBB77_33
; %bb.34:
	s_or_b32 exec_lo, exec_lo, s5
	v_mov_b32_e32 v12, 0
	ds_load_b64 v[12:13], v12 offset:40
	s_wait_dscnt 0x0
	v_mul_f64_e32 v[12:13], v[30:31], v[12:13]
.LBB77_35:
	s_or_b32 exec_lo, exec_lo, s4
	v_cmp_gt_u32_e64 s2, 6, v0
	s_barrier_signal -1
	s_barrier_wait -1
	ds_store_b64 v34, v[14:15]
	s_wait_dscnt 0x0
	s_barrier_signal -1
	s_barrier_wait -1
	s_and_saveexec_b32 s5, s2
	s_cbranch_execz .LBB77_39
; %bb.36:
	v_mov_b64_e32 v[30:31], 0
	v_mov_b64_e32 v[32:33], v[0:1]
	v_lshl_add_u32 v35, v0, 3, 0x70
	s_mov_b32 s6, 0
.LBB77_37:                              ; =>This Inner Loop Header: Depth=1
	s_delay_alu instid0(VALU_DEP_2) | instskip(SKIP_1) | instid1(VALU_DEP_2)
	v_cmp_eq_u32_e64 s3, 1, v32
	v_cmp_eq_u32_e64 s4, 2, v32
	v_dual_cndmask_b32 v36, v3, v5, s3 :: v_dual_cndmask_b32 v37, v2, v4, s3
	v_cmp_eq_u32_e64 s3, 3, v32
	s_delay_alu instid0(VALU_DEP_2) | instskip(SKIP_1) | instid1(VALU_DEP_2)
	v_dual_cndmask_b32 v36, v36, v7, s4 :: v_dual_cndmask_b32 v37, v37, v6, s4
	v_cmp_eq_u32_e64 s4, 4, v32
	v_dual_cndmask_b32 v36, v36, v9, s3 :: v_dual_cndmask_b32 v37, v37, v8, s3
	v_cmp_eq_u32_e64 s3, 5, v32
	s_delay_alu instid0(VALU_DEP_2) | instskip(SKIP_1) | instid1(VALU_DEP_2)
	v_dual_cndmask_b32 v36, v36, v11, s4 :: v_dual_cndmask_b32 v37, v37, v10, s4
	;; [unrolled: 5-line block ×4, first 2 shown]
	v_cmp_eq_u32_e64 s4, 10, v32
	v_dual_cndmask_b32 v38, v36, v21, s3 :: v_dual_cndmask_b32 v39, v37, v20, s3
	ds_load_b64 v[36:37], v35
	v_cmp_eq_u32_e64 s3, 11, v32
	v_add_nc_u32_e32 v35, 8, v35
	v_dual_cndmask_b32 v38, v38, v23, s4 :: v_dual_cndmask_b32 v39, v39, v22, s4
	v_cmp_eq_u32_e64 s4, 12, v32
	s_delay_alu instid0(VALU_DEP_2) | instskip(SKIP_2) | instid1(VALU_DEP_3)
	v_dual_cndmask_b32 v38, v38, v25, s3 :: v_dual_cndmask_b32 v39, v39, v24, s3
	v_cmp_eq_u32_e64 s3, 13, v32
	v_add_nc_u64_e32 v[32:33], 1, v[32:33]
	v_dual_cndmask_b32 v38, v38, v27, s4 :: v_dual_cndmask_b32 v40, v39, v26, s4
	s_delay_alu instid0(VALU_DEP_1) | instskip(SKIP_1) | instid1(VALU_DEP_1)
	v_dual_cndmask_b32 v39, v38, v29, s3 :: v_dual_cndmask_b32 v38, v40, v28, s3
	s_wait_dscnt 0x0
	v_fmac_f64_e32 v[30:31], v[38:39], v[36:37]
	s_delay_alu instid0(VALU_DEP_4) | instskip(NEXT) | instid1(VALU_DEP_1)
	v_add_nc_u32_e32 v36, -1, v32
	v_cmp_lt_u32_e64 s3, 4, v36
	s_or_b32 s6, s3, s6
	s_delay_alu instid0(SALU_CYCLE_1)
	s_and_not1_b32 exec_lo, exec_lo, s6
	s_cbranch_execnz .LBB77_37
; %bb.38:
	s_or_b32 exec_lo, exec_lo, s6
	v_mov_b32_e32 v14, 0
	ds_load_b64 v[14:15], v14 offset:48
	s_wait_dscnt 0x0
	v_mul_f64_e32 v[14:15], v[30:31], v[14:15]
.LBB77_39:
	s_or_b32 exec_lo, exec_lo, s5
	s_delay_alu instid0(SALU_CYCLE_1)
	s_mov_b32 s5, exec_lo
	s_barrier_signal -1
	s_barrier_wait -1
	ds_store_b64 v34, v[16:17]
	s_wait_dscnt 0x0
	s_barrier_signal -1
	s_barrier_wait -1
	v_cmpx_gt_u32_e32 7, v0
	s_cbranch_execz .LBB77_43
; %bb.40:
	v_mov_b64_e32 v[30:31], 0
	v_mov_b64_e32 v[32:33], v[0:1]
	v_lshl_add_u32 v35, v0, 3, 0x70
	s_mov_b32 s6, 0
.LBB77_41:                              ; =>This Inner Loop Header: Depth=1
	s_delay_alu instid0(VALU_DEP_2) | instskip(SKIP_1) | instid1(VALU_DEP_2)
	v_cmp_eq_u32_e64 s3, 1, v32
	v_cmp_eq_u32_e64 s4, 2, v32
	v_dual_cndmask_b32 v36, v3, v5, s3 :: v_dual_cndmask_b32 v37, v2, v4, s3
	v_cmp_eq_u32_e64 s3, 3, v32
	s_delay_alu instid0(VALU_DEP_2) | instskip(SKIP_1) | instid1(VALU_DEP_2)
	v_dual_cndmask_b32 v36, v36, v7, s4 :: v_dual_cndmask_b32 v37, v37, v6, s4
	v_cmp_eq_u32_e64 s4, 4, v32
	v_dual_cndmask_b32 v36, v36, v9, s3 :: v_dual_cndmask_b32 v37, v37, v8, s3
	v_cmp_eq_u32_e64 s3, 5, v32
	s_delay_alu instid0(VALU_DEP_2) | instskip(SKIP_1) | instid1(VALU_DEP_2)
	v_dual_cndmask_b32 v36, v36, v11, s4 :: v_dual_cndmask_b32 v37, v37, v10, s4
	;; [unrolled: 5-line block ×4, first 2 shown]
	v_cmp_eq_u32_e64 s4, 10, v32
	v_dual_cndmask_b32 v38, v36, v21, s3 :: v_dual_cndmask_b32 v39, v37, v20, s3
	ds_load_b64 v[36:37], v35
	v_cmp_eq_u32_e64 s3, 11, v32
	v_add_nc_u32_e32 v35, 8, v35
	v_dual_cndmask_b32 v38, v38, v23, s4 :: v_dual_cndmask_b32 v39, v39, v22, s4
	v_cmp_eq_u32_e64 s4, 12, v32
	s_delay_alu instid0(VALU_DEP_2) | instskip(SKIP_2) | instid1(VALU_DEP_3)
	v_dual_cndmask_b32 v38, v38, v25, s3 :: v_dual_cndmask_b32 v39, v39, v24, s3
	v_cmp_eq_u32_e64 s3, 13, v32
	v_add_nc_u64_e32 v[32:33], 1, v[32:33]
	v_dual_cndmask_b32 v38, v38, v27, s4 :: v_dual_cndmask_b32 v40, v39, v26, s4
	s_delay_alu instid0(VALU_DEP_1) | instskip(SKIP_1) | instid1(VALU_DEP_1)
	v_dual_cndmask_b32 v39, v38, v29, s3 :: v_dual_cndmask_b32 v38, v40, v28, s3
	s_wait_dscnt 0x0
	v_fmac_f64_e32 v[30:31], v[38:39], v[36:37]
	s_delay_alu instid0(VALU_DEP_4) | instskip(NEXT) | instid1(VALU_DEP_1)
	v_add_nc_u32_e32 v36, -1, v32
	v_cmp_lt_u32_e64 s3, 5, v36
	s_or_b32 s6, s3, s6
	s_delay_alu instid0(SALU_CYCLE_1)
	s_and_not1_b32 exec_lo, exec_lo, s6
	s_cbranch_execnz .LBB77_41
; %bb.42:
	s_or_b32 exec_lo, exec_lo, s6
	v_mov_b32_e32 v16, 0
	ds_load_b64 v[16:17], v16 offset:56
	s_wait_dscnt 0x0
	v_mul_f64_e32 v[16:17], v[30:31], v[16:17]
.LBB77_43:
	s_or_b32 exec_lo, exec_lo, s5
	s_delay_alu instid0(SALU_CYCLE_1)
	s_mov_b32 s5, exec_lo
	s_barrier_signal -1
	s_barrier_wait -1
	ds_store_b64 v34, v[18:19]
	s_wait_dscnt 0x0
	s_barrier_signal -1
	s_barrier_wait -1
	v_cmpx_gt_u32_e32 8, v0
	s_cbranch_execz .LBB77_59
; %bb.44:
	v_cmp_eq_u32_e64 s3, 1, v0
	v_cmp_eq_u32_e64 s4, 11, v0
	s_mov_b32 s6, exec_lo
	v_dual_cndmask_b32 v30, v3, v5, s3 :: v_dual_cndmask_b32 v31, v2, v4, s3
	v_cmp_eq_u32_e64 s3, 2, v0
	s_delay_alu instid0(VALU_DEP_1) | instskip(SKIP_1) | instid1(VALU_DEP_1)
	v_dual_cndmask_b32 v30, v30, v7, s3 :: v_dual_cndmask_b32 v31, v31, v6, s3
	v_cmp_eq_u32_e64 s3, 3, v0
	v_dual_cndmask_b32 v30, v30, v9, s3 :: v_dual_cndmask_b32 v31, v31, v8, s3
	v_cmp_eq_u32_e64 s3, 4, v0
	s_delay_alu instid0(VALU_DEP_1) | instskip(SKIP_1) | instid1(VALU_DEP_1)
	v_dual_cndmask_b32 v30, v30, v11, s3 :: v_dual_cndmask_b32 v31, v31, v10, s3
	v_cmp_eq_u32_e64 s3, 5, v0
	;; [unrolled: 5-line block ×4, first 2 shown]
	v_dual_cndmask_b32 v30, v30, v21, s3 :: v_dual_cndmask_b32 v31, v31, v20, s3
	v_cmp_eq_u32_e64 s3, 10, v0
	s_delay_alu instid0(VALU_DEP_1) | instskip(SKIP_3) | instid1(VALU_DEP_1)
	v_dual_cndmask_b32 v32, v30, v23, s3 :: v_dual_cndmask_b32 v33, v31, v22, s3
	ds_load_b64 v[30:31], v34
	v_cmp_eq_u32_e64 s3, 12, v0
	v_dual_cndmask_b32 v32, v32, v25, s4 :: v_dual_cndmask_b32 v33, v33, v24, s4
	v_dual_cndmask_b32 v32, v32, v27, s3 :: v_dual_cndmask_b32 v35, v33, v26, s3
	v_cmp_eq_u32_e64 s3, 13, v0
	s_delay_alu instid0(VALU_DEP_1) | instskip(SKIP_1) | instid1(VALU_DEP_1)
	v_dual_cndmask_b32 v33, v32, v29, s3 :: v_dual_cndmask_b32 v32, v35, v28, s3
	s_wait_dscnt 0x0
	v_fma_f64 v[30:31], v[32:33], v[30:31], 0
	v_cmpx_ne_u32_e32 7, v0
	s_cbranch_execz .LBB77_58
; %bb.45:
	v_add_nc_u32_e32 v35, 1, v0
	s_delay_alu instid0(VALU_DEP_1) | instskip(NEXT) | instid1(VALU_DEP_1)
	v_cmp_eq_u32_e64 s3, 1, v35
	v_dual_cndmask_b32 v32, v3, v5, s3 :: v_dual_cndmask_b32 v33, v2, v4, s3
	v_cmp_eq_u32_e64 s3, 2, v35
	v_cmp_eq_u32_e64 s4, 11, v35
	s_delay_alu instid0(VALU_DEP_2) | instskip(SKIP_1) | instid1(VALU_DEP_1)
	v_dual_cndmask_b32 v32, v32, v7, s3 :: v_dual_cndmask_b32 v33, v33, v6, s3
	v_cmp_eq_u32_e64 s3, 3, v35
	v_dual_cndmask_b32 v32, v32, v9, s3 :: v_dual_cndmask_b32 v33, v33, v8, s3
	v_cmp_eq_u32_e64 s3, 4, v35
	s_delay_alu instid0(VALU_DEP_1) | instskip(SKIP_1) | instid1(VALU_DEP_1)
	v_dual_cndmask_b32 v32, v32, v11, s3 :: v_dual_cndmask_b32 v33, v33, v10, s3
	v_cmp_eq_u32_e64 s3, 5, v35
	v_dual_cndmask_b32 v32, v32, v13, s3 :: v_dual_cndmask_b32 v33, v33, v12, s3
	v_cmp_eq_u32_e64 s3, 6, v35
	s_delay_alu instid0(VALU_DEP_1) | instskip(SKIP_1) | instid1(VALU_DEP_1)
	;; [unrolled: 5-line block ×3, first 2 shown]
	v_dual_cndmask_b32 v32, v32, v19, s3 :: v_dual_cndmask_b32 v33, v33, v18, s3
	v_cmp_eq_u32_e64 s3, 9, v35
	v_dual_cndmask_b32 v32, v32, v21, s3 :: v_dual_cndmask_b32 v33, v33, v20, s3
	v_cmp_eq_u32_e64 s3, 10, v35
	s_delay_alu instid0(VALU_DEP_1) | instskip(SKIP_3) | instid1(VALU_DEP_1)
	v_dual_cndmask_b32 v36, v32, v23, s3 :: v_dual_cndmask_b32 v37, v33, v22, s3
	ds_load_b64 v[32:33], v34 offset:8
	v_cmp_eq_u32_e64 s3, 12, v35
	v_dual_cndmask_b32 v36, v36, v25, s4 :: v_dual_cndmask_b32 v37, v37, v24, s4
	v_dual_cndmask_b32 v36, v36, v27, s3 :: v_dual_cndmask_b32 v38, v37, v26, s3
	v_cmp_eq_u32_e64 s3, 13, v35
	s_delay_alu instid0(VALU_DEP_1) | instskip(SKIP_1) | instid1(VALU_DEP_1)
	v_dual_cndmask_b32 v37, v36, v29, s3 :: v_dual_cndmask_b32 v36, v38, v28, s3
	s_wait_dscnt 0x0
	v_fmac_f64_e32 v[30:31], v[36:37], v[32:33]
	s_and_saveexec_b32 s4, s2
	s_cbranch_execz .LBB77_57
; %bb.46:
	v_add_nc_u32_e32 v35, 2, v0
	s_mov_b32 s7, exec_lo
	s_delay_alu instid0(VALU_DEP_1) | instskip(NEXT) | instid1(VALU_DEP_1)
	v_cmp_eq_u32_e64 s2, 1, v35
	v_dual_cndmask_b32 v32, v3, v5, s2 :: v_dual_cndmask_b32 v33, v2, v4, s2
	v_cmp_eq_u32_e64 s2, 2, v35
	v_cmp_eq_u32_e64 s3, 11, v35
	s_delay_alu instid0(VALU_DEP_2) | instskip(SKIP_1) | instid1(VALU_DEP_1)
	v_dual_cndmask_b32 v32, v32, v7, s2 :: v_dual_cndmask_b32 v33, v33, v6, s2
	v_cmp_eq_u32_e64 s2, 3, v35
	v_dual_cndmask_b32 v32, v32, v9, s2 :: v_dual_cndmask_b32 v33, v33, v8, s2
	v_cmp_eq_u32_e64 s2, 4, v35
	s_delay_alu instid0(VALU_DEP_1) | instskip(SKIP_1) | instid1(VALU_DEP_1)
	v_dual_cndmask_b32 v32, v32, v11, s2 :: v_dual_cndmask_b32 v33, v33, v10, s2
	v_cmp_eq_u32_e64 s2, 5, v35
	v_dual_cndmask_b32 v32, v32, v13, s2 :: v_dual_cndmask_b32 v33, v33, v12, s2
	v_cmp_eq_u32_e64 s2, 6, v35
	s_delay_alu instid0(VALU_DEP_1) | instskip(SKIP_1) | instid1(VALU_DEP_1)
	;; [unrolled: 5-line block ×3, first 2 shown]
	v_dual_cndmask_b32 v32, v32, v19, s2 :: v_dual_cndmask_b32 v33, v33, v18, s2
	v_cmp_eq_u32_e64 s2, 9, v35
	v_dual_cndmask_b32 v32, v32, v21, s2 :: v_dual_cndmask_b32 v33, v33, v20, s2
	v_cmp_eq_u32_e64 s2, 10, v35
	s_delay_alu instid0(VALU_DEP_1) | instskip(SKIP_3) | instid1(VALU_DEP_1)
	v_dual_cndmask_b32 v36, v32, v23, s2 :: v_dual_cndmask_b32 v37, v33, v22, s2
	ds_load_b64 v[32:33], v34 offset:16
	v_cmp_eq_u32_e64 s2, 12, v35
	v_dual_cndmask_b32 v36, v36, v25, s3 :: v_dual_cndmask_b32 v37, v37, v24, s3
	v_dual_cndmask_b32 v36, v36, v27, s2 :: v_dual_cndmask_b32 v38, v37, v26, s2
	v_cmp_eq_u32_e64 s2, 13, v35
	s_delay_alu instid0(VALU_DEP_1) | instskip(SKIP_1) | instid1(VALU_DEP_1)
	v_dual_cndmask_b32 v37, v36, v29, s2 :: v_dual_cndmask_b32 v36, v38, v28, s2
	s_wait_dscnt 0x0
	v_fmac_f64_e32 v[30:31], v[36:37], v[32:33]
	v_cmpx_ne_u32_e32 5, v0
	s_cbranch_execz .LBB77_56
; %bb.47:
	v_add_nc_u32_e32 v35, 3, v0
	s_delay_alu instid0(VALU_DEP_1) | instskip(NEXT) | instid1(VALU_DEP_1)
	v_cmp_eq_u32_e64 s2, 1, v35
	v_dual_cndmask_b32 v32, v3, v5, s2 :: v_dual_cndmask_b32 v33, v2, v4, s2
	v_cmp_eq_u32_e64 s2, 2, v35
	v_cmp_eq_u32_e64 s3, 11, v35
	s_delay_alu instid0(VALU_DEP_2) | instskip(SKIP_1) | instid1(VALU_DEP_1)
	v_dual_cndmask_b32 v32, v32, v7, s2 :: v_dual_cndmask_b32 v33, v33, v6, s2
	v_cmp_eq_u32_e64 s2, 3, v35
	v_dual_cndmask_b32 v32, v32, v9, s2 :: v_dual_cndmask_b32 v33, v33, v8, s2
	v_cmp_eq_u32_e64 s2, 4, v35
	s_delay_alu instid0(VALU_DEP_1) | instskip(SKIP_1) | instid1(VALU_DEP_1)
	v_dual_cndmask_b32 v32, v32, v11, s2 :: v_dual_cndmask_b32 v33, v33, v10, s2
	v_cmp_eq_u32_e64 s2, 5, v35
	v_dual_cndmask_b32 v32, v32, v13, s2 :: v_dual_cndmask_b32 v33, v33, v12, s2
	v_cmp_eq_u32_e64 s2, 6, v35
	s_delay_alu instid0(VALU_DEP_1) | instskip(SKIP_1) | instid1(VALU_DEP_1)
	;; [unrolled: 5-line block ×3, first 2 shown]
	v_dual_cndmask_b32 v32, v32, v19, s2 :: v_dual_cndmask_b32 v33, v33, v18, s2
	v_cmp_eq_u32_e64 s2, 9, v35
	v_dual_cndmask_b32 v32, v32, v21, s2 :: v_dual_cndmask_b32 v33, v33, v20, s2
	v_cmp_eq_u32_e64 s2, 10, v35
	s_delay_alu instid0(VALU_DEP_1) | instskip(SKIP_3) | instid1(VALU_DEP_1)
	v_dual_cndmask_b32 v36, v32, v23, s2 :: v_dual_cndmask_b32 v37, v33, v22, s2
	ds_load_b64 v[32:33], v34 offset:24
	v_cmp_eq_u32_e64 s2, 12, v35
	v_dual_cndmask_b32 v36, v36, v25, s3 :: v_dual_cndmask_b32 v37, v37, v24, s3
	v_dual_cndmask_b32 v36, v36, v27, s2 :: v_dual_cndmask_b32 v38, v37, v26, s2
	v_cmp_eq_u32_e64 s2, 13, v35
	s_delay_alu instid0(VALU_DEP_1) | instskip(SKIP_1) | instid1(VALU_DEP_1)
	v_dual_cndmask_b32 v37, v36, v29, s2 :: v_dual_cndmask_b32 v36, v38, v28, s2
	s_wait_dscnt 0x0
	v_fmac_f64_e32 v[30:31], v[36:37], v[32:33]
	s_and_saveexec_b32 s3, s1
	s_cbranch_execz .LBB77_55
; %bb.48:
	v_or_b32_e32 v35, 4, v0
	s_mov_b32 s8, exec_lo
	s_delay_alu instid0(VALU_DEP_1) | instskip(NEXT) | instid1(VALU_DEP_1)
	v_cmp_eq_u32_e64 s1, 1, v35
	v_dual_cndmask_b32 v32, v3, v5, s1 :: v_dual_cndmask_b32 v33, v2, v4, s1
	v_cmp_eq_u32_e64 s1, 2, v35
	v_cmp_eq_u32_e64 s2, 11, v35
	s_delay_alu instid0(VALU_DEP_2) | instskip(SKIP_1) | instid1(VALU_DEP_1)
	v_dual_cndmask_b32 v32, v32, v7, s1 :: v_dual_cndmask_b32 v33, v33, v6, s1
	v_cmp_eq_u32_e64 s1, 3, v35
	v_dual_cndmask_b32 v32, v32, v9, s1 :: v_dual_cndmask_b32 v33, v33, v8, s1
	v_cmp_eq_u32_e64 s1, 4, v35
	s_delay_alu instid0(VALU_DEP_1) | instskip(SKIP_1) | instid1(VALU_DEP_1)
	v_dual_cndmask_b32 v32, v32, v11, s1 :: v_dual_cndmask_b32 v33, v33, v10, s1
	v_cmp_eq_u32_e64 s1, 5, v35
	v_dual_cndmask_b32 v32, v32, v13, s1 :: v_dual_cndmask_b32 v33, v33, v12, s1
	v_cmp_eq_u32_e64 s1, 6, v35
	s_delay_alu instid0(VALU_DEP_1) | instskip(SKIP_1) | instid1(VALU_DEP_1)
	;; [unrolled: 5-line block ×3, first 2 shown]
	v_dual_cndmask_b32 v32, v32, v19, s1 :: v_dual_cndmask_b32 v33, v33, v18, s1
	v_cmp_eq_u32_e64 s1, 9, v35
	v_dual_cndmask_b32 v32, v32, v21, s1 :: v_dual_cndmask_b32 v33, v33, v20, s1
	v_cmp_eq_u32_e64 s1, 10, v35
	s_delay_alu instid0(VALU_DEP_1) | instskip(SKIP_3) | instid1(VALU_DEP_1)
	v_dual_cndmask_b32 v36, v32, v23, s1 :: v_dual_cndmask_b32 v37, v33, v22, s1
	ds_load_b64 v[32:33], v34 offset:32
	v_cmp_eq_u32_e64 s1, 12, v35
	v_dual_cndmask_b32 v36, v36, v25, s2 :: v_dual_cndmask_b32 v37, v37, v24, s2
	v_dual_cndmask_b32 v36, v36, v27, s1 :: v_dual_cndmask_b32 v38, v37, v26, s1
	v_cmp_eq_u32_e64 s1, 13, v35
	s_delay_alu instid0(VALU_DEP_1) | instskip(SKIP_1) | instid1(VALU_DEP_1)
	v_dual_cndmask_b32 v37, v36, v29, s1 :: v_dual_cndmask_b32 v36, v38, v28, s1
	s_wait_dscnt 0x0
	v_fmac_f64_e32 v[30:31], v[36:37], v[32:33]
	v_cmpx_ne_u32_e32 3, v0
	s_cbranch_execz .LBB77_54
; %bb.49:
	v_add_nc_u32_e32 v35, 5, v0
	s_delay_alu instid0(VALU_DEP_1) | instskip(NEXT) | instid1(VALU_DEP_1)
	v_cmp_eq_u32_e64 s1, 1, v35
	v_dual_cndmask_b32 v32, v3, v5, s1 :: v_dual_cndmask_b32 v33, v2, v4, s1
	v_cmp_eq_u32_e64 s1, 2, v35
	v_cmp_eq_u32_e64 s2, 11, v35
	s_delay_alu instid0(VALU_DEP_2) | instskip(SKIP_1) | instid1(VALU_DEP_1)
	v_dual_cndmask_b32 v32, v32, v7, s1 :: v_dual_cndmask_b32 v33, v33, v6, s1
	v_cmp_eq_u32_e64 s1, 3, v35
	v_dual_cndmask_b32 v32, v32, v9, s1 :: v_dual_cndmask_b32 v33, v33, v8, s1
	v_cmp_eq_u32_e64 s1, 4, v35
	s_delay_alu instid0(VALU_DEP_1) | instskip(SKIP_1) | instid1(VALU_DEP_1)
	v_dual_cndmask_b32 v32, v32, v11, s1 :: v_dual_cndmask_b32 v33, v33, v10, s1
	v_cmp_eq_u32_e64 s1, 5, v35
	v_dual_cndmask_b32 v32, v32, v13, s1 :: v_dual_cndmask_b32 v33, v33, v12, s1
	v_cmp_eq_u32_e64 s1, 6, v35
	s_delay_alu instid0(VALU_DEP_1) | instskip(SKIP_1) | instid1(VALU_DEP_1)
	;; [unrolled: 5-line block ×3, first 2 shown]
	v_dual_cndmask_b32 v32, v32, v19, s1 :: v_dual_cndmask_b32 v33, v33, v18, s1
	v_cmp_eq_u32_e64 s1, 9, v35
	v_dual_cndmask_b32 v32, v32, v21, s1 :: v_dual_cndmask_b32 v33, v33, v20, s1
	v_cmp_eq_u32_e64 s1, 10, v35
	s_delay_alu instid0(VALU_DEP_1) | instskip(SKIP_3) | instid1(VALU_DEP_1)
	v_dual_cndmask_b32 v36, v32, v23, s1 :: v_dual_cndmask_b32 v37, v33, v22, s1
	ds_load_b64 v[32:33], v34 offset:40
	v_cmp_eq_u32_e64 s1, 12, v35
	v_dual_cndmask_b32 v36, v36, v25, s2 :: v_dual_cndmask_b32 v37, v37, v24, s2
	v_dual_cndmask_b32 v36, v36, v27, s1 :: v_dual_cndmask_b32 v38, v37, v26, s1
	v_cmp_eq_u32_e64 s1, 13, v35
	s_delay_alu instid0(VALU_DEP_1) | instskip(SKIP_1) | instid1(VALU_DEP_1)
	v_dual_cndmask_b32 v37, v36, v29, s1 :: v_dual_cndmask_b32 v36, v38, v28, s1
	s_wait_dscnt 0x0
	v_fmac_f64_e32 v[30:31], v[36:37], v[32:33]
	s_and_saveexec_b32 s2, vcc_lo
	s_cbranch_execz .LBB77_53
; %bb.50:
	v_or_b32_e32 v32, 6, v0
	s_delay_alu instid0(VALU_DEP_1) | instskip(SKIP_3) | instid1(VALU_DEP_3)
	v_cmp_eq_u32_e32 vcc_lo, 1, v32
	v_dual_cndmask_b32 v33, v3, v5, vcc_lo :: v_dual_cndmask_b32 v35, v2, v4, vcc_lo
	v_cmp_eq_u32_e32 vcc_lo, 2, v32
	v_cmp_eq_u32_e64 s1, 11, v32
	v_dual_cndmask_b32 v33, v33, v7, vcc_lo :: v_dual_cndmask_b32 v35, v35, v6, vcc_lo
	v_cmp_eq_u32_e32 vcc_lo, 3, v32
	s_delay_alu instid0(VALU_DEP_2) | instskip(SKIP_1) | instid1(VALU_DEP_2)
	v_dual_cndmask_b32 v33, v33, v9, vcc_lo :: v_dual_cndmask_b32 v35, v35, v8, vcc_lo
	v_cmp_eq_u32_e32 vcc_lo, 4, v32
	v_dual_cndmask_b32 v33, v33, v11, vcc_lo :: v_dual_cndmask_b32 v35, v35, v10, vcc_lo
	v_cmp_eq_u32_e32 vcc_lo, 5, v32
	s_delay_alu instid0(VALU_DEP_2) | instskip(SKIP_1) | instid1(VALU_DEP_2)
	v_dual_cndmask_b32 v33, v33, v13, vcc_lo :: v_dual_cndmask_b32 v35, v35, v12, vcc_lo
	v_cmp_eq_u32_e32 vcc_lo, 6, v32
	;; [unrolled: 5-line block ×3, first 2 shown]
	v_dual_cndmask_b32 v19, v33, v19 :: v_dual_cndmask_b32 v18, v35, v18
	v_cmp_eq_u32_e32 vcc_lo, 9, v32
	s_delay_alu instid0(VALU_DEP_2) | instskip(SKIP_1) | instid1(VALU_DEP_2)
	v_dual_cndmask_b32 v19, v19, v21 :: v_dual_cndmask_b32 v18, v18, v20
	v_cmp_eq_u32_e32 vcc_lo, 10, v32
	v_dual_cndmask_b32 v33, v19, v23, vcc_lo :: v_dual_cndmask_b32 v35, v18, v22, vcc_lo
	ds_load_b64 v[18:19], v34 offset:48
	v_cmp_eq_u32_e32 vcc_lo, 12, v32
	v_dual_cndmask_b32 v33, v33, v25, s1 :: v_dual_cndmask_b32 v35, v35, v24, s1
	s_delay_alu instid0(VALU_DEP_1) | instskip(SKIP_1) | instid1(VALU_DEP_2)
	v_dual_cndmask_b32 v33, v33, v27, vcc_lo :: v_dual_cndmask_b32 v35, v35, v26, vcc_lo
	v_cmp_eq_u32_e32 vcc_lo, 13, v32
	v_dual_cndmask_b32 v33, v33, v29 :: v_dual_cndmask_b32 v32, v35, v28
	s_wait_dscnt 0x0
	s_delay_alu instid0(VALU_DEP_1)
	v_fmac_f64_e32 v[30:31], v[32:33], v[18:19]
	s_and_saveexec_b32 s1, s0
	s_cbranch_execz .LBB77_52
; %bb.51:
	ds_load_b64 v[18:19], v34 offset:56
	s_wait_dscnt 0x0
	v_fmac_f64_e32 v[30:31], v[16:17], v[18:19]
.LBB77_52:
	s_or_b32 exec_lo, exec_lo, s1
.LBB77_53:
	s_delay_alu instid0(SALU_CYCLE_1)
	s_or_b32 exec_lo, exec_lo, s2
.LBB77_54:
	s_delay_alu instid0(SALU_CYCLE_1)
	s_or_b32 exec_lo, exec_lo, s8
.LBB77_55:
	s_delay_alu instid0(SALU_CYCLE_1)
	s_or_b32 exec_lo, exec_lo, s3
.LBB77_56:
	s_delay_alu instid0(SALU_CYCLE_1)
	s_or_b32 exec_lo, exec_lo, s7
.LBB77_57:
	s_delay_alu instid0(SALU_CYCLE_1)
	s_or_b32 exec_lo, exec_lo, s4
.LBB77_58:
	s_delay_alu instid0(SALU_CYCLE_1)
	s_or_b32 exec_lo, exec_lo, s6
	v_mov_b32_e32 v18, 0
	ds_load_b64 v[18:19], v18 offset:64
	s_wait_dscnt 0x0
	v_mul_f64_e32 v[18:19], v[30:31], v[18:19]
.LBB77_59:
	s_or_b32 exec_lo, exec_lo, s5
	s_delay_alu instid0(SALU_CYCLE_1)
	s_mov_b32 s1, exec_lo
	s_barrier_signal -1
	s_barrier_wait -1
	ds_store_b64 v34, v[20:21]
	s_wait_dscnt 0x0
	s_barrier_signal -1
	s_barrier_wait -1
	v_cmpx_gt_u32_e32 9, v0
	s_cbranch_execz .LBB77_63
; %bb.60:
	v_mov_b64_e32 v[30:31], 0
	v_mov_b64_e32 v[32:33], v[0:1]
	v_lshl_add_u32 v35, v0, 3, 0x70
	s_mov_b32 s2, 0
.LBB77_61:                              ; =>This Inner Loop Header: Depth=1
	s_delay_alu instid0(VALU_DEP_2) | instskip(SKIP_3) | instid1(VALU_DEP_2)
	v_cmp_eq_u32_e32 vcc_lo, 1, v32
	v_cmp_eq_u32_e64 s0, 2, v32
	v_dual_cndmask_b32 v36, v3, v5 :: v_dual_cndmask_b32 v37, v2, v4
	v_cmp_eq_u32_e32 vcc_lo, 3, v32
	v_dual_cndmask_b32 v36, v36, v7, s0 :: v_dual_cndmask_b32 v37, v37, v6, s0
	v_cmp_eq_u32_e64 s0, 4, v32
	s_delay_alu instid0(VALU_DEP_2) | instskip(SKIP_1) | instid1(VALU_DEP_2)
	v_dual_cndmask_b32 v36, v36, v9 :: v_dual_cndmask_b32 v37, v37, v8
	v_cmp_eq_u32_e32 vcc_lo, 5, v32
	v_dual_cndmask_b32 v36, v36, v11, s0 :: v_dual_cndmask_b32 v37, v37, v10, s0
	v_cmp_eq_u32_e64 s0, 6, v32
	s_delay_alu instid0(VALU_DEP_2) | instskip(SKIP_1) | instid1(VALU_DEP_2)
	;; [unrolled: 5-line block ×3, first 2 shown]
	v_dual_cndmask_b32 v36, v36, v17 :: v_dual_cndmask_b32 v37, v37, v16
	v_cmp_eq_u32_e32 vcc_lo, 9, v32
	v_dual_cndmask_b32 v36, v36, v19, s0 :: v_dual_cndmask_b32 v37, v37, v18, s0
	v_cmp_eq_u32_e64 s0, 10, v32
	s_delay_alu instid0(VALU_DEP_2)
	v_dual_cndmask_b32 v38, v36, v21 :: v_dual_cndmask_b32 v39, v37, v20
	ds_load_b64 v[36:37], v35
	v_cmp_eq_u32_e32 vcc_lo, 11, v32
	v_add_nc_u32_e32 v35, 8, v35
	v_dual_cndmask_b32 v38, v38, v23, s0 :: v_dual_cndmask_b32 v39, v39, v22, s0
	v_cmp_eq_u32_e64 s0, 12, v32
	s_delay_alu instid0(VALU_DEP_2) | instskip(SKIP_2) | instid1(VALU_DEP_3)
	v_dual_cndmask_b32 v38, v38, v25 :: v_dual_cndmask_b32 v39, v39, v24
	v_cmp_eq_u32_e32 vcc_lo, 13, v32
	v_add_nc_u64_e32 v[32:33], 1, v[32:33]
	v_dual_cndmask_b32 v38, v38, v27, s0 :: v_dual_cndmask_b32 v40, v39, v26, s0
	s_delay_alu instid0(VALU_DEP_1) | instskip(SKIP_1) | instid1(VALU_DEP_1)
	v_dual_cndmask_b32 v39, v38, v29 :: v_dual_cndmask_b32 v38, v40, v28
	s_wait_dscnt 0x0
	v_fmac_f64_e32 v[30:31], v[38:39], v[36:37]
	s_delay_alu instid0(VALU_DEP_4) | instskip(NEXT) | instid1(VALU_DEP_1)
	v_add_nc_u32_e32 v36, -1, v32
	v_cmp_lt_u32_e32 vcc_lo, 7, v36
	s_or_b32 s2, vcc_lo, s2
	s_delay_alu instid0(SALU_CYCLE_1)
	s_and_not1_b32 exec_lo, exec_lo, s2
	s_cbranch_execnz .LBB77_61
; %bb.62:
	s_or_b32 exec_lo, exec_lo, s2
	v_mov_b32_e32 v20, 0
	ds_load_b64 v[20:21], v20 offset:72
	s_wait_dscnt 0x0
	v_mul_f64_e32 v[20:21], v[30:31], v[20:21]
.LBB77_63:
	s_or_b32 exec_lo, exec_lo, s1
	s_delay_alu instid0(SALU_CYCLE_1)
	s_mov_b32 s1, exec_lo
	s_barrier_signal -1
	s_barrier_wait -1
	ds_store_b64 v34, v[22:23]
	s_wait_dscnt 0x0
	s_barrier_signal -1
	s_barrier_wait -1
	v_cmpx_gt_u32_e32 10, v0
	s_cbranch_execz .LBB77_67
; %bb.64:
	v_mov_b64_e32 v[30:31], 0
	v_mov_b64_e32 v[32:33], v[0:1]
	v_lshl_add_u32 v35, v0, 3, 0x70
	s_mov_b32 s2, 0
.LBB77_65:                              ; =>This Inner Loop Header: Depth=1
	s_delay_alu instid0(VALU_DEP_2) | instskip(SKIP_3) | instid1(VALU_DEP_2)
	v_cmp_eq_u32_e32 vcc_lo, 1, v32
	v_cmp_eq_u32_e64 s0, 2, v32
	v_dual_cndmask_b32 v36, v3, v5 :: v_dual_cndmask_b32 v37, v2, v4
	v_cmp_eq_u32_e32 vcc_lo, 3, v32
	v_dual_cndmask_b32 v36, v36, v7, s0 :: v_dual_cndmask_b32 v37, v37, v6, s0
	v_cmp_eq_u32_e64 s0, 4, v32
	s_delay_alu instid0(VALU_DEP_2) | instskip(SKIP_1) | instid1(VALU_DEP_2)
	v_dual_cndmask_b32 v36, v36, v9 :: v_dual_cndmask_b32 v37, v37, v8
	v_cmp_eq_u32_e32 vcc_lo, 5, v32
	v_dual_cndmask_b32 v36, v36, v11, s0 :: v_dual_cndmask_b32 v37, v37, v10, s0
	v_cmp_eq_u32_e64 s0, 6, v32
	s_delay_alu instid0(VALU_DEP_2) | instskip(SKIP_1) | instid1(VALU_DEP_2)
	;; [unrolled: 5-line block ×3, first 2 shown]
	v_dual_cndmask_b32 v36, v36, v17 :: v_dual_cndmask_b32 v37, v37, v16
	v_cmp_eq_u32_e32 vcc_lo, 9, v32
	v_dual_cndmask_b32 v36, v36, v19, s0 :: v_dual_cndmask_b32 v37, v37, v18, s0
	v_cmp_eq_u32_e64 s0, 10, v32
	s_delay_alu instid0(VALU_DEP_2)
	v_dual_cndmask_b32 v38, v36, v21 :: v_dual_cndmask_b32 v39, v37, v20
	ds_load_b64 v[36:37], v35
	v_cmp_eq_u32_e32 vcc_lo, 11, v32
	v_add_nc_u32_e32 v35, 8, v35
	v_dual_cndmask_b32 v38, v38, v23, s0 :: v_dual_cndmask_b32 v39, v39, v22, s0
	v_cmp_eq_u32_e64 s0, 12, v32
	s_delay_alu instid0(VALU_DEP_2) | instskip(SKIP_2) | instid1(VALU_DEP_3)
	v_dual_cndmask_b32 v38, v38, v25 :: v_dual_cndmask_b32 v39, v39, v24
	v_cmp_eq_u32_e32 vcc_lo, 13, v32
	v_add_nc_u64_e32 v[32:33], 1, v[32:33]
	v_dual_cndmask_b32 v38, v38, v27, s0 :: v_dual_cndmask_b32 v40, v39, v26, s0
	s_delay_alu instid0(VALU_DEP_1) | instskip(SKIP_1) | instid1(VALU_DEP_1)
	v_dual_cndmask_b32 v39, v38, v29 :: v_dual_cndmask_b32 v38, v40, v28
	s_wait_dscnt 0x0
	v_fmac_f64_e32 v[30:31], v[38:39], v[36:37]
	s_delay_alu instid0(VALU_DEP_4) | instskip(NEXT) | instid1(VALU_DEP_1)
	v_add_nc_u32_e32 v36, -1, v32
	v_cmp_lt_u32_e32 vcc_lo, 8, v36
	s_or_b32 s2, vcc_lo, s2
	s_delay_alu instid0(SALU_CYCLE_1)
	s_and_not1_b32 exec_lo, exec_lo, s2
	s_cbranch_execnz .LBB77_65
; %bb.66:
	s_or_b32 exec_lo, exec_lo, s2
	v_mov_b32_e32 v22, 0
	ds_load_b64 v[22:23], v22 offset:80
	s_wait_dscnt 0x0
	v_mul_f64_e32 v[22:23], v[30:31], v[22:23]
.LBB77_67:
	s_or_b32 exec_lo, exec_lo, s1
	s_delay_alu instid0(SALU_CYCLE_1)
	s_mov_b32 s1, exec_lo
	s_barrier_signal -1
	s_barrier_wait -1
	ds_store_b64 v34, v[24:25]
	s_wait_dscnt 0x0
	s_barrier_signal -1
	s_barrier_wait -1
	v_cmpx_gt_u32_e32 11, v0
	s_cbranch_execz .LBB77_71
; %bb.68:
	v_mov_b64_e32 v[30:31], 0
	v_mov_b64_e32 v[32:33], v[0:1]
	v_lshl_add_u32 v35, v0, 3, 0x70
	s_mov_b32 s2, 0
.LBB77_69:                              ; =>This Inner Loop Header: Depth=1
	s_delay_alu instid0(VALU_DEP_2) | instskip(SKIP_3) | instid1(VALU_DEP_2)
	v_cmp_eq_u32_e32 vcc_lo, 1, v32
	v_cmp_eq_u32_e64 s0, 2, v32
	v_dual_cndmask_b32 v36, v3, v5 :: v_dual_cndmask_b32 v37, v2, v4
	v_cmp_eq_u32_e32 vcc_lo, 3, v32
	v_dual_cndmask_b32 v36, v36, v7, s0 :: v_dual_cndmask_b32 v37, v37, v6, s0
	v_cmp_eq_u32_e64 s0, 4, v32
	s_delay_alu instid0(VALU_DEP_2) | instskip(SKIP_1) | instid1(VALU_DEP_2)
	v_dual_cndmask_b32 v36, v36, v9 :: v_dual_cndmask_b32 v37, v37, v8
	v_cmp_eq_u32_e32 vcc_lo, 5, v32
	v_dual_cndmask_b32 v36, v36, v11, s0 :: v_dual_cndmask_b32 v37, v37, v10, s0
	v_cmp_eq_u32_e64 s0, 6, v32
	s_delay_alu instid0(VALU_DEP_2) | instskip(SKIP_1) | instid1(VALU_DEP_2)
	v_dual_cndmask_b32 v36, v36, v13 :: v_dual_cndmask_b32 v37, v37, v12
	v_cmp_eq_u32_e32 vcc_lo, 7, v32
	v_dual_cndmask_b32 v36, v36, v15, s0 :: v_dual_cndmask_b32 v37, v37, v14, s0
	v_cmp_eq_u32_e64 s0, 8, v32
	s_delay_alu instid0(VALU_DEP_2) | instskip(SKIP_1) | instid1(VALU_DEP_2)
	v_dual_cndmask_b32 v36, v36, v17 :: v_dual_cndmask_b32 v37, v37, v16
	v_cmp_eq_u32_e32 vcc_lo, 9, v32
	v_dual_cndmask_b32 v36, v36, v19, s0 :: v_dual_cndmask_b32 v37, v37, v18, s0
	v_cmp_eq_u32_e64 s0, 10, v32
	s_delay_alu instid0(VALU_DEP_2)
	v_dual_cndmask_b32 v38, v36, v21 :: v_dual_cndmask_b32 v39, v37, v20
	ds_load_b64 v[36:37], v35
	v_cmp_eq_u32_e32 vcc_lo, 11, v32
	v_add_nc_u32_e32 v35, 8, v35
	v_dual_cndmask_b32 v38, v38, v23, s0 :: v_dual_cndmask_b32 v39, v39, v22, s0
	v_cmp_eq_u32_e64 s0, 12, v32
	s_delay_alu instid0(VALU_DEP_2) | instskip(SKIP_2) | instid1(VALU_DEP_3)
	v_dual_cndmask_b32 v38, v38, v25 :: v_dual_cndmask_b32 v39, v39, v24
	v_cmp_eq_u32_e32 vcc_lo, 13, v32
	v_add_nc_u64_e32 v[32:33], 1, v[32:33]
	v_dual_cndmask_b32 v38, v38, v27, s0 :: v_dual_cndmask_b32 v40, v39, v26, s0
	s_delay_alu instid0(VALU_DEP_1) | instskip(SKIP_1) | instid1(VALU_DEP_1)
	v_dual_cndmask_b32 v39, v38, v29 :: v_dual_cndmask_b32 v38, v40, v28
	s_wait_dscnt 0x0
	v_fmac_f64_e32 v[30:31], v[38:39], v[36:37]
	s_delay_alu instid0(VALU_DEP_4) | instskip(NEXT) | instid1(VALU_DEP_1)
	v_add_nc_u32_e32 v36, -1, v32
	v_cmp_lt_u32_e32 vcc_lo, 9, v36
	s_or_b32 s2, vcc_lo, s2
	s_delay_alu instid0(SALU_CYCLE_1)
	s_and_not1_b32 exec_lo, exec_lo, s2
	s_cbranch_execnz .LBB77_69
; %bb.70:
	s_or_b32 exec_lo, exec_lo, s2
	v_mov_b32_e32 v24, 0
	ds_load_b64 v[24:25], v24 offset:88
	s_wait_dscnt 0x0
	v_mul_f64_e32 v[24:25], v[30:31], v[24:25]
.LBB77_71:
	s_or_b32 exec_lo, exec_lo, s1
	s_delay_alu instid0(SALU_CYCLE_1)
	s_mov_b32 s1, exec_lo
	s_barrier_signal -1
	s_barrier_wait -1
	ds_store_b64 v34, v[26:27]
	s_wait_dscnt 0x0
	s_barrier_signal -1
	s_barrier_wait -1
	v_cmpx_gt_u32_e32 12, v0
	s_cbranch_execz .LBB77_75
; %bb.72:
	v_mov_b64_e32 v[30:31], 0
	v_mov_b64_e32 v[32:33], v[0:1]
	v_lshl_add_u32 v35, v0, 3, 0x70
	s_mov_b32 s2, 0
.LBB77_73:                              ; =>This Inner Loop Header: Depth=1
	s_delay_alu instid0(VALU_DEP_2) | instskip(SKIP_3) | instid1(VALU_DEP_2)
	v_cmp_eq_u32_e32 vcc_lo, 1, v32
	v_cmp_eq_u32_e64 s0, 2, v32
	v_dual_cndmask_b32 v36, v3, v5 :: v_dual_cndmask_b32 v37, v2, v4
	v_cmp_eq_u32_e32 vcc_lo, 3, v32
	v_dual_cndmask_b32 v36, v36, v7, s0 :: v_dual_cndmask_b32 v37, v37, v6, s0
	v_cmp_eq_u32_e64 s0, 4, v32
	s_delay_alu instid0(VALU_DEP_2) | instskip(SKIP_1) | instid1(VALU_DEP_2)
	v_dual_cndmask_b32 v36, v36, v9 :: v_dual_cndmask_b32 v37, v37, v8
	v_cmp_eq_u32_e32 vcc_lo, 5, v32
	v_dual_cndmask_b32 v36, v36, v11, s0 :: v_dual_cndmask_b32 v37, v37, v10, s0
	v_cmp_eq_u32_e64 s0, 6, v32
	s_delay_alu instid0(VALU_DEP_2) | instskip(SKIP_1) | instid1(VALU_DEP_2)
	;; [unrolled: 5-line block ×3, first 2 shown]
	v_dual_cndmask_b32 v36, v36, v17 :: v_dual_cndmask_b32 v37, v37, v16
	v_cmp_eq_u32_e32 vcc_lo, 9, v32
	v_dual_cndmask_b32 v36, v36, v19, s0 :: v_dual_cndmask_b32 v37, v37, v18, s0
	v_cmp_eq_u32_e64 s0, 10, v32
	s_delay_alu instid0(VALU_DEP_2)
	v_dual_cndmask_b32 v38, v36, v21 :: v_dual_cndmask_b32 v39, v37, v20
	ds_load_b64 v[36:37], v35
	v_cmp_eq_u32_e32 vcc_lo, 11, v32
	v_add_nc_u32_e32 v35, 8, v35
	v_dual_cndmask_b32 v38, v38, v23, s0 :: v_dual_cndmask_b32 v39, v39, v22, s0
	v_cmp_eq_u32_e64 s0, 12, v32
	s_delay_alu instid0(VALU_DEP_2) | instskip(SKIP_2) | instid1(VALU_DEP_3)
	v_dual_cndmask_b32 v38, v38, v25 :: v_dual_cndmask_b32 v39, v39, v24
	v_cmp_eq_u32_e32 vcc_lo, 13, v32
	v_add_nc_u64_e32 v[32:33], 1, v[32:33]
	v_dual_cndmask_b32 v38, v38, v27, s0 :: v_dual_cndmask_b32 v40, v39, v26, s0
	s_delay_alu instid0(VALU_DEP_1) | instskip(SKIP_1) | instid1(VALU_DEP_1)
	v_dual_cndmask_b32 v39, v38, v29 :: v_dual_cndmask_b32 v38, v40, v28
	s_wait_dscnt 0x0
	v_fmac_f64_e32 v[30:31], v[38:39], v[36:37]
	s_delay_alu instid0(VALU_DEP_4) | instskip(NEXT) | instid1(VALU_DEP_1)
	v_add_nc_u32_e32 v36, -1, v32
	v_cmp_lt_u32_e32 vcc_lo, 10, v36
	s_or_b32 s2, vcc_lo, s2
	s_delay_alu instid0(SALU_CYCLE_1)
	s_and_not1_b32 exec_lo, exec_lo, s2
	s_cbranch_execnz .LBB77_73
; %bb.74:
	s_or_b32 exec_lo, exec_lo, s2
	v_mov_b32_e32 v26, 0
	ds_load_b64 v[26:27], v26 offset:96
	s_wait_dscnt 0x0
	v_mul_f64_e32 v[26:27], v[30:31], v[26:27]
.LBB77_75:
	s_or_b32 exec_lo, exec_lo, s1
	s_delay_alu instid0(SALU_CYCLE_1)
	s_mov_b32 s1, exec_lo
	s_barrier_signal -1
	s_barrier_wait -1
	ds_store_b64 v34, v[28:29]
	s_wait_dscnt 0x0
	s_barrier_signal -1
	s_barrier_wait -1
	v_cmpx_ne_u32_e32 13, v0
	s_cbranch_execz .LBB77_79
; %bb.76:
	v_mov_b64_e32 v[30:31], 0
	v_mov_b64_e32 v[32:33], v[0:1]
	v_lshl_add_u32 v34, v0, 3, 0x70
	s_mov_b32 s2, 0
.LBB77_77:                              ; =>This Inner Loop Header: Depth=1
	s_delay_alu instid0(VALU_DEP_2)
	v_cmp_eq_u32_e32 vcc_lo, 1, v32
	v_cmp_eq_u32_e64 s0, 2, v32
	ds_load_b64 v[36:37], v34
	v_dual_cndmask_b32 v1, v3, v5 :: v_dual_add_nc_u32 v34, 8, v34
	v_cndmask_b32_e32 v35, v2, v4, vcc_lo
	v_cmp_eq_u32_e32 vcc_lo, 3, v32
	s_delay_alu instid0(VALU_DEP_2) | instskip(SKIP_1) | instid1(VALU_DEP_2)
	v_dual_cndmask_b32 v1, v1, v7, s0 :: v_dual_cndmask_b32 v35, v35, v6, s0
	v_cmp_eq_u32_e64 s0, 4, v32
	v_dual_cndmask_b32 v1, v1, v9, vcc_lo :: v_dual_cndmask_b32 v35, v35, v8, vcc_lo
	v_cmp_eq_u32_e32 vcc_lo, 5, v32
	s_delay_alu instid0(VALU_DEP_2) | instskip(SKIP_1) | instid1(VALU_DEP_2)
	v_dual_cndmask_b32 v1, v1, v11, s0 :: v_dual_cndmask_b32 v35, v35, v10, s0
	v_cmp_eq_u32_e64 s0, 6, v32
	v_dual_cndmask_b32 v1, v1, v13, vcc_lo :: v_dual_cndmask_b32 v35, v35, v12, vcc_lo
	;; [unrolled: 5-line block ×5, first 2 shown]
	v_cmp_eq_u32_e32 vcc_lo, 13, v32
	v_add_nc_u64_e32 v[32:33], 1, v[32:33]
	s_delay_alu instid0(VALU_DEP_3) | instskip(NEXT) | instid1(VALU_DEP_1)
	v_dual_cndmask_b32 v1, v1, v27, s0 :: v_dual_cndmask_b32 v35, v35, v26, s0
	v_dual_cndmask_b32 v39, v1, v29 :: v_dual_cndmask_b32 v38, v35, v28
	s_delay_alu instid0(VALU_DEP_3) | instskip(SKIP_1) | instid1(VALU_DEP_2)
	v_add_nc_u32_e32 v1, -1, v32
	s_wait_dscnt 0x0
	v_fmac_f64_e32 v[30:31], v[38:39], v[36:37]
	s_delay_alu instid0(VALU_DEP_2) | instskip(SKIP_1) | instid1(SALU_CYCLE_1)
	v_cmp_lt_u32_e32 vcc_lo, 11, v1
	s_or_b32 s2, vcc_lo, s2
	s_and_not1_b32 exec_lo, exec_lo, s2
	s_cbranch_execnz .LBB77_77
; %bb.78:
	s_or_b32 exec_lo, exec_lo, s2
	v_mov_b32_e32 v1, 0
	ds_load_b64 v[28:29], v1 offset:104
	s_wait_dscnt 0x0
	v_mul_f64_e32 v[28:29], v[30:31], v[28:29]
.LBB77_79:
	s_or_b32 exec_lo, exec_lo, s1
	s_barrier_signal -1
	s_barrier_wait -1
	s_cbranch_execnz .LBB77_15
	s_branch .LBB77_16
.LBB77_80:
	s_wait_xcnt 0x0
	v_lshl_add_u32 v1, v0, 3, 0x70
	s_mov_b32 s0, exec_lo
	v_cmpx_eq_u32_e32 13, v0
	s_cbranch_execz .LBB77_82
; %bb.81:
	s_wait_dscnt 0x2
	v_dual_mov_b32 v54, 0 :: v_dual_mov_b32 v52, v24
	v_dual_mov_b32 v30, v2 :: v_dual_mov_b32 v31, v3
	;; [unrolled: 1-line block ×11, first 2 shown]
	s_wait_dscnt 0x0
	v_dual_mov_b32 v53, v25 :: v_dual_mov_b32 v56, v28
	v_dual_mov_b32 v57, v29 :: v_dual_mov_b32 v55, v54
	;; [unrolled: 1-line block ×3, first 2 shown]
	ds_store_b64 v1, v[26:27]
	v_mov_b64_e32 v[2:3], v[30:31]
	v_mov_b64_e32 v[4:5], v[32:33]
	;; [unrolled: 1-line block ×16, first 2 shown]
.LBB77_82:
	s_or_b32 exec_lo, exec_lo, s0
	v_mov_b32_e32 v52, 0
	s_wait_storecnt_dscnt 0x0
	s_barrier_signal -1
	s_barrier_wait -1
	ds_load_b64 v[30:31], v52 offset:216
	s_mov_b32 s0, exec_lo
	s_wait_dscnt 0x0
	v_fma_f64 v[30:31], v[28:29], v[30:31], 0
	s_delay_alu instid0(VALU_DEP_1)
	v_add_f64_e64 v[26:27], v[26:27], -v[30:31]
	v_cmpx_lt_u32_e32 11, v0
	s_cbranch_execz .LBB77_84
; %bb.83:
	v_dual_mov_b32 v30, v2 :: v_dual_mov_b32 v31, v3
	v_dual_mov_b32 v34, v6 :: v_dual_mov_b32 v35, v7
	v_dual_mov_b32 v36, v8 :: v_dual_mov_b32 v37, v9
	v_dual_mov_b32 v38, v10 :: v_dual_mov_b32 v39, v11
	v_dual_mov_b32 v40, v12 :: v_dual_mov_b32 v41, v13
	v_dual_mov_b32 v42, v14 :: v_dual_mov_b32 v43, v15
	v_dual_mov_b32 v44, v16 :: v_dual_mov_b32 v45, v17
	v_dual_mov_b32 v46, v18 :: v_dual_mov_b32 v47, v19
	v_dual_mov_b32 v48, v20 :: v_dual_mov_b32 v49, v21
	v_dual_mov_b32 v50, v22 :: v_dual_mov_b32 v51, v23
	v_dual_mov_b32 v53, v52 :: v_dual_mov_b32 v54, v26
	v_dual_mov_b32 v55, v27 :: v_dual_mov_b32 v56, v28
	v_dual_mov_b32 v57, v29 :: v_dual_mov_b32 v32, v4
	v_mov_b32_e32 v33, v5
	ds_store_b64 v1, v[24:25]
	v_mov_b64_e32 v[2:3], v[30:31]
	v_mov_b64_e32 v[4:5], v[32:33]
	;; [unrolled: 1-line block ×16, first 2 shown]
.LBB77_84:
	s_or_b32 exec_lo, exec_lo, s0
	s_wait_dscnt 0x0
	s_barrier_signal -1
	s_barrier_wait -1
	ds_load_b128 v[30:33], v52 offset:208
	s_mov_b32 s0, exec_lo
	s_wait_dscnt 0x0
	v_fma_f64 v[30:31], v[26:27], v[30:31], 0
	s_delay_alu instid0(VALU_DEP_1) | instskip(NEXT) | instid1(VALU_DEP_1)
	v_fmac_f64_e32 v[30:31], v[28:29], v[32:33]
	v_add_f64_e64 v[24:25], v[24:25], -v[30:31]
	v_cmpx_lt_u32_e32 10, v0
	s_cbranch_execz .LBB77_86
; %bb.85:
	v_dual_mov_b32 v50, 0 :: v_dual_mov_b32 v30, v2
	v_dual_mov_b32 v31, v3 :: v_dual_mov_b32 v32, v4
	;; [unrolled: 1-line block ×14, first 2 shown]
	ds_store_b64 v1, v[22:23]
	v_mov_b64_e32 v[2:3], v[30:31]
	v_mov_b64_e32 v[4:5], v[32:33]
	;; [unrolled: 1-line block ×16, first 2 shown]
.LBB77_86:
	s_or_b32 exec_lo, exec_lo, s0
	v_mov_b32_e32 v48, 0
	s_wait_dscnt 0x0
	s_barrier_signal -1
	s_barrier_wait -1
	ds_load_2addr_b64 v[30:33], v48 offset0:25 offset1:26
	ds_load_b64 v[34:35], v48 offset:216
	s_mov_b32 s0, exec_lo
	s_wait_dscnt 0x1
	v_fma_f64 v[30:31], v[24:25], v[30:31], 0
	s_delay_alu instid0(VALU_DEP_1) | instskip(SKIP_1) | instid1(VALU_DEP_1)
	v_fmac_f64_e32 v[30:31], v[26:27], v[32:33]
	s_wait_dscnt 0x0
	v_fmac_f64_e32 v[30:31], v[28:29], v[34:35]
	s_delay_alu instid0(VALU_DEP_1)
	v_add_f64_e64 v[22:23], v[22:23], -v[30:31]
	v_cmpx_lt_u32_e32 9, v0
	s_cbranch_execz .LBB77_88
; %bb.87:
	v_dual_mov_b32 v30, v2 :: v_dual_mov_b32 v31, v3
	v_dual_mov_b32 v34, v6 :: v_dual_mov_b32 v35, v7
	;; [unrolled: 1-line block ×13, first 2 shown]
	v_mov_b32_e32 v33, v5
	ds_store_b64 v1, v[20:21]
	v_mov_b64_e32 v[2:3], v[30:31]
	v_mov_b64_e32 v[4:5], v[32:33]
	v_mov_b64_e32 v[6:7], v[34:35]
	v_mov_b64_e32 v[8:9], v[36:37]
	v_mov_b64_e32 v[10:11], v[38:39]
	v_mov_b64_e32 v[12:13], v[40:41]
	v_mov_b64_e32 v[14:15], v[42:43]
	v_mov_b64_e32 v[16:17], v[44:45]
	v_mov_b64_e32 v[18:19], v[46:47]
	v_mov_b64_e32 v[20:21], v[48:49]
	v_mov_b64_e32 v[22:23], v[50:51]
	v_mov_b64_e32 v[24:25], v[52:53]
	v_mov_b64_e32 v[26:27], v[54:55]
	v_mov_b64_e32 v[28:29], v[56:57]
	v_mov_b64_e32 v[30:31], v[58:59]
	v_mov_b64_e32 v[32:33], v[60:61]
.LBB77_88:
	s_or_b32 exec_lo, exec_lo, s0
	s_wait_dscnt 0x0
	s_barrier_signal -1
	s_barrier_wait -1
	ds_load_b128 v[30:33], v48 offset:192
	ds_load_b128 v[34:37], v48 offset:208
	s_mov_b32 s0, exec_lo
	s_wait_dscnt 0x1
	v_fma_f64 v[30:31], v[22:23], v[30:31], 0
	s_delay_alu instid0(VALU_DEP_1) | instskip(SKIP_1) | instid1(VALU_DEP_1)
	v_fmac_f64_e32 v[30:31], v[24:25], v[32:33]
	s_wait_dscnt 0x0
	v_fmac_f64_e32 v[30:31], v[26:27], v[34:35]
	s_delay_alu instid0(VALU_DEP_1) | instskip(NEXT) | instid1(VALU_DEP_1)
	v_fmac_f64_e32 v[30:31], v[28:29], v[36:37]
	v_add_f64_e64 v[20:21], v[20:21], -v[30:31]
	v_cmpx_lt_u32_e32 8, v0
	s_cbranch_execz .LBB77_90
; %bb.89:
	v_dual_mov_b32 v46, 0 :: v_dual_mov_b32 v30, v2
	v_dual_mov_b32 v31, v3 :: v_dual_mov_b32 v32, v4
	;; [unrolled: 1-line block ×14, first 2 shown]
	ds_store_b64 v1, v[18:19]
	v_mov_b64_e32 v[2:3], v[30:31]
	v_mov_b64_e32 v[4:5], v[32:33]
	;; [unrolled: 1-line block ×16, first 2 shown]
.LBB77_90:
	s_or_b32 exec_lo, exec_lo, s0
	v_mov_b32_e32 v44, 0
	s_wait_dscnt 0x0
	s_barrier_signal -1
	s_barrier_wait -1
	ds_load_2addr_b64 v[30:33], v44 offset0:23 offset1:24
	ds_load_2addr_b64 v[34:37], v44 offset0:25 offset1:26
	s_mov_b32 s0, exec_lo
	s_wait_dscnt 0x1
	v_fma_f64 v[30:31], v[20:21], v[30:31], 0
	s_delay_alu instid0(VALU_DEP_1) | instskip(SKIP_3) | instid1(VALU_DEP_1)
	v_fmac_f64_e32 v[30:31], v[22:23], v[32:33]
	ds_load_b64 v[32:33], v44 offset:216
	s_wait_dscnt 0x1
	v_fmac_f64_e32 v[30:31], v[24:25], v[34:35]
	v_fmac_f64_e32 v[30:31], v[26:27], v[36:37]
	s_wait_dscnt 0x0
	s_delay_alu instid0(VALU_DEP_1) | instskip(NEXT) | instid1(VALU_DEP_1)
	v_fmac_f64_e32 v[30:31], v[28:29], v[32:33]
	v_add_f64_e64 v[18:19], v[18:19], -v[30:31]
	v_cmpx_lt_u32_e32 7, v0
	s_cbranch_execz .LBB77_92
; %bb.91:
	v_dual_mov_b32 v30, v2 :: v_dual_mov_b32 v31, v3
	v_dual_mov_b32 v34, v6 :: v_dual_mov_b32 v35, v7
	;; [unrolled: 1-line block ×13, first 2 shown]
	v_mov_b32_e32 v33, v5
	ds_store_b64 v1, v[16:17]
	v_mov_b64_e32 v[2:3], v[30:31]
	v_mov_b64_e32 v[4:5], v[32:33]
	;; [unrolled: 1-line block ×16, first 2 shown]
.LBB77_92:
	s_or_b32 exec_lo, exec_lo, s0
	s_wait_dscnt 0x0
	s_barrier_signal -1
	s_barrier_wait -1
	ds_load_b128 v[30:33], v44 offset:176
	ds_load_b128 v[34:37], v44 offset:192
	s_mov_b32 s0, exec_lo
	s_wait_dscnt 0x1
	v_fma_f64 v[38:39], v[18:19], v[30:31], 0
	s_delay_alu instid0(VALU_DEP_1) | instskip(SKIP_3) | instid1(VALU_DEP_1)
	v_fmac_f64_e32 v[38:39], v[20:21], v[32:33]
	ds_load_b128 v[30:33], v44 offset:208
	s_wait_dscnt 0x1
	v_fmac_f64_e32 v[38:39], v[22:23], v[34:35]
	v_fmac_f64_e32 v[38:39], v[24:25], v[36:37]
	s_wait_dscnt 0x0
	s_delay_alu instid0(VALU_DEP_1) | instskip(NEXT) | instid1(VALU_DEP_1)
	v_fmac_f64_e32 v[38:39], v[26:27], v[30:31]
	v_fmac_f64_e32 v[38:39], v[28:29], v[32:33]
	s_delay_alu instid0(VALU_DEP_1)
	v_add_f64_e64 v[16:17], v[16:17], -v[38:39]
	v_cmpx_lt_u32_e32 6, v0
	s_cbranch_execz .LBB77_94
; %bb.93:
	v_dual_mov_b32 v42, 0 :: v_dual_mov_b32 v30, v2
	v_dual_mov_b32 v31, v3 :: v_dual_mov_b32 v32, v4
	;; [unrolled: 1-line block ×14, first 2 shown]
	ds_store_b64 v1, v[14:15]
	v_mov_b64_e32 v[2:3], v[30:31]
	v_mov_b64_e32 v[4:5], v[32:33]
	;; [unrolled: 1-line block ×16, first 2 shown]
.LBB77_94:
	s_or_b32 exec_lo, exec_lo, s0
	v_mov_b32_e32 v40, 0
	s_wait_dscnt 0x0
	s_barrier_signal -1
	s_barrier_wait -1
	ds_load_2addr_b64 v[30:33], v40 offset0:21 offset1:22
	ds_load_2addr_b64 v[34:37], v40 offset0:23 offset1:24
	s_mov_b32 s0, exec_lo
	s_wait_dscnt 0x1
	v_fma_f64 v[38:39], v[16:17], v[30:31], 0
	s_delay_alu instid0(VALU_DEP_1) | instskip(SKIP_1) | instid1(VALU_DEP_1)
	v_fmac_f64_e32 v[38:39], v[18:19], v[32:33]
	s_wait_dscnt 0x0
	v_fmac_f64_e32 v[38:39], v[20:21], v[34:35]
	ds_load_2addr_b64 v[30:33], v40 offset0:25 offset1:26
	ds_load_b64 v[34:35], v40 offset:216
	v_fmac_f64_e32 v[38:39], v[22:23], v[36:37]
	s_wait_dscnt 0x1
	s_delay_alu instid0(VALU_DEP_1) | instskip(NEXT) | instid1(VALU_DEP_1)
	v_fmac_f64_e32 v[38:39], v[24:25], v[30:31]
	v_fmac_f64_e32 v[38:39], v[26:27], v[32:33]
	s_wait_dscnt 0x0
	s_delay_alu instid0(VALU_DEP_1) | instskip(NEXT) | instid1(VALU_DEP_1)
	v_fmac_f64_e32 v[38:39], v[28:29], v[34:35]
	v_add_f64_e64 v[14:15], v[14:15], -v[38:39]
	v_cmpx_lt_u32_e32 5, v0
	s_cbranch_execz .LBB77_96
; %bb.95:
	v_dual_mov_b32 v30, v2 :: v_dual_mov_b32 v31, v3
	v_dual_mov_b32 v34, v6 :: v_dual_mov_b32 v35, v7
	;; [unrolled: 1-line block ×13, first 2 shown]
	v_mov_b32_e32 v33, v5
	ds_store_b64 v1, v[12:13]
	v_mov_b64_e32 v[2:3], v[30:31]
	v_mov_b64_e32 v[4:5], v[32:33]
	;; [unrolled: 1-line block ×16, first 2 shown]
.LBB77_96:
	s_or_b32 exec_lo, exec_lo, s0
	s_wait_dscnt 0x0
	s_barrier_signal -1
	s_barrier_wait -1
	ds_load_b128 v[30:33], v40 offset:160
	ds_load_b128 v[34:37], v40 offset:176
	s_mov_b32 s0, exec_lo
	s_wait_dscnt 0x1
	v_fma_f64 v[38:39], v[14:15], v[30:31], 0
	s_delay_alu instid0(VALU_DEP_1) | instskip(SKIP_1) | instid1(VALU_DEP_1)
	v_fmac_f64_e32 v[38:39], v[16:17], v[32:33]
	s_wait_dscnt 0x0
	v_fmac_f64_e32 v[38:39], v[18:19], v[34:35]
	s_delay_alu instid0(VALU_DEP_1) | instskip(SKIP_4) | instid1(VALU_DEP_1)
	v_fmac_f64_e32 v[38:39], v[20:21], v[36:37]
	ds_load_b128 v[30:33], v40 offset:192
	ds_load_b128 v[34:37], v40 offset:208
	s_wait_dscnt 0x1
	v_fmac_f64_e32 v[38:39], v[22:23], v[30:31]
	v_fmac_f64_e32 v[38:39], v[24:25], v[32:33]
	s_wait_dscnt 0x0
	s_delay_alu instid0(VALU_DEP_1) | instskip(NEXT) | instid1(VALU_DEP_1)
	v_fmac_f64_e32 v[38:39], v[26:27], v[34:35]
	v_fmac_f64_e32 v[38:39], v[28:29], v[36:37]
	s_delay_alu instid0(VALU_DEP_1)
	v_add_f64_e64 v[12:13], v[12:13], -v[38:39]
	v_cmpx_lt_u32_e32 4, v0
	s_cbranch_execz .LBB77_98
; %bb.97:
	v_dual_mov_b32 v38, 0 :: v_dual_mov_b32 v30, v2
	v_dual_mov_b32 v31, v3 :: v_dual_mov_b32 v32, v4
	v_dual_mov_b32 v33, v5 :: v_dual_mov_b32 v34, v6
	v_dual_mov_b32 v35, v7 :: v_dual_mov_b32 v36, v8
	s_delay_alu instid0(VALU_DEP_4)
	v_dual_mov_b32 v37, v9 :: v_dual_mov_b32 v39, v38
	v_dual_mov_b32 v40, v12 :: v_dual_mov_b32 v41, v13
	;; [unrolled: 1-line block ×10, first 2 shown]
	ds_store_b64 v1, v[10:11]
	v_mov_b64_e32 v[2:3], v[30:31]
	v_mov_b64_e32 v[4:5], v[32:33]
	;; [unrolled: 1-line block ×16, first 2 shown]
.LBB77_98:
	s_or_b32 exec_lo, exec_lo, s0
	v_mov_b32_e32 v36, 0
	s_wait_dscnt 0x0
	s_barrier_signal -1
	s_barrier_wait -1
	ds_load_2addr_b64 v[30:33], v36 offset0:19 offset1:20
	ds_load_2addr_b64 v[38:41], v36 offset0:21 offset1:22
	s_mov_b32 s0, exec_lo
	s_wait_dscnt 0x1
	v_fma_f64 v[34:35], v[12:13], v[30:31], 0
	s_delay_alu instid0(VALU_DEP_1) | instskip(SKIP_1) | instid1(VALU_DEP_1)
	v_fmac_f64_e32 v[34:35], v[14:15], v[32:33]
	s_wait_dscnt 0x0
	v_fmac_f64_e32 v[34:35], v[16:17], v[38:39]
	s_delay_alu instid0(VALU_DEP_1)
	v_fmac_f64_e32 v[34:35], v[18:19], v[40:41]
	ds_load_2addr_b64 v[30:33], v36 offset0:23 offset1:24
	ds_load_2addr_b64 v[38:41], v36 offset0:25 offset1:26
	s_wait_dscnt 0x1
	v_fmac_f64_e32 v[34:35], v[20:21], v[30:31]
	ds_load_b64 v[30:31], v36 offset:216
	v_fmac_f64_e32 v[34:35], v[22:23], v[32:33]
	s_wait_dscnt 0x1
	s_delay_alu instid0(VALU_DEP_1) | instskip(NEXT) | instid1(VALU_DEP_1)
	v_fmac_f64_e32 v[34:35], v[24:25], v[38:39]
	v_fmac_f64_e32 v[34:35], v[26:27], v[40:41]
	s_wait_dscnt 0x0
	s_delay_alu instid0(VALU_DEP_1) | instskip(NEXT) | instid1(VALU_DEP_1)
	v_fmac_f64_e32 v[34:35], v[28:29], v[30:31]
	v_add_f64_e64 v[10:11], v[10:11], -v[34:35]
	v_cmpx_lt_u32_e32 3, v0
	s_cbranch_execz .LBB77_100
; %bb.99:
	v_dual_mov_b32 v30, v2 :: v_dual_mov_b32 v31, v3
	v_dual_mov_b32 v34, v6 :: v_dual_mov_b32 v35, v7
	s_delay_alu instid0(VALU_DEP_4)
	v_dual_mov_b32 v37, v36 :: v_dual_mov_b32 v38, v10
	v_dual_mov_b32 v39, v11 :: v_dual_mov_b32 v40, v12
	;; [unrolled: 1-line block ×12, first 2 shown]
	v_mov_b32_e32 v59, v9
	v_mov_b64_e32 v[2:3], v[30:31]
	s_delay_alu instid0(VALU_DEP_3)
	v_mov_b64_e32 v[4:5], v[32:33]
	v_mov_b64_e32 v[6:7], v[34:35]
	;; [unrolled: 1-line block ×15, first 2 shown]
	ds_store_b64 v1, v[58:59]
.LBB77_100:
	s_or_b32 exec_lo, exec_lo, s0
	s_wait_dscnt 0x0
	s_barrier_signal -1
	s_barrier_wait -1
	ds_load_b128 v[30:33], v36 offset:144
	ds_load_b128 v[38:41], v36 offset:160
	s_mov_b32 s0, exec_lo
	s_wait_dscnt 0x1
	v_fma_f64 v[34:35], v[10:11], v[30:31], 0
	s_delay_alu instid0(VALU_DEP_1) | instskip(SKIP_1) | instid1(VALU_DEP_1)
	v_fmac_f64_e32 v[34:35], v[12:13], v[32:33]
	s_wait_dscnt 0x0
	v_fmac_f64_e32 v[34:35], v[14:15], v[38:39]
	s_delay_alu instid0(VALU_DEP_1) | instskip(SKIP_4) | instid1(VALU_DEP_1)
	v_fmac_f64_e32 v[34:35], v[16:17], v[40:41]
	ds_load_b128 v[30:33], v36 offset:176
	ds_load_b128 v[38:41], v36 offset:192
	s_wait_dscnt 0x1
	v_fmac_f64_e32 v[34:35], v[18:19], v[30:31]
	v_fmac_f64_e32 v[34:35], v[20:21], v[32:33]
	ds_load_b128 v[30:33], v36 offset:208
	s_wait_dscnt 0x1
	v_fmac_f64_e32 v[34:35], v[22:23], v[38:39]
	s_delay_alu instid0(VALU_DEP_1) | instskip(SKIP_1) | instid1(VALU_DEP_1)
	v_fmac_f64_e32 v[34:35], v[24:25], v[40:41]
	s_wait_dscnt 0x0
	v_fmac_f64_e32 v[34:35], v[26:27], v[30:31]
	s_delay_alu instid0(VALU_DEP_1) | instskip(NEXT) | instid1(VALU_DEP_1)
	v_fmac_f64_e32 v[34:35], v[28:29], v[32:33]
	v_add_f64_e64 v[8:9], v[8:9], -v[34:35]
	v_cmpx_lt_u32_e32 2, v0
	s_cbranch_execz .LBB77_102
; %bb.101:
	v_dual_mov_b32 v34, 0 :: v_dual_mov_b32 v30, v2
	v_dual_mov_b32 v31, v3 :: v_dual_mov_b32 v32, v4
	s_delay_alu instid0(VALU_DEP_2)
	v_dual_mov_b32 v33, v5 :: v_dual_mov_b32 v35, v34
	v_dual_mov_b32 v36, v8 :: v_dual_mov_b32 v37, v9
	;; [unrolled: 1-line block ×13, first 2 shown]
	v_mov_b64_e32 v[2:3], v[30:31]
	v_mov_b64_e32 v[4:5], v[32:33]
	;; [unrolled: 1-line block ×16, first 2 shown]
	ds_store_b64 v1, v[58:59]
.LBB77_102:
	s_or_b32 exec_lo, exec_lo, s0
	v_mov_b32_e32 v34, 0
	s_wait_dscnt 0x0
	s_barrier_signal -1
	s_barrier_wait -1
	ds_load_2addr_b64 v[30:33], v34 offset0:17 offset1:18
	ds_load_2addr_b64 v[36:39], v34 offset0:19 offset1:20
	s_mov_b32 s0, exec_lo
	s_wait_dscnt 0x1
	v_fma_f64 v[40:41], v[8:9], v[30:31], 0
	s_delay_alu instid0(VALU_DEP_1) | instskip(SKIP_1) | instid1(VALU_DEP_1)
	v_fmac_f64_e32 v[40:41], v[10:11], v[32:33]
	s_wait_dscnt 0x0
	v_fmac_f64_e32 v[40:41], v[12:13], v[36:37]
	s_delay_alu instid0(VALU_DEP_1) | instskip(SKIP_4) | instid1(VALU_DEP_1)
	v_fmac_f64_e32 v[40:41], v[14:15], v[38:39]
	ds_load_2addr_b64 v[30:33], v34 offset0:21 offset1:22
	ds_load_2addr_b64 v[36:39], v34 offset0:23 offset1:24
	s_wait_dscnt 0x1
	v_fmac_f64_e32 v[40:41], v[16:17], v[30:31]
	v_fmac_f64_e32 v[40:41], v[18:19], v[32:33]
	s_wait_dscnt 0x0
	s_delay_alu instid0(VALU_DEP_1) | instskip(SKIP_4) | instid1(VALU_DEP_1)
	v_fmac_f64_e32 v[40:41], v[20:21], v[36:37]
	ds_load_2addr_b64 v[30:33], v34 offset0:25 offset1:26
	ds_load_b64 v[36:37], v34 offset:216
	v_fmac_f64_e32 v[40:41], v[22:23], v[38:39]
	s_wait_dscnt 0x1
	v_fmac_f64_e32 v[40:41], v[24:25], v[30:31]
	s_delay_alu instid0(VALU_DEP_1) | instskip(SKIP_1) | instid1(VALU_DEP_1)
	v_fmac_f64_e32 v[40:41], v[26:27], v[32:33]
	s_wait_dscnt 0x0
	v_fmac_f64_e32 v[40:41], v[28:29], v[36:37]
	s_delay_alu instid0(VALU_DEP_1)
	v_add_f64_e64 v[6:7], v[6:7], -v[40:41]
	v_cmpx_lt_u32_e32 1, v0
	s_cbranch_execz .LBB77_104
; %bb.103:
	v_dual_mov_b32 v32, v2 :: v_dual_mov_b32 v33, v3
	s_delay_alu instid0(VALU_DEP_3) | instskip(NEXT) | instid1(VALU_DEP_4)
	v_dual_mov_b32 v35, v34 :: v_dual_mov_b32 v36, v6
	v_dual_mov_b32 v37, v7 :: v_dual_mov_b32 v38, v8
	;; [unrolled: 1-line block ×13, first 2 shown]
	v_mov_b32_e32 v89, v5
	v_mov_b64_e32 v[2:3], v[32:33]
	v_mov_b64_e32 v[4:5], v[34:35]
	;; [unrolled: 1-line block ×16, first 2 shown]
	ds_store_b64 v1, v[88:89]
.LBB77_104:
	s_or_b32 exec_lo, exec_lo, s0
	s_wait_dscnt 0x0
	s_barrier_signal -1
	s_barrier_wait -1
	ds_load_b128 v[30:33], v34 offset:128
	ds_load_b128 v[36:39], v34 offset:144
	;; [unrolled: 1-line block ×6, first 2 shown]
	v_dual_ashrrev_i32 v63, 31, v62 :: v_dual_ashrrev_i32 v65, 31, v64
	v_dual_ashrrev_i32 v67, 31, v66 :: v_dual_ashrrev_i32 v73, 31, v72
	;; [unrolled: 1-line block ×5, first 2 shown]
	v_ashrrev_i32_e32 v87, 31, v86
	s_mov_b32 s0, exec_lo
	v_ashrrev_i32_e32 v61, 31, v60
	s_wait_dscnt 0x5
	v_fma_f64 v[30:31], v[6:7], v[30:31], 0
	s_delay_alu instid0(VALU_DEP_1) | instskip(SKIP_1) | instid1(VALU_DEP_1)
	v_fmac_f64_e32 v[30:31], v[8:9], v[32:33]
	s_wait_dscnt 0x4
	v_fmac_f64_e32 v[30:31], v[10:11], v[36:37]
	s_delay_alu instid0(VALU_DEP_1) | instskip(SKIP_1) | instid1(VALU_DEP_1)
	v_fmac_f64_e32 v[30:31], v[12:13], v[38:39]
	s_wait_dscnt 0x3
	v_fmac_f64_e32 v[30:31], v[14:15], v[40:41]
	;; [unrolled: 4-line block ×5, first 2 shown]
	s_delay_alu instid0(VALU_DEP_1) | instskip(NEXT) | instid1(VALU_DEP_1)
	v_fmac_f64_e32 v[30:31], v[28:29], v[54:55]
	v_add_f64_e64 v[4:5], v[4:5], -v[30:31]
	v_cmpx_ne_u32_e32 0, v0
	s_cbranch_execz .LBB77_106
; %bb.105:
	s_delay_alu instid0(VALU_DEP_2) | instskip(NEXT) | instid1(VALU_DEP_3)
	v_dual_mov_b32 v30, 0 :: v_dual_mov_b32 v32, v4
	v_dual_mov_b32 v35, v7 :: v_dual_mov_b32 v33, v5
	s_delay_alu instid0(VALU_DEP_2)
	v_dual_mov_b32 v34, v6 :: v_dual_mov_b32 v31, v30
	v_dual_mov_b32 v36, v8 :: v_dual_mov_b32 v37, v9
	v_dual_mov_b32 v38, v10 :: v_dual_mov_b32 v39, v11
	v_dual_mov_b32 v40, v12 :: v_dual_mov_b32 v41, v13
	v_dual_mov_b32 v42, v14 :: v_dual_mov_b32 v43, v15
	v_dual_mov_b32 v44, v16 :: v_dual_mov_b32 v45, v17
	v_dual_mov_b32 v46, v18 :: v_dual_mov_b32 v47, v19
	v_dual_mov_b32 v48, v20 :: v_dual_mov_b32 v49, v21
	v_dual_mov_b32 v50, v22 :: v_dual_mov_b32 v51, v23
	v_dual_mov_b32 v52, v24 :: v_dual_mov_b32 v53, v25
	v_dual_mov_b32 v54, v26 :: v_dual_mov_b32 v55, v27
	v_dual_mov_b32 v56, v28 :: v_dual_mov_b32 v57, v29
	v_dual_mov_b32 v58, v2 :: v_dual_mov_b32 v59, v3
	v_mov_b64_e32 v[2:3], v[30:31]
	v_mov_b64_e32 v[4:5], v[32:33]
	;; [unrolled: 1-line block ×16, first 2 shown]
	ds_store_b64 v1, v[58:59]
.LBB77_106:
	s_or_b32 exec_lo, exec_lo, s0
	v_mov_b32_e32 v0, 0
	s_wait_dscnt 0x0
	s_barrier_signal -1
	s_barrier_wait -1
	ds_load_2addr_b64 v[30:33], v0 offset0:15 offset1:16
	ds_load_2addr_b64 v[34:37], v0 offset0:17 offset1:18
	s_and_b32 vcc_lo, exec_lo, s22
	s_wait_dscnt 0x1
	v_fma_f64 v[38:39], v[4:5], v[30:31], 0
	s_delay_alu instid0(VALU_DEP_1) | instskip(SKIP_1) | instid1(VALU_DEP_1)
	v_fmac_f64_e32 v[38:39], v[6:7], v[32:33]
	s_wait_dscnt 0x0
	v_fmac_f64_e32 v[38:39], v[8:9], v[34:35]
	s_delay_alu instid0(VALU_DEP_1) | instskip(SKIP_4) | instid1(VALU_DEP_1)
	v_fmac_f64_e32 v[38:39], v[10:11], v[36:37]
	ds_load_2addr_b64 v[30:33], v0 offset0:19 offset1:20
	ds_load_2addr_b64 v[34:37], v0 offset0:21 offset1:22
	s_wait_dscnt 0x1
	v_fmac_f64_e32 v[38:39], v[12:13], v[30:31]
	v_fmac_f64_e32 v[38:39], v[14:15], v[32:33]
	s_wait_dscnt 0x0
	s_delay_alu instid0(VALU_DEP_1) | instskip(NEXT) | instid1(VALU_DEP_1)
	v_fmac_f64_e32 v[38:39], v[16:17], v[34:35]
	v_fmac_f64_e32 v[38:39], v[18:19], v[36:37]
	ds_load_2addr_b64 v[30:33], v0 offset0:23 offset1:24
	ds_load_2addr_b64 v[34:37], v0 offset0:25 offset1:26
	s_wait_dscnt 0x1
	v_fmac_f64_e32 v[38:39], v[20:21], v[30:31]
	ds_load_b64 v[30:31], v0 offset:216
	v_fmac_f64_e32 v[38:39], v[22:23], v[32:33]
	s_wait_dscnt 0x1
	s_delay_alu instid0(VALU_DEP_1) | instskip(NEXT) | instid1(VALU_DEP_1)
	v_fmac_f64_e32 v[38:39], v[24:25], v[34:35]
	v_fmac_f64_e32 v[38:39], v[26:27], v[36:37]
	s_wait_dscnt 0x0
	s_delay_alu instid0(VALU_DEP_1) | instskip(NEXT) | instid1(VALU_DEP_1)
	v_fmac_f64_e32 v[38:39], v[28:29], v[30:31]
	v_add_f64_e64 v[2:3], v[2:3], -v[38:39]
	s_cbranch_vccz .LBB77_133
; %bb.107:
	global_load_b32 v0, v0, s[16:17] offset:48
	s_wait_loadcnt 0x0
	v_readfirstlane_b32 s0, v0
	s_add_co_i32 s0, s0, -1
	s_delay_alu instid0(SALU_CYCLE_1)
	s_cmp_lg_u32 s0, 12
	s_cbranch_scc0 .LBB77_109
; %bb.108:
	s_lshl_b32 m0, s0, 1
	v_movrels_b32_e32 v0, v2
	v_movrels_b32_e32 v1, v3
	v_mov_b64_e32 v[58:59], v[32:33]
	v_mov_b64_e32 v[56:57], v[30:31]
	;; [unrolled: 1-line block ×16, first 2 shown]
	v_dual_mov_b32 v52, v0 :: v_dual_mov_b32 v53, v1
	s_delay_alu instid0(VALU_DEP_2) | instskip(NEXT) | instid1(VALU_DEP_3)
	v_movreld_b32_e32 v28, v26
	v_movreld_b32_e32 v29, v27
	v_mov_b64_e32 v[2:3], v[28:29]
	v_mov_b64_e32 v[4:5], v[30:31]
	;; [unrolled: 1-line block ×16, first 2 shown]
.LBB77_109:
	v_mov_b32_e32 v0, 0
	global_load_b32 v1, v0, s[16:17] offset:44
	s_wait_loadcnt 0x0
	v_readfirstlane_b32 s0, v1
	s_add_co_i32 s0, s0, -1
	s_delay_alu instid0(SALU_CYCLE_1)
	s_cmp_eq_u32 s0, 11
	s_cbranch_scc1 .LBB77_111
; %bb.110:
	s_lshl_b32 m0, s0, 1
	v_movrels_b32_e32 v1, v2
	v_movrels_b32_e32 v58, v3
	v_mov_b64_e32 v[56:57], v[32:33]
	v_mov_b64_e32 v[54:55], v[30:31]
	;; [unrolled: 1-line block ×16, first 2 shown]
	v_dual_mov_b32 v48, v1 :: v_dual_mov_b32 v49, v58
	s_delay_alu instid0(VALU_DEP_2) | instskip(NEXT) | instid1(VALU_DEP_3)
	v_movreld_b32_e32 v26, v24
	v_movreld_b32_e32 v27, v25
	v_mov_b64_e32 v[2:3], v[26:27]
	v_mov_b64_e32 v[4:5], v[28:29]
	;; [unrolled: 1-line block ×16, first 2 shown]
.LBB77_111:
	global_load_b32 v0, v0, s[16:17] offset:40
	s_wait_loadcnt 0x0
	v_readfirstlane_b32 s0, v0
	s_add_co_i32 s0, s0, -1
	s_delay_alu instid0(SALU_CYCLE_1)
	s_cmp_eq_u32 s0, 10
	s_cbranch_scc1 .LBB77_113
; %bb.112:
	s_lshl_b32 m0, s0, 1
	v_movrels_b32_e32 v0, v2
	v_movrels_b32_e32 v1, v3
	v_mov_b64_e32 v[54:55], v[32:33]
	v_mov_b64_e32 v[52:53], v[30:31]
	;; [unrolled: 1-line block ×16, first 2 shown]
	v_dual_mov_b32 v44, v0 :: v_dual_mov_b32 v45, v1
	s_delay_alu instid0(VALU_DEP_2) | instskip(NEXT) | instid1(VALU_DEP_3)
	v_movreld_b32_e32 v24, v22
	v_movreld_b32_e32 v25, v23
	v_mov_b64_e32 v[2:3], v[24:25]
	v_mov_b64_e32 v[4:5], v[26:27]
	;; [unrolled: 1-line block ×16, first 2 shown]
.LBB77_113:
	v_mov_b32_e32 v0, 0
	global_load_b32 v1, v0, s[16:17] offset:36
	s_wait_loadcnt 0x0
	v_readfirstlane_b32 s0, v1
	s_add_co_i32 s0, s0, -1
	s_delay_alu instid0(SALU_CYCLE_1)
	s_cmp_eq_u32 s0, 9
	s_cbranch_scc1 .LBB77_115
; %bb.114:
	s_lshl_b32 m0, s0, 1
	v_movrels_b32_e32 v1, v2
	v_movrels_b32_e32 v54, v3
	v_mov_b64_e32 v[52:53], v[32:33]
	v_mov_b64_e32 v[50:51], v[30:31]
	;; [unrolled: 1-line block ×16, first 2 shown]
	v_dual_mov_b32 v40, v1 :: v_dual_mov_b32 v41, v54
	s_delay_alu instid0(VALU_DEP_2) | instskip(NEXT) | instid1(VALU_DEP_3)
	v_movreld_b32_e32 v22, v20
	v_movreld_b32_e32 v23, v21
	v_mov_b64_e32 v[2:3], v[22:23]
	v_mov_b64_e32 v[4:5], v[24:25]
	;; [unrolled: 1-line block ×16, first 2 shown]
.LBB77_115:
	global_load_b32 v0, v0, s[16:17] offset:32
	s_wait_loadcnt 0x0
	v_readfirstlane_b32 s0, v0
	s_add_co_i32 s0, s0, -1
	s_delay_alu instid0(SALU_CYCLE_1)
	s_cmp_eq_u32 s0, 8
	s_cbranch_scc1 .LBB77_117
; %bb.116:
	s_lshl_b32 m0, s0, 1
	v_movrels_b32_e32 v0, v2
	v_movrels_b32_e32 v1, v3
	v_mov_b64_e32 v[50:51], v[32:33]
	v_mov_b64_e32 v[48:49], v[30:31]
	;; [unrolled: 1-line block ×16, first 2 shown]
	v_dual_mov_b32 v36, v0 :: v_dual_mov_b32 v37, v1
	s_delay_alu instid0(VALU_DEP_2) | instskip(NEXT) | instid1(VALU_DEP_3)
	v_movreld_b32_e32 v20, v18
	v_movreld_b32_e32 v21, v19
	v_mov_b64_e32 v[2:3], v[20:21]
	v_mov_b64_e32 v[4:5], v[22:23]
	;; [unrolled: 1-line block ×16, first 2 shown]
.LBB77_117:
	v_mov_b32_e32 v0, 0
	global_load_b32 v1, v0, s[16:17] offset:28
	s_wait_loadcnt 0x0
	v_readfirstlane_b32 s0, v1
	s_add_co_i32 s0, s0, -1
	s_delay_alu instid0(SALU_CYCLE_1)
	s_cmp_eq_u32 s0, 7
	s_cbranch_scc1 .LBB77_119
; %bb.118:
	s_lshl_b32 m0, s0, 1
	v_movrels_b32_e32 v1, v2
	v_movrels_b32_e32 v50, v3
	v_mov_b64_e32 v[48:49], v[32:33]
	v_mov_b64_e32 v[46:47], v[30:31]
	;; [unrolled: 1-line block ×16, first 2 shown]
	v_dual_mov_b32 v32, v1 :: v_dual_mov_b32 v33, v50
	s_delay_alu instid0(VALU_DEP_2) | instskip(NEXT) | instid1(VALU_DEP_3)
	v_movreld_b32_e32 v18, v16
	v_movreld_b32_e32 v19, v17
	v_mov_b64_e32 v[2:3], v[18:19]
	v_mov_b64_e32 v[4:5], v[20:21]
	;; [unrolled: 1-line block ×16, first 2 shown]
.LBB77_119:
	global_load_b32 v0, v0, s[16:17] offset:24
	s_wait_loadcnt 0x0
	v_readfirstlane_b32 s0, v0
	s_add_co_i32 s0, s0, -1
	s_delay_alu instid0(SALU_CYCLE_1)
	s_cmp_eq_u32 s0, 6
	s_cbranch_scc1 .LBB77_121
; %bb.120:
	s_lshl_b32 m0, s0, 1
	v_movrels_b32_e32 v0, v2
	v_movrels_b32_e32 v1, v3
	v_mov_b64_e32 v[46:47], v[32:33]
	v_mov_b64_e32 v[44:45], v[30:31]
	;; [unrolled: 1-line block ×16, first 2 shown]
	v_dual_mov_b32 v28, v0 :: v_dual_mov_b32 v29, v1
	s_delay_alu instid0(VALU_DEP_2) | instskip(NEXT) | instid1(VALU_DEP_3)
	v_movreld_b32_e32 v16, v14
	v_movreld_b32_e32 v17, v15
	v_mov_b64_e32 v[2:3], v[16:17]
	v_mov_b64_e32 v[4:5], v[18:19]
	;; [unrolled: 1-line block ×16, first 2 shown]
.LBB77_121:
	v_mov_b32_e32 v0, 0
	global_load_b32 v1, v0, s[16:17] offset:20
	s_wait_loadcnt 0x0
	v_readfirstlane_b32 s0, v1
	s_add_co_i32 s0, s0, -1
	s_delay_alu instid0(SALU_CYCLE_1)
	s_cmp_eq_u32 s0, 5
	s_cbranch_scc1 .LBB77_123
; %bb.122:
	s_lshl_b32 m0, s0, 1
	v_movrels_b32_e32 v1, v2
	v_movrels_b32_e32 v46, v3
	v_mov_b64_e32 v[44:45], v[32:33]
	v_mov_b64_e32 v[42:43], v[30:31]
	;; [unrolled: 1-line block ×16, first 2 shown]
	v_dual_mov_b32 v24, v1 :: v_dual_mov_b32 v25, v46
	s_delay_alu instid0(VALU_DEP_2) | instskip(NEXT) | instid1(VALU_DEP_3)
	v_movreld_b32_e32 v14, v12
	v_movreld_b32_e32 v15, v13
	v_mov_b64_e32 v[2:3], v[14:15]
	v_mov_b64_e32 v[4:5], v[16:17]
	;; [unrolled: 1-line block ×16, first 2 shown]
.LBB77_123:
	global_load_b32 v0, v0, s[16:17] offset:16
	s_wait_loadcnt 0x0
	v_readfirstlane_b32 s0, v0
	s_add_co_i32 s0, s0, -1
	s_delay_alu instid0(SALU_CYCLE_1)
	s_cmp_eq_u32 s0, 4
	s_cbranch_scc1 .LBB77_125
; %bb.124:
	s_lshl_b32 m0, s0, 1
	v_movrels_b32_e32 v0, v2
	v_movrels_b32_e32 v1, v3
	v_mov_b64_e32 v[42:43], v[32:33]
	v_mov_b64_e32 v[40:41], v[30:31]
	;; [unrolled: 1-line block ×16, first 2 shown]
	v_dual_mov_b32 v20, v0 :: v_dual_mov_b32 v21, v1
	s_delay_alu instid0(VALU_DEP_2) | instskip(NEXT) | instid1(VALU_DEP_3)
	v_movreld_b32_e32 v12, v10
	v_movreld_b32_e32 v13, v11
	v_mov_b64_e32 v[2:3], v[12:13]
	v_mov_b64_e32 v[4:5], v[14:15]
	;; [unrolled: 1-line block ×16, first 2 shown]
.LBB77_125:
	v_mov_b32_e32 v0, 0
	global_load_b32 v1, v0, s[16:17] offset:12
	s_wait_loadcnt 0x0
	v_readfirstlane_b32 s0, v1
	s_add_co_i32 s0, s0, -1
	s_delay_alu instid0(SALU_CYCLE_1)
	s_cmp_eq_u32 s0, 3
	s_cbranch_scc1 .LBB77_127
; %bb.126:
	s_lshl_b32 m0, s0, 1
	v_movrels_b32_e32 v1, v2
	v_movrels_b32_e32 v42, v3
	v_mov_b64_e32 v[40:41], v[32:33]
	v_mov_b64_e32 v[38:39], v[30:31]
	;; [unrolled: 1-line block ×16, first 2 shown]
	v_dual_mov_b32 v16, v1 :: v_dual_mov_b32 v17, v42
	s_delay_alu instid0(VALU_DEP_2) | instskip(NEXT) | instid1(VALU_DEP_3)
	v_movreld_b32_e32 v10, v8
	v_movreld_b32_e32 v11, v9
	v_mov_b64_e32 v[2:3], v[10:11]
	v_mov_b64_e32 v[4:5], v[12:13]
	;; [unrolled: 1-line block ×16, first 2 shown]
.LBB77_127:
	global_load_b32 v0, v0, s[16:17] offset:8
	s_wait_loadcnt 0x0
	v_readfirstlane_b32 s0, v0
	s_add_co_i32 s0, s0, -1
	s_delay_alu instid0(SALU_CYCLE_1)
	s_cmp_eq_u32 s0, 2
	s_cbranch_scc1 .LBB77_129
; %bb.128:
	s_lshl_b32 m0, s0, 1
	v_movrels_b32_e32 v0, v2
	v_movrels_b32_e32 v1, v3
	v_mov_b64_e32 v[38:39], v[32:33]
	v_mov_b64_e32 v[36:37], v[30:31]
	;; [unrolled: 1-line block ×16, first 2 shown]
	v_dual_mov_b32 v12, v0 :: v_dual_mov_b32 v13, v1
	s_delay_alu instid0(VALU_DEP_2) | instskip(NEXT) | instid1(VALU_DEP_3)
	v_movreld_b32_e32 v8, v6
	v_movreld_b32_e32 v9, v7
	v_mov_b64_e32 v[2:3], v[8:9]
	v_mov_b64_e32 v[4:5], v[10:11]
	;; [unrolled: 1-line block ×16, first 2 shown]
.LBB77_129:
	v_mov_b32_e32 v0, 0
	global_load_b32 v1, v0, s[16:17] offset:4
	s_wait_loadcnt 0x0
	v_readfirstlane_b32 s0, v1
	s_add_co_i32 s0, s0, -1
	s_delay_alu instid0(SALU_CYCLE_1)
	s_cmp_eq_u32 s0, 1
	s_cbranch_scc1 .LBB77_131
; %bb.130:
	s_lshl_b32 m0, s0, 1
	v_movrels_b32_e32 v1, v2
	v_movrels_b32_e32 v38, v3
	v_mov_b64_e32 v[36:37], v[32:33]
	v_mov_b64_e32 v[34:35], v[30:31]
	;; [unrolled: 1-line block ×16, first 2 shown]
	v_dual_mov_b32 v8, v1 :: v_dual_mov_b32 v9, v38
	s_delay_alu instid0(VALU_DEP_2) | instskip(NEXT) | instid1(VALU_DEP_3)
	v_movreld_b32_e32 v6, v4
	v_movreld_b32_e32 v7, v5
	v_mov_b64_e32 v[2:3], v[6:7]
	s_delay_alu instid0(VALU_DEP_4)
	v_mov_b64_e32 v[4:5], v[8:9]
	v_mov_b64_e32 v[6:7], v[10:11]
	;; [unrolled: 1-line block ×15, first 2 shown]
.LBB77_131:
	global_load_b32 v0, v0, s[16:17]
	s_wait_loadcnt 0x0
	v_readfirstlane_b32 s0, v0
	s_add_co_i32 s0, s0, -1
	s_delay_alu instid0(SALU_CYCLE_1)
	s_cmp_eq_u32 s0, 0
	s_cbranch_scc1 .LBB77_133
; %bb.132:
	s_lshl_b32 m0, s0, 1
	v_movrels_b32_e32 v0, v2
	v_movrels_b32_e32 v1, v3
	v_mov_b64_e32 v[34:35], v[32:33]
	v_mov_b64_e32 v[32:33], v[30:31]
	v_mov_b64_e32 v[30:31], v[28:29]
	v_mov_b64_e32 v[28:29], v[26:27]
	v_mov_b64_e32 v[26:27], v[24:25]
	v_mov_b64_e32 v[24:25], v[22:23]
	v_mov_b64_e32 v[22:23], v[20:21]
	v_mov_b64_e32 v[20:21], v[18:19]
	v_mov_b64_e32 v[18:19], v[16:17]
	v_mov_b64_e32 v[16:17], v[14:15]
	v_mov_b64_e32 v[14:15], v[12:13]
	v_mov_b64_e32 v[12:13], v[10:11]
	v_mov_b64_e32 v[10:11], v[8:9]
	v_mov_b64_e32 v[8:9], v[6:7]
	v_mov_b64_e32 v[6:7], v[4:5]
	v_mov_b64_e32 v[4:5], v[2:3]
	v_dual_mov_b32 v4, v0 :: v_dual_mov_b32 v5, v1
	s_delay_alu instid0(VALU_DEP_1) | instskip(NEXT) | instid1(VALU_DEP_2)
	v_movreld_b32_e32 v4, v2
	v_movreld_b32_e32 v5, v3
	v_mov_b64_e32 v[2:3], v[4:5]
	v_mov_b64_e32 v[4:5], v[6:7]
	;; [unrolled: 1-line block ×16, first 2 shown]
.LBB77_133:
	v_lshl_add_u64 v[48:49], v[60:61], 3, s[18:19]
	v_lshl_add_u64 v[50:51], v[62:63], 3, s[18:19]
	;; [unrolled: 1-line block ×3, first 2 shown]
	s_clause 0x3
	flat_store_b64 v[68:69], v[2:3]
	flat_store_b64 v[74:75], v[4:5]
	;; [unrolled: 1-line block ×4, first 2 shown]
	s_wait_xcnt 0x3
	v_dual_mov_b32 v2, v10 :: v_dual_mov_b32 v3, v11
	v_lshl_add_u64 v[40:41], v[66:67], 3, s[18:19]
	s_wait_xcnt 0x2
	v_dual_mov_b32 v4, v12 :: v_dual_mov_b32 v5, v13
	v_lshl_add_u64 v[42:43], v[70:71], 3, s[18:19]
	;; [unrolled: 3-line block ×4, first 2 shown]
	v_dual_mov_b32 v10, v18 :: v_dual_mov_b32 v11, v19
	v_lshl_add_u64 v[0:1], v[78:79], 3, s[18:19]
	s_clause 0x4
	flat_store_b64 v[38:39], v[2:3]
	flat_store_b64 v[40:41], v[4:5]
	;; [unrolled: 1-line block ×5, first 2 shown]
	s_wait_xcnt 0x4
	v_dual_mov_b32 v2, v20 :: v_dual_mov_b32 v3, v21
	v_lshl_add_u64 v[30:31], v[80:81], 3, s[18:19]
	s_wait_xcnt 0x3
	v_dual_mov_b32 v4, v22 :: v_dual_mov_b32 v5, v23
	v_lshl_add_u64 v[32:33], v[82:83], 3, s[18:19]
	;; [unrolled: 3-line block ×4, first 2 shown]
	s_wait_xcnt 0x0
	v_dual_mov_b32 v10, v28 :: v_dual_mov_b32 v11, v29
	s_clause 0x4
	flat_store_b64 v[0:1], v[2:3]
	flat_store_b64 v[30:31], v[4:5]
	;; [unrolled: 1-line block ×5, first 2 shown]
	s_sendmsg sendmsg(MSG_DEALLOC_VGPRS)
	s_endpgm
	.section	.rodata,"a",@progbits
	.p2align	6, 0x0
	.amdhsa_kernel _ZN9rocsolver6v33100L18getri_kernel_smallILi14EdPKPdEEvT1_iilPiilS6_bb
		.amdhsa_group_segment_fixed_size 232
		.amdhsa_private_segment_fixed_size 0
		.amdhsa_kernarg_size 60
		.amdhsa_user_sgpr_count 2
		.amdhsa_user_sgpr_dispatch_ptr 0
		.amdhsa_user_sgpr_queue_ptr 0
		.amdhsa_user_sgpr_kernarg_segment_ptr 1
		.amdhsa_user_sgpr_dispatch_id 0
		.amdhsa_user_sgpr_kernarg_preload_length 0
		.amdhsa_user_sgpr_kernarg_preload_offset 0
		.amdhsa_user_sgpr_private_segment_size 0
		.amdhsa_wavefront_size32 1
		.amdhsa_uses_dynamic_stack 0
		.amdhsa_enable_private_segment 0
		.amdhsa_system_sgpr_workgroup_id_x 1
		.amdhsa_system_sgpr_workgroup_id_y 0
		.amdhsa_system_sgpr_workgroup_id_z 0
		.amdhsa_system_sgpr_workgroup_info 0
		.amdhsa_system_vgpr_workitem_id 0
		.amdhsa_next_free_vgpr 90
		.amdhsa_next_free_sgpr 23
		.amdhsa_named_barrier_count 0
		.amdhsa_reserve_vcc 1
		.amdhsa_float_round_mode_32 0
		.amdhsa_float_round_mode_16_64 0
		.amdhsa_float_denorm_mode_32 3
		.amdhsa_float_denorm_mode_16_64 3
		.amdhsa_fp16_overflow 0
		.amdhsa_memory_ordered 1
		.amdhsa_forward_progress 1
		.amdhsa_inst_pref_size 122
		.amdhsa_round_robin_scheduling 0
		.amdhsa_exception_fp_ieee_invalid_op 0
		.amdhsa_exception_fp_denorm_src 0
		.amdhsa_exception_fp_ieee_div_zero 0
		.amdhsa_exception_fp_ieee_overflow 0
		.amdhsa_exception_fp_ieee_underflow 0
		.amdhsa_exception_fp_ieee_inexact 0
		.amdhsa_exception_int_div_zero 0
	.end_amdhsa_kernel
	.section	.text._ZN9rocsolver6v33100L18getri_kernel_smallILi14EdPKPdEEvT1_iilPiilS6_bb,"axG",@progbits,_ZN9rocsolver6v33100L18getri_kernel_smallILi14EdPKPdEEvT1_iilPiilS6_bb,comdat
.Lfunc_end77:
	.size	_ZN9rocsolver6v33100L18getri_kernel_smallILi14EdPKPdEEvT1_iilPiilS6_bb, .Lfunc_end77-_ZN9rocsolver6v33100L18getri_kernel_smallILi14EdPKPdEEvT1_iilPiilS6_bb
                                        ; -- End function
	.set _ZN9rocsolver6v33100L18getri_kernel_smallILi14EdPKPdEEvT1_iilPiilS6_bb.num_vgpr, 90
	.set _ZN9rocsolver6v33100L18getri_kernel_smallILi14EdPKPdEEvT1_iilPiilS6_bb.num_agpr, 0
	.set _ZN9rocsolver6v33100L18getri_kernel_smallILi14EdPKPdEEvT1_iilPiilS6_bb.numbered_sgpr, 23
	.set _ZN9rocsolver6v33100L18getri_kernel_smallILi14EdPKPdEEvT1_iilPiilS6_bb.num_named_barrier, 0
	.set _ZN9rocsolver6v33100L18getri_kernel_smallILi14EdPKPdEEvT1_iilPiilS6_bb.private_seg_size, 0
	.set _ZN9rocsolver6v33100L18getri_kernel_smallILi14EdPKPdEEvT1_iilPiilS6_bb.uses_vcc, 1
	.set _ZN9rocsolver6v33100L18getri_kernel_smallILi14EdPKPdEEvT1_iilPiilS6_bb.uses_flat_scratch, 1
	.set _ZN9rocsolver6v33100L18getri_kernel_smallILi14EdPKPdEEvT1_iilPiilS6_bb.has_dyn_sized_stack, 0
	.set _ZN9rocsolver6v33100L18getri_kernel_smallILi14EdPKPdEEvT1_iilPiilS6_bb.has_recursion, 0
	.set _ZN9rocsolver6v33100L18getri_kernel_smallILi14EdPKPdEEvT1_iilPiilS6_bb.has_indirect_call, 0
	.section	.AMDGPU.csdata,"",@progbits
; Kernel info:
; codeLenInByte = 15552
; TotalNumSgprs: 25
; NumVgprs: 90
; ScratchSize: 0
; MemoryBound: 0
; FloatMode: 240
; IeeeMode: 1
; LDSByteSize: 232 bytes/workgroup (compile time only)
; SGPRBlocks: 0
; VGPRBlocks: 5
; NumSGPRsForWavesPerEU: 25
; NumVGPRsForWavesPerEU: 90
; NamedBarCnt: 0
; Occupancy: 10
; WaveLimiterHint : 1
; COMPUTE_PGM_RSRC2:SCRATCH_EN: 0
; COMPUTE_PGM_RSRC2:USER_SGPR: 2
; COMPUTE_PGM_RSRC2:TRAP_HANDLER: 0
; COMPUTE_PGM_RSRC2:TGID_X_EN: 1
; COMPUTE_PGM_RSRC2:TGID_Y_EN: 0
; COMPUTE_PGM_RSRC2:TGID_Z_EN: 0
; COMPUTE_PGM_RSRC2:TIDIG_COMP_CNT: 0
	.section	.text._ZN9rocsolver6v33100L18getri_kernel_smallILi15EdPKPdEEvT1_iilPiilS6_bb,"axG",@progbits,_ZN9rocsolver6v33100L18getri_kernel_smallILi15EdPKPdEEvT1_iilPiilS6_bb,comdat
	.globl	_ZN9rocsolver6v33100L18getri_kernel_smallILi15EdPKPdEEvT1_iilPiilS6_bb ; -- Begin function _ZN9rocsolver6v33100L18getri_kernel_smallILi15EdPKPdEEvT1_iilPiilS6_bb
	.p2align	8
	.type	_ZN9rocsolver6v33100L18getri_kernel_smallILi15EdPKPdEEvT1_iilPiilS6_bb,@function
_ZN9rocsolver6v33100L18getri_kernel_smallILi15EdPKPdEEvT1_iilPiilS6_bb: ; @_ZN9rocsolver6v33100L18getri_kernel_smallILi15EdPKPdEEvT1_iilPiilS6_bb
; %bb.0:
	s_mov_b32 s2, exec_lo
	v_cmpx_gt_u32_e32 15, v0
	s_cbranch_execz .LBB78_16
; %bb.1:
	s_clause 0x1
	s_load_b32 s6, s[0:1], 0x38
	s_load_b64 s[2:3], s[0:1], 0x0
	s_getreg_b32 s7, hwreg(HW_REG_IB_STS2, 6, 4)
	s_load_b128 s[16:19], s[0:1], 0x28
                                        ; implicit-def: $sgpr20_sgpr21
	s_wait_kmcnt 0x0
	s_bitcmp1_b32 s6, 8
	s_cselect_b32 s15, -1, 0
	s_bfe_u32 s4, ttmp6, 0x4000c
	s_and_b32 s5, ttmp6, 15
	s_add_co_i32 s4, s4, 1
	s_delay_alu instid0(SALU_CYCLE_1) | instskip(NEXT) | instid1(SALU_CYCLE_1)
	s_mul_i32 s4, ttmp9, s4
	s_add_co_i32 s5, s5, s4
	s_cmp_eq_u32 s7, 0
	s_cselect_b32 s22, ttmp9, s5
	s_delay_alu instid0(SALU_CYCLE_1) | instskip(NEXT) | instid1(SALU_CYCLE_1)
	s_ashr_i32 s23, s22, 31
	s_lshl_b64 s[4:5], s[22:23], 3
	s_delay_alu instid0(SALU_CYCLE_1)
	s_add_nc_u64 s[2:3], s[2:3], s[4:5]
	s_bfe_u32 s4, s6, 0x10008
	s_load_b64 s[2:3], s[2:3], 0x0
	s_cmp_eq_u32 s4, 0
	s_cbranch_scc1 .LBB78_3
; %bb.2:
	s_load_b96 s[4:6], s[0:1], 0x18
	s_mul_u64 s[8:9], s[16:17], s[22:23]
	s_delay_alu instid0(SALU_CYCLE_1) | instskip(SKIP_4) | instid1(SALU_CYCLE_1)
	s_lshl_b64 s[8:9], s[8:9], 2
	s_wait_kmcnt 0x0
	s_ashr_i32 s7, s6, 31
	s_add_nc_u64 s[4:5], s[4:5], s[8:9]
	s_lshl_b64 s[6:7], s[6:7], 2
	s_add_nc_u64 s[20:21], s[4:5], s[6:7]
.LBB78_3:
	s_clause 0x1
	s_load_b64 s[4:5], s[0:1], 0x8
	s_load_b32 s6, s[0:1], 0x38
	v_mov_b32_e32 v1, 0
	s_wait_kmcnt 0x0
	v_add3_u32 v64, s5, s5, v0
	s_ashr_i32 s1, s4, 31
	s_mov_b32 s0, s4
	s_delay_alu instid0(SALU_CYCLE_1) | instskip(NEXT) | instid1(VALU_DEP_1)
	s_lshl_b64 s[0:1], s[0:1], 3
	v_add_nc_u32_e32 v66, s5, v64
	s_add_nc_u64 s[16:17], s[2:3], s[0:1]
	s_ashr_i32 s1, s5, 31
	s_mov_b32 s0, s5
	s_bitcmp0_b32 s6, 0
	v_add_nc_u32_e32 v68, s5, v66
	s_delay_alu instid0(VALU_DEP_1) | instskip(NEXT) | instid1(VALU_DEP_1)
	v_add_nc_u32_e32 v70, s5, v68
	v_add_nc_u32_e32 v74, s5, v70
	s_delay_alu instid0(VALU_DEP_1) | instskip(NEXT) | instid1(VALU_DEP_1)
	v_dual_add_nc_u32 v78, s5, v74 :: v_dual_lshlrev_b32 v32, 3, v0
	v_dual_mov_b32 v33, v1 :: v_dual_add_nc_u32 v80, s5, v78
	s_delay_alu instid0(VALU_DEP_1) | instskip(NEXT) | instid1(VALU_DEP_2)
	v_add_nc_u32_e32 v82, s5, v80
	v_add_nc_u64_e32 v[72:73], s[16:17], v[32:33]
	s_delay_alu instid0(VALU_DEP_2) | instskip(NEXT) | instid1(VALU_DEP_2)
	v_add_nc_u32_e32 v84, s5, v82
	v_lshl_add_u64 v[76:77], s[0:1], 3, v[72:73]
	s_mov_b32 s0, -1
	s_delay_alu instid0(VALU_DEP_2)
	v_add_nc_u32_e32 v86, s5, v84
	s_clause 0x4
	flat_load_b64 v[4:5], v[76:77]
	flat_load_b64 v[6:7], v64, s[16:17] scale_offset
	flat_load_b64 v[8:9], v66, s[16:17] scale_offset
	;; [unrolled: 1-line block ×4, first 2 shown]
	v_add_nc_u32_e32 v88, s5, v86
	s_clause 0x3
	flat_load_b64 v[14:15], v74, s[16:17] scale_offset
	flat_load_b64 v[16:17], v78, s[16:17] scale_offset
	;; [unrolled: 1-line block ×4, first 2 shown]
	v_add_nc_u32_e32 v90, s5, v88
	s_delay_alu instid0(VALU_DEP_1)
	v_add_nc_u32_e32 v92, s5, v90
	s_clause 0x5
	flat_load_b64 v[22:23], v84, s[16:17] scale_offset
	flat_load_b64 v[24:25], v86, s[16:17] scale_offset
	;; [unrolled: 1-line block ×6, first 2 shown]
	s_cbranch_scc1 .LBB78_14
; %bb.4:
	v_cmp_eq_u32_e64 s0, 0, v0
	s_wait_xcnt 0x0
	s_and_saveexec_b32 s1, s0
; %bb.5:
	v_mov_b32_e32 v33, 0
	ds_store_b32 v33, v33 offset:120
; %bb.6:
	s_or_b32 exec_lo, exec_lo, s1
	v_cmp_eq_u32_e32 vcc_lo, 1, v0
	s_mov_b32 s2, exec_lo
	s_wait_loadcnt_dscnt 0x0
	s_barrier_signal -1
	s_barrier_wait -1
	v_dual_cndmask_b32 v33, v3, v5 :: v_dual_cndmask_b32 v34, v2, v4
	v_cmp_eq_u32_e32 vcc_lo, 2, v0
	s_delay_alu instid0(VALU_DEP_2) | instskip(SKIP_1) | instid1(VALU_DEP_2)
	v_dual_cndmask_b32 v33, v33, v7 :: v_dual_cndmask_b32 v34, v34, v6
	v_cmp_eq_u32_e32 vcc_lo, 3, v0
	v_dual_cndmask_b32 v33, v33, v9 :: v_dual_cndmask_b32 v34, v34, v8
	v_cmp_eq_u32_e32 vcc_lo, 4, v0
	s_delay_alu instid0(VALU_DEP_2) | instskip(SKIP_1) | instid1(VALU_DEP_2)
	v_dual_cndmask_b32 v33, v33, v11 :: v_dual_cndmask_b32 v34, v34, v10
	v_cmp_eq_u32_e32 vcc_lo, 5, v0
	;; [unrolled: 5-line block ×6, first 2 shown]
	v_dual_cndmask_b32 v33, v33, v29 :: v_dual_cndmask_b32 v34, v34, v28
	v_cmp_eq_u32_e32 vcc_lo, 14, v0
	s_delay_alu instid0(VALU_DEP_2) | instskip(NEXT) | instid1(VALU_DEP_1)
	v_dual_cndmask_b32 v35, v33, v31 :: v_dual_cndmask_b32 v34, v34, v30
	v_cmpx_eq_f64_e32 0, v[34:35]
	s_cbranch_execz .LBB78_10
; %bb.7:
	v_mov_b32_e32 v33, 0
	s_mov_b32 s3, 0
	ds_load_b32 v36, v33 offset:120
	s_wait_dscnt 0x0
	v_readfirstlane_b32 s1, v36
	v_add_nc_u32_e32 v36, 1, v0
	s_cmp_eq_u32 s1, 0
	s_delay_alu instid0(VALU_DEP_1) | instskip(SKIP_1) | instid1(SALU_CYCLE_1)
	v_cmp_gt_i32_e32 vcc_lo, s1, v36
	s_cselect_b32 s4, -1, 0
	s_or_b32 s4, s4, vcc_lo
	s_delay_alu instid0(SALU_CYCLE_1)
	s_and_b32 exec_lo, exec_lo, s4
	s_cbranch_execz .LBB78_10
; %bb.8:
	v_mov_b32_e32 v37, s1
.LBB78_9:                               ; =>This Inner Loop Header: Depth=1
	ds_cmpstore_rtn_b32 v37, v33, v36, v37 offset:120
	s_wait_dscnt 0x0
	v_cmp_ne_u32_e32 vcc_lo, 0, v37
	v_cmp_le_i32_e64 s1, v37, v36
	s_and_b32 s1, vcc_lo, s1
	s_delay_alu instid0(SALU_CYCLE_1) | instskip(NEXT) | instid1(SALU_CYCLE_1)
	s_and_b32 s1, exec_lo, s1
	s_or_b32 s3, s1, s3
	s_delay_alu instid0(SALU_CYCLE_1)
	s_and_not1_b32 exec_lo, exec_lo, s3
	s_cbranch_execnz .LBB78_9
.LBB78_10:
	s_or_b32 exec_lo, exec_lo, s2
	v_mov_b32_e32 v33, 0
	s_barrier_signal -1
	s_barrier_wait -1
	ds_load_b32 v36, v33 offset:120
	s_and_saveexec_b32 s1, s0
	s_cbranch_execz .LBB78_12
; %bb.11:
	s_lshl_b64 s[2:3], s[22:23], 2
	s_delay_alu instid0(SALU_CYCLE_1)
	s_add_nc_u64 s[2:3], s[18:19], s[2:3]
	s_wait_dscnt 0x0
	global_store_b32 v33, v36, s[2:3]
.LBB78_12:
	s_wait_xcnt 0x0
	s_or_b32 exec_lo, exec_lo, s1
	s_wait_dscnt 0x0
	v_cmp_ne_u32_e32 vcc_lo, 0, v36
	s_cbranch_vccz .LBB78_17
; %bb.13:
	s_mov_b32 s0, 0
                                        ; implicit-def: $vgpr2_vgpr3_vgpr4_vgpr5_vgpr6_vgpr7_vgpr8_vgpr9_vgpr10_vgpr11_vgpr12_vgpr13_vgpr14_vgpr15_vgpr16_vgpr17_vgpr18_vgpr19_vgpr20_vgpr21_vgpr22_vgpr23_vgpr24_vgpr25_vgpr26_vgpr27_vgpr28_vgpr29_vgpr30_vgpr31_vgpr32_vgpr33
.LBB78_14:
	s_delay_alu instid0(SALU_CYCLE_1)
	s_and_b32 vcc_lo, exec_lo, s0
	s_cbranch_vccz .LBB78_16
.LBB78_15:
	v_mov_b32_e32 v1, 0
	s_lshl_b64 s[0:1], s[22:23], 2
	s_delay_alu instid0(SALU_CYCLE_1)
	s_add_nc_u64 s[0:1], s[18:19], s[0:1]
	global_load_b32 v1, v1, s[0:1]
	s_wait_loadcnt 0x0
	v_cmp_ne_u32_e32 vcc_lo, 0, v1
	s_cbranch_vccz .LBB78_84
.LBB78_16:
	s_sendmsg sendmsg(MSG_DEALLOC_VGPRS)
	s_endpgm
.LBB78_17:
	v_div_scale_f64 v[36:37], null, v[34:35], v[34:35], 1.0
	v_div_scale_f64 v[42:43], vcc_lo, 1.0, v[34:35], 1.0
	v_cmp_eq_u32_e64 s1, 13, v0
	v_cmp_eq_u32_e64 s2, 12, v0
	;; [unrolled: 1-line block ×14, first 2 shown]
	v_rcp_f64_e32 v[38:39], v[36:37]
	v_nop
	s_delay_alu instid0(TRANS32_DEP_1) | instskip(NEXT) | instid1(VALU_DEP_1)
	v_fma_f64 v[40:41], -v[36:37], v[38:39], 1.0
	v_fmac_f64_e32 v[38:39], v[38:39], v[40:41]
	s_delay_alu instid0(VALU_DEP_1) | instskip(NEXT) | instid1(VALU_DEP_1)
	v_fma_f64 v[40:41], -v[36:37], v[38:39], 1.0
	v_fmac_f64_e32 v[38:39], v[38:39], v[40:41]
	s_delay_alu instid0(VALU_DEP_1) | instskip(NEXT) | instid1(VALU_DEP_1)
	v_mul_f64_e32 v[40:41], v[42:43], v[38:39]
	v_fma_f64 v[36:37], -v[36:37], v[40:41], v[42:43]
	s_delay_alu instid0(VALU_DEP_1) | instskip(SKIP_1) | instid1(VALU_DEP_2)
	v_div_fmas_f64 v[36:37], v[36:37], v[38:39], v[40:41]
	v_cmp_eq_u32_e32 vcc_lo, 14, v0
	v_div_fixup_f64 v[34:35], v[36:37], v[34:35], 1.0
	s_delay_alu instid0(VALU_DEP_1) | instskip(NEXT) | instid1(VALU_DEP_2)
	v_dual_cndmask_b32 v31, v31, v35 :: v_dual_add_nc_u32 v36, 0x80, v32
	v_dual_cndmask_b32 v30, v30, v34, vcc_lo :: v_dual_cndmask_b32 v29, v29, v35, s1
	v_dual_cndmask_b32 v28, v28, v34, s1 :: v_dual_cndmask_b32 v27, v27, v35, s2
	v_dual_cndmask_b32 v26, v26, v34, s2 :: v_dual_cndmask_b32 v25, v25, v35, s3
	;; [unrolled: 1-line block ×11, first 2 shown]
	v_dual_cndmask_b32 v4, v4, v34, s13 :: v_dual_mov_b32 v38, v34
	v_xor_b32_e32 v39, 0x80000000, v35
	v_dual_cndmask_b32 v7, v7, v35, s12 :: v_dual_cndmask_b32 v6, v6, v34, s12
	v_dual_cndmask_b32 v3, v3, v35, s14 :: v_dual_cndmask_b32 v2, v2, v34, s14
	ds_store_2addr_b64 v32, v[38:39], v[4:5] offset1:16
	s_wait_storecnt_dscnt 0x0
	s_barrier_signal -1
	s_barrier_wait -1
	s_and_saveexec_b32 s1, s0
	s_cbranch_execz .LBB78_19
; %bb.18:
	ds_load_b64 v[4:5], v36
	v_mov_b32_e32 v32, 0
	ds_load_b64 v[32:33], v32 offset:8
	s_wait_dscnt 0x1
	v_fma_f64 v[4:5], v[34:35], v[4:5], 0
	s_wait_dscnt 0x0
	s_delay_alu instid0(VALU_DEP_1)
	v_mul_f64_e32 v[4:5], v[4:5], v[32:33]
.LBB78_19:
	s_or_b32 exec_lo, exec_lo, s1
	v_cmp_gt_u32_e32 vcc_lo, 2, v0
	s_barrier_signal -1
	s_barrier_wait -1
	ds_store_b64 v36, v[6:7]
	s_wait_dscnt 0x0
	s_barrier_signal -1
	s_barrier_wait -1
	s_and_saveexec_b32 s3, vcc_lo
	s_cbranch_execz .LBB78_23
; %bb.20:
	v_cmp_eq_u32_e64 s1, 1, v0
	v_cmp_eq_u32_e64 s2, 12, v0
	s_delay_alu instid0(VALU_DEP_2) | instskip(SKIP_1) | instid1(VALU_DEP_1)
	v_dual_cndmask_b32 v32, v3, v5, s1 :: v_dual_cndmask_b32 v33, v2, v4, s1
	v_cmp_eq_u32_e64 s1, 2, v0
	v_dual_cndmask_b32 v7, v32, v7, s1 :: v_dual_cndmask_b32 v6, v33, v6, s1
	v_cmp_eq_u32_e64 s1, 3, v0
	s_delay_alu instid0(VALU_DEP_1) | instskip(SKIP_1) | instid1(VALU_DEP_1)
	v_dual_cndmask_b32 v7, v7, v9, s1 :: v_dual_cndmask_b32 v6, v6, v8, s1
	v_cmp_eq_u32_e64 s1, 4, v0
	v_dual_cndmask_b32 v7, v7, v11, s1 :: v_dual_cndmask_b32 v6, v6, v10, s1
	v_cmp_eq_u32_e64 s1, 5, v0
	s_delay_alu instid0(VALU_DEP_1) | instskip(SKIP_1) | instid1(VALU_DEP_1)
	;; [unrolled: 5-line block ×4, first 2 shown]
	v_dual_cndmask_b32 v7, v7, v21, s1 :: v_dual_cndmask_b32 v6, v6, v20, s1
	v_cmp_eq_u32_e64 s1, 10, v0
	v_dual_cndmask_b32 v7, v7, v23, s1 :: v_dual_cndmask_b32 v6, v6, v22, s1
	v_cmp_eq_u32_e64 s1, 11, v0
	s_delay_alu instid0(VALU_DEP_1) | instskip(SKIP_3) | instid1(VALU_DEP_1)
	v_dual_cndmask_b32 v32, v7, v25, s1 :: v_dual_cndmask_b32 v33, v6, v24, s1
	ds_load_b64 v[6:7], v36
	v_cmp_eq_u32_e64 s1, 13, v0
	v_dual_cndmask_b32 v32, v32, v27, s2 :: v_dual_cndmask_b32 v33, v33, v26, s2
	v_dual_cndmask_b32 v32, v32, v29, s1 :: v_dual_cndmask_b32 v34, v33, v28, s1
	v_cmp_eq_u32_e64 s1, 14, v0
	s_delay_alu instid0(VALU_DEP_1) | instskip(SKIP_1) | instid1(VALU_DEP_1)
	v_dual_cndmask_b32 v33, v32, v31, s1 :: v_dual_cndmask_b32 v32, v34, v30, s1
	s_wait_dscnt 0x0
	v_fma_f64 v[6:7], v[32:33], v[6:7], 0
	s_and_saveexec_b32 s1, s0
	s_cbranch_execz .LBB78_22
; %bb.21:
	v_mov_b32_e32 v32, 0
	ds_load_b64 v[32:33], v32 offset:136
	s_wait_dscnt 0x0
	v_fmac_f64_e32 v[6:7], v[4:5], v[32:33]
.LBB78_22:
	s_or_b32 exec_lo, exec_lo, s1
	v_mov_b32_e32 v32, 0
	ds_load_b64 v[32:33], v32 offset:16
	s_wait_dscnt 0x0
	v_mul_f64_e32 v[6:7], v[6:7], v[32:33]
.LBB78_23:
	s_or_b32 exec_lo, exec_lo, s3
	s_delay_alu instid0(SALU_CYCLE_1)
	s_mov_b32 s3, exec_lo
	s_barrier_signal -1
	s_barrier_wait -1
	ds_store_b64 v36, v[8:9]
	s_wait_dscnt 0x0
	s_barrier_signal -1
	s_barrier_wait -1
	v_cmpx_gt_u32_e32 3, v0
	s_cbranch_execz .LBB78_27
; %bb.24:
	v_mov_b64_e32 v[32:33], 0
	v_mov_b64_e32 v[34:35], v[0:1]
	v_lshl_add_u32 v37, v0, 3, 0x80
	s_mov_b32 s4, 0
.LBB78_25:                              ; =>This Inner Loop Header: Depth=1
	s_delay_alu instid0(VALU_DEP_2) | instskip(SKIP_1) | instid1(VALU_DEP_2)
	v_cmp_eq_u32_e64 s1, 1, v34
	v_cmp_eq_u32_e64 s2, 2, v34
	v_dual_cndmask_b32 v38, v3, v5, s1 :: v_dual_cndmask_b32 v39, v2, v4, s1
	v_cmp_eq_u32_e64 s1, 3, v34
	s_delay_alu instid0(VALU_DEP_2) | instskip(SKIP_1) | instid1(VALU_DEP_2)
	v_dual_cndmask_b32 v38, v38, v7, s2 :: v_dual_cndmask_b32 v39, v39, v6, s2
	v_cmp_eq_u32_e64 s2, 4, v34
	v_dual_cndmask_b32 v38, v38, v9, s1 :: v_dual_cndmask_b32 v39, v39, v8, s1
	v_cmp_eq_u32_e64 s1, 5, v34
	s_delay_alu instid0(VALU_DEP_2) | instskip(SKIP_1) | instid1(VALU_DEP_2)
	v_dual_cndmask_b32 v38, v38, v11, s2 :: v_dual_cndmask_b32 v39, v39, v10, s2
	;; [unrolled: 5-line block ×4, first 2 shown]
	v_cmp_eq_u32_e64 s2, 10, v34
	v_dual_cndmask_b32 v38, v38, v21, s1 :: v_dual_cndmask_b32 v39, v39, v20, s1
	v_cmp_eq_u32_e64 s1, 11, v34
	s_delay_alu instid0(VALU_DEP_2)
	v_dual_cndmask_b32 v40, v38, v23, s2 :: v_dual_cndmask_b32 v41, v39, v22, s2
	ds_load_b64 v[38:39], v37
	v_cmp_eq_u32_e64 s2, 12, v34
	v_add_nc_u32_e32 v37, 8, v37
	v_dual_cndmask_b32 v40, v40, v25, s1 :: v_dual_cndmask_b32 v41, v41, v24, s1
	v_cmp_eq_u32_e64 s1, 13, v34
	s_delay_alu instid0(VALU_DEP_2) | instskip(SKIP_2) | instid1(VALU_DEP_3)
	v_dual_cndmask_b32 v40, v40, v27, s2 :: v_dual_cndmask_b32 v41, v41, v26, s2
	v_cmp_eq_u32_e64 s2, 14, v34
	v_add_nc_u64_e32 v[34:35], 1, v[34:35]
	v_dual_cndmask_b32 v40, v40, v29, s1 :: v_dual_cndmask_b32 v42, v41, v28, s1
	s_delay_alu instid0(VALU_DEP_1) | instskip(SKIP_1) | instid1(VALU_DEP_1)
	v_dual_cndmask_b32 v41, v40, v31, s2 :: v_dual_cndmask_b32 v40, v42, v30, s2
	s_wait_dscnt 0x0
	v_fmac_f64_e32 v[32:33], v[40:41], v[38:39]
	s_delay_alu instid0(VALU_DEP_4) | instskip(NEXT) | instid1(VALU_DEP_1)
	v_add_nc_u32_e32 v38, -1, v34
	v_cmp_lt_u32_e64 s1, 1, v38
	s_or_b32 s4, s1, s4
	s_delay_alu instid0(SALU_CYCLE_1)
	s_and_not1_b32 exec_lo, exec_lo, s4
	s_cbranch_execnz .LBB78_25
; %bb.26:
	s_or_b32 exec_lo, exec_lo, s4
	v_mov_b32_e32 v8, 0
	ds_load_b64 v[8:9], v8 offset:24
	s_wait_dscnt 0x0
	v_mul_f64_e32 v[8:9], v[32:33], v[8:9]
.LBB78_27:
	s_or_b32 exec_lo, exec_lo, s3
	v_cmp_gt_u32_e64 s1, 4, v0
	s_barrier_signal -1
	s_barrier_wait -1
	ds_store_b64 v36, v[10:11]
	s_wait_dscnt 0x0
	s_barrier_signal -1
	s_barrier_wait -1
	s_and_saveexec_b32 s4, s1
	s_cbranch_execz .LBB78_31
; %bb.28:
	v_mov_b64_e32 v[32:33], 0
	v_mov_b64_e32 v[34:35], v[0:1]
	v_lshl_add_u32 v37, v0, 3, 0x80
	s_mov_b32 s5, 0
.LBB78_29:                              ; =>This Inner Loop Header: Depth=1
	s_delay_alu instid0(VALU_DEP_2) | instskip(SKIP_1) | instid1(VALU_DEP_2)
	v_cmp_eq_u32_e64 s2, 1, v34
	v_cmp_eq_u32_e64 s3, 2, v34
	v_dual_cndmask_b32 v38, v3, v5, s2 :: v_dual_cndmask_b32 v39, v2, v4, s2
	v_cmp_eq_u32_e64 s2, 3, v34
	s_delay_alu instid0(VALU_DEP_2) | instskip(SKIP_1) | instid1(VALU_DEP_2)
	v_dual_cndmask_b32 v38, v38, v7, s3 :: v_dual_cndmask_b32 v39, v39, v6, s3
	v_cmp_eq_u32_e64 s3, 4, v34
	v_dual_cndmask_b32 v38, v38, v9, s2 :: v_dual_cndmask_b32 v39, v39, v8, s2
	v_cmp_eq_u32_e64 s2, 5, v34
	s_delay_alu instid0(VALU_DEP_2) | instskip(SKIP_1) | instid1(VALU_DEP_2)
	v_dual_cndmask_b32 v38, v38, v11, s3 :: v_dual_cndmask_b32 v39, v39, v10, s3
	;; [unrolled: 5-line block ×4, first 2 shown]
	v_cmp_eq_u32_e64 s3, 10, v34
	v_dual_cndmask_b32 v38, v38, v21, s2 :: v_dual_cndmask_b32 v39, v39, v20, s2
	v_cmp_eq_u32_e64 s2, 11, v34
	s_delay_alu instid0(VALU_DEP_2)
	v_dual_cndmask_b32 v40, v38, v23, s3 :: v_dual_cndmask_b32 v41, v39, v22, s3
	ds_load_b64 v[38:39], v37
	v_cmp_eq_u32_e64 s3, 12, v34
	v_add_nc_u32_e32 v37, 8, v37
	v_dual_cndmask_b32 v40, v40, v25, s2 :: v_dual_cndmask_b32 v41, v41, v24, s2
	v_cmp_eq_u32_e64 s2, 13, v34
	s_delay_alu instid0(VALU_DEP_2) | instskip(SKIP_2) | instid1(VALU_DEP_3)
	v_dual_cndmask_b32 v40, v40, v27, s3 :: v_dual_cndmask_b32 v41, v41, v26, s3
	v_cmp_eq_u32_e64 s3, 14, v34
	v_add_nc_u64_e32 v[34:35], 1, v[34:35]
	v_dual_cndmask_b32 v40, v40, v29, s2 :: v_dual_cndmask_b32 v42, v41, v28, s2
	s_delay_alu instid0(VALU_DEP_1) | instskip(SKIP_1) | instid1(VALU_DEP_1)
	v_dual_cndmask_b32 v41, v40, v31, s3 :: v_dual_cndmask_b32 v40, v42, v30, s3
	s_wait_dscnt 0x0
	v_fmac_f64_e32 v[32:33], v[40:41], v[38:39]
	s_delay_alu instid0(VALU_DEP_4) | instskip(NEXT) | instid1(VALU_DEP_1)
	v_add_nc_u32_e32 v38, -1, v34
	v_cmp_lt_u32_e64 s2, 2, v38
	s_or_b32 s5, s2, s5
	s_delay_alu instid0(SALU_CYCLE_1)
	s_and_not1_b32 exec_lo, exec_lo, s5
	s_cbranch_execnz .LBB78_29
; %bb.30:
	s_or_b32 exec_lo, exec_lo, s5
	v_mov_b32_e32 v10, 0
	ds_load_b64 v[10:11], v10 offset:32
	s_wait_dscnt 0x0
	v_mul_f64_e32 v[10:11], v[32:33], v[10:11]
.LBB78_31:
	s_or_b32 exec_lo, exec_lo, s4
	s_delay_alu instid0(SALU_CYCLE_1)
	s_mov_b32 s4, exec_lo
	s_barrier_signal -1
	s_barrier_wait -1
	ds_store_b64 v36, v[12:13]
	s_wait_dscnt 0x0
	s_barrier_signal -1
	s_barrier_wait -1
	v_cmpx_gt_u32_e32 5, v0
	s_cbranch_execz .LBB78_35
; %bb.32:
	v_mov_b64_e32 v[32:33], 0
	v_mov_b64_e32 v[34:35], v[0:1]
	v_lshl_add_u32 v37, v0, 3, 0x80
	s_mov_b32 s5, 0
.LBB78_33:                              ; =>This Inner Loop Header: Depth=1
	s_delay_alu instid0(VALU_DEP_2) | instskip(SKIP_1) | instid1(VALU_DEP_2)
	v_cmp_eq_u32_e64 s2, 1, v34
	v_cmp_eq_u32_e64 s3, 2, v34
	v_dual_cndmask_b32 v38, v3, v5, s2 :: v_dual_cndmask_b32 v39, v2, v4, s2
	v_cmp_eq_u32_e64 s2, 3, v34
	s_delay_alu instid0(VALU_DEP_2) | instskip(SKIP_1) | instid1(VALU_DEP_2)
	v_dual_cndmask_b32 v38, v38, v7, s3 :: v_dual_cndmask_b32 v39, v39, v6, s3
	v_cmp_eq_u32_e64 s3, 4, v34
	v_dual_cndmask_b32 v38, v38, v9, s2 :: v_dual_cndmask_b32 v39, v39, v8, s2
	v_cmp_eq_u32_e64 s2, 5, v34
	s_delay_alu instid0(VALU_DEP_2) | instskip(SKIP_1) | instid1(VALU_DEP_2)
	v_dual_cndmask_b32 v38, v38, v11, s3 :: v_dual_cndmask_b32 v39, v39, v10, s3
	;; [unrolled: 5-line block ×4, first 2 shown]
	v_cmp_eq_u32_e64 s3, 10, v34
	v_dual_cndmask_b32 v38, v38, v21, s2 :: v_dual_cndmask_b32 v39, v39, v20, s2
	v_cmp_eq_u32_e64 s2, 11, v34
	s_delay_alu instid0(VALU_DEP_2)
	v_dual_cndmask_b32 v40, v38, v23, s3 :: v_dual_cndmask_b32 v41, v39, v22, s3
	ds_load_b64 v[38:39], v37
	v_cmp_eq_u32_e64 s3, 12, v34
	v_add_nc_u32_e32 v37, 8, v37
	v_dual_cndmask_b32 v40, v40, v25, s2 :: v_dual_cndmask_b32 v41, v41, v24, s2
	v_cmp_eq_u32_e64 s2, 13, v34
	s_delay_alu instid0(VALU_DEP_2) | instskip(SKIP_2) | instid1(VALU_DEP_3)
	v_dual_cndmask_b32 v40, v40, v27, s3 :: v_dual_cndmask_b32 v41, v41, v26, s3
	v_cmp_eq_u32_e64 s3, 14, v34
	v_add_nc_u64_e32 v[34:35], 1, v[34:35]
	v_dual_cndmask_b32 v40, v40, v29, s2 :: v_dual_cndmask_b32 v42, v41, v28, s2
	s_delay_alu instid0(VALU_DEP_1) | instskip(SKIP_1) | instid1(VALU_DEP_1)
	v_dual_cndmask_b32 v41, v40, v31, s3 :: v_dual_cndmask_b32 v40, v42, v30, s3
	s_wait_dscnt 0x0
	v_fmac_f64_e32 v[32:33], v[40:41], v[38:39]
	s_delay_alu instid0(VALU_DEP_4) | instskip(NEXT) | instid1(VALU_DEP_1)
	v_add_nc_u32_e32 v38, -1, v34
	v_cmp_lt_u32_e64 s2, 3, v38
	s_or_b32 s5, s2, s5
	s_delay_alu instid0(SALU_CYCLE_1)
	s_and_not1_b32 exec_lo, exec_lo, s5
	s_cbranch_execnz .LBB78_33
; %bb.34:
	s_or_b32 exec_lo, exec_lo, s5
	v_mov_b32_e32 v12, 0
	ds_load_b64 v[12:13], v12 offset:40
	s_wait_dscnt 0x0
	v_mul_f64_e32 v[12:13], v[32:33], v[12:13]
.LBB78_35:
	s_or_b32 exec_lo, exec_lo, s4
	v_cmp_gt_u32_e64 s2, 6, v0
	s_barrier_signal -1
	s_barrier_wait -1
	ds_store_b64 v36, v[14:15]
	s_wait_dscnt 0x0
	s_barrier_signal -1
	s_barrier_wait -1
	s_and_saveexec_b32 s5, s2
	s_cbranch_execz .LBB78_39
; %bb.36:
	v_mov_b64_e32 v[32:33], 0
	v_mov_b64_e32 v[34:35], v[0:1]
	v_lshl_add_u32 v37, v0, 3, 0x80
	s_mov_b32 s6, 0
.LBB78_37:                              ; =>This Inner Loop Header: Depth=1
	s_delay_alu instid0(VALU_DEP_2) | instskip(SKIP_1) | instid1(VALU_DEP_2)
	v_cmp_eq_u32_e64 s3, 1, v34
	v_cmp_eq_u32_e64 s4, 2, v34
	v_dual_cndmask_b32 v38, v3, v5, s3 :: v_dual_cndmask_b32 v39, v2, v4, s3
	v_cmp_eq_u32_e64 s3, 3, v34
	s_delay_alu instid0(VALU_DEP_2) | instskip(SKIP_1) | instid1(VALU_DEP_2)
	v_dual_cndmask_b32 v38, v38, v7, s4 :: v_dual_cndmask_b32 v39, v39, v6, s4
	v_cmp_eq_u32_e64 s4, 4, v34
	v_dual_cndmask_b32 v38, v38, v9, s3 :: v_dual_cndmask_b32 v39, v39, v8, s3
	v_cmp_eq_u32_e64 s3, 5, v34
	s_delay_alu instid0(VALU_DEP_2) | instskip(SKIP_1) | instid1(VALU_DEP_2)
	v_dual_cndmask_b32 v38, v38, v11, s4 :: v_dual_cndmask_b32 v39, v39, v10, s4
	;; [unrolled: 5-line block ×4, first 2 shown]
	v_cmp_eq_u32_e64 s4, 10, v34
	v_dual_cndmask_b32 v38, v38, v21, s3 :: v_dual_cndmask_b32 v39, v39, v20, s3
	v_cmp_eq_u32_e64 s3, 11, v34
	s_delay_alu instid0(VALU_DEP_2)
	v_dual_cndmask_b32 v40, v38, v23, s4 :: v_dual_cndmask_b32 v41, v39, v22, s4
	ds_load_b64 v[38:39], v37
	v_cmp_eq_u32_e64 s4, 12, v34
	v_add_nc_u32_e32 v37, 8, v37
	v_dual_cndmask_b32 v40, v40, v25, s3 :: v_dual_cndmask_b32 v41, v41, v24, s3
	v_cmp_eq_u32_e64 s3, 13, v34
	s_delay_alu instid0(VALU_DEP_2) | instskip(SKIP_2) | instid1(VALU_DEP_3)
	v_dual_cndmask_b32 v40, v40, v27, s4 :: v_dual_cndmask_b32 v41, v41, v26, s4
	v_cmp_eq_u32_e64 s4, 14, v34
	v_add_nc_u64_e32 v[34:35], 1, v[34:35]
	v_dual_cndmask_b32 v40, v40, v29, s3 :: v_dual_cndmask_b32 v42, v41, v28, s3
	s_delay_alu instid0(VALU_DEP_1) | instskip(SKIP_1) | instid1(VALU_DEP_1)
	v_dual_cndmask_b32 v41, v40, v31, s4 :: v_dual_cndmask_b32 v40, v42, v30, s4
	s_wait_dscnt 0x0
	v_fmac_f64_e32 v[32:33], v[40:41], v[38:39]
	s_delay_alu instid0(VALU_DEP_4) | instskip(NEXT) | instid1(VALU_DEP_1)
	v_add_nc_u32_e32 v38, -1, v34
	v_cmp_lt_u32_e64 s3, 4, v38
	s_or_b32 s6, s3, s6
	s_delay_alu instid0(SALU_CYCLE_1)
	s_and_not1_b32 exec_lo, exec_lo, s6
	s_cbranch_execnz .LBB78_37
; %bb.38:
	s_or_b32 exec_lo, exec_lo, s6
	v_mov_b32_e32 v14, 0
	ds_load_b64 v[14:15], v14 offset:48
	s_wait_dscnt 0x0
	v_mul_f64_e32 v[14:15], v[32:33], v[14:15]
.LBB78_39:
	s_or_b32 exec_lo, exec_lo, s5
	s_delay_alu instid0(SALU_CYCLE_1)
	s_mov_b32 s5, exec_lo
	s_barrier_signal -1
	s_barrier_wait -1
	ds_store_b64 v36, v[16:17]
	s_wait_dscnt 0x0
	s_barrier_signal -1
	s_barrier_wait -1
	v_cmpx_gt_u32_e32 7, v0
	s_cbranch_execz .LBB78_43
; %bb.40:
	v_mov_b64_e32 v[32:33], 0
	v_mov_b64_e32 v[34:35], v[0:1]
	v_lshl_add_u32 v37, v0, 3, 0x80
	s_mov_b32 s6, 0
.LBB78_41:                              ; =>This Inner Loop Header: Depth=1
	s_delay_alu instid0(VALU_DEP_2) | instskip(SKIP_1) | instid1(VALU_DEP_2)
	v_cmp_eq_u32_e64 s3, 1, v34
	v_cmp_eq_u32_e64 s4, 2, v34
	v_dual_cndmask_b32 v38, v3, v5, s3 :: v_dual_cndmask_b32 v39, v2, v4, s3
	v_cmp_eq_u32_e64 s3, 3, v34
	s_delay_alu instid0(VALU_DEP_2) | instskip(SKIP_1) | instid1(VALU_DEP_2)
	v_dual_cndmask_b32 v38, v38, v7, s4 :: v_dual_cndmask_b32 v39, v39, v6, s4
	v_cmp_eq_u32_e64 s4, 4, v34
	v_dual_cndmask_b32 v38, v38, v9, s3 :: v_dual_cndmask_b32 v39, v39, v8, s3
	v_cmp_eq_u32_e64 s3, 5, v34
	s_delay_alu instid0(VALU_DEP_2) | instskip(SKIP_1) | instid1(VALU_DEP_2)
	v_dual_cndmask_b32 v38, v38, v11, s4 :: v_dual_cndmask_b32 v39, v39, v10, s4
	;; [unrolled: 5-line block ×4, first 2 shown]
	v_cmp_eq_u32_e64 s4, 10, v34
	v_dual_cndmask_b32 v38, v38, v21, s3 :: v_dual_cndmask_b32 v39, v39, v20, s3
	v_cmp_eq_u32_e64 s3, 11, v34
	s_delay_alu instid0(VALU_DEP_2)
	v_dual_cndmask_b32 v40, v38, v23, s4 :: v_dual_cndmask_b32 v41, v39, v22, s4
	ds_load_b64 v[38:39], v37
	v_cmp_eq_u32_e64 s4, 12, v34
	v_add_nc_u32_e32 v37, 8, v37
	v_dual_cndmask_b32 v40, v40, v25, s3 :: v_dual_cndmask_b32 v41, v41, v24, s3
	v_cmp_eq_u32_e64 s3, 13, v34
	s_delay_alu instid0(VALU_DEP_2) | instskip(SKIP_2) | instid1(VALU_DEP_3)
	v_dual_cndmask_b32 v40, v40, v27, s4 :: v_dual_cndmask_b32 v41, v41, v26, s4
	v_cmp_eq_u32_e64 s4, 14, v34
	v_add_nc_u64_e32 v[34:35], 1, v[34:35]
	v_dual_cndmask_b32 v40, v40, v29, s3 :: v_dual_cndmask_b32 v42, v41, v28, s3
	s_delay_alu instid0(VALU_DEP_1) | instskip(SKIP_1) | instid1(VALU_DEP_1)
	v_dual_cndmask_b32 v41, v40, v31, s4 :: v_dual_cndmask_b32 v40, v42, v30, s4
	s_wait_dscnt 0x0
	v_fmac_f64_e32 v[32:33], v[40:41], v[38:39]
	s_delay_alu instid0(VALU_DEP_4) | instskip(NEXT) | instid1(VALU_DEP_1)
	v_add_nc_u32_e32 v38, -1, v34
	v_cmp_lt_u32_e64 s3, 5, v38
	s_or_b32 s6, s3, s6
	s_delay_alu instid0(SALU_CYCLE_1)
	s_and_not1_b32 exec_lo, exec_lo, s6
	s_cbranch_execnz .LBB78_41
; %bb.42:
	s_or_b32 exec_lo, exec_lo, s6
	v_mov_b32_e32 v16, 0
	ds_load_b64 v[16:17], v16 offset:56
	s_wait_dscnt 0x0
	v_mul_f64_e32 v[16:17], v[32:33], v[16:17]
.LBB78_43:
	s_or_b32 exec_lo, exec_lo, s5
	s_delay_alu instid0(SALU_CYCLE_1)
	s_mov_b32 s5, exec_lo
	s_barrier_signal -1
	s_barrier_wait -1
	ds_store_b64 v36, v[18:19]
	s_wait_dscnt 0x0
	s_barrier_signal -1
	s_barrier_wait -1
	v_cmpx_gt_u32_e32 8, v0
	s_cbranch_execz .LBB78_59
; %bb.44:
	v_cmp_eq_u32_e64 s3, 1, v0
	v_cmp_eq_u32_e64 s4, 12, v0
	s_mov_b32 s6, exec_lo
	v_dual_cndmask_b32 v32, v3, v5, s3 :: v_dual_cndmask_b32 v33, v2, v4, s3
	v_cmp_eq_u32_e64 s3, 2, v0
	s_delay_alu instid0(VALU_DEP_1) | instskip(SKIP_1) | instid1(VALU_DEP_1)
	v_dual_cndmask_b32 v32, v32, v7, s3 :: v_dual_cndmask_b32 v33, v33, v6, s3
	v_cmp_eq_u32_e64 s3, 3, v0
	v_dual_cndmask_b32 v32, v32, v9, s3 :: v_dual_cndmask_b32 v33, v33, v8, s3
	v_cmp_eq_u32_e64 s3, 4, v0
	s_delay_alu instid0(VALU_DEP_1) | instskip(SKIP_1) | instid1(VALU_DEP_1)
	v_dual_cndmask_b32 v32, v32, v11, s3 :: v_dual_cndmask_b32 v33, v33, v10, s3
	v_cmp_eq_u32_e64 s3, 5, v0
	;; [unrolled: 5-line block ×5, first 2 shown]
	v_dual_cndmask_b32 v34, v32, v25, s3 :: v_dual_cndmask_b32 v35, v33, v24, s3
	ds_load_b64 v[32:33], v36
	v_cmp_eq_u32_e64 s3, 13, v0
	v_dual_cndmask_b32 v34, v34, v27, s4 :: v_dual_cndmask_b32 v35, v35, v26, s4
	s_delay_alu instid0(VALU_DEP_1) | instskip(SKIP_1) | instid1(VALU_DEP_1)
	v_dual_cndmask_b32 v34, v34, v29, s3 :: v_dual_cndmask_b32 v37, v35, v28, s3
	v_cmp_eq_u32_e64 s3, 14, v0
	v_dual_cndmask_b32 v35, v34, v31, s3 :: v_dual_cndmask_b32 v34, v37, v30, s3
	s_wait_dscnt 0x0
	s_delay_alu instid0(VALU_DEP_1)
	v_fma_f64 v[32:33], v[34:35], v[32:33], 0
	v_cmpx_ne_u32_e32 7, v0
	s_cbranch_execz .LBB78_58
; %bb.45:
	v_add_nc_u32_e32 v37, 1, v0
	s_delay_alu instid0(VALU_DEP_1) | instskip(NEXT) | instid1(VALU_DEP_1)
	v_cmp_eq_u32_e64 s3, 1, v37
	v_cndmask_b32_e64 v34, v3, v5, s3
	v_cmp_eq_u32_e64 s4, 12, v37
	v_cndmask_b32_e64 v35, v2, v4, s3
	v_cmp_eq_u32_e64 s3, 2, v37
	s_delay_alu instid0(VALU_DEP_1) | instskip(SKIP_1) | instid1(VALU_DEP_1)
	v_dual_cndmask_b32 v34, v34, v7, s3 :: v_dual_cndmask_b32 v35, v35, v6, s3
	v_cmp_eq_u32_e64 s3, 3, v37
	v_dual_cndmask_b32 v34, v34, v9, s3 :: v_dual_cndmask_b32 v35, v35, v8, s3
	v_cmp_eq_u32_e64 s3, 4, v37
	s_delay_alu instid0(VALU_DEP_1) | instskip(SKIP_1) | instid1(VALU_DEP_1)
	v_dual_cndmask_b32 v34, v34, v11, s3 :: v_dual_cndmask_b32 v35, v35, v10, s3
	v_cmp_eq_u32_e64 s3, 5, v37
	v_dual_cndmask_b32 v34, v34, v13, s3 :: v_dual_cndmask_b32 v35, v35, v12, s3
	v_cmp_eq_u32_e64 s3, 6, v37
	s_delay_alu instid0(VALU_DEP_1) | instskip(SKIP_1) | instid1(VALU_DEP_1)
	v_dual_cndmask_b32 v34, v34, v15, s3 :: v_dual_cndmask_b32 v35, v35, v14, s3
	v_cmp_eq_u32_e64 s3, 7, v37
	v_dual_cndmask_b32 v34, v34, v17, s3 :: v_dual_cndmask_b32 v35, v35, v16, s3
	v_cmp_eq_u32_e64 s3, 8, v37
	s_delay_alu instid0(VALU_DEP_1) | instskip(SKIP_1) | instid1(VALU_DEP_1)
	v_dual_cndmask_b32 v34, v34, v19, s3 :: v_dual_cndmask_b32 v35, v35, v18, s3
	v_cmp_eq_u32_e64 s3, 9, v37
	v_dual_cndmask_b32 v34, v34, v21, s3 :: v_dual_cndmask_b32 v35, v35, v20, s3
	v_cmp_eq_u32_e64 s3, 10, v37
	s_delay_alu instid0(VALU_DEP_1) | instskip(SKIP_1) | instid1(VALU_DEP_1)
	v_dual_cndmask_b32 v34, v34, v23, s3 :: v_dual_cndmask_b32 v35, v35, v22, s3
	v_cmp_eq_u32_e64 s3, 11, v37
	v_dual_cndmask_b32 v38, v34, v25, s3 :: v_dual_cndmask_b32 v39, v35, v24, s3
	ds_load_b64 v[34:35], v36 offset:8
	v_cmp_eq_u32_e64 s3, 13, v37
	v_dual_cndmask_b32 v39, v39, v26, s4 :: v_dual_cndmask_b32 v38, v38, v27, s4
	s_delay_alu instid0(VALU_DEP_1) | instskip(SKIP_1) | instid1(VALU_DEP_1)
	v_dual_cndmask_b32 v40, v39, v28, s3 :: v_dual_cndmask_b32 v38, v38, v29, s3
	v_cmp_eq_u32_e64 s3, 14, v37
	v_dual_cndmask_b32 v39, v38, v31, s3 :: v_dual_cndmask_b32 v38, v40, v30, s3
	s_wait_dscnt 0x0
	s_delay_alu instid0(VALU_DEP_1)
	v_fmac_f64_e32 v[32:33], v[38:39], v[34:35]
	s_and_saveexec_b32 s4, s2
	s_cbranch_execz .LBB78_57
; %bb.46:
	v_add_nc_u32_e32 v37, 2, v0
	s_mov_b32 s7, exec_lo
	s_delay_alu instid0(VALU_DEP_1) | instskip(NEXT) | instid1(VALU_DEP_1)
	v_cmp_eq_u32_e64 s2, 1, v37
	v_cndmask_b32_e64 v34, v3, v5, s2
	v_cmp_eq_u32_e64 s3, 12, v37
	v_cndmask_b32_e64 v35, v2, v4, s2
	v_cmp_eq_u32_e64 s2, 2, v37
	s_delay_alu instid0(VALU_DEP_1) | instskip(SKIP_1) | instid1(VALU_DEP_1)
	v_dual_cndmask_b32 v34, v34, v7, s2 :: v_dual_cndmask_b32 v35, v35, v6, s2
	v_cmp_eq_u32_e64 s2, 3, v37
	v_dual_cndmask_b32 v34, v34, v9, s2 :: v_dual_cndmask_b32 v35, v35, v8, s2
	v_cmp_eq_u32_e64 s2, 4, v37
	s_delay_alu instid0(VALU_DEP_1) | instskip(SKIP_1) | instid1(VALU_DEP_1)
	v_dual_cndmask_b32 v34, v34, v11, s2 :: v_dual_cndmask_b32 v35, v35, v10, s2
	v_cmp_eq_u32_e64 s2, 5, v37
	v_dual_cndmask_b32 v34, v34, v13, s2 :: v_dual_cndmask_b32 v35, v35, v12, s2
	;; [unrolled: 5-line block ×5, first 2 shown]
	ds_load_b64 v[34:35], v36 offset:16
	v_cmp_eq_u32_e64 s2, 13, v37
	v_dual_cndmask_b32 v39, v39, v26, s3 :: v_dual_cndmask_b32 v38, v38, v27, s3
	s_delay_alu instid0(VALU_DEP_1) | instskip(SKIP_1) | instid1(VALU_DEP_1)
	v_dual_cndmask_b32 v40, v39, v28, s2 :: v_dual_cndmask_b32 v38, v38, v29, s2
	v_cmp_eq_u32_e64 s2, 14, v37
	v_dual_cndmask_b32 v39, v38, v31, s2 :: v_dual_cndmask_b32 v38, v40, v30, s2
	s_wait_dscnt 0x0
	s_delay_alu instid0(VALU_DEP_1)
	v_fmac_f64_e32 v[32:33], v[38:39], v[34:35]
	v_cmpx_ne_u32_e32 5, v0
	s_cbranch_execz .LBB78_56
; %bb.47:
	v_add_nc_u32_e32 v37, 3, v0
	s_delay_alu instid0(VALU_DEP_1) | instskip(NEXT) | instid1(VALU_DEP_1)
	v_cmp_eq_u32_e64 s2, 1, v37
	v_cndmask_b32_e64 v34, v3, v5, s2
	v_cmp_eq_u32_e64 s3, 12, v37
	v_cndmask_b32_e64 v35, v2, v4, s2
	v_cmp_eq_u32_e64 s2, 2, v37
	s_delay_alu instid0(VALU_DEP_1) | instskip(SKIP_1) | instid1(VALU_DEP_1)
	v_dual_cndmask_b32 v34, v34, v7, s2 :: v_dual_cndmask_b32 v35, v35, v6, s2
	v_cmp_eq_u32_e64 s2, 3, v37
	v_dual_cndmask_b32 v34, v34, v9, s2 :: v_dual_cndmask_b32 v35, v35, v8, s2
	v_cmp_eq_u32_e64 s2, 4, v37
	s_delay_alu instid0(VALU_DEP_1) | instskip(SKIP_1) | instid1(VALU_DEP_1)
	v_dual_cndmask_b32 v34, v34, v11, s2 :: v_dual_cndmask_b32 v35, v35, v10, s2
	v_cmp_eq_u32_e64 s2, 5, v37
	v_dual_cndmask_b32 v34, v34, v13, s2 :: v_dual_cndmask_b32 v35, v35, v12, s2
	;; [unrolled: 5-line block ×5, first 2 shown]
	ds_load_b64 v[34:35], v36 offset:24
	v_cmp_eq_u32_e64 s2, 13, v37
	v_dual_cndmask_b32 v39, v39, v26, s3 :: v_dual_cndmask_b32 v38, v38, v27, s3
	s_delay_alu instid0(VALU_DEP_1) | instskip(SKIP_1) | instid1(VALU_DEP_1)
	v_dual_cndmask_b32 v40, v39, v28, s2 :: v_dual_cndmask_b32 v38, v38, v29, s2
	v_cmp_eq_u32_e64 s2, 14, v37
	v_dual_cndmask_b32 v39, v38, v31, s2 :: v_dual_cndmask_b32 v38, v40, v30, s2
	s_wait_dscnt 0x0
	s_delay_alu instid0(VALU_DEP_1)
	v_fmac_f64_e32 v[32:33], v[38:39], v[34:35]
	s_and_saveexec_b32 s3, s1
	s_cbranch_execz .LBB78_55
; %bb.48:
	v_or_b32_e32 v37, 4, v0
	s_mov_b32 s8, exec_lo
	s_delay_alu instid0(VALU_DEP_1) | instskip(NEXT) | instid1(VALU_DEP_1)
	v_cmp_eq_u32_e64 s1, 1, v37
	v_cndmask_b32_e64 v34, v3, v5, s1
	v_cmp_eq_u32_e64 s2, 12, v37
	v_cndmask_b32_e64 v35, v2, v4, s1
	v_cmp_eq_u32_e64 s1, 2, v37
	s_delay_alu instid0(VALU_DEP_1) | instskip(SKIP_1) | instid1(VALU_DEP_1)
	v_dual_cndmask_b32 v34, v34, v7, s1 :: v_dual_cndmask_b32 v35, v35, v6, s1
	v_cmp_eq_u32_e64 s1, 3, v37
	v_dual_cndmask_b32 v34, v34, v9, s1 :: v_dual_cndmask_b32 v35, v35, v8, s1
	v_cmp_eq_u32_e64 s1, 4, v37
	s_delay_alu instid0(VALU_DEP_1) | instskip(SKIP_1) | instid1(VALU_DEP_1)
	v_dual_cndmask_b32 v34, v34, v11, s1 :: v_dual_cndmask_b32 v35, v35, v10, s1
	v_cmp_eq_u32_e64 s1, 5, v37
	v_dual_cndmask_b32 v34, v34, v13, s1 :: v_dual_cndmask_b32 v35, v35, v12, s1
	;; [unrolled: 5-line block ×5, first 2 shown]
	ds_load_b64 v[34:35], v36 offset:32
	v_cmp_eq_u32_e64 s1, 13, v37
	v_dual_cndmask_b32 v39, v39, v26, s2 :: v_dual_cndmask_b32 v38, v38, v27, s2
	s_delay_alu instid0(VALU_DEP_1) | instskip(SKIP_1) | instid1(VALU_DEP_1)
	v_dual_cndmask_b32 v40, v39, v28, s1 :: v_dual_cndmask_b32 v38, v38, v29, s1
	v_cmp_eq_u32_e64 s1, 14, v37
	v_dual_cndmask_b32 v39, v38, v31, s1 :: v_dual_cndmask_b32 v38, v40, v30, s1
	s_wait_dscnt 0x0
	s_delay_alu instid0(VALU_DEP_1)
	v_fmac_f64_e32 v[32:33], v[38:39], v[34:35]
	v_cmpx_ne_u32_e32 3, v0
	s_cbranch_execz .LBB78_54
; %bb.49:
	v_add_nc_u32_e32 v37, 5, v0
	s_delay_alu instid0(VALU_DEP_1) | instskip(NEXT) | instid1(VALU_DEP_1)
	v_cmp_eq_u32_e64 s1, 1, v37
	v_cndmask_b32_e64 v34, v3, v5, s1
	v_cmp_eq_u32_e64 s2, 12, v37
	v_cndmask_b32_e64 v35, v2, v4, s1
	v_cmp_eq_u32_e64 s1, 2, v37
	s_delay_alu instid0(VALU_DEP_1) | instskip(SKIP_1) | instid1(VALU_DEP_1)
	v_dual_cndmask_b32 v34, v34, v7, s1 :: v_dual_cndmask_b32 v35, v35, v6, s1
	v_cmp_eq_u32_e64 s1, 3, v37
	v_dual_cndmask_b32 v34, v34, v9, s1 :: v_dual_cndmask_b32 v35, v35, v8, s1
	v_cmp_eq_u32_e64 s1, 4, v37
	s_delay_alu instid0(VALU_DEP_1) | instskip(SKIP_1) | instid1(VALU_DEP_1)
	v_dual_cndmask_b32 v34, v34, v11, s1 :: v_dual_cndmask_b32 v35, v35, v10, s1
	v_cmp_eq_u32_e64 s1, 5, v37
	v_dual_cndmask_b32 v34, v34, v13, s1 :: v_dual_cndmask_b32 v35, v35, v12, s1
	;; [unrolled: 5-line block ×5, first 2 shown]
	ds_load_b64 v[34:35], v36 offset:40
	v_cmp_eq_u32_e64 s1, 13, v37
	v_dual_cndmask_b32 v39, v39, v26, s2 :: v_dual_cndmask_b32 v38, v38, v27, s2
	s_delay_alu instid0(VALU_DEP_1) | instskip(SKIP_1) | instid1(VALU_DEP_1)
	v_dual_cndmask_b32 v40, v39, v28, s1 :: v_dual_cndmask_b32 v38, v38, v29, s1
	v_cmp_eq_u32_e64 s1, 14, v37
	v_dual_cndmask_b32 v39, v38, v31, s1 :: v_dual_cndmask_b32 v38, v40, v30, s1
	s_wait_dscnt 0x0
	s_delay_alu instid0(VALU_DEP_1)
	v_fmac_f64_e32 v[32:33], v[38:39], v[34:35]
	s_and_saveexec_b32 s2, vcc_lo
	s_cbranch_execz .LBB78_53
; %bb.50:
	v_or_b32_e32 v34, 6, v0
	s_delay_alu instid0(VALU_DEP_1) | instskip(SKIP_3) | instid1(VALU_DEP_3)
	v_cmp_eq_u32_e32 vcc_lo, 1, v34
	v_dual_cndmask_b32 v35, v3, v5, vcc_lo :: v_dual_cndmask_b32 v37, v2, v4, vcc_lo
	v_cmp_eq_u32_e32 vcc_lo, 2, v34
	v_cmp_eq_u32_e64 s1, 12, v34
	v_dual_cndmask_b32 v35, v35, v7, vcc_lo :: v_dual_cndmask_b32 v37, v37, v6, vcc_lo
	v_cmp_eq_u32_e32 vcc_lo, 3, v34
	s_delay_alu instid0(VALU_DEP_2) | instskip(SKIP_1) | instid1(VALU_DEP_2)
	v_dual_cndmask_b32 v35, v35, v9, vcc_lo :: v_dual_cndmask_b32 v37, v37, v8, vcc_lo
	v_cmp_eq_u32_e32 vcc_lo, 4, v34
	v_dual_cndmask_b32 v35, v35, v11, vcc_lo :: v_dual_cndmask_b32 v37, v37, v10, vcc_lo
	v_cmp_eq_u32_e32 vcc_lo, 5, v34
	s_delay_alu instid0(VALU_DEP_2) | instskip(SKIP_1) | instid1(VALU_DEP_2)
	v_dual_cndmask_b32 v35, v35, v13, vcc_lo :: v_dual_cndmask_b32 v37, v37, v12, vcc_lo
	v_cmp_eq_u32_e32 vcc_lo, 6, v34
	;; [unrolled: 5-line block ×3, first 2 shown]
	v_dual_cndmask_b32 v19, v35, v19 :: v_dual_cndmask_b32 v18, v37, v18
	v_cmp_eq_u32_e32 vcc_lo, 9, v34
	s_delay_alu instid0(VALU_DEP_2) | instskip(SKIP_1) | instid1(VALU_DEP_2)
	v_dual_cndmask_b32 v19, v19, v21 :: v_dual_cndmask_b32 v18, v18, v20
	v_cmp_eq_u32_e32 vcc_lo, 10, v34
	v_dual_cndmask_b32 v19, v19, v23 :: v_dual_cndmask_b32 v18, v18, v22
	v_cmp_eq_u32_e32 vcc_lo, 11, v34
	s_delay_alu instid0(VALU_DEP_2) | instskip(SKIP_3) | instid1(VALU_DEP_1)
	v_dual_cndmask_b32 v35, v19, v25, vcc_lo :: v_dual_cndmask_b32 v37, v18, v24, vcc_lo
	ds_load_b64 v[18:19], v36 offset:48
	v_cmp_eq_u32_e32 vcc_lo, 13, v34
	v_dual_cndmask_b32 v35, v35, v27, s1 :: v_dual_cndmask_b32 v37, v37, v26, s1
	v_dual_cndmask_b32 v35, v35, v29, vcc_lo :: v_dual_cndmask_b32 v37, v37, v28, vcc_lo
	v_cmp_eq_u32_e32 vcc_lo, 14, v34
	s_delay_alu instid0(VALU_DEP_2) | instskip(SKIP_1) | instid1(VALU_DEP_1)
	v_dual_cndmask_b32 v35, v35, v31 :: v_dual_cndmask_b32 v34, v37, v30
	s_wait_dscnt 0x0
	v_fmac_f64_e32 v[32:33], v[34:35], v[18:19]
	s_and_saveexec_b32 s1, s0
	s_cbranch_execz .LBB78_52
; %bb.51:
	ds_load_b64 v[18:19], v36 offset:56
	s_wait_dscnt 0x0
	v_fmac_f64_e32 v[32:33], v[16:17], v[18:19]
.LBB78_52:
	s_or_b32 exec_lo, exec_lo, s1
.LBB78_53:
	s_delay_alu instid0(SALU_CYCLE_1)
	s_or_b32 exec_lo, exec_lo, s2
.LBB78_54:
	s_delay_alu instid0(SALU_CYCLE_1)
	s_or_b32 exec_lo, exec_lo, s8
.LBB78_55:
	s_delay_alu instid0(SALU_CYCLE_1)
	s_or_b32 exec_lo, exec_lo, s3
.LBB78_56:
	s_delay_alu instid0(SALU_CYCLE_1)
	s_or_b32 exec_lo, exec_lo, s7
.LBB78_57:
	s_delay_alu instid0(SALU_CYCLE_1)
	s_or_b32 exec_lo, exec_lo, s4
.LBB78_58:
	s_delay_alu instid0(SALU_CYCLE_1)
	s_or_b32 exec_lo, exec_lo, s6
	v_mov_b32_e32 v18, 0
	ds_load_b64 v[18:19], v18 offset:64
	s_wait_dscnt 0x0
	v_mul_f64_e32 v[18:19], v[32:33], v[18:19]
.LBB78_59:
	s_or_b32 exec_lo, exec_lo, s5
	s_delay_alu instid0(SALU_CYCLE_1)
	s_mov_b32 s1, exec_lo
	s_barrier_signal -1
	s_barrier_wait -1
	ds_store_b64 v36, v[20:21]
	s_wait_dscnt 0x0
	s_barrier_signal -1
	s_barrier_wait -1
	v_cmpx_gt_u32_e32 9, v0
	s_cbranch_execz .LBB78_63
; %bb.60:
	v_mov_b64_e32 v[32:33], 0
	v_mov_b64_e32 v[34:35], v[0:1]
	v_lshl_add_u32 v37, v0, 3, 0x80
	s_mov_b32 s2, 0
.LBB78_61:                              ; =>This Inner Loop Header: Depth=1
	s_delay_alu instid0(VALU_DEP_2) | instskip(SKIP_3) | instid1(VALU_DEP_2)
	v_cmp_eq_u32_e32 vcc_lo, 1, v34
	v_cmp_eq_u32_e64 s0, 2, v34
	v_dual_cndmask_b32 v38, v3, v5 :: v_dual_cndmask_b32 v39, v2, v4
	v_cmp_eq_u32_e32 vcc_lo, 3, v34
	v_dual_cndmask_b32 v38, v38, v7, s0 :: v_dual_cndmask_b32 v39, v39, v6, s0
	v_cmp_eq_u32_e64 s0, 4, v34
	s_delay_alu instid0(VALU_DEP_2) | instskip(SKIP_1) | instid1(VALU_DEP_2)
	v_dual_cndmask_b32 v38, v38, v9 :: v_dual_cndmask_b32 v39, v39, v8
	v_cmp_eq_u32_e32 vcc_lo, 5, v34
	v_dual_cndmask_b32 v38, v38, v11, s0 :: v_dual_cndmask_b32 v39, v39, v10, s0
	v_cmp_eq_u32_e64 s0, 6, v34
	s_delay_alu instid0(VALU_DEP_2) | instskip(SKIP_1) | instid1(VALU_DEP_2)
	;; [unrolled: 5-line block ×4, first 2 shown]
	v_dual_cndmask_b32 v38, v38, v21 :: v_dual_cndmask_b32 v39, v39, v20
	v_cmp_eq_u32_e32 vcc_lo, 11, v34
	v_dual_cndmask_b32 v40, v38, v23, s0 :: v_dual_cndmask_b32 v41, v39, v22, s0
	ds_load_b64 v[38:39], v37
	v_cmp_eq_u32_e64 s0, 12, v34
	v_add_nc_u32_e32 v37, 8, v37
	v_dual_cndmask_b32 v40, v40, v25 :: v_dual_cndmask_b32 v41, v41, v24
	v_cmp_eq_u32_e32 vcc_lo, 13, v34
	s_delay_alu instid0(VALU_DEP_2) | instskip(SKIP_2) | instid1(VALU_DEP_3)
	v_dual_cndmask_b32 v40, v40, v27, s0 :: v_dual_cndmask_b32 v41, v41, v26, s0
	v_cmp_eq_u32_e64 s0, 14, v34
	v_add_nc_u64_e32 v[34:35], 1, v[34:35]
	v_dual_cndmask_b32 v40, v40, v29, vcc_lo :: v_dual_cndmask_b32 v42, v41, v28, vcc_lo
	s_delay_alu instid0(VALU_DEP_1) | instskip(SKIP_1) | instid1(VALU_DEP_1)
	v_dual_cndmask_b32 v41, v40, v31, s0 :: v_dual_cndmask_b32 v40, v42, v30, s0
	s_wait_dscnt 0x0
	v_fmac_f64_e32 v[32:33], v[40:41], v[38:39]
	s_delay_alu instid0(VALU_DEP_4) | instskip(NEXT) | instid1(VALU_DEP_1)
	v_add_nc_u32_e32 v38, -1, v34
	v_cmp_lt_u32_e32 vcc_lo, 7, v38
	s_or_b32 s2, vcc_lo, s2
	s_delay_alu instid0(SALU_CYCLE_1)
	s_and_not1_b32 exec_lo, exec_lo, s2
	s_cbranch_execnz .LBB78_61
; %bb.62:
	s_or_b32 exec_lo, exec_lo, s2
	v_mov_b32_e32 v20, 0
	ds_load_b64 v[20:21], v20 offset:72
	s_wait_dscnt 0x0
	v_mul_f64_e32 v[20:21], v[32:33], v[20:21]
.LBB78_63:
	s_or_b32 exec_lo, exec_lo, s1
	s_delay_alu instid0(SALU_CYCLE_1)
	s_mov_b32 s1, exec_lo
	s_barrier_signal -1
	s_barrier_wait -1
	ds_store_b64 v36, v[22:23]
	s_wait_dscnt 0x0
	s_barrier_signal -1
	s_barrier_wait -1
	v_cmpx_gt_u32_e32 10, v0
	s_cbranch_execz .LBB78_67
; %bb.64:
	v_mov_b64_e32 v[32:33], 0
	v_mov_b64_e32 v[34:35], v[0:1]
	v_lshl_add_u32 v37, v0, 3, 0x80
	s_mov_b32 s2, 0
.LBB78_65:                              ; =>This Inner Loop Header: Depth=1
	s_delay_alu instid0(VALU_DEP_2) | instskip(SKIP_3) | instid1(VALU_DEP_2)
	v_cmp_eq_u32_e32 vcc_lo, 1, v34
	v_cmp_eq_u32_e64 s0, 2, v34
	v_dual_cndmask_b32 v38, v3, v5 :: v_dual_cndmask_b32 v39, v2, v4
	v_cmp_eq_u32_e32 vcc_lo, 3, v34
	v_dual_cndmask_b32 v38, v38, v7, s0 :: v_dual_cndmask_b32 v39, v39, v6, s0
	v_cmp_eq_u32_e64 s0, 4, v34
	s_delay_alu instid0(VALU_DEP_2) | instskip(SKIP_1) | instid1(VALU_DEP_2)
	v_dual_cndmask_b32 v38, v38, v9 :: v_dual_cndmask_b32 v39, v39, v8
	v_cmp_eq_u32_e32 vcc_lo, 5, v34
	v_dual_cndmask_b32 v38, v38, v11, s0 :: v_dual_cndmask_b32 v39, v39, v10, s0
	v_cmp_eq_u32_e64 s0, 6, v34
	s_delay_alu instid0(VALU_DEP_2) | instskip(SKIP_1) | instid1(VALU_DEP_2)
	;; [unrolled: 5-line block ×4, first 2 shown]
	v_dual_cndmask_b32 v38, v38, v21 :: v_dual_cndmask_b32 v39, v39, v20
	v_cmp_eq_u32_e32 vcc_lo, 11, v34
	v_dual_cndmask_b32 v40, v38, v23, s0 :: v_dual_cndmask_b32 v41, v39, v22, s0
	ds_load_b64 v[38:39], v37
	v_cmp_eq_u32_e64 s0, 12, v34
	v_add_nc_u32_e32 v37, 8, v37
	v_dual_cndmask_b32 v40, v40, v25 :: v_dual_cndmask_b32 v41, v41, v24
	v_cmp_eq_u32_e32 vcc_lo, 13, v34
	s_delay_alu instid0(VALU_DEP_2) | instskip(SKIP_2) | instid1(VALU_DEP_3)
	v_dual_cndmask_b32 v40, v40, v27, s0 :: v_dual_cndmask_b32 v41, v41, v26, s0
	v_cmp_eq_u32_e64 s0, 14, v34
	v_add_nc_u64_e32 v[34:35], 1, v[34:35]
	v_dual_cndmask_b32 v40, v40, v29, vcc_lo :: v_dual_cndmask_b32 v42, v41, v28, vcc_lo
	s_delay_alu instid0(VALU_DEP_1) | instskip(SKIP_1) | instid1(VALU_DEP_1)
	v_dual_cndmask_b32 v41, v40, v31, s0 :: v_dual_cndmask_b32 v40, v42, v30, s0
	s_wait_dscnt 0x0
	v_fmac_f64_e32 v[32:33], v[40:41], v[38:39]
	s_delay_alu instid0(VALU_DEP_4) | instskip(NEXT) | instid1(VALU_DEP_1)
	v_add_nc_u32_e32 v38, -1, v34
	v_cmp_lt_u32_e32 vcc_lo, 8, v38
	s_or_b32 s2, vcc_lo, s2
	s_delay_alu instid0(SALU_CYCLE_1)
	s_and_not1_b32 exec_lo, exec_lo, s2
	s_cbranch_execnz .LBB78_65
; %bb.66:
	s_or_b32 exec_lo, exec_lo, s2
	v_mov_b32_e32 v22, 0
	ds_load_b64 v[22:23], v22 offset:80
	s_wait_dscnt 0x0
	v_mul_f64_e32 v[22:23], v[32:33], v[22:23]
.LBB78_67:
	s_or_b32 exec_lo, exec_lo, s1
	s_delay_alu instid0(SALU_CYCLE_1)
	s_mov_b32 s1, exec_lo
	s_barrier_signal -1
	s_barrier_wait -1
	ds_store_b64 v36, v[24:25]
	s_wait_dscnt 0x0
	s_barrier_signal -1
	s_barrier_wait -1
	v_cmpx_gt_u32_e32 11, v0
	s_cbranch_execz .LBB78_71
; %bb.68:
	v_mov_b64_e32 v[32:33], 0
	v_mov_b64_e32 v[34:35], v[0:1]
	v_lshl_add_u32 v37, v0, 3, 0x80
	s_mov_b32 s2, 0
.LBB78_69:                              ; =>This Inner Loop Header: Depth=1
	s_delay_alu instid0(VALU_DEP_2) | instskip(SKIP_3) | instid1(VALU_DEP_2)
	v_cmp_eq_u32_e32 vcc_lo, 1, v34
	v_cmp_eq_u32_e64 s0, 2, v34
	v_dual_cndmask_b32 v38, v3, v5 :: v_dual_cndmask_b32 v39, v2, v4
	v_cmp_eq_u32_e32 vcc_lo, 3, v34
	v_dual_cndmask_b32 v38, v38, v7, s0 :: v_dual_cndmask_b32 v39, v39, v6, s0
	v_cmp_eq_u32_e64 s0, 4, v34
	s_delay_alu instid0(VALU_DEP_2) | instskip(SKIP_1) | instid1(VALU_DEP_2)
	v_dual_cndmask_b32 v38, v38, v9 :: v_dual_cndmask_b32 v39, v39, v8
	v_cmp_eq_u32_e32 vcc_lo, 5, v34
	v_dual_cndmask_b32 v38, v38, v11, s0 :: v_dual_cndmask_b32 v39, v39, v10, s0
	v_cmp_eq_u32_e64 s0, 6, v34
	s_delay_alu instid0(VALU_DEP_2) | instskip(SKIP_1) | instid1(VALU_DEP_2)
	;; [unrolled: 5-line block ×4, first 2 shown]
	v_dual_cndmask_b32 v38, v38, v21 :: v_dual_cndmask_b32 v39, v39, v20
	v_cmp_eq_u32_e32 vcc_lo, 11, v34
	v_dual_cndmask_b32 v40, v38, v23, s0 :: v_dual_cndmask_b32 v41, v39, v22, s0
	ds_load_b64 v[38:39], v37
	v_cmp_eq_u32_e64 s0, 12, v34
	v_add_nc_u32_e32 v37, 8, v37
	v_dual_cndmask_b32 v40, v40, v25 :: v_dual_cndmask_b32 v41, v41, v24
	v_cmp_eq_u32_e32 vcc_lo, 13, v34
	s_delay_alu instid0(VALU_DEP_2) | instskip(SKIP_2) | instid1(VALU_DEP_3)
	v_dual_cndmask_b32 v40, v40, v27, s0 :: v_dual_cndmask_b32 v41, v41, v26, s0
	v_cmp_eq_u32_e64 s0, 14, v34
	v_add_nc_u64_e32 v[34:35], 1, v[34:35]
	v_dual_cndmask_b32 v40, v40, v29, vcc_lo :: v_dual_cndmask_b32 v42, v41, v28, vcc_lo
	s_delay_alu instid0(VALU_DEP_1) | instskip(SKIP_1) | instid1(VALU_DEP_1)
	v_dual_cndmask_b32 v41, v40, v31, s0 :: v_dual_cndmask_b32 v40, v42, v30, s0
	s_wait_dscnt 0x0
	v_fmac_f64_e32 v[32:33], v[40:41], v[38:39]
	s_delay_alu instid0(VALU_DEP_4) | instskip(NEXT) | instid1(VALU_DEP_1)
	v_add_nc_u32_e32 v38, -1, v34
	v_cmp_lt_u32_e32 vcc_lo, 9, v38
	s_or_b32 s2, vcc_lo, s2
	s_delay_alu instid0(SALU_CYCLE_1)
	s_and_not1_b32 exec_lo, exec_lo, s2
	s_cbranch_execnz .LBB78_69
; %bb.70:
	s_or_b32 exec_lo, exec_lo, s2
	v_mov_b32_e32 v24, 0
	ds_load_b64 v[24:25], v24 offset:88
	s_wait_dscnt 0x0
	v_mul_f64_e32 v[24:25], v[32:33], v[24:25]
.LBB78_71:
	s_or_b32 exec_lo, exec_lo, s1
	s_delay_alu instid0(SALU_CYCLE_1)
	s_mov_b32 s1, exec_lo
	s_barrier_signal -1
	s_barrier_wait -1
	ds_store_b64 v36, v[26:27]
	s_wait_dscnt 0x0
	s_barrier_signal -1
	s_barrier_wait -1
	v_cmpx_gt_u32_e32 12, v0
	s_cbranch_execz .LBB78_75
; %bb.72:
	v_mov_b64_e32 v[32:33], 0
	v_mov_b64_e32 v[34:35], v[0:1]
	v_lshl_add_u32 v37, v0, 3, 0x80
	s_mov_b32 s2, 0
.LBB78_73:                              ; =>This Inner Loop Header: Depth=1
	s_delay_alu instid0(VALU_DEP_2) | instskip(SKIP_3) | instid1(VALU_DEP_2)
	v_cmp_eq_u32_e32 vcc_lo, 1, v34
	v_cmp_eq_u32_e64 s0, 2, v34
	v_dual_cndmask_b32 v38, v3, v5 :: v_dual_cndmask_b32 v39, v2, v4
	v_cmp_eq_u32_e32 vcc_lo, 3, v34
	v_dual_cndmask_b32 v38, v38, v7, s0 :: v_dual_cndmask_b32 v39, v39, v6, s0
	v_cmp_eq_u32_e64 s0, 4, v34
	s_delay_alu instid0(VALU_DEP_2) | instskip(SKIP_1) | instid1(VALU_DEP_2)
	v_dual_cndmask_b32 v38, v38, v9 :: v_dual_cndmask_b32 v39, v39, v8
	v_cmp_eq_u32_e32 vcc_lo, 5, v34
	v_dual_cndmask_b32 v38, v38, v11, s0 :: v_dual_cndmask_b32 v39, v39, v10, s0
	v_cmp_eq_u32_e64 s0, 6, v34
	s_delay_alu instid0(VALU_DEP_2) | instskip(SKIP_1) | instid1(VALU_DEP_2)
	;; [unrolled: 5-line block ×4, first 2 shown]
	v_dual_cndmask_b32 v38, v38, v21 :: v_dual_cndmask_b32 v39, v39, v20
	v_cmp_eq_u32_e32 vcc_lo, 11, v34
	v_dual_cndmask_b32 v40, v38, v23, s0 :: v_dual_cndmask_b32 v41, v39, v22, s0
	ds_load_b64 v[38:39], v37
	v_cmp_eq_u32_e64 s0, 12, v34
	v_add_nc_u32_e32 v37, 8, v37
	v_dual_cndmask_b32 v40, v40, v25 :: v_dual_cndmask_b32 v41, v41, v24
	v_cmp_eq_u32_e32 vcc_lo, 13, v34
	s_delay_alu instid0(VALU_DEP_2) | instskip(SKIP_2) | instid1(VALU_DEP_3)
	v_dual_cndmask_b32 v40, v40, v27, s0 :: v_dual_cndmask_b32 v41, v41, v26, s0
	v_cmp_eq_u32_e64 s0, 14, v34
	v_add_nc_u64_e32 v[34:35], 1, v[34:35]
	v_dual_cndmask_b32 v40, v40, v29, vcc_lo :: v_dual_cndmask_b32 v42, v41, v28, vcc_lo
	s_delay_alu instid0(VALU_DEP_1) | instskip(SKIP_1) | instid1(VALU_DEP_1)
	v_dual_cndmask_b32 v41, v40, v31, s0 :: v_dual_cndmask_b32 v40, v42, v30, s0
	s_wait_dscnt 0x0
	v_fmac_f64_e32 v[32:33], v[40:41], v[38:39]
	s_delay_alu instid0(VALU_DEP_4) | instskip(NEXT) | instid1(VALU_DEP_1)
	v_add_nc_u32_e32 v38, -1, v34
	v_cmp_lt_u32_e32 vcc_lo, 10, v38
	s_or_b32 s2, vcc_lo, s2
	s_delay_alu instid0(SALU_CYCLE_1)
	s_and_not1_b32 exec_lo, exec_lo, s2
	s_cbranch_execnz .LBB78_73
; %bb.74:
	s_or_b32 exec_lo, exec_lo, s2
	v_mov_b32_e32 v26, 0
	ds_load_b64 v[26:27], v26 offset:96
	s_wait_dscnt 0x0
	v_mul_f64_e32 v[26:27], v[32:33], v[26:27]
.LBB78_75:
	s_or_b32 exec_lo, exec_lo, s1
	s_delay_alu instid0(SALU_CYCLE_1)
	s_mov_b32 s1, exec_lo
	s_barrier_signal -1
	s_barrier_wait -1
	ds_store_b64 v36, v[28:29]
	s_wait_dscnt 0x0
	s_barrier_signal -1
	s_barrier_wait -1
	v_cmpx_gt_u32_e32 13, v0
	s_cbranch_execz .LBB78_79
; %bb.76:
	v_mov_b64_e32 v[32:33], 0
	v_mov_b64_e32 v[34:35], v[0:1]
	v_lshl_add_u32 v37, v0, 3, 0x80
	s_mov_b32 s2, 0
.LBB78_77:                              ; =>This Inner Loop Header: Depth=1
	s_delay_alu instid0(VALU_DEP_2) | instskip(SKIP_3) | instid1(VALU_DEP_2)
	v_cmp_eq_u32_e32 vcc_lo, 1, v34
	v_cmp_eq_u32_e64 s0, 2, v34
	v_dual_cndmask_b32 v38, v3, v5 :: v_dual_cndmask_b32 v39, v2, v4
	v_cmp_eq_u32_e32 vcc_lo, 3, v34
	v_dual_cndmask_b32 v38, v38, v7, s0 :: v_dual_cndmask_b32 v39, v39, v6, s0
	v_cmp_eq_u32_e64 s0, 4, v34
	s_delay_alu instid0(VALU_DEP_2) | instskip(SKIP_1) | instid1(VALU_DEP_2)
	v_dual_cndmask_b32 v38, v38, v9 :: v_dual_cndmask_b32 v39, v39, v8
	v_cmp_eq_u32_e32 vcc_lo, 5, v34
	v_dual_cndmask_b32 v38, v38, v11, s0 :: v_dual_cndmask_b32 v39, v39, v10, s0
	v_cmp_eq_u32_e64 s0, 6, v34
	s_delay_alu instid0(VALU_DEP_2) | instskip(SKIP_1) | instid1(VALU_DEP_2)
	;; [unrolled: 5-line block ×4, first 2 shown]
	v_dual_cndmask_b32 v38, v38, v21 :: v_dual_cndmask_b32 v39, v39, v20
	v_cmp_eq_u32_e32 vcc_lo, 11, v34
	v_dual_cndmask_b32 v40, v38, v23, s0 :: v_dual_cndmask_b32 v41, v39, v22, s0
	ds_load_b64 v[38:39], v37
	v_cmp_eq_u32_e64 s0, 12, v34
	v_add_nc_u32_e32 v37, 8, v37
	v_dual_cndmask_b32 v40, v40, v25 :: v_dual_cndmask_b32 v41, v41, v24
	v_cmp_eq_u32_e32 vcc_lo, 13, v34
	s_delay_alu instid0(VALU_DEP_2) | instskip(SKIP_2) | instid1(VALU_DEP_3)
	v_dual_cndmask_b32 v40, v40, v27, s0 :: v_dual_cndmask_b32 v41, v41, v26, s0
	v_cmp_eq_u32_e64 s0, 14, v34
	v_add_nc_u64_e32 v[34:35], 1, v[34:35]
	v_dual_cndmask_b32 v40, v40, v29, vcc_lo :: v_dual_cndmask_b32 v42, v41, v28, vcc_lo
	s_delay_alu instid0(VALU_DEP_1) | instskip(SKIP_1) | instid1(VALU_DEP_1)
	v_dual_cndmask_b32 v41, v40, v31, s0 :: v_dual_cndmask_b32 v40, v42, v30, s0
	s_wait_dscnt 0x0
	v_fmac_f64_e32 v[32:33], v[40:41], v[38:39]
	s_delay_alu instid0(VALU_DEP_4) | instskip(NEXT) | instid1(VALU_DEP_1)
	v_add_nc_u32_e32 v38, -1, v34
	v_cmp_lt_u32_e32 vcc_lo, 11, v38
	s_or_b32 s2, vcc_lo, s2
	s_delay_alu instid0(SALU_CYCLE_1)
	s_and_not1_b32 exec_lo, exec_lo, s2
	s_cbranch_execnz .LBB78_77
; %bb.78:
	s_or_b32 exec_lo, exec_lo, s2
	v_mov_b32_e32 v28, 0
	ds_load_b64 v[28:29], v28 offset:104
	s_wait_dscnt 0x0
	v_mul_f64_e32 v[28:29], v[32:33], v[28:29]
.LBB78_79:
	s_or_b32 exec_lo, exec_lo, s1
	s_delay_alu instid0(SALU_CYCLE_1)
	s_mov_b32 s1, exec_lo
	s_barrier_signal -1
	s_barrier_wait -1
	ds_store_b64 v36, v[30:31]
	s_wait_dscnt 0x0
	s_barrier_signal -1
	s_barrier_wait -1
	v_cmpx_ne_u32_e32 14, v0
	s_cbranch_execz .LBB78_83
; %bb.80:
	v_mov_b64_e32 v[32:33], 0
	v_mov_b64_e32 v[34:35], v[0:1]
	v_lshl_add_u32 v36, v0, 3, 0x80
	s_mov_b32 s2, 0
.LBB78_81:                              ; =>This Inner Loop Header: Depth=1
	s_delay_alu instid0(VALU_DEP_2)
	v_cmp_eq_u32_e32 vcc_lo, 1, v34
	v_cmp_eq_u32_e64 s0, 2, v34
	ds_load_b64 v[38:39], v36
	v_dual_cndmask_b32 v1, v3, v5 :: v_dual_add_nc_u32 v36, 8, v36
	v_cndmask_b32_e32 v37, v2, v4, vcc_lo
	v_cmp_eq_u32_e32 vcc_lo, 3, v34
	s_delay_alu instid0(VALU_DEP_3) | instskip(NEXT) | instid1(VALU_DEP_3)
	v_cndmask_b32_e64 v1, v1, v7, s0
	v_cndmask_b32_e64 v37, v37, v6, s0
	v_cmp_eq_u32_e64 s0, 4, v34
	s_delay_alu instid0(VALU_DEP_3) | instskip(NEXT) | instid1(VALU_DEP_3)
	v_cndmask_b32_e32 v1, v1, v9, vcc_lo
	v_cndmask_b32_e32 v37, v37, v8, vcc_lo
	v_cmp_eq_u32_e32 vcc_lo, 5, v34
	s_delay_alu instid0(VALU_DEP_3) | instskip(NEXT) | instid1(VALU_DEP_3)
	v_cndmask_b32_e64 v1, v1, v11, s0
	v_cndmask_b32_e64 v37, v37, v10, s0
	v_cmp_eq_u32_e64 s0, 6, v34
	s_delay_alu instid0(VALU_DEP_3) | instskip(NEXT) | instid1(VALU_DEP_3)
	v_cndmask_b32_e32 v1, v1, v13, vcc_lo
	;; [unrolled: 8-line block ×5, first 2 shown]
	v_cndmask_b32_e32 v37, v37, v24, vcc_lo
	v_cmp_eq_u32_e32 vcc_lo, 13, v34
	s_delay_alu instid0(VALU_DEP_3) | instskip(NEXT) | instid1(VALU_DEP_3)
	v_cndmask_b32_e64 v1, v1, v27, s0
	v_cndmask_b32_e64 v37, v37, v26, s0
	v_cmp_eq_u32_e64 s0, 14, v34
	v_add_nc_u64_e32 v[34:35], 1, v[34:35]
	s_delay_alu instid0(VALU_DEP_4) | instskip(NEXT) | instid1(VALU_DEP_4)
	v_cndmask_b32_e32 v1, v1, v29, vcc_lo
	v_cndmask_b32_e32 v37, v37, v28, vcc_lo
	s_delay_alu instid0(VALU_DEP_2) | instskip(NEXT) | instid1(VALU_DEP_2)
	v_cndmask_b32_e64 v41, v1, v31, s0
	v_cndmask_b32_e64 v40, v37, v30, s0
	v_add_nc_u32_e32 v1, -1, v34
	s_wait_dscnt 0x0
	s_delay_alu instid0(VALU_DEP_2) | instskip(NEXT) | instid1(VALU_DEP_2)
	v_fmac_f64_e32 v[32:33], v[40:41], v[38:39]
	v_cmp_lt_u32_e32 vcc_lo, 12, v1
	s_or_b32 s2, vcc_lo, s2
	s_delay_alu instid0(SALU_CYCLE_1)
	s_and_not1_b32 exec_lo, exec_lo, s2
	s_cbranch_execnz .LBB78_81
; %bb.82:
	s_or_b32 exec_lo, exec_lo, s2
	v_mov_b32_e32 v1, 0
	ds_load_b64 v[30:31], v1 offset:112
	s_wait_dscnt 0x0
	v_mul_f64_e32 v[30:31], v[32:33], v[30:31]
.LBB78_83:
	s_or_b32 exec_lo, exec_lo, s1
	s_barrier_signal -1
	s_barrier_wait -1
	s_cbranch_execnz .LBB78_15
	s_branch .LBB78_16
.LBB78_84:
	s_wait_xcnt 0x0
	v_lshl_add_u32 v1, v0, 3, 0x80
	s_mov_b32 s0, exec_lo
	v_cmpx_eq_u32_e32 14, v0
	s_cbranch_execz .LBB78_86
; %bb.85:
	s_wait_dscnt 0x3
	v_dual_mov_b32 v58, 0 :: v_dual_mov_b32 v56, v26
	s_wait_dscnt 0x1
	v_dual_mov_b32 v32, v2 :: v_dual_mov_b32 v33, v3
	v_dual_mov_b32 v34, v4 :: v_dual_mov_b32 v35, v5
	v_dual_mov_b32 v36, v6 :: v_dual_mov_b32 v37, v7
	v_dual_mov_b32 v38, v8 :: v_dual_mov_b32 v39, v9
	v_dual_mov_b32 v40, v10 :: v_dual_mov_b32 v41, v11
	v_dual_mov_b32 v42, v12 :: v_dual_mov_b32 v43, v13
	v_dual_mov_b32 v44, v14 :: v_dual_mov_b32 v45, v15
	v_dual_mov_b32 v46, v16 :: v_dual_mov_b32 v47, v17
	v_dual_mov_b32 v48, v18 :: v_dual_mov_b32 v49, v19
	v_dual_mov_b32 v50, v20 :: v_dual_mov_b32 v51, v21
	v_dual_mov_b32 v52, v22 :: v_dual_mov_b32 v53, v23
	v_dual_mov_b32 v54, v24 :: v_dual_mov_b32 v55, v25
	s_wait_dscnt 0x0
	v_dual_mov_b32 v57, v27 :: v_dual_mov_b32 v60, v30
	v_dual_mov_b32 v61, v31 :: v_dual_mov_b32 v59, v58
	ds_store_b64 v1, v[28:29]
	v_mov_b64_e32 v[2:3], v[32:33]
	v_mov_b64_e32 v[4:5], v[34:35]
	;; [unrolled: 1-line block ×16, first 2 shown]
.LBB78_86:
	s_or_b32 exec_lo, exec_lo, s0
	v_mov_b32_e32 v56, 0
	s_wait_storecnt_dscnt 0x0
	s_barrier_signal -1
	s_barrier_wait -1
	ds_load_b64 v[32:33], v56 offset:240
	s_mov_b32 s0, exec_lo
	s_wait_dscnt 0x0
	v_fma_f64 v[32:33], v[30:31], v[32:33], 0
	s_delay_alu instid0(VALU_DEP_1)
	v_add_f64_e64 v[28:29], v[28:29], -v[32:33]
	v_cmpx_lt_u32_e32 12, v0
	s_cbranch_execz .LBB78_88
; %bb.87:
	v_dual_mov_b32 v32, v2 :: v_dual_mov_b32 v33, v3
	v_dual_mov_b32 v34, v4 :: v_dual_mov_b32 v35, v5
	;; [unrolled: 1-line block ×14, first 2 shown]
	v_mov_b32_e32 v61, v31
	ds_store_b64 v1, v[26:27]
	v_mov_b64_e32 v[2:3], v[32:33]
	v_mov_b64_e32 v[4:5], v[34:35]
	;; [unrolled: 1-line block ×16, first 2 shown]
.LBB78_88:
	s_or_b32 exec_lo, exec_lo, s0
	s_wait_dscnt 0x0
	s_barrier_signal -1
	s_barrier_wait -1
	ds_load_2addr_b64 v[32:35], v56 offset0:29 offset1:30
	s_mov_b32 s0, exec_lo
	s_wait_dscnt 0x0
	v_fma_f64 v[32:33], v[28:29], v[32:33], 0
	s_delay_alu instid0(VALU_DEP_1) | instskip(NEXT) | instid1(VALU_DEP_1)
	v_fmac_f64_e32 v[32:33], v[30:31], v[34:35]
	v_add_f64_e64 v[26:27], v[26:27], -v[32:33]
	v_cmpx_lt_u32_e32 11, v0
	s_cbranch_execz .LBB78_90
; %bb.89:
	v_dual_mov_b32 v54, 0 :: v_dual_mov_b32 v32, v2
	v_dual_mov_b32 v33, v3 :: v_dual_mov_b32 v34, v4
	;; [unrolled: 1-line block ×15, first 2 shown]
	ds_store_b64 v1, v[24:25]
	v_mov_b64_e32 v[2:3], v[32:33]
	v_mov_b64_e32 v[4:5], v[34:35]
	;; [unrolled: 1-line block ×16, first 2 shown]
.LBB78_90:
	s_or_b32 exec_lo, exec_lo, s0
	v_mov_b32_e32 v52, 0
	s_wait_dscnt 0x0
	s_barrier_signal -1
	s_barrier_wait -1
	ds_load_b128 v[32:35], v52 offset:224
	ds_load_b64 v[36:37], v52 offset:240
	s_mov_b32 s0, exec_lo
	s_wait_dscnt 0x1
	v_fma_f64 v[32:33], v[26:27], v[32:33], 0
	s_delay_alu instid0(VALU_DEP_1) | instskip(SKIP_1) | instid1(VALU_DEP_1)
	v_fmac_f64_e32 v[32:33], v[28:29], v[34:35]
	s_wait_dscnt 0x0
	v_fmac_f64_e32 v[32:33], v[30:31], v[36:37]
	s_delay_alu instid0(VALU_DEP_1)
	v_add_f64_e64 v[24:25], v[24:25], -v[32:33]
	v_cmpx_lt_u32_e32 10, v0
	s_cbranch_execz .LBB78_92
; %bb.91:
	v_dual_mov_b32 v32, v2 :: v_dual_mov_b32 v33, v3
	v_dual_mov_b32 v34, v4 :: v_dual_mov_b32 v35, v5
	;; [unrolled: 1-line block ×14, first 2 shown]
	v_mov_b32_e32 v61, v31
	ds_store_b64 v1, v[22:23]
	v_mov_b64_e32 v[2:3], v[32:33]
	v_mov_b64_e32 v[4:5], v[34:35]
	;; [unrolled: 1-line block ×16, first 2 shown]
.LBB78_92:
	s_or_b32 exec_lo, exec_lo, s0
	s_wait_dscnt 0x0
	s_barrier_signal -1
	s_barrier_wait -1
	ds_load_2addr_b64 v[32:35], v52 offset0:27 offset1:28
	ds_load_2addr_b64 v[36:39], v52 offset0:29 offset1:30
	s_mov_b32 s0, exec_lo
	s_wait_dscnt 0x1
	v_fma_f64 v[32:33], v[24:25], v[32:33], 0
	s_delay_alu instid0(VALU_DEP_1) | instskip(SKIP_1) | instid1(VALU_DEP_1)
	v_fmac_f64_e32 v[32:33], v[26:27], v[34:35]
	s_wait_dscnt 0x0
	v_fmac_f64_e32 v[32:33], v[28:29], v[36:37]
	s_delay_alu instid0(VALU_DEP_1) | instskip(NEXT) | instid1(VALU_DEP_1)
	v_fmac_f64_e32 v[32:33], v[30:31], v[38:39]
	v_add_f64_e64 v[22:23], v[22:23], -v[32:33]
	v_cmpx_lt_u32_e32 9, v0
	s_cbranch_execz .LBB78_94
; %bb.93:
	v_dual_mov_b32 v50, 0 :: v_dual_mov_b32 v32, v2
	v_dual_mov_b32 v33, v3 :: v_dual_mov_b32 v34, v4
	v_dual_mov_b32 v35, v5 :: v_dual_mov_b32 v36, v6
	v_dual_mov_b32 v37, v7 :: v_dual_mov_b32 v38, v8
	v_dual_mov_b32 v39, v9 :: v_dual_mov_b32 v40, v10
	v_dual_mov_b32 v41, v11 :: v_dual_mov_b32 v42, v12
	v_dual_mov_b32 v43, v13 :: v_dual_mov_b32 v44, v14
	v_dual_mov_b32 v45, v15 :: v_dual_mov_b32 v46, v16
	v_dual_mov_b32 v47, v17 :: v_dual_mov_b32 v48, v18
	v_dual_mov_b32 v49, v19 :: v_dual_mov_b32 v51, v50
	v_dual_mov_b32 v52, v22 :: v_dual_mov_b32 v53, v23
	v_dual_mov_b32 v54, v24 :: v_dual_mov_b32 v55, v25
	v_dual_mov_b32 v56, v26 :: v_dual_mov_b32 v57, v27
	v_dual_mov_b32 v58, v28 :: v_dual_mov_b32 v59, v29
	v_dual_mov_b32 v60, v30 :: v_dual_mov_b32 v61, v31
	ds_store_b64 v1, v[20:21]
	v_mov_b64_e32 v[2:3], v[32:33]
	v_mov_b64_e32 v[4:5], v[34:35]
	;; [unrolled: 1-line block ×16, first 2 shown]
.LBB78_94:
	s_or_b32 exec_lo, exec_lo, s0
	v_mov_b32_e32 v48, 0
	s_wait_dscnt 0x0
	s_barrier_signal -1
	s_barrier_wait -1
	ds_load_b128 v[32:35], v48 offset:208
	ds_load_b128 v[36:39], v48 offset:224
	s_mov_b32 s0, exec_lo
	s_wait_dscnt 0x1
	v_fma_f64 v[32:33], v[22:23], v[32:33], 0
	s_delay_alu instid0(VALU_DEP_1) | instskip(SKIP_3) | instid1(VALU_DEP_1)
	v_fmac_f64_e32 v[32:33], v[24:25], v[34:35]
	ds_load_b64 v[34:35], v48 offset:240
	s_wait_dscnt 0x1
	v_fmac_f64_e32 v[32:33], v[26:27], v[36:37]
	v_fmac_f64_e32 v[32:33], v[28:29], v[38:39]
	s_wait_dscnt 0x0
	s_delay_alu instid0(VALU_DEP_1) | instskip(NEXT) | instid1(VALU_DEP_1)
	v_fmac_f64_e32 v[32:33], v[30:31], v[34:35]
	v_add_f64_e64 v[20:21], v[20:21], -v[32:33]
	v_cmpx_lt_u32_e32 8, v0
	s_cbranch_execz .LBB78_96
; %bb.95:
	v_dual_mov_b32 v32, v2 :: v_dual_mov_b32 v33, v3
	v_dual_mov_b32 v34, v4 :: v_dual_mov_b32 v35, v5
	;; [unrolled: 1-line block ×14, first 2 shown]
	v_mov_b32_e32 v61, v31
	ds_store_b64 v1, v[18:19]
	v_mov_b64_e32 v[2:3], v[32:33]
	v_mov_b64_e32 v[4:5], v[34:35]
	;; [unrolled: 1-line block ×16, first 2 shown]
.LBB78_96:
	s_or_b32 exec_lo, exec_lo, s0
	s_wait_dscnt 0x0
	s_barrier_signal -1
	s_barrier_wait -1
	ds_load_2addr_b64 v[32:35], v48 offset0:25 offset1:26
	ds_load_2addr_b64 v[36:39], v48 offset0:27 offset1:28
	s_mov_b32 s0, exec_lo
	s_wait_dscnt 0x1
	v_fma_f64 v[40:41], v[20:21], v[32:33], 0
	s_delay_alu instid0(VALU_DEP_1) | instskip(SKIP_3) | instid1(VALU_DEP_1)
	v_fmac_f64_e32 v[40:41], v[22:23], v[34:35]
	ds_load_2addr_b64 v[32:35], v48 offset0:29 offset1:30
	s_wait_dscnt 0x1
	v_fmac_f64_e32 v[40:41], v[24:25], v[36:37]
	v_fmac_f64_e32 v[40:41], v[26:27], v[38:39]
	s_wait_dscnt 0x0
	s_delay_alu instid0(VALU_DEP_1) | instskip(NEXT) | instid1(VALU_DEP_1)
	v_fmac_f64_e32 v[40:41], v[28:29], v[32:33]
	v_fmac_f64_e32 v[40:41], v[30:31], v[34:35]
	s_delay_alu instid0(VALU_DEP_1)
	v_add_f64_e64 v[18:19], v[18:19], -v[40:41]
	v_cmpx_lt_u32_e32 7, v0
	s_cbranch_execz .LBB78_98
; %bb.97:
	v_dual_mov_b32 v46, 0 :: v_dual_mov_b32 v32, v2
	v_dual_mov_b32 v33, v3 :: v_dual_mov_b32 v34, v4
	;; [unrolled: 1-line block ×15, first 2 shown]
	ds_store_b64 v1, v[16:17]
	v_mov_b64_e32 v[2:3], v[32:33]
	v_mov_b64_e32 v[4:5], v[34:35]
	v_mov_b64_e32 v[6:7], v[36:37]
	v_mov_b64_e32 v[8:9], v[38:39]
	v_mov_b64_e32 v[10:11], v[40:41]
	v_mov_b64_e32 v[12:13], v[42:43]
	v_mov_b64_e32 v[14:15], v[44:45]
	v_mov_b64_e32 v[16:17], v[46:47]
	v_mov_b64_e32 v[18:19], v[48:49]
	v_mov_b64_e32 v[20:21], v[50:51]
	v_mov_b64_e32 v[22:23], v[52:53]
	v_mov_b64_e32 v[24:25], v[54:55]
	v_mov_b64_e32 v[26:27], v[56:57]
	v_mov_b64_e32 v[28:29], v[58:59]
	v_mov_b64_e32 v[30:31], v[60:61]
	v_mov_b64_e32 v[32:33], v[62:63]
.LBB78_98:
	s_or_b32 exec_lo, exec_lo, s0
	v_mov_b32_e32 v44, 0
	s_wait_dscnt 0x0
	s_barrier_signal -1
	s_barrier_wait -1
	ds_load_b128 v[32:35], v44 offset:192
	ds_load_b128 v[36:39], v44 offset:208
	s_mov_b32 s0, exec_lo
	s_wait_dscnt 0x1
	v_fma_f64 v[40:41], v[18:19], v[32:33], 0
	s_delay_alu instid0(VALU_DEP_1) | instskip(SKIP_1) | instid1(VALU_DEP_1)
	v_fmac_f64_e32 v[40:41], v[20:21], v[34:35]
	s_wait_dscnt 0x0
	v_fmac_f64_e32 v[40:41], v[22:23], v[36:37]
	ds_load_b128 v[32:35], v44 offset:224
	ds_load_b64 v[36:37], v44 offset:240
	v_fmac_f64_e32 v[40:41], v[24:25], v[38:39]
	s_wait_dscnt 0x1
	s_delay_alu instid0(VALU_DEP_1) | instskip(NEXT) | instid1(VALU_DEP_1)
	v_fmac_f64_e32 v[40:41], v[26:27], v[32:33]
	v_fmac_f64_e32 v[40:41], v[28:29], v[34:35]
	s_wait_dscnt 0x0
	s_delay_alu instid0(VALU_DEP_1) | instskip(NEXT) | instid1(VALU_DEP_1)
	v_fmac_f64_e32 v[40:41], v[30:31], v[36:37]
	v_add_f64_e64 v[16:17], v[16:17], -v[40:41]
	v_cmpx_lt_u32_e32 6, v0
	s_cbranch_execz .LBB78_100
; %bb.99:
	v_dual_mov_b32 v32, v2 :: v_dual_mov_b32 v33, v3
	v_dual_mov_b32 v34, v4 :: v_dual_mov_b32 v35, v5
	;; [unrolled: 1-line block ×14, first 2 shown]
	v_mov_b32_e32 v61, v31
	ds_store_b64 v1, v[14:15]
	v_mov_b64_e32 v[2:3], v[32:33]
	v_mov_b64_e32 v[4:5], v[34:35]
	;; [unrolled: 1-line block ×16, first 2 shown]
.LBB78_100:
	s_or_b32 exec_lo, exec_lo, s0
	s_wait_dscnt 0x0
	s_barrier_signal -1
	s_barrier_wait -1
	ds_load_2addr_b64 v[32:35], v44 offset0:23 offset1:24
	ds_load_2addr_b64 v[36:39], v44 offset0:25 offset1:26
	s_mov_b32 s0, exec_lo
	s_wait_dscnt 0x1
	v_fma_f64 v[40:41], v[16:17], v[32:33], 0
	s_delay_alu instid0(VALU_DEP_1) | instskip(SKIP_1) | instid1(VALU_DEP_1)
	v_fmac_f64_e32 v[40:41], v[18:19], v[34:35]
	s_wait_dscnt 0x0
	v_fmac_f64_e32 v[40:41], v[20:21], v[36:37]
	s_delay_alu instid0(VALU_DEP_1) | instskip(SKIP_4) | instid1(VALU_DEP_1)
	v_fmac_f64_e32 v[40:41], v[22:23], v[38:39]
	ds_load_2addr_b64 v[32:35], v44 offset0:27 offset1:28
	ds_load_2addr_b64 v[36:39], v44 offset0:29 offset1:30
	s_wait_dscnt 0x1
	v_fmac_f64_e32 v[40:41], v[24:25], v[32:33]
	v_fmac_f64_e32 v[40:41], v[26:27], v[34:35]
	s_wait_dscnt 0x0
	s_delay_alu instid0(VALU_DEP_1) | instskip(NEXT) | instid1(VALU_DEP_1)
	v_fmac_f64_e32 v[40:41], v[28:29], v[36:37]
	v_fmac_f64_e32 v[40:41], v[30:31], v[38:39]
	s_delay_alu instid0(VALU_DEP_1)
	v_add_f64_e64 v[14:15], v[14:15], -v[40:41]
	v_cmpx_lt_u32_e32 5, v0
	s_cbranch_execz .LBB78_102
; %bb.101:
	v_dual_mov_b32 v42, 0 :: v_dual_mov_b32 v32, v2
	v_dual_mov_b32 v33, v3 :: v_dual_mov_b32 v34, v4
	;; [unrolled: 1-line block ×16, first 2 shown]
	v_mov_b64_e32 v[2:3], v[32:33]
	v_mov_b64_e32 v[4:5], v[34:35]
	;; [unrolled: 1-line block ×16, first 2 shown]
	ds_store_b64 v1, v[62:63]
.LBB78_102:
	s_or_b32 exec_lo, exec_lo, s0
	v_mov_b32_e32 v40, 0
	s_wait_dscnt 0x0
	s_barrier_signal -1
	s_barrier_wait -1
	ds_load_b128 v[32:35], v40 offset:176
	ds_load_b128 v[36:39], v40 offset:192
	s_mov_b32 s0, exec_lo
	s_wait_dscnt 0x1
	v_fma_f64 v[42:43], v[14:15], v[32:33], 0
	s_delay_alu instid0(VALU_DEP_1) | instskip(SKIP_1) | instid1(VALU_DEP_1)
	v_fmac_f64_e32 v[42:43], v[16:17], v[34:35]
	s_wait_dscnt 0x0
	v_fmac_f64_e32 v[42:43], v[18:19], v[36:37]
	s_delay_alu instid0(VALU_DEP_1)
	v_fmac_f64_e32 v[42:43], v[20:21], v[38:39]
	ds_load_b128 v[32:35], v40 offset:208
	ds_load_b128 v[36:39], v40 offset:224
	s_wait_dscnt 0x1
	v_fmac_f64_e32 v[42:43], v[22:23], v[32:33]
	ds_load_b64 v[32:33], v40 offset:240
	v_fmac_f64_e32 v[42:43], v[24:25], v[34:35]
	s_wait_dscnt 0x1
	s_delay_alu instid0(VALU_DEP_1) | instskip(NEXT) | instid1(VALU_DEP_1)
	v_fmac_f64_e32 v[42:43], v[26:27], v[36:37]
	v_fmac_f64_e32 v[42:43], v[28:29], v[38:39]
	s_wait_dscnt 0x0
	s_delay_alu instid0(VALU_DEP_1) | instskip(NEXT) | instid1(VALU_DEP_1)
	v_fmac_f64_e32 v[42:43], v[30:31], v[32:33]
	v_add_f64_e64 v[12:13], v[12:13], -v[42:43]
	v_cmpx_lt_u32_e32 4, v0
	s_cbranch_execz .LBB78_104
; %bb.103:
	v_dual_mov_b32 v32, v2 :: v_dual_mov_b32 v33, v3
	v_dual_mov_b32 v34, v4 :: v_dual_mov_b32 v35, v5
	;; [unrolled: 1-line block ×15, first 2 shown]
	v_mov_b32_e32 v63, v11
	v_mov_b64_e32 v[2:3], v[32:33]
	v_mov_b64_e32 v[4:5], v[34:35]
	;; [unrolled: 1-line block ×16, first 2 shown]
	ds_store_b64 v1, v[62:63]
.LBB78_104:
	s_or_b32 exec_lo, exec_lo, s0
	s_wait_dscnt 0x0
	s_barrier_signal -1
	s_barrier_wait -1
	ds_load_2addr_b64 v[32:35], v40 offset0:21 offset1:22
	ds_load_2addr_b64 v[36:39], v40 offset0:23 offset1:24
	s_mov_b32 s0, exec_lo
	s_wait_dscnt 0x1
	v_fma_f64 v[42:43], v[12:13], v[32:33], 0
	s_delay_alu instid0(VALU_DEP_1) | instskip(SKIP_1) | instid1(VALU_DEP_1)
	v_fmac_f64_e32 v[42:43], v[14:15], v[34:35]
	s_wait_dscnt 0x0
	v_fmac_f64_e32 v[42:43], v[16:17], v[36:37]
	s_delay_alu instid0(VALU_DEP_1) | instskip(SKIP_4) | instid1(VALU_DEP_1)
	v_fmac_f64_e32 v[42:43], v[18:19], v[38:39]
	ds_load_2addr_b64 v[32:35], v40 offset0:25 offset1:26
	ds_load_2addr_b64 v[36:39], v40 offset0:27 offset1:28
	s_wait_dscnt 0x1
	v_fmac_f64_e32 v[42:43], v[20:21], v[32:33]
	v_fmac_f64_e32 v[42:43], v[22:23], v[34:35]
	ds_load_2addr_b64 v[32:35], v40 offset0:29 offset1:30
	s_wait_dscnt 0x1
	v_fmac_f64_e32 v[42:43], v[24:25], v[36:37]
	s_delay_alu instid0(VALU_DEP_1) | instskip(SKIP_1) | instid1(VALU_DEP_1)
	v_fmac_f64_e32 v[42:43], v[26:27], v[38:39]
	s_wait_dscnt 0x0
	v_fmac_f64_e32 v[42:43], v[28:29], v[32:33]
	s_delay_alu instid0(VALU_DEP_1) | instskip(NEXT) | instid1(VALU_DEP_1)
	v_fmac_f64_e32 v[42:43], v[30:31], v[34:35]
	v_add_f64_e64 v[10:11], v[10:11], -v[42:43]
	v_cmpx_lt_u32_e32 3, v0
	s_cbranch_execz .LBB78_106
; %bb.105:
	v_dual_mov_b32 v38, 0 :: v_dual_mov_b32 v32, v2
	v_dual_mov_b32 v33, v3 :: v_dual_mov_b32 v34, v4
	;; [unrolled: 1-line block ×3, first 2 shown]
	s_delay_alu instid0(VALU_DEP_3)
	v_dual_mov_b32 v37, v7 :: v_dual_mov_b32 v39, v38
	v_dual_mov_b32 v40, v10 :: v_dual_mov_b32 v41, v11
	;; [unrolled: 1-line block ×13, first 2 shown]
	v_mov_b64_e32 v[2:3], v[32:33]
	v_mov_b64_e32 v[4:5], v[34:35]
	;; [unrolled: 1-line block ×16, first 2 shown]
	ds_store_b64 v1, v[62:63]
.LBB78_106:
	s_or_b32 exec_lo, exec_lo, s0
	v_mov_b32_e32 v36, 0
	s_wait_dscnt 0x0
	s_barrier_signal -1
	s_barrier_wait -1
	ds_load_b128 v[32:35], v36 offset:160
	ds_load_b128 v[38:41], v36 offset:176
	s_mov_b32 s0, exec_lo
	s_wait_dscnt 0x1
	v_fma_f64 v[42:43], v[10:11], v[32:33], 0
	s_delay_alu instid0(VALU_DEP_1) | instskip(SKIP_1) | instid1(VALU_DEP_1)
	v_fmac_f64_e32 v[42:43], v[12:13], v[34:35]
	s_wait_dscnt 0x0
	v_fmac_f64_e32 v[42:43], v[14:15], v[38:39]
	s_delay_alu instid0(VALU_DEP_1) | instskip(SKIP_4) | instid1(VALU_DEP_1)
	v_fmac_f64_e32 v[42:43], v[16:17], v[40:41]
	ds_load_b128 v[32:35], v36 offset:192
	ds_load_b128 v[38:41], v36 offset:208
	s_wait_dscnt 0x1
	v_fmac_f64_e32 v[42:43], v[18:19], v[32:33]
	v_fmac_f64_e32 v[42:43], v[20:21], v[34:35]
	s_wait_dscnt 0x0
	s_delay_alu instid0(VALU_DEP_1) | instskip(SKIP_4) | instid1(VALU_DEP_1)
	v_fmac_f64_e32 v[42:43], v[22:23], v[38:39]
	ds_load_b128 v[32:35], v36 offset:224
	ds_load_b64 v[38:39], v36 offset:240
	v_fmac_f64_e32 v[42:43], v[24:25], v[40:41]
	s_wait_dscnt 0x1
	v_fmac_f64_e32 v[42:43], v[26:27], v[32:33]
	s_delay_alu instid0(VALU_DEP_1) | instskip(SKIP_1) | instid1(VALU_DEP_1)
	v_fmac_f64_e32 v[42:43], v[28:29], v[34:35]
	s_wait_dscnt 0x0
	v_fmac_f64_e32 v[42:43], v[30:31], v[38:39]
	s_delay_alu instid0(VALU_DEP_1)
	v_add_f64_e64 v[8:9], v[8:9], -v[42:43]
	v_cmpx_lt_u32_e32 2, v0
	s_cbranch_execz .LBB78_108
; %bb.107:
	v_dual_mov_b32 v32, v2 :: v_dual_mov_b32 v33, v3
	v_dual_mov_b32 v34, v4 :: v_dual_mov_b32 v35, v5
	s_delay_alu instid0(VALU_DEP_4)
	v_dual_mov_b32 v37, v36 :: v_dual_mov_b32 v38, v8
	v_dual_mov_b32 v39, v9 :: v_dual_mov_b32 v40, v10
	;; [unrolled: 1-line block ×13, first 2 shown]
	v_mov_b32_e32 v63, v7
	v_mov_b64_e32 v[2:3], v[32:33]
	v_mov_b64_e32 v[4:5], v[34:35]
	;; [unrolled: 1-line block ×16, first 2 shown]
	ds_store_b64 v1, v[62:63]
.LBB78_108:
	s_or_b32 exec_lo, exec_lo, s0
	s_wait_dscnt 0x0
	s_barrier_signal -1
	s_barrier_wait -1
	ds_load_2addr_b64 v[32:35], v36 offset0:19 offset1:20
	ds_load_2addr_b64 v[38:41], v36 offset0:21 offset1:22
	s_mov_b32 s0, exec_lo
	s_wait_dscnt 0x1
	v_fma_f64 v[42:43], v[8:9], v[32:33], 0
	s_delay_alu instid0(VALU_DEP_1) | instskip(SKIP_1) | instid1(VALU_DEP_1)
	v_fmac_f64_e32 v[42:43], v[10:11], v[34:35]
	s_wait_dscnt 0x0
	v_fmac_f64_e32 v[42:43], v[12:13], v[38:39]
	s_delay_alu instid0(VALU_DEP_1) | instskip(SKIP_4) | instid1(VALU_DEP_1)
	v_fmac_f64_e32 v[42:43], v[14:15], v[40:41]
	ds_load_2addr_b64 v[32:35], v36 offset0:23 offset1:24
	ds_load_2addr_b64 v[38:41], v36 offset0:25 offset1:26
	s_wait_dscnt 0x1
	v_fmac_f64_e32 v[42:43], v[16:17], v[32:33]
	v_fmac_f64_e32 v[42:43], v[18:19], v[34:35]
	s_wait_dscnt 0x0
	s_delay_alu instid0(VALU_DEP_1) | instskip(SKIP_4) | instid1(VALU_DEP_1)
	v_fmac_f64_e32 v[42:43], v[20:21], v[38:39]
	ds_load_2addr_b64 v[32:35], v36 offset0:27 offset1:28
	ds_load_2addr_b64 v[36:39], v36 offset0:29 offset1:30
	v_fmac_f64_e32 v[42:43], v[22:23], v[40:41]
	s_wait_dscnt 0x1
	v_fmac_f64_e32 v[42:43], v[24:25], v[32:33]
	s_delay_alu instid0(VALU_DEP_1) | instskip(SKIP_1) | instid1(VALU_DEP_1)
	v_fmac_f64_e32 v[42:43], v[26:27], v[34:35]
	s_wait_dscnt 0x0
	v_fmac_f64_e32 v[42:43], v[28:29], v[36:37]
	s_delay_alu instid0(VALU_DEP_1) | instskip(NEXT) | instid1(VALU_DEP_1)
	v_fmac_f64_e32 v[42:43], v[30:31], v[38:39]
	v_add_f64_e64 v[6:7], v[6:7], -v[42:43]
	v_cmpx_lt_u32_e32 1, v0
	s_cbranch_execz .LBB78_110
; %bb.109:
	v_dual_mov_b32 v34, 0 :: v_dual_mov_b32 v32, v2
	s_delay_alu instid0(VALU_DEP_3) | instskip(NEXT) | instid1(VALU_DEP_2)
	v_dual_mov_b32 v33, v3 :: v_dual_mov_b32 v36, v6
	v_dual_mov_b32 v37, v7 :: v_dual_mov_b32 v35, v34
	;; [unrolled: 1-line block ×15, first 2 shown]
	v_mov_b64_e32 v[2:3], v[32:33]
	v_mov_b64_e32 v[4:5], v[34:35]
	v_mov_b64_e32 v[6:7], v[36:37]
	v_mov_b64_e32 v[8:9], v[38:39]
	v_mov_b64_e32 v[10:11], v[40:41]
	v_mov_b64_e32 v[12:13], v[42:43]
	v_mov_b64_e32 v[14:15], v[44:45]
	v_mov_b64_e32 v[16:17], v[46:47]
	v_mov_b64_e32 v[18:19], v[48:49]
	v_mov_b64_e32 v[20:21], v[50:51]
	v_mov_b64_e32 v[22:23], v[52:53]
	v_mov_b64_e32 v[24:25], v[54:55]
	v_mov_b64_e32 v[26:27], v[56:57]
	v_mov_b64_e32 v[28:29], v[58:59]
	v_mov_b64_e32 v[30:31], v[60:61]
	v_mov_b64_e32 v[32:33], v[62:63]
	ds_store_b64 v1, v[62:63]
.LBB78_110:
	s_or_b32 exec_lo, exec_lo, s0
	v_mov_b32_e32 v34, 0
	s_wait_dscnt 0x0
	s_barrier_signal -1
	s_barrier_wait -1
	ds_load_b128 v[36:39], v34 offset:144
	ds_load_b128 v[40:43], v34 offset:160
	v_dual_ashrrev_i32 v65, 31, v64 :: v_dual_ashrrev_i32 v67, 31, v66
	v_dual_ashrrev_i32 v69, 31, v68 :: v_dual_ashrrev_i32 v71, 31, v70
	;; [unrolled: 1-line block ×6, first 2 shown]
	v_ashrrev_i32_e32 v91, 31, v90
	s_mov_b32 s0, exec_lo
	s_wait_dscnt 0x1
	v_fma_f64 v[32:33], v[6:7], v[36:37], 0
	s_delay_alu instid0(VALU_DEP_1) | instskip(SKIP_1) | instid1(VALU_DEP_1)
	v_fmac_f64_e32 v[32:33], v[8:9], v[38:39]
	s_wait_dscnt 0x0
	v_fmac_f64_e32 v[32:33], v[10:11], v[40:41]
	s_delay_alu instid0(VALU_DEP_1) | instskip(SKIP_4) | instid1(VALU_DEP_1)
	v_fmac_f64_e32 v[32:33], v[12:13], v[42:43]
	ds_load_b128 v[36:39], v34 offset:176
	ds_load_b128 v[40:43], v34 offset:192
	s_wait_dscnt 0x1
	v_fmac_f64_e32 v[32:33], v[14:15], v[36:37]
	v_fmac_f64_e32 v[32:33], v[16:17], v[38:39]
	s_wait_dscnt 0x0
	s_delay_alu instid0(VALU_DEP_1) | instskip(NEXT) | instid1(VALU_DEP_1)
	v_fmac_f64_e32 v[32:33], v[18:19], v[40:41]
	v_fmac_f64_e32 v[32:33], v[20:21], v[42:43]
	ds_load_b128 v[36:39], v34 offset:208
	ds_load_b128 v[40:43], v34 offset:224
	s_wait_dscnt 0x1
	v_fmac_f64_e32 v[32:33], v[22:23], v[36:37]
	ds_load_b64 v[36:37], v34 offset:240
	v_fmac_f64_e32 v[32:33], v[24:25], v[38:39]
	s_wait_dscnt 0x1
	s_delay_alu instid0(VALU_DEP_1) | instskip(NEXT) | instid1(VALU_DEP_1)
	v_fmac_f64_e32 v[32:33], v[26:27], v[40:41]
	v_fmac_f64_e32 v[32:33], v[28:29], v[42:43]
	s_wait_dscnt 0x0
	s_delay_alu instid0(VALU_DEP_1) | instskip(NEXT) | instid1(VALU_DEP_1)
	v_fmac_f64_e32 v[32:33], v[30:31], v[36:37]
	v_add_f64_e64 v[4:5], v[4:5], -v[32:33]
	v_cmpx_ne_u32_e32 0, v0
	s_cbranch_execz .LBB78_112
; %bb.111:
	s_delay_alu instid0(VALU_DEP_2) | instskip(NEXT) | instid1(VALU_DEP_3)
	v_dual_mov_b32 v35, v34 :: v_dual_mov_b32 v36, v4
	v_dual_mov_b32 v37, v5 :: v_dual_mov_b32 v38, v6
	v_dual_mov_b32 v39, v7 :: v_dual_mov_b32 v40, v8
	v_dual_mov_b32 v41, v9 :: v_dual_mov_b32 v42, v10
	v_dual_mov_b32 v43, v11 :: v_dual_mov_b32 v44, v12
	v_dual_mov_b32 v45, v13 :: v_dual_mov_b32 v46, v14
	v_dual_mov_b32 v47, v15 :: v_dual_mov_b32 v48, v16
	v_dual_mov_b32 v49, v17 :: v_dual_mov_b32 v50, v18
	v_dual_mov_b32 v51, v19 :: v_dual_mov_b32 v52, v20
	v_dual_mov_b32 v53, v21 :: v_dual_mov_b32 v54, v22
	v_dual_mov_b32 v55, v23 :: v_dual_mov_b32 v56, v24
	v_dual_mov_b32 v57, v25 :: v_dual_mov_b32 v58, v26
	v_dual_mov_b32 v59, v27 :: v_dual_mov_b32 v60, v28
	v_dual_mov_b32 v61, v29 :: v_dual_mov_b32 v62, v30
	v_dual_mov_b32 v63, v31 :: v_dual_mov_b32 v94, v2
	v_mov_b32_e32 v95, v3
	v_mov_b64_e32 v[2:3], v[34:35]
	v_mov_b64_e32 v[4:5], v[36:37]
	;; [unrolled: 1-line block ×16, first 2 shown]
	ds_store_b64 v1, v[94:95]
.LBB78_112:
	s_or_b32 exec_lo, exec_lo, s0
	s_wait_dscnt 0x0
	s_barrier_signal -1
	s_barrier_wait -1
	ds_load_2addr_b64 v[36:39], v34 offset0:17 offset1:18
	ds_load_2addr_b64 v[40:43], v34 offset0:19 offset1:20
	s_and_b32 vcc_lo, exec_lo, s15
	s_wait_dscnt 0x1
	v_fma_f64 v[0:1], v[4:5], v[36:37], 0
	s_delay_alu instid0(VALU_DEP_1) | instskip(SKIP_1) | instid1(VALU_DEP_1)
	v_fmac_f64_e32 v[0:1], v[6:7], v[38:39]
	s_wait_dscnt 0x0
	v_fmac_f64_e32 v[0:1], v[8:9], v[40:41]
	s_delay_alu instid0(VALU_DEP_1) | instskip(SKIP_4) | instid1(VALU_DEP_1)
	v_fmac_f64_e32 v[0:1], v[10:11], v[42:43]
	ds_load_2addr_b64 v[36:39], v34 offset0:21 offset1:22
	ds_load_2addr_b64 v[40:43], v34 offset0:23 offset1:24
	s_wait_dscnt 0x1
	v_fmac_f64_e32 v[0:1], v[12:13], v[36:37]
	v_fmac_f64_e32 v[0:1], v[14:15], v[38:39]
	s_wait_dscnt 0x0
	s_delay_alu instid0(VALU_DEP_1) | instskip(NEXT) | instid1(VALU_DEP_1)
	v_fmac_f64_e32 v[0:1], v[16:17], v[40:41]
	v_fmac_f64_e32 v[0:1], v[18:19], v[42:43]
	ds_load_2addr_b64 v[36:39], v34 offset0:25 offset1:26
	ds_load_2addr_b64 v[40:43], v34 offset0:27 offset1:28
	;; [unrolled: 1-line block ×3, first 2 shown]
	s_wait_dscnt 0x2
	v_fmac_f64_e32 v[0:1], v[20:21], v[36:37]
	s_delay_alu instid0(VALU_DEP_1) | instskip(SKIP_1) | instid1(VALU_DEP_1)
	v_fmac_f64_e32 v[0:1], v[22:23], v[38:39]
	s_wait_dscnt 0x1
	v_fmac_f64_e32 v[0:1], v[24:25], v[40:41]
	s_delay_alu instid0(VALU_DEP_1) | instskip(SKIP_1) | instid1(VALU_DEP_1)
	v_fmac_f64_e32 v[0:1], v[26:27], v[42:43]
	s_wait_dscnt 0x0
	v_fmac_f64_e32 v[0:1], v[28:29], v[32:33]
	s_delay_alu instid0(VALU_DEP_1) | instskip(NEXT) | instid1(VALU_DEP_1)
	v_fmac_f64_e32 v[0:1], v[30:31], v[34:35]
	v_add_f64_e64 v[2:3], v[2:3], -v[0:1]
	s_cbranch_vccz .LBB78_141
; %bb.113:
	v_mov_b32_e32 v0, 0
	global_load_b32 v1, v0, s[20:21] offset:52
	s_wait_loadcnt 0x0
	v_readfirstlane_b32 s0, v1
	s_add_co_i32 s0, s0, -1
	s_delay_alu instid0(SALU_CYCLE_1)
	s_cmp_lg_u32 s0, 13
	s_cbranch_scc0 .LBB78_115
; %bb.114:
	s_lshl_b32 m0, s0, 1
	v_movrels_b32_e32 v1, v2
	v_movrels_b32_e32 v62, v3
	v_mov_b64_e32 v[60:61], v[32:33]
	v_mov_b64_e32 v[58:59], v[30:31]
	;; [unrolled: 1-line block ×16, first 2 shown]
	v_dual_mov_b32 v56, v1 :: v_dual_mov_b32 v57, v62
	s_delay_alu instid0(VALU_DEP_2) | instskip(NEXT) | instid1(VALU_DEP_3)
	v_movreld_b32_e32 v30, v28
	v_movreld_b32_e32 v31, v29
	v_mov_b64_e32 v[2:3], v[30:31]
	v_mov_b64_e32 v[4:5], v[32:33]
	;; [unrolled: 1-line block ×16, first 2 shown]
.LBB78_115:
	global_load_b32 v0, v0, s[20:21] offset:48
	s_wait_loadcnt 0x0
	v_readfirstlane_b32 s0, v0
	s_add_co_i32 s0, s0, -1
	s_delay_alu instid0(SALU_CYCLE_1)
	s_cmp_eq_u32 s0, 12
	s_cbranch_scc1 .LBB78_117
; %bb.116:
	s_lshl_b32 m0, s0, 1
	v_movrels_b32_e32 v0, v2
	v_movrels_b32_e32 v1, v3
	v_mov_b64_e32 v[58:59], v[32:33]
	v_mov_b64_e32 v[56:57], v[30:31]
	;; [unrolled: 1-line block ×16, first 2 shown]
	v_dual_mov_b32 v52, v0 :: v_dual_mov_b32 v53, v1
	s_delay_alu instid0(VALU_DEP_2) | instskip(NEXT) | instid1(VALU_DEP_3)
	v_movreld_b32_e32 v28, v26
	v_movreld_b32_e32 v29, v27
	v_mov_b64_e32 v[2:3], v[28:29]
	v_mov_b64_e32 v[4:5], v[30:31]
	;; [unrolled: 1-line block ×16, first 2 shown]
.LBB78_117:
	v_mov_b32_e32 v0, 0
	global_load_b32 v1, v0, s[20:21] offset:44
	s_wait_loadcnt 0x0
	v_readfirstlane_b32 s0, v1
	s_add_co_i32 s0, s0, -1
	s_delay_alu instid0(SALU_CYCLE_1)
	s_cmp_eq_u32 s0, 11
	s_cbranch_scc1 .LBB78_119
; %bb.118:
	s_lshl_b32 m0, s0, 1
	v_movrels_b32_e32 v1, v2
	v_movrels_b32_e32 v58, v3
	v_mov_b64_e32 v[56:57], v[32:33]
	v_mov_b64_e32 v[54:55], v[30:31]
	;; [unrolled: 1-line block ×16, first 2 shown]
	v_dual_mov_b32 v48, v1 :: v_dual_mov_b32 v49, v58
	s_delay_alu instid0(VALU_DEP_2) | instskip(NEXT) | instid1(VALU_DEP_3)
	v_movreld_b32_e32 v26, v24
	v_movreld_b32_e32 v27, v25
	v_mov_b64_e32 v[2:3], v[26:27]
	v_mov_b64_e32 v[4:5], v[28:29]
	;; [unrolled: 1-line block ×16, first 2 shown]
.LBB78_119:
	global_load_b32 v0, v0, s[20:21] offset:40
	s_wait_loadcnt 0x0
	v_readfirstlane_b32 s0, v0
	s_add_co_i32 s0, s0, -1
	s_delay_alu instid0(SALU_CYCLE_1)
	s_cmp_eq_u32 s0, 10
	s_cbranch_scc1 .LBB78_121
; %bb.120:
	s_lshl_b32 m0, s0, 1
	v_movrels_b32_e32 v0, v2
	v_movrels_b32_e32 v1, v3
	v_mov_b64_e32 v[54:55], v[32:33]
	v_mov_b64_e32 v[52:53], v[30:31]
	;; [unrolled: 1-line block ×16, first 2 shown]
	v_dual_mov_b32 v44, v0 :: v_dual_mov_b32 v45, v1
	s_delay_alu instid0(VALU_DEP_2) | instskip(NEXT) | instid1(VALU_DEP_3)
	v_movreld_b32_e32 v24, v22
	v_movreld_b32_e32 v25, v23
	v_mov_b64_e32 v[2:3], v[24:25]
	v_mov_b64_e32 v[4:5], v[26:27]
	;; [unrolled: 1-line block ×16, first 2 shown]
.LBB78_121:
	v_mov_b32_e32 v0, 0
	global_load_b32 v1, v0, s[20:21] offset:36
	s_wait_loadcnt 0x0
	v_readfirstlane_b32 s0, v1
	s_add_co_i32 s0, s0, -1
	s_delay_alu instid0(SALU_CYCLE_1)
	s_cmp_eq_u32 s0, 9
	s_cbranch_scc1 .LBB78_123
; %bb.122:
	s_lshl_b32 m0, s0, 1
	v_movrels_b32_e32 v1, v2
	v_movrels_b32_e32 v54, v3
	v_mov_b64_e32 v[52:53], v[32:33]
	v_mov_b64_e32 v[50:51], v[30:31]
	;; [unrolled: 1-line block ×16, first 2 shown]
	v_dual_mov_b32 v40, v1 :: v_dual_mov_b32 v41, v54
	s_delay_alu instid0(VALU_DEP_2) | instskip(NEXT) | instid1(VALU_DEP_3)
	v_movreld_b32_e32 v22, v20
	v_movreld_b32_e32 v23, v21
	v_mov_b64_e32 v[2:3], v[22:23]
	v_mov_b64_e32 v[4:5], v[24:25]
	;; [unrolled: 1-line block ×16, first 2 shown]
.LBB78_123:
	global_load_b32 v0, v0, s[20:21] offset:32
	s_wait_loadcnt 0x0
	v_readfirstlane_b32 s0, v0
	s_add_co_i32 s0, s0, -1
	s_delay_alu instid0(SALU_CYCLE_1)
	s_cmp_eq_u32 s0, 8
	s_cbranch_scc1 .LBB78_125
; %bb.124:
	s_lshl_b32 m0, s0, 1
	v_movrels_b32_e32 v0, v2
	v_movrels_b32_e32 v1, v3
	v_mov_b64_e32 v[50:51], v[32:33]
	v_mov_b64_e32 v[48:49], v[30:31]
	;; [unrolled: 1-line block ×16, first 2 shown]
	v_dual_mov_b32 v36, v0 :: v_dual_mov_b32 v37, v1
	s_delay_alu instid0(VALU_DEP_2) | instskip(NEXT) | instid1(VALU_DEP_3)
	v_movreld_b32_e32 v20, v18
	v_movreld_b32_e32 v21, v19
	v_mov_b64_e32 v[2:3], v[20:21]
	v_mov_b64_e32 v[4:5], v[22:23]
	;; [unrolled: 1-line block ×16, first 2 shown]
.LBB78_125:
	v_mov_b32_e32 v0, 0
	global_load_b32 v1, v0, s[20:21] offset:28
	s_wait_loadcnt 0x0
	v_readfirstlane_b32 s0, v1
	s_add_co_i32 s0, s0, -1
	s_delay_alu instid0(SALU_CYCLE_1)
	s_cmp_eq_u32 s0, 7
	s_cbranch_scc1 .LBB78_127
; %bb.126:
	s_lshl_b32 m0, s0, 1
	v_movrels_b32_e32 v1, v2
	v_movrels_b32_e32 v50, v3
	v_mov_b64_e32 v[48:49], v[32:33]
	v_mov_b64_e32 v[46:47], v[30:31]
	;; [unrolled: 1-line block ×16, first 2 shown]
	v_dual_mov_b32 v32, v1 :: v_dual_mov_b32 v33, v50
	s_delay_alu instid0(VALU_DEP_2) | instskip(NEXT) | instid1(VALU_DEP_3)
	v_movreld_b32_e32 v18, v16
	v_movreld_b32_e32 v19, v17
	v_mov_b64_e32 v[2:3], v[18:19]
	v_mov_b64_e32 v[4:5], v[20:21]
	;; [unrolled: 1-line block ×16, first 2 shown]
.LBB78_127:
	global_load_b32 v0, v0, s[20:21] offset:24
	s_wait_loadcnt 0x0
	v_readfirstlane_b32 s0, v0
	s_add_co_i32 s0, s0, -1
	s_delay_alu instid0(SALU_CYCLE_1)
	s_cmp_eq_u32 s0, 6
	s_cbranch_scc1 .LBB78_129
; %bb.128:
	s_lshl_b32 m0, s0, 1
	v_movrels_b32_e32 v0, v2
	v_movrels_b32_e32 v1, v3
	v_mov_b64_e32 v[46:47], v[32:33]
	v_mov_b64_e32 v[44:45], v[30:31]
	;; [unrolled: 1-line block ×16, first 2 shown]
	v_dual_mov_b32 v28, v0 :: v_dual_mov_b32 v29, v1
	s_delay_alu instid0(VALU_DEP_2) | instskip(NEXT) | instid1(VALU_DEP_3)
	v_movreld_b32_e32 v16, v14
	v_movreld_b32_e32 v17, v15
	v_mov_b64_e32 v[2:3], v[16:17]
	v_mov_b64_e32 v[4:5], v[18:19]
	;; [unrolled: 1-line block ×16, first 2 shown]
.LBB78_129:
	v_mov_b32_e32 v0, 0
	global_load_b32 v1, v0, s[20:21] offset:20
	s_wait_loadcnt 0x0
	v_readfirstlane_b32 s0, v1
	s_add_co_i32 s0, s0, -1
	s_delay_alu instid0(SALU_CYCLE_1)
	s_cmp_eq_u32 s0, 5
	s_cbranch_scc1 .LBB78_131
; %bb.130:
	s_lshl_b32 m0, s0, 1
	v_movrels_b32_e32 v1, v2
	v_movrels_b32_e32 v46, v3
	v_mov_b64_e32 v[44:45], v[32:33]
	v_mov_b64_e32 v[42:43], v[30:31]
	;; [unrolled: 1-line block ×16, first 2 shown]
	v_dual_mov_b32 v24, v1 :: v_dual_mov_b32 v25, v46
	s_delay_alu instid0(VALU_DEP_2) | instskip(NEXT) | instid1(VALU_DEP_3)
	v_movreld_b32_e32 v14, v12
	v_movreld_b32_e32 v15, v13
	v_mov_b64_e32 v[2:3], v[14:15]
	v_mov_b64_e32 v[4:5], v[16:17]
	;; [unrolled: 1-line block ×16, first 2 shown]
.LBB78_131:
	global_load_b32 v0, v0, s[20:21] offset:16
	s_wait_loadcnt 0x0
	v_readfirstlane_b32 s0, v0
	s_add_co_i32 s0, s0, -1
	s_delay_alu instid0(SALU_CYCLE_1)
	s_cmp_eq_u32 s0, 4
	s_cbranch_scc1 .LBB78_133
; %bb.132:
	s_lshl_b32 m0, s0, 1
	v_movrels_b32_e32 v0, v2
	v_movrels_b32_e32 v1, v3
	v_mov_b64_e32 v[42:43], v[32:33]
	v_mov_b64_e32 v[40:41], v[30:31]
	;; [unrolled: 1-line block ×16, first 2 shown]
	v_dual_mov_b32 v20, v0 :: v_dual_mov_b32 v21, v1
	s_delay_alu instid0(VALU_DEP_2) | instskip(NEXT) | instid1(VALU_DEP_3)
	v_movreld_b32_e32 v12, v10
	v_movreld_b32_e32 v13, v11
	v_mov_b64_e32 v[2:3], v[12:13]
	v_mov_b64_e32 v[4:5], v[14:15]
	;; [unrolled: 1-line block ×16, first 2 shown]
.LBB78_133:
	v_mov_b32_e32 v0, 0
	global_load_b32 v1, v0, s[20:21] offset:12
	s_wait_loadcnt 0x0
	v_readfirstlane_b32 s0, v1
	s_add_co_i32 s0, s0, -1
	s_delay_alu instid0(SALU_CYCLE_1)
	s_cmp_eq_u32 s0, 3
	s_cbranch_scc1 .LBB78_135
; %bb.134:
	s_lshl_b32 m0, s0, 1
	v_movrels_b32_e32 v1, v2
	v_movrels_b32_e32 v42, v3
	v_mov_b64_e32 v[40:41], v[32:33]
	v_mov_b64_e32 v[38:39], v[30:31]
	;; [unrolled: 1-line block ×16, first 2 shown]
	v_dual_mov_b32 v16, v1 :: v_dual_mov_b32 v17, v42
	s_delay_alu instid0(VALU_DEP_2) | instskip(NEXT) | instid1(VALU_DEP_3)
	v_movreld_b32_e32 v10, v8
	v_movreld_b32_e32 v11, v9
	v_mov_b64_e32 v[2:3], v[10:11]
	v_mov_b64_e32 v[4:5], v[12:13]
	;; [unrolled: 1-line block ×16, first 2 shown]
.LBB78_135:
	global_load_b32 v0, v0, s[20:21] offset:8
	s_wait_loadcnt 0x0
	v_readfirstlane_b32 s0, v0
	s_add_co_i32 s0, s0, -1
	s_delay_alu instid0(SALU_CYCLE_1)
	s_cmp_eq_u32 s0, 2
	s_cbranch_scc1 .LBB78_137
; %bb.136:
	s_lshl_b32 m0, s0, 1
	v_movrels_b32_e32 v0, v2
	v_movrels_b32_e32 v1, v3
	v_mov_b64_e32 v[38:39], v[32:33]
	v_mov_b64_e32 v[36:37], v[30:31]
	v_mov_b64_e32 v[34:35], v[28:29]
	v_mov_b64_e32 v[32:33], v[26:27]
	v_mov_b64_e32 v[30:31], v[24:25]
	v_mov_b64_e32 v[28:29], v[22:23]
	v_mov_b64_e32 v[26:27], v[20:21]
	v_mov_b64_e32 v[24:25], v[18:19]
	v_mov_b64_e32 v[22:23], v[16:17]
	v_mov_b64_e32 v[20:21], v[14:15]
	v_mov_b64_e32 v[18:19], v[12:13]
	v_mov_b64_e32 v[16:17], v[10:11]
	v_mov_b64_e32 v[14:15], v[8:9]
	v_mov_b64_e32 v[12:13], v[6:7]
	v_mov_b64_e32 v[10:11], v[4:5]
	v_mov_b64_e32 v[8:9], v[2:3]
	v_dual_mov_b32 v12, v0 :: v_dual_mov_b32 v13, v1
	s_delay_alu instid0(VALU_DEP_2) | instskip(NEXT) | instid1(VALU_DEP_3)
	v_movreld_b32_e32 v8, v6
	v_movreld_b32_e32 v9, v7
	v_mov_b64_e32 v[2:3], v[8:9]
	v_mov_b64_e32 v[4:5], v[10:11]
	;; [unrolled: 1-line block ×16, first 2 shown]
.LBB78_137:
	v_mov_b32_e32 v0, 0
	global_load_b32 v1, v0, s[20:21] offset:4
	s_wait_loadcnt 0x0
	v_readfirstlane_b32 s0, v1
	s_add_co_i32 s0, s0, -1
	s_delay_alu instid0(SALU_CYCLE_1)
	s_cmp_eq_u32 s0, 1
	s_cbranch_scc1 .LBB78_139
; %bb.138:
	s_lshl_b32 m0, s0, 1
	v_movrels_b32_e32 v1, v2
	v_movrels_b32_e32 v38, v3
	v_mov_b64_e32 v[36:37], v[32:33]
	v_mov_b64_e32 v[34:35], v[30:31]
	v_mov_b64_e32 v[32:33], v[28:29]
	v_mov_b64_e32 v[30:31], v[26:27]
	v_mov_b64_e32 v[28:29], v[24:25]
	v_mov_b64_e32 v[26:27], v[22:23]
	v_mov_b64_e32 v[24:25], v[20:21]
	v_mov_b64_e32 v[22:23], v[18:19]
	v_mov_b64_e32 v[20:21], v[16:17]
	v_mov_b64_e32 v[18:19], v[14:15]
	v_mov_b64_e32 v[16:17], v[12:13]
	v_mov_b64_e32 v[14:15], v[10:11]
	v_mov_b64_e32 v[12:13], v[8:9]
	v_mov_b64_e32 v[10:11], v[6:7]
	v_mov_b64_e32 v[8:9], v[4:5]
	v_mov_b64_e32 v[6:7], v[2:3]
	v_dual_mov_b32 v8, v1 :: v_dual_mov_b32 v9, v38
	s_delay_alu instid0(VALU_DEP_2) | instskip(NEXT) | instid1(VALU_DEP_3)
	v_movreld_b32_e32 v6, v4
	v_movreld_b32_e32 v7, v5
	v_mov_b64_e32 v[2:3], v[6:7]
	s_delay_alu instid0(VALU_DEP_4)
	v_mov_b64_e32 v[4:5], v[8:9]
	v_mov_b64_e32 v[6:7], v[10:11]
	;; [unrolled: 1-line block ×15, first 2 shown]
.LBB78_139:
	global_load_b32 v0, v0, s[20:21]
	s_wait_loadcnt 0x0
	v_readfirstlane_b32 s0, v0
	s_add_co_i32 s0, s0, -1
	s_delay_alu instid0(SALU_CYCLE_1)
	s_cmp_eq_u32 s0, 0
	s_cbranch_scc1 .LBB78_141
; %bb.140:
	s_lshl_b32 m0, s0, 1
	v_movrels_b32_e32 v0, v2
	v_movrels_b32_e32 v1, v3
	v_mov_b64_e32 v[34:35], v[32:33]
	v_mov_b64_e32 v[32:33], v[30:31]
	v_mov_b64_e32 v[30:31], v[28:29]
	v_mov_b64_e32 v[28:29], v[26:27]
	v_mov_b64_e32 v[26:27], v[24:25]
	v_mov_b64_e32 v[24:25], v[22:23]
	v_mov_b64_e32 v[22:23], v[20:21]
	v_mov_b64_e32 v[20:21], v[18:19]
	v_mov_b64_e32 v[18:19], v[16:17]
	v_mov_b64_e32 v[16:17], v[14:15]
	v_mov_b64_e32 v[14:15], v[12:13]
	v_mov_b64_e32 v[12:13], v[10:11]
	v_mov_b64_e32 v[10:11], v[8:9]
	v_mov_b64_e32 v[8:9], v[6:7]
	v_mov_b64_e32 v[6:7], v[4:5]
	v_mov_b64_e32 v[4:5], v[2:3]
	v_dual_mov_b32 v4, v0 :: v_dual_mov_b32 v5, v1
	s_delay_alu instid0(VALU_DEP_1) | instskip(NEXT) | instid1(VALU_DEP_2)
	v_movreld_b32_e32 v4, v2
	v_movreld_b32_e32 v5, v3
	v_mov_b64_e32 v[2:3], v[4:5]
	v_mov_b64_e32 v[4:5], v[6:7]
	;; [unrolled: 1-line block ×16, first 2 shown]
.LBB78_141:
	v_lshl_add_u64 v[50:51], v[64:65], 3, s[16:17]
	v_lshl_add_u64 v[52:53], v[66:67], 3, s[16:17]
	;; [unrolled: 1-line block ×4, first 2 shown]
	s_clause 0x4
	flat_store_b64 v[72:73], v[2:3]
	flat_store_b64 v[76:77], v[4:5]
	;; [unrolled: 1-line block ×5, first 2 shown]
	s_wait_xcnt 0x4
	v_dual_mov_b32 v2, v12 :: v_dual_mov_b32 v3, v13
	v_lshl_add_u64 v[42:43], v[74:75], 3, s[16:17]
	s_wait_xcnt 0x3
	v_dual_mov_b32 v4, v14 :: v_dual_mov_b32 v5, v15
	v_lshl_add_u64 v[44:45], v[78:79], 3, s[16:17]
	;; [unrolled: 3-line block ×5, first 2 shown]
	s_clause 0x4
	flat_store_b64 v[40:41], v[2:3]
	flat_store_b64 v[42:43], v[4:5]
	flat_store_b64 v[44:45], v[6:7]
	flat_store_b64 v[46:47], v[8:9]
	flat_store_b64 v[48:49], v[10:11]
	s_wait_xcnt 0x4
	v_dual_mov_b32 v2, v22 :: v_dual_mov_b32 v3, v23
	v_lshl_add_u64 v[32:33], v[86:87], 3, s[16:17]
	s_wait_xcnt 0x3
	v_dual_mov_b32 v4, v24 :: v_dual_mov_b32 v5, v25
	v_lshl_add_u64 v[34:35], v[88:89], 3, s[16:17]
	;; [unrolled: 3-line block ×4, first 2 shown]
	s_wait_xcnt 0x0
	v_dual_mov_b32 v10, v30 :: v_dual_mov_b32 v11, v31
	s_clause 0x4
	flat_store_b64 v[0:1], v[2:3]
	flat_store_b64 v[32:33], v[4:5]
	;; [unrolled: 1-line block ×5, first 2 shown]
	s_sendmsg sendmsg(MSG_DEALLOC_VGPRS)
	s_endpgm
	.section	.rodata,"a",@progbits
	.p2align	6, 0x0
	.amdhsa_kernel _ZN9rocsolver6v33100L18getri_kernel_smallILi15EdPKPdEEvT1_iilPiilS6_bb
		.amdhsa_group_segment_fixed_size 248
		.amdhsa_private_segment_fixed_size 0
		.amdhsa_kernarg_size 60
		.amdhsa_user_sgpr_count 2
		.amdhsa_user_sgpr_dispatch_ptr 0
		.amdhsa_user_sgpr_queue_ptr 0
		.amdhsa_user_sgpr_kernarg_segment_ptr 1
		.amdhsa_user_sgpr_dispatch_id 0
		.amdhsa_user_sgpr_kernarg_preload_length 0
		.amdhsa_user_sgpr_kernarg_preload_offset 0
		.amdhsa_user_sgpr_private_segment_size 0
		.amdhsa_wavefront_size32 1
		.amdhsa_uses_dynamic_stack 0
		.amdhsa_enable_private_segment 0
		.amdhsa_system_sgpr_workgroup_id_x 1
		.amdhsa_system_sgpr_workgroup_id_y 0
		.amdhsa_system_sgpr_workgroup_id_z 0
		.amdhsa_system_sgpr_workgroup_info 0
		.amdhsa_system_vgpr_workitem_id 0
		.amdhsa_next_free_vgpr 96
		.amdhsa_next_free_sgpr 24
		.amdhsa_named_barrier_count 0
		.amdhsa_reserve_vcc 1
		.amdhsa_float_round_mode_32 0
		.amdhsa_float_round_mode_16_64 0
		.amdhsa_float_denorm_mode_32 3
		.amdhsa_float_denorm_mode_16_64 3
		.amdhsa_fp16_overflow 0
		.amdhsa_memory_ordered 1
		.amdhsa_forward_progress 1
		.amdhsa_inst_pref_size 135
		.amdhsa_round_robin_scheduling 0
		.amdhsa_exception_fp_ieee_invalid_op 0
		.amdhsa_exception_fp_denorm_src 0
		.amdhsa_exception_fp_ieee_div_zero 0
		.amdhsa_exception_fp_ieee_overflow 0
		.amdhsa_exception_fp_ieee_underflow 0
		.amdhsa_exception_fp_ieee_inexact 0
		.amdhsa_exception_int_div_zero 0
	.end_amdhsa_kernel
	.section	.text._ZN9rocsolver6v33100L18getri_kernel_smallILi15EdPKPdEEvT1_iilPiilS6_bb,"axG",@progbits,_ZN9rocsolver6v33100L18getri_kernel_smallILi15EdPKPdEEvT1_iilPiilS6_bb,comdat
.Lfunc_end78:
	.size	_ZN9rocsolver6v33100L18getri_kernel_smallILi15EdPKPdEEvT1_iilPiilS6_bb, .Lfunc_end78-_ZN9rocsolver6v33100L18getri_kernel_smallILi15EdPKPdEEvT1_iilPiilS6_bb
                                        ; -- End function
	.set _ZN9rocsolver6v33100L18getri_kernel_smallILi15EdPKPdEEvT1_iilPiilS6_bb.num_vgpr, 96
	.set _ZN9rocsolver6v33100L18getri_kernel_smallILi15EdPKPdEEvT1_iilPiilS6_bb.num_agpr, 0
	.set _ZN9rocsolver6v33100L18getri_kernel_smallILi15EdPKPdEEvT1_iilPiilS6_bb.numbered_sgpr, 24
	.set _ZN9rocsolver6v33100L18getri_kernel_smallILi15EdPKPdEEvT1_iilPiilS6_bb.num_named_barrier, 0
	.set _ZN9rocsolver6v33100L18getri_kernel_smallILi15EdPKPdEEvT1_iilPiilS6_bb.private_seg_size, 0
	.set _ZN9rocsolver6v33100L18getri_kernel_smallILi15EdPKPdEEvT1_iilPiilS6_bb.uses_vcc, 1
	.set _ZN9rocsolver6v33100L18getri_kernel_smallILi15EdPKPdEEvT1_iilPiilS6_bb.uses_flat_scratch, 1
	.set _ZN9rocsolver6v33100L18getri_kernel_smallILi15EdPKPdEEvT1_iilPiilS6_bb.has_dyn_sized_stack, 0
	.set _ZN9rocsolver6v33100L18getri_kernel_smallILi15EdPKPdEEvT1_iilPiilS6_bb.has_recursion, 0
	.set _ZN9rocsolver6v33100L18getri_kernel_smallILi15EdPKPdEEvT1_iilPiilS6_bb.has_indirect_call, 0
	.section	.AMDGPU.csdata,"",@progbits
; Kernel info:
; codeLenInByte = 17208
; TotalNumSgprs: 26
; NumVgprs: 96
; ScratchSize: 0
; MemoryBound: 0
; FloatMode: 240
; IeeeMode: 1
; LDSByteSize: 248 bytes/workgroup (compile time only)
; SGPRBlocks: 0
; VGPRBlocks: 5
; NumSGPRsForWavesPerEU: 26
; NumVGPRsForWavesPerEU: 96
; NamedBarCnt: 0
; Occupancy: 10
; WaveLimiterHint : 1
; COMPUTE_PGM_RSRC2:SCRATCH_EN: 0
; COMPUTE_PGM_RSRC2:USER_SGPR: 2
; COMPUTE_PGM_RSRC2:TRAP_HANDLER: 0
; COMPUTE_PGM_RSRC2:TGID_X_EN: 1
; COMPUTE_PGM_RSRC2:TGID_Y_EN: 0
; COMPUTE_PGM_RSRC2:TGID_Z_EN: 0
; COMPUTE_PGM_RSRC2:TIDIG_COMP_CNT: 0
	.section	.text._ZN9rocsolver6v33100L18getri_kernel_smallILi16EdPKPdEEvT1_iilPiilS6_bb,"axG",@progbits,_ZN9rocsolver6v33100L18getri_kernel_smallILi16EdPKPdEEvT1_iilPiilS6_bb,comdat
	.globl	_ZN9rocsolver6v33100L18getri_kernel_smallILi16EdPKPdEEvT1_iilPiilS6_bb ; -- Begin function _ZN9rocsolver6v33100L18getri_kernel_smallILi16EdPKPdEEvT1_iilPiilS6_bb
	.p2align	8
	.type	_ZN9rocsolver6v33100L18getri_kernel_smallILi16EdPKPdEEvT1_iilPiilS6_bb,@function
_ZN9rocsolver6v33100L18getri_kernel_smallILi16EdPKPdEEvT1_iilPiilS6_bb: ; @_ZN9rocsolver6v33100L18getri_kernel_smallILi16EdPKPdEEvT1_iilPiilS6_bb
; %bb.0:
	s_mov_b32 s2, exec_lo
	v_cmpx_gt_u32_e32 16, v0
	s_cbranch_execz .LBB79_16
; %bb.1:
	s_clause 0x1
	s_load_b32 s6, s[0:1], 0x38
	s_load_b64 s[2:3], s[0:1], 0x0
	s_getreg_b32 s7, hwreg(HW_REG_IB_STS2, 6, 4)
	s_load_b128 s[16:19], s[0:1], 0x28
                                        ; implicit-def: $sgpr20_sgpr21
	s_wait_kmcnt 0x0
	s_bitcmp1_b32 s6, 8
	s_cselect_b32 s24, -1, 0
	s_bfe_u32 s4, ttmp6, 0x4000c
	s_and_b32 s5, ttmp6, 15
	s_add_co_i32 s4, s4, 1
	s_delay_alu instid0(SALU_CYCLE_1) | instskip(NEXT) | instid1(SALU_CYCLE_1)
	s_mul_i32 s4, ttmp9, s4
	s_add_co_i32 s5, s5, s4
	s_cmp_eq_u32 s7, 0
	s_cselect_b32 s22, ttmp9, s5
	s_delay_alu instid0(SALU_CYCLE_1) | instskip(NEXT) | instid1(SALU_CYCLE_1)
	s_ashr_i32 s23, s22, 31
	s_lshl_b64 s[4:5], s[22:23], 3
	s_delay_alu instid0(SALU_CYCLE_1)
	s_add_nc_u64 s[2:3], s[2:3], s[4:5]
	s_bfe_u32 s4, s6, 0x10008
	s_load_b64 s[2:3], s[2:3], 0x0
	s_cmp_eq_u32 s4, 0
	s_cbranch_scc1 .LBB79_3
; %bb.2:
	s_load_b96 s[4:6], s[0:1], 0x18
	s_mul_u64 s[8:9], s[16:17], s[22:23]
	s_delay_alu instid0(SALU_CYCLE_1) | instskip(SKIP_4) | instid1(SALU_CYCLE_1)
	s_lshl_b64 s[8:9], s[8:9], 2
	s_wait_kmcnt 0x0
	s_ashr_i32 s7, s6, 31
	s_add_nc_u64 s[4:5], s[4:5], s[8:9]
	s_lshl_b64 s[6:7], s[6:7], 2
	s_add_nc_u64 s[20:21], s[4:5], s[6:7]
.LBB79_3:
	s_clause 0x1
	s_load_b64 s[4:5], s[0:1], 0x8
	s_load_b32 s6, s[0:1], 0x38
	v_dual_mov_b32 v1, 0 :: v_dual_lshlrev_b32 v34, 3, v0
	s_delay_alu instid0(VALU_DEP_1) | instskip(SKIP_4) | instid1(SALU_CYCLE_1)
	v_mov_b32_e32 v35, v1
	s_wait_kmcnt 0x0
	v_add3_u32 v64, s5, s5, v0
	s_ashr_i32 s1, s4, 31
	s_mov_b32 s0, s4
	s_lshl_b64 s[0:1], s[0:1], 3
	s_delay_alu instid0(VALU_DEP_1)
	v_add_nc_u32_e32 v66, s5, v64
	s_add_nc_u64 s[16:17], s[2:3], s[0:1]
	s_ashr_i32 s1, s5, 31
	s_mov_b32 s0, s5
	s_bitcmp0_b32 s6, 0
	v_add_nc_u32_e32 v68, s5, v66
	v_add_nc_u64_e32 v[78:79], s[16:17], v[34:35]
	s_delay_alu instid0(VALU_DEP_2) | instskip(NEXT) | instid1(VALU_DEP_2)
	v_add_nc_u32_e32 v70, s5, v68
	v_lshl_add_u64 v[82:83], s[0:1], 3, v[78:79]
	s_mov_b32 s0, -1
	s_delay_alu instid0(VALU_DEP_2) | instskip(SKIP_2) | instid1(VALU_DEP_1)
	v_add_nc_u32_e32 v72, s5, v70
	flat_load_b64 v[4:5], v[82:83]
	v_add_nc_u32_e32 v74, s5, v72
	v_add_nc_u32_e32 v76, s5, v74
	s_clause 0x3
	flat_load_b64 v[6:7], v64, s[16:17] scale_offset
	flat_load_b64 v[8:9], v66, s[16:17] scale_offset
	;; [unrolled: 1-line block ×4, first 2 shown]
	v_add_nc_u32_e32 v80, s5, v76
	s_clause 0x3
	flat_load_b64 v[14:15], v72, s[16:17] scale_offset
	flat_load_b64 v[16:17], v74, s[16:17] scale_offset
	;; [unrolled: 1-line block ×4, first 2 shown]
	v_add_nc_u32_e32 v84, s5, v80
	s_delay_alu instid0(VALU_DEP_1) | instskip(NEXT) | instid1(VALU_DEP_1)
	v_add_nc_u32_e32 v86, s5, v84
	v_add_nc_u32_e32 v88, s5, v86
	s_delay_alu instid0(VALU_DEP_1) | instskip(NEXT) | instid1(VALU_DEP_1)
	v_add_nc_u32_e32 v90, s5, v88
	v_add_nc_u32_e32 v92, s5, v90
	s_delay_alu instid0(VALU_DEP_1)
	v_add_nc_u32_e32 v94, s5, v92
	s_clause 0x6
	flat_load_b64 v[22:23], v84, s[16:17] scale_offset
	flat_load_b64 v[24:25], v86, s[16:17] scale_offset
	;; [unrolled: 1-line block ×7, first 2 shown]
	s_cbranch_scc1 .LBB79_14
; %bb.4:
	v_cmp_eq_u32_e64 s0, 0, v0
	s_wait_xcnt 0x0
	s_and_saveexec_b32 s1, s0
; %bb.5:
	v_mov_b32_e32 v35, 0
	ds_store_b32 v35, v35 offset:256
; %bb.6:
	s_or_b32 exec_lo, exec_lo, s1
	v_cmp_eq_u32_e32 vcc_lo, 1, v0
	s_mov_b32 s2, exec_lo
	s_wait_loadcnt_dscnt 0x0
	s_barrier_signal -1
	s_barrier_wait -1
	v_dual_cndmask_b32 v35, v3, v5 :: v_dual_cndmask_b32 v36, v2, v4
	v_cmp_eq_u32_e32 vcc_lo, 2, v0
	s_delay_alu instid0(VALU_DEP_2) | instskip(SKIP_1) | instid1(VALU_DEP_2)
	v_dual_cndmask_b32 v35, v35, v7 :: v_dual_cndmask_b32 v36, v36, v6
	v_cmp_eq_u32_e32 vcc_lo, 3, v0
	v_dual_cndmask_b32 v35, v35, v9 :: v_dual_cndmask_b32 v36, v36, v8
	v_cmp_eq_u32_e32 vcc_lo, 4, v0
	s_delay_alu instid0(VALU_DEP_2) | instskip(SKIP_1) | instid1(VALU_DEP_2)
	v_dual_cndmask_b32 v35, v35, v11 :: v_dual_cndmask_b32 v36, v36, v10
	v_cmp_eq_u32_e32 vcc_lo, 5, v0
	;; [unrolled: 5-line block ×7, first 2 shown]
	v_dual_cndmask_b32 v37, v35, v33 :: v_dual_cndmask_b32 v36, v36, v32
	s_delay_alu instid0(VALU_DEP_1)
	v_cmpx_eq_f64_e32 0, v[36:37]
	s_cbranch_execz .LBB79_10
; %bb.7:
	v_mov_b32_e32 v35, 0
	s_mov_b32 s3, 0
	ds_load_b32 v38, v35 offset:256
	s_wait_dscnt 0x0
	v_readfirstlane_b32 s1, v38
	v_add_nc_u32_e32 v38, 1, v0
	s_cmp_eq_u32 s1, 0
	s_delay_alu instid0(VALU_DEP_1) | instskip(SKIP_1) | instid1(SALU_CYCLE_1)
	v_cmp_gt_i32_e32 vcc_lo, s1, v38
	s_cselect_b32 s4, -1, 0
	s_or_b32 s4, s4, vcc_lo
	s_delay_alu instid0(SALU_CYCLE_1)
	s_and_b32 exec_lo, exec_lo, s4
	s_cbranch_execz .LBB79_10
; %bb.8:
	v_mov_b32_e32 v39, s1
.LBB79_9:                               ; =>This Inner Loop Header: Depth=1
	ds_cmpstore_rtn_b32 v39, v35, v38, v39 offset:256
	s_wait_dscnt 0x0
	v_cmp_ne_u32_e32 vcc_lo, 0, v39
	v_cmp_le_i32_e64 s1, v39, v38
	s_and_b32 s1, vcc_lo, s1
	s_delay_alu instid0(SALU_CYCLE_1) | instskip(NEXT) | instid1(SALU_CYCLE_1)
	s_and_b32 s1, exec_lo, s1
	s_or_b32 s3, s1, s3
	s_delay_alu instid0(SALU_CYCLE_1)
	s_and_not1_b32 exec_lo, exec_lo, s3
	s_cbranch_execnz .LBB79_9
.LBB79_10:
	s_or_b32 exec_lo, exec_lo, s2
	v_mov_b32_e32 v35, 0
	s_barrier_signal -1
	s_barrier_wait -1
	ds_load_b32 v38, v35 offset:256
	s_and_saveexec_b32 s1, s0
	s_cbranch_execz .LBB79_12
; %bb.11:
	s_lshl_b64 s[2:3], s[22:23], 2
	s_delay_alu instid0(SALU_CYCLE_1)
	s_add_nc_u64 s[2:3], s[18:19], s[2:3]
	s_wait_dscnt 0x0
	global_store_b32 v35, v38, s[2:3]
.LBB79_12:
	s_wait_xcnt 0x0
	s_or_b32 exec_lo, exec_lo, s1
	s_wait_dscnt 0x0
	v_cmp_ne_u32_e32 vcc_lo, 0, v38
	s_cbranch_vccz .LBB79_17
; %bb.13:
	s_mov_b32 s0, 0
                                        ; implicit-def: $vgpr2_vgpr3_vgpr4_vgpr5_vgpr6_vgpr7_vgpr8_vgpr9_vgpr10_vgpr11_vgpr12_vgpr13_vgpr14_vgpr15_vgpr16_vgpr17_vgpr18_vgpr19_vgpr20_vgpr21_vgpr22_vgpr23_vgpr24_vgpr25_vgpr26_vgpr27_vgpr28_vgpr29_vgpr30_vgpr31_vgpr32_vgpr33
.LBB79_14:
	s_delay_alu instid0(SALU_CYCLE_1)
	s_and_b32 vcc_lo, exec_lo, s0
	s_cbranch_vccz .LBB79_16
.LBB79_15:
	v_mov_b32_e32 v1, 0
	s_lshl_b64 s[0:1], s[22:23], 2
	s_delay_alu instid0(SALU_CYCLE_1)
	s_add_nc_u64 s[0:1], s[18:19], s[0:1]
	global_load_b32 v1, v1, s[0:1]
	s_wait_loadcnt 0x0
	v_cmp_ne_u32_e32 vcc_lo, 0, v1
	s_cbranch_vccz .LBB79_88
.LBB79_16:
	s_sendmsg sendmsg(MSG_DEALLOC_VGPRS)
	s_endpgm
.LBB79_17:
	v_div_scale_f64 v[38:39], null, v[36:37], v[36:37], 1.0
	v_div_scale_f64 v[44:45], vcc_lo, 1.0, v[36:37], 1.0
	v_cmp_eq_u32_e64 s1, 14, v0
	v_cmp_eq_u32_e64 s2, 13, v0
	;; [unrolled: 1-line block ×15, first 2 shown]
	v_rcp_f64_e32 v[40:41], v[38:39]
	v_nop
	s_delay_alu instid0(TRANS32_DEP_1) | instskip(NEXT) | instid1(VALU_DEP_1)
	v_fma_f64 v[42:43], -v[38:39], v[40:41], 1.0
	v_fmac_f64_e32 v[40:41], v[40:41], v[42:43]
	s_delay_alu instid0(VALU_DEP_1) | instskip(NEXT) | instid1(VALU_DEP_1)
	v_fma_f64 v[42:43], -v[38:39], v[40:41], 1.0
	v_fmac_f64_e32 v[40:41], v[40:41], v[42:43]
	s_delay_alu instid0(VALU_DEP_1) | instskip(NEXT) | instid1(VALU_DEP_1)
	v_mul_f64_e32 v[42:43], v[44:45], v[40:41]
	v_fma_f64 v[38:39], -v[38:39], v[42:43], v[44:45]
	s_delay_alu instid0(VALU_DEP_1) | instskip(SKIP_1) | instid1(VALU_DEP_2)
	v_div_fmas_f64 v[38:39], v[38:39], v[40:41], v[42:43]
	v_cmp_eq_u32_e32 vcc_lo, 15, v0
	v_div_fixup_f64 v[36:37], v[38:39], v[36:37], 1.0
	s_delay_alu instid0(VALU_DEP_1) | instskip(NEXT) | instid1(VALU_DEP_2)
	v_dual_cndmask_b32 v33, v33, v37 :: v_dual_add_nc_u32 v38, 0x80, v34
	v_dual_cndmask_b32 v32, v32, v36, vcc_lo :: v_dual_cndmask_b32 v31, v31, v37, s1
	v_dual_cndmask_b32 v30, v30, v36, s1 :: v_dual_cndmask_b32 v29, v29, v37, s2
	v_dual_cndmask_b32 v28, v28, v36, s2 :: v_dual_cndmask_b32 v27, v27, v37, s3
	;; [unrolled: 1-line block ×13, first 2 shown]
	v_xor_b32_e32 v41, 0x80000000, v37
	v_dual_mov_b32 v40, v36 :: v_dual_cndmask_b32 v6, v6, v36, s13
	v_dual_cndmask_b32 v3, v3, v37, s15 :: v_dual_cndmask_b32 v2, v2, v36, s15
	ds_store_2addr_b64 v34, v[40:41], v[4:5] offset1:16
	s_wait_storecnt_dscnt 0x0
	s_barrier_signal -1
	s_barrier_wait -1
	s_and_saveexec_b32 s1, s0
	s_cbranch_execz .LBB79_19
; %bb.18:
	ds_load_b64 v[4:5], v38
	v_mov_b32_e32 v34, 0
	ds_load_b64 v[34:35], v34 offset:8
	s_wait_dscnt 0x1
	v_fma_f64 v[4:5], v[36:37], v[4:5], 0
	s_wait_dscnt 0x0
	s_delay_alu instid0(VALU_DEP_1)
	v_mul_f64_e32 v[4:5], v[4:5], v[34:35]
.LBB79_19:
	s_or_b32 exec_lo, exec_lo, s1
	v_cmp_gt_u32_e32 vcc_lo, 2, v0
	s_barrier_signal -1
	s_barrier_wait -1
	ds_store_b64 v38, v[6:7]
	s_wait_dscnt 0x0
	s_barrier_signal -1
	s_barrier_wait -1
	s_and_saveexec_b32 s3, vcc_lo
	s_cbranch_execz .LBB79_23
; %bb.20:
	v_cmp_eq_u32_e64 s1, 1, v0
	v_cmp_eq_u32_e64 s2, 13, v0
	s_delay_alu instid0(VALU_DEP_2) | instskip(SKIP_1) | instid1(VALU_DEP_1)
	v_dual_cndmask_b32 v34, v3, v5, s1 :: v_dual_cndmask_b32 v35, v2, v4, s1
	v_cmp_eq_u32_e64 s1, 2, v0
	v_dual_cndmask_b32 v7, v34, v7, s1 :: v_dual_cndmask_b32 v6, v35, v6, s1
	v_cmp_eq_u32_e64 s1, 3, v0
	s_delay_alu instid0(VALU_DEP_1) | instskip(SKIP_1) | instid1(VALU_DEP_1)
	v_dual_cndmask_b32 v7, v7, v9, s1 :: v_dual_cndmask_b32 v6, v6, v8, s1
	v_cmp_eq_u32_e64 s1, 4, v0
	v_dual_cndmask_b32 v7, v7, v11, s1 :: v_dual_cndmask_b32 v6, v6, v10, s1
	v_cmp_eq_u32_e64 s1, 5, v0
	s_delay_alu instid0(VALU_DEP_1) | instskip(SKIP_1) | instid1(VALU_DEP_1)
	v_dual_cndmask_b32 v7, v7, v13, s1 :: v_dual_cndmask_b32 v6, v6, v12, s1
	v_cmp_eq_u32_e64 s1, 6, v0
	v_dual_cndmask_b32 v7, v7, v15, s1 :: v_dual_cndmask_b32 v6, v6, v14, s1
	v_cmp_eq_u32_e64 s1, 7, v0
	s_delay_alu instid0(VALU_DEP_1) | instskip(SKIP_1) | instid1(VALU_DEP_1)
	v_dual_cndmask_b32 v7, v7, v17, s1 :: v_dual_cndmask_b32 v6, v6, v16, s1
	v_cmp_eq_u32_e64 s1, 8, v0
	v_dual_cndmask_b32 v7, v7, v19, s1 :: v_dual_cndmask_b32 v6, v6, v18, s1
	v_cmp_eq_u32_e64 s1, 9, v0
	s_delay_alu instid0(VALU_DEP_1) | instskip(SKIP_1) | instid1(VALU_DEP_1)
	v_dual_cndmask_b32 v7, v7, v21, s1 :: v_dual_cndmask_b32 v6, v6, v20, s1
	v_cmp_eq_u32_e64 s1, 10, v0
	v_dual_cndmask_b32 v7, v7, v23, s1 :: v_dual_cndmask_b32 v6, v6, v22, s1
	v_cmp_eq_u32_e64 s1, 11, v0
	s_delay_alu instid0(VALU_DEP_1) | instskip(SKIP_1) | instid1(VALU_DEP_1)
	v_dual_cndmask_b32 v7, v7, v25, s1 :: v_dual_cndmask_b32 v6, v6, v24, s1
	v_cmp_eq_u32_e64 s1, 12, v0
	v_dual_cndmask_b32 v34, v7, v27, s1 :: v_dual_cndmask_b32 v35, v6, v26, s1
	ds_load_b64 v[6:7], v38
	v_cmp_eq_u32_e64 s1, 14, v0
	v_dual_cndmask_b32 v34, v34, v29, s2 :: v_dual_cndmask_b32 v35, v35, v28, s2
	s_delay_alu instid0(VALU_DEP_1) | instskip(SKIP_1) | instid1(VALU_DEP_1)
	v_dual_cndmask_b32 v34, v34, v31, s1 :: v_dual_cndmask_b32 v36, v35, v30, s1
	v_cmp_eq_u32_e64 s1, 15, v0
	v_dual_cndmask_b32 v35, v34, v33, s1 :: v_dual_cndmask_b32 v34, v36, v32, s1
	s_wait_dscnt 0x0
	s_delay_alu instid0(VALU_DEP_1)
	v_fma_f64 v[6:7], v[34:35], v[6:7], 0
	s_and_saveexec_b32 s1, s0
	s_cbranch_execz .LBB79_22
; %bb.21:
	v_mov_b32_e32 v34, 0
	ds_load_b64 v[34:35], v34 offset:136
	s_wait_dscnt 0x0
	v_fmac_f64_e32 v[6:7], v[4:5], v[34:35]
.LBB79_22:
	s_or_b32 exec_lo, exec_lo, s1
	v_mov_b32_e32 v34, 0
	ds_load_b64 v[34:35], v34 offset:16
	s_wait_dscnt 0x0
	v_mul_f64_e32 v[6:7], v[6:7], v[34:35]
.LBB79_23:
	s_or_b32 exec_lo, exec_lo, s3
	s_delay_alu instid0(SALU_CYCLE_1)
	s_mov_b32 s3, exec_lo
	s_barrier_signal -1
	s_barrier_wait -1
	ds_store_b64 v38, v[8:9]
	s_wait_dscnt 0x0
	s_barrier_signal -1
	s_barrier_wait -1
	v_cmpx_gt_u32_e32 3, v0
	s_cbranch_execz .LBB79_27
; %bb.24:
	v_mov_b64_e32 v[34:35], 0
	v_mov_b64_e32 v[36:37], v[0:1]
	v_lshl_add_u32 v39, v0, 3, 0x80
	s_mov_b32 s4, 0
.LBB79_25:                              ; =>This Inner Loop Header: Depth=1
	s_delay_alu instid0(VALU_DEP_2) | instskip(SKIP_1) | instid1(VALU_DEP_2)
	v_cmp_eq_u32_e64 s1, 1, v36
	v_cmp_eq_u32_e64 s2, 2, v36
	v_dual_cndmask_b32 v40, v3, v5, s1 :: v_dual_cndmask_b32 v41, v2, v4, s1
	v_cmp_eq_u32_e64 s1, 3, v36
	s_delay_alu instid0(VALU_DEP_2) | instskip(SKIP_1) | instid1(VALU_DEP_2)
	v_dual_cndmask_b32 v40, v40, v7, s2 :: v_dual_cndmask_b32 v41, v41, v6, s2
	v_cmp_eq_u32_e64 s2, 4, v36
	v_dual_cndmask_b32 v40, v40, v9, s1 :: v_dual_cndmask_b32 v41, v41, v8, s1
	v_cmp_eq_u32_e64 s1, 5, v36
	s_delay_alu instid0(VALU_DEP_2) | instskip(SKIP_1) | instid1(VALU_DEP_2)
	v_dual_cndmask_b32 v40, v40, v11, s2 :: v_dual_cndmask_b32 v41, v41, v10, s2
	;; [unrolled: 5-line block ×5, first 2 shown]
	v_cmp_eq_u32_e64 s2, 12, v36
	v_dual_cndmask_b32 v42, v40, v25, s1 :: v_dual_cndmask_b32 v43, v41, v24, s1
	ds_load_b64 v[40:41], v39
	v_cmp_eq_u32_e64 s1, 13, v36
	v_add_nc_u32_e32 v39, 8, v39
	v_dual_cndmask_b32 v42, v42, v27, s2 :: v_dual_cndmask_b32 v43, v43, v26, s2
	v_cmp_eq_u32_e64 s2, 14, v36
	s_delay_alu instid0(VALU_DEP_2) | instskip(SKIP_2) | instid1(VALU_DEP_3)
	v_dual_cndmask_b32 v42, v42, v29, s1 :: v_dual_cndmask_b32 v43, v43, v28, s1
	v_cmp_eq_u32_e64 s1, 15, v36
	v_add_nc_u64_e32 v[36:37], 1, v[36:37]
	v_dual_cndmask_b32 v42, v42, v31, s2 :: v_dual_cndmask_b32 v44, v43, v30, s2
	s_delay_alu instid0(VALU_DEP_1) | instskip(SKIP_1) | instid1(VALU_DEP_1)
	v_dual_cndmask_b32 v43, v42, v33, s1 :: v_dual_cndmask_b32 v42, v44, v32, s1
	s_wait_dscnt 0x0
	v_fmac_f64_e32 v[34:35], v[42:43], v[40:41]
	s_delay_alu instid0(VALU_DEP_4) | instskip(NEXT) | instid1(VALU_DEP_1)
	v_add_nc_u32_e32 v40, -1, v36
	v_cmp_lt_u32_e64 s1, 1, v40
	s_or_b32 s4, s1, s4
	s_delay_alu instid0(SALU_CYCLE_1)
	s_and_not1_b32 exec_lo, exec_lo, s4
	s_cbranch_execnz .LBB79_25
; %bb.26:
	s_or_b32 exec_lo, exec_lo, s4
	v_mov_b32_e32 v8, 0
	ds_load_b64 v[8:9], v8 offset:24
	s_wait_dscnt 0x0
	v_mul_f64_e32 v[8:9], v[34:35], v[8:9]
.LBB79_27:
	s_or_b32 exec_lo, exec_lo, s3
	v_cmp_gt_u32_e64 s1, 4, v0
	s_barrier_signal -1
	s_barrier_wait -1
	ds_store_b64 v38, v[10:11]
	s_wait_dscnt 0x0
	s_barrier_signal -1
	s_barrier_wait -1
	s_and_saveexec_b32 s4, s1
	s_cbranch_execz .LBB79_31
; %bb.28:
	v_mov_b64_e32 v[34:35], 0
	v_mov_b64_e32 v[36:37], v[0:1]
	v_lshl_add_u32 v39, v0, 3, 0x80
	s_mov_b32 s5, 0
.LBB79_29:                              ; =>This Inner Loop Header: Depth=1
	s_delay_alu instid0(VALU_DEP_2) | instskip(SKIP_1) | instid1(VALU_DEP_2)
	v_cmp_eq_u32_e64 s2, 1, v36
	v_cmp_eq_u32_e64 s3, 2, v36
	v_dual_cndmask_b32 v40, v3, v5, s2 :: v_dual_cndmask_b32 v41, v2, v4, s2
	v_cmp_eq_u32_e64 s2, 3, v36
	s_delay_alu instid0(VALU_DEP_2) | instskip(SKIP_1) | instid1(VALU_DEP_2)
	v_dual_cndmask_b32 v40, v40, v7, s3 :: v_dual_cndmask_b32 v41, v41, v6, s3
	v_cmp_eq_u32_e64 s3, 4, v36
	v_dual_cndmask_b32 v40, v40, v9, s2 :: v_dual_cndmask_b32 v41, v41, v8, s2
	v_cmp_eq_u32_e64 s2, 5, v36
	s_delay_alu instid0(VALU_DEP_2) | instskip(SKIP_1) | instid1(VALU_DEP_2)
	v_dual_cndmask_b32 v40, v40, v11, s3 :: v_dual_cndmask_b32 v41, v41, v10, s3
	;; [unrolled: 5-line block ×5, first 2 shown]
	v_cmp_eq_u32_e64 s3, 12, v36
	v_dual_cndmask_b32 v42, v40, v25, s2 :: v_dual_cndmask_b32 v43, v41, v24, s2
	ds_load_b64 v[40:41], v39
	v_cmp_eq_u32_e64 s2, 13, v36
	v_add_nc_u32_e32 v39, 8, v39
	v_dual_cndmask_b32 v42, v42, v27, s3 :: v_dual_cndmask_b32 v43, v43, v26, s3
	v_cmp_eq_u32_e64 s3, 14, v36
	s_delay_alu instid0(VALU_DEP_2) | instskip(SKIP_2) | instid1(VALU_DEP_3)
	v_dual_cndmask_b32 v42, v42, v29, s2 :: v_dual_cndmask_b32 v43, v43, v28, s2
	v_cmp_eq_u32_e64 s2, 15, v36
	v_add_nc_u64_e32 v[36:37], 1, v[36:37]
	v_dual_cndmask_b32 v42, v42, v31, s3 :: v_dual_cndmask_b32 v44, v43, v30, s3
	s_delay_alu instid0(VALU_DEP_1) | instskip(SKIP_1) | instid1(VALU_DEP_1)
	v_dual_cndmask_b32 v43, v42, v33, s2 :: v_dual_cndmask_b32 v42, v44, v32, s2
	s_wait_dscnt 0x0
	v_fmac_f64_e32 v[34:35], v[42:43], v[40:41]
	s_delay_alu instid0(VALU_DEP_4) | instskip(NEXT) | instid1(VALU_DEP_1)
	v_add_nc_u32_e32 v40, -1, v36
	v_cmp_lt_u32_e64 s2, 2, v40
	s_or_b32 s5, s2, s5
	s_delay_alu instid0(SALU_CYCLE_1)
	s_and_not1_b32 exec_lo, exec_lo, s5
	s_cbranch_execnz .LBB79_29
; %bb.30:
	s_or_b32 exec_lo, exec_lo, s5
	v_mov_b32_e32 v10, 0
	ds_load_b64 v[10:11], v10 offset:32
	s_wait_dscnt 0x0
	v_mul_f64_e32 v[10:11], v[34:35], v[10:11]
.LBB79_31:
	s_or_b32 exec_lo, exec_lo, s4
	s_delay_alu instid0(SALU_CYCLE_1)
	s_mov_b32 s4, exec_lo
	s_barrier_signal -1
	s_barrier_wait -1
	ds_store_b64 v38, v[12:13]
	s_wait_dscnt 0x0
	s_barrier_signal -1
	s_barrier_wait -1
	v_cmpx_gt_u32_e32 5, v0
	s_cbranch_execz .LBB79_35
; %bb.32:
	v_mov_b64_e32 v[34:35], 0
	v_mov_b64_e32 v[36:37], v[0:1]
	v_lshl_add_u32 v39, v0, 3, 0x80
	s_mov_b32 s5, 0
.LBB79_33:                              ; =>This Inner Loop Header: Depth=1
	s_delay_alu instid0(VALU_DEP_2) | instskip(SKIP_1) | instid1(VALU_DEP_2)
	v_cmp_eq_u32_e64 s2, 1, v36
	v_cmp_eq_u32_e64 s3, 2, v36
	v_dual_cndmask_b32 v40, v3, v5, s2 :: v_dual_cndmask_b32 v41, v2, v4, s2
	v_cmp_eq_u32_e64 s2, 3, v36
	s_delay_alu instid0(VALU_DEP_2) | instskip(SKIP_1) | instid1(VALU_DEP_2)
	v_dual_cndmask_b32 v40, v40, v7, s3 :: v_dual_cndmask_b32 v41, v41, v6, s3
	v_cmp_eq_u32_e64 s3, 4, v36
	v_dual_cndmask_b32 v40, v40, v9, s2 :: v_dual_cndmask_b32 v41, v41, v8, s2
	v_cmp_eq_u32_e64 s2, 5, v36
	s_delay_alu instid0(VALU_DEP_2) | instskip(SKIP_1) | instid1(VALU_DEP_2)
	v_dual_cndmask_b32 v40, v40, v11, s3 :: v_dual_cndmask_b32 v41, v41, v10, s3
	;; [unrolled: 5-line block ×5, first 2 shown]
	v_cmp_eq_u32_e64 s3, 12, v36
	v_dual_cndmask_b32 v42, v40, v25, s2 :: v_dual_cndmask_b32 v43, v41, v24, s2
	ds_load_b64 v[40:41], v39
	v_cmp_eq_u32_e64 s2, 13, v36
	v_add_nc_u32_e32 v39, 8, v39
	v_dual_cndmask_b32 v42, v42, v27, s3 :: v_dual_cndmask_b32 v43, v43, v26, s3
	v_cmp_eq_u32_e64 s3, 14, v36
	s_delay_alu instid0(VALU_DEP_2) | instskip(SKIP_2) | instid1(VALU_DEP_3)
	v_dual_cndmask_b32 v42, v42, v29, s2 :: v_dual_cndmask_b32 v43, v43, v28, s2
	v_cmp_eq_u32_e64 s2, 15, v36
	v_add_nc_u64_e32 v[36:37], 1, v[36:37]
	v_dual_cndmask_b32 v42, v42, v31, s3 :: v_dual_cndmask_b32 v44, v43, v30, s3
	s_delay_alu instid0(VALU_DEP_1) | instskip(SKIP_1) | instid1(VALU_DEP_1)
	v_dual_cndmask_b32 v43, v42, v33, s2 :: v_dual_cndmask_b32 v42, v44, v32, s2
	s_wait_dscnt 0x0
	v_fmac_f64_e32 v[34:35], v[42:43], v[40:41]
	s_delay_alu instid0(VALU_DEP_4) | instskip(NEXT) | instid1(VALU_DEP_1)
	v_add_nc_u32_e32 v40, -1, v36
	v_cmp_lt_u32_e64 s2, 3, v40
	s_or_b32 s5, s2, s5
	s_delay_alu instid0(SALU_CYCLE_1)
	s_and_not1_b32 exec_lo, exec_lo, s5
	s_cbranch_execnz .LBB79_33
; %bb.34:
	s_or_b32 exec_lo, exec_lo, s5
	v_mov_b32_e32 v12, 0
	ds_load_b64 v[12:13], v12 offset:40
	s_wait_dscnt 0x0
	v_mul_f64_e32 v[12:13], v[34:35], v[12:13]
.LBB79_35:
	s_or_b32 exec_lo, exec_lo, s4
	v_cmp_gt_u32_e64 s2, 6, v0
	s_barrier_signal -1
	s_barrier_wait -1
	ds_store_b64 v38, v[14:15]
	s_wait_dscnt 0x0
	s_barrier_signal -1
	s_barrier_wait -1
	s_and_saveexec_b32 s5, s2
	s_cbranch_execz .LBB79_39
; %bb.36:
	v_mov_b64_e32 v[34:35], 0
	v_mov_b64_e32 v[36:37], v[0:1]
	v_lshl_add_u32 v39, v0, 3, 0x80
	s_mov_b32 s6, 0
.LBB79_37:                              ; =>This Inner Loop Header: Depth=1
	s_delay_alu instid0(VALU_DEP_2) | instskip(SKIP_1) | instid1(VALU_DEP_2)
	v_cmp_eq_u32_e64 s3, 1, v36
	v_cmp_eq_u32_e64 s4, 2, v36
	v_dual_cndmask_b32 v40, v3, v5, s3 :: v_dual_cndmask_b32 v41, v2, v4, s3
	v_cmp_eq_u32_e64 s3, 3, v36
	s_delay_alu instid0(VALU_DEP_2) | instskip(SKIP_1) | instid1(VALU_DEP_2)
	v_dual_cndmask_b32 v40, v40, v7, s4 :: v_dual_cndmask_b32 v41, v41, v6, s4
	v_cmp_eq_u32_e64 s4, 4, v36
	v_dual_cndmask_b32 v40, v40, v9, s3 :: v_dual_cndmask_b32 v41, v41, v8, s3
	v_cmp_eq_u32_e64 s3, 5, v36
	s_delay_alu instid0(VALU_DEP_2) | instskip(SKIP_1) | instid1(VALU_DEP_2)
	v_dual_cndmask_b32 v40, v40, v11, s4 :: v_dual_cndmask_b32 v41, v41, v10, s4
	;; [unrolled: 5-line block ×5, first 2 shown]
	v_cmp_eq_u32_e64 s4, 12, v36
	v_dual_cndmask_b32 v42, v40, v25, s3 :: v_dual_cndmask_b32 v43, v41, v24, s3
	ds_load_b64 v[40:41], v39
	v_cmp_eq_u32_e64 s3, 13, v36
	v_add_nc_u32_e32 v39, 8, v39
	v_dual_cndmask_b32 v42, v42, v27, s4 :: v_dual_cndmask_b32 v43, v43, v26, s4
	v_cmp_eq_u32_e64 s4, 14, v36
	s_delay_alu instid0(VALU_DEP_2) | instskip(SKIP_2) | instid1(VALU_DEP_3)
	v_dual_cndmask_b32 v42, v42, v29, s3 :: v_dual_cndmask_b32 v43, v43, v28, s3
	v_cmp_eq_u32_e64 s3, 15, v36
	v_add_nc_u64_e32 v[36:37], 1, v[36:37]
	v_dual_cndmask_b32 v42, v42, v31, s4 :: v_dual_cndmask_b32 v44, v43, v30, s4
	s_delay_alu instid0(VALU_DEP_1) | instskip(SKIP_1) | instid1(VALU_DEP_1)
	v_dual_cndmask_b32 v43, v42, v33, s3 :: v_dual_cndmask_b32 v42, v44, v32, s3
	s_wait_dscnt 0x0
	v_fmac_f64_e32 v[34:35], v[42:43], v[40:41]
	s_delay_alu instid0(VALU_DEP_4) | instskip(NEXT) | instid1(VALU_DEP_1)
	v_add_nc_u32_e32 v40, -1, v36
	v_cmp_lt_u32_e64 s3, 4, v40
	s_or_b32 s6, s3, s6
	s_delay_alu instid0(SALU_CYCLE_1)
	s_and_not1_b32 exec_lo, exec_lo, s6
	s_cbranch_execnz .LBB79_37
; %bb.38:
	s_or_b32 exec_lo, exec_lo, s6
	v_mov_b32_e32 v14, 0
	ds_load_b64 v[14:15], v14 offset:48
	s_wait_dscnt 0x0
	v_mul_f64_e32 v[14:15], v[34:35], v[14:15]
.LBB79_39:
	s_or_b32 exec_lo, exec_lo, s5
	s_delay_alu instid0(SALU_CYCLE_1)
	s_mov_b32 s5, exec_lo
	s_barrier_signal -1
	s_barrier_wait -1
	ds_store_b64 v38, v[16:17]
	s_wait_dscnt 0x0
	s_barrier_signal -1
	s_barrier_wait -1
	v_cmpx_gt_u32_e32 7, v0
	s_cbranch_execz .LBB79_43
; %bb.40:
	v_mov_b64_e32 v[34:35], 0
	v_mov_b64_e32 v[36:37], v[0:1]
	v_lshl_add_u32 v39, v0, 3, 0x80
	s_mov_b32 s6, 0
.LBB79_41:                              ; =>This Inner Loop Header: Depth=1
	s_delay_alu instid0(VALU_DEP_2) | instskip(SKIP_1) | instid1(VALU_DEP_2)
	v_cmp_eq_u32_e64 s3, 1, v36
	v_cmp_eq_u32_e64 s4, 2, v36
	v_dual_cndmask_b32 v40, v3, v5, s3 :: v_dual_cndmask_b32 v41, v2, v4, s3
	v_cmp_eq_u32_e64 s3, 3, v36
	s_delay_alu instid0(VALU_DEP_2) | instskip(SKIP_1) | instid1(VALU_DEP_2)
	v_dual_cndmask_b32 v40, v40, v7, s4 :: v_dual_cndmask_b32 v41, v41, v6, s4
	v_cmp_eq_u32_e64 s4, 4, v36
	v_dual_cndmask_b32 v40, v40, v9, s3 :: v_dual_cndmask_b32 v41, v41, v8, s3
	v_cmp_eq_u32_e64 s3, 5, v36
	s_delay_alu instid0(VALU_DEP_2) | instskip(SKIP_1) | instid1(VALU_DEP_2)
	v_dual_cndmask_b32 v40, v40, v11, s4 :: v_dual_cndmask_b32 v41, v41, v10, s4
	;; [unrolled: 5-line block ×5, first 2 shown]
	v_cmp_eq_u32_e64 s4, 12, v36
	v_dual_cndmask_b32 v42, v40, v25, s3 :: v_dual_cndmask_b32 v43, v41, v24, s3
	ds_load_b64 v[40:41], v39
	v_cmp_eq_u32_e64 s3, 13, v36
	v_add_nc_u32_e32 v39, 8, v39
	v_dual_cndmask_b32 v42, v42, v27, s4 :: v_dual_cndmask_b32 v43, v43, v26, s4
	v_cmp_eq_u32_e64 s4, 14, v36
	s_delay_alu instid0(VALU_DEP_2) | instskip(SKIP_2) | instid1(VALU_DEP_3)
	v_dual_cndmask_b32 v42, v42, v29, s3 :: v_dual_cndmask_b32 v43, v43, v28, s3
	v_cmp_eq_u32_e64 s3, 15, v36
	v_add_nc_u64_e32 v[36:37], 1, v[36:37]
	v_dual_cndmask_b32 v42, v42, v31, s4 :: v_dual_cndmask_b32 v44, v43, v30, s4
	s_delay_alu instid0(VALU_DEP_1) | instskip(SKIP_1) | instid1(VALU_DEP_1)
	v_dual_cndmask_b32 v43, v42, v33, s3 :: v_dual_cndmask_b32 v42, v44, v32, s3
	s_wait_dscnt 0x0
	v_fmac_f64_e32 v[34:35], v[42:43], v[40:41]
	s_delay_alu instid0(VALU_DEP_4) | instskip(NEXT) | instid1(VALU_DEP_1)
	v_add_nc_u32_e32 v40, -1, v36
	v_cmp_lt_u32_e64 s3, 5, v40
	s_or_b32 s6, s3, s6
	s_delay_alu instid0(SALU_CYCLE_1)
	s_and_not1_b32 exec_lo, exec_lo, s6
	s_cbranch_execnz .LBB79_41
; %bb.42:
	s_or_b32 exec_lo, exec_lo, s6
	v_mov_b32_e32 v16, 0
	ds_load_b64 v[16:17], v16 offset:56
	s_wait_dscnt 0x0
	v_mul_f64_e32 v[16:17], v[34:35], v[16:17]
.LBB79_43:
	s_or_b32 exec_lo, exec_lo, s5
	s_delay_alu instid0(SALU_CYCLE_1)
	s_mov_b32 s5, exec_lo
	s_barrier_signal -1
	s_barrier_wait -1
	ds_store_b64 v38, v[18:19]
	s_wait_dscnt 0x0
	s_barrier_signal -1
	s_barrier_wait -1
	v_cmpx_gt_u32_e32 8, v0
	s_cbranch_execz .LBB79_59
; %bb.44:
	v_cmp_eq_u32_e64 s3, 1, v0
	v_cmp_eq_u32_e64 s4, 13, v0
	s_mov_b32 s6, exec_lo
	v_dual_cndmask_b32 v34, v3, v5, s3 :: v_dual_cndmask_b32 v35, v2, v4, s3
	v_cmp_eq_u32_e64 s3, 2, v0
	s_delay_alu instid0(VALU_DEP_1) | instskip(SKIP_1) | instid1(VALU_DEP_1)
	v_dual_cndmask_b32 v34, v34, v7, s3 :: v_dual_cndmask_b32 v35, v35, v6, s3
	v_cmp_eq_u32_e64 s3, 3, v0
	v_dual_cndmask_b32 v34, v34, v9, s3 :: v_dual_cndmask_b32 v35, v35, v8, s3
	v_cmp_eq_u32_e64 s3, 4, v0
	s_delay_alu instid0(VALU_DEP_1) | instskip(SKIP_1) | instid1(VALU_DEP_1)
	v_dual_cndmask_b32 v34, v34, v11, s3 :: v_dual_cndmask_b32 v35, v35, v10, s3
	v_cmp_eq_u32_e64 s3, 5, v0
	;; [unrolled: 5-line block ×5, first 2 shown]
	v_dual_cndmask_b32 v34, v34, v25, s3 :: v_dual_cndmask_b32 v35, v35, v24, s3
	v_cmp_eq_u32_e64 s3, 12, v0
	s_delay_alu instid0(VALU_DEP_1) | instskip(SKIP_3) | instid1(VALU_DEP_1)
	v_dual_cndmask_b32 v36, v34, v27, s3 :: v_dual_cndmask_b32 v37, v35, v26, s3
	ds_load_b64 v[34:35], v38
	v_cmp_eq_u32_e64 s3, 14, v0
	v_dual_cndmask_b32 v36, v36, v29, s4 :: v_dual_cndmask_b32 v37, v37, v28, s4
	v_dual_cndmask_b32 v36, v36, v31, s3 :: v_dual_cndmask_b32 v39, v37, v30, s3
	v_cmp_eq_u32_e64 s3, 15, v0
	s_delay_alu instid0(VALU_DEP_1) | instskip(SKIP_1) | instid1(VALU_DEP_1)
	v_dual_cndmask_b32 v37, v36, v33, s3 :: v_dual_cndmask_b32 v36, v39, v32, s3
	s_wait_dscnt 0x0
	v_fma_f64 v[34:35], v[36:37], v[34:35], 0
	v_cmpx_ne_u32_e32 7, v0
	s_cbranch_execz .LBB79_58
; %bb.45:
	v_add_nc_u32_e32 v39, 1, v0
	s_delay_alu instid0(VALU_DEP_1) | instskip(NEXT) | instid1(VALU_DEP_1)
	v_cmp_eq_u32_e64 s3, 1, v39
	v_dual_cndmask_b32 v36, v3, v5, s3 :: v_dual_cndmask_b32 v37, v2, v4, s3
	v_cmp_eq_u32_e64 s3, 2, v39
	v_cmp_eq_u32_e64 s4, 13, v39
	s_delay_alu instid0(VALU_DEP_2) | instskip(SKIP_1) | instid1(VALU_DEP_1)
	v_dual_cndmask_b32 v36, v36, v7, s3 :: v_dual_cndmask_b32 v37, v37, v6, s3
	v_cmp_eq_u32_e64 s3, 3, v39
	v_dual_cndmask_b32 v36, v36, v9, s3 :: v_dual_cndmask_b32 v37, v37, v8, s3
	v_cmp_eq_u32_e64 s3, 4, v39
	s_delay_alu instid0(VALU_DEP_1) | instskip(SKIP_1) | instid1(VALU_DEP_1)
	v_dual_cndmask_b32 v36, v36, v11, s3 :: v_dual_cndmask_b32 v37, v37, v10, s3
	v_cmp_eq_u32_e64 s3, 5, v39
	v_dual_cndmask_b32 v36, v36, v13, s3 :: v_dual_cndmask_b32 v37, v37, v12, s3
	v_cmp_eq_u32_e64 s3, 6, v39
	s_delay_alu instid0(VALU_DEP_1) | instskip(SKIP_1) | instid1(VALU_DEP_1)
	;; [unrolled: 5-line block ×4, first 2 shown]
	v_dual_cndmask_b32 v36, v36, v23, s3 :: v_dual_cndmask_b32 v37, v37, v22, s3
	v_cmp_eq_u32_e64 s3, 11, v39
	v_dual_cndmask_b32 v36, v36, v25, s3 :: v_dual_cndmask_b32 v37, v37, v24, s3
	v_cmp_eq_u32_e64 s3, 12, v39
	s_delay_alu instid0(VALU_DEP_1) | instskip(SKIP_3) | instid1(VALU_DEP_1)
	v_dual_cndmask_b32 v40, v36, v27, s3 :: v_dual_cndmask_b32 v41, v37, v26, s3
	ds_load_b64 v[36:37], v38 offset:8
	v_cmp_eq_u32_e64 s3, 14, v39
	v_dual_cndmask_b32 v40, v40, v29, s4 :: v_dual_cndmask_b32 v41, v41, v28, s4
	v_dual_cndmask_b32 v40, v40, v31, s3 :: v_dual_cndmask_b32 v42, v41, v30, s3
	v_cmp_eq_u32_e64 s3, 15, v39
	s_delay_alu instid0(VALU_DEP_1) | instskip(SKIP_1) | instid1(VALU_DEP_1)
	v_dual_cndmask_b32 v41, v40, v33, s3 :: v_dual_cndmask_b32 v40, v42, v32, s3
	s_wait_dscnt 0x0
	v_fmac_f64_e32 v[34:35], v[40:41], v[36:37]
	s_and_saveexec_b32 s4, s2
	s_cbranch_execz .LBB79_57
; %bb.46:
	v_add_nc_u32_e32 v39, 2, v0
	s_mov_b32 s7, exec_lo
	s_delay_alu instid0(VALU_DEP_1) | instskip(NEXT) | instid1(VALU_DEP_1)
	v_cmp_eq_u32_e64 s2, 1, v39
	v_dual_cndmask_b32 v36, v3, v5, s2 :: v_dual_cndmask_b32 v37, v2, v4, s2
	v_cmp_eq_u32_e64 s2, 2, v39
	v_cmp_eq_u32_e64 s3, 13, v39
	s_delay_alu instid0(VALU_DEP_2) | instskip(SKIP_1) | instid1(VALU_DEP_1)
	v_dual_cndmask_b32 v36, v36, v7, s2 :: v_dual_cndmask_b32 v37, v37, v6, s2
	v_cmp_eq_u32_e64 s2, 3, v39
	v_dual_cndmask_b32 v36, v36, v9, s2 :: v_dual_cndmask_b32 v37, v37, v8, s2
	v_cmp_eq_u32_e64 s2, 4, v39
	s_delay_alu instid0(VALU_DEP_1) | instskip(SKIP_1) | instid1(VALU_DEP_1)
	v_dual_cndmask_b32 v36, v36, v11, s2 :: v_dual_cndmask_b32 v37, v37, v10, s2
	v_cmp_eq_u32_e64 s2, 5, v39
	v_dual_cndmask_b32 v36, v36, v13, s2 :: v_dual_cndmask_b32 v37, v37, v12, s2
	v_cmp_eq_u32_e64 s2, 6, v39
	s_delay_alu instid0(VALU_DEP_1) | instskip(SKIP_1) | instid1(VALU_DEP_1)
	;; [unrolled: 5-line block ×4, first 2 shown]
	v_dual_cndmask_b32 v36, v36, v23, s2 :: v_dual_cndmask_b32 v37, v37, v22, s2
	v_cmp_eq_u32_e64 s2, 11, v39
	v_dual_cndmask_b32 v36, v36, v25, s2 :: v_dual_cndmask_b32 v37, v37, v24, s2
	v_cmp_eq_u32_e64 s2, 12, v39
	s_delay_alu instid0(VALU_DEP_1) | instskip(SKIP_3) | instid1(VALU_DEP_1)
	v_dual_cndmask_b32 v40, v36, v27, s2 :: v_dual_cndmask_b32 v41, v37, v26, s2
	ds_load_b64 v[36:37], v38 offset:16
	v_cmp_eq_u32_e64 s2, 14, v39
	v_dual_cndmask_b32 v40, v40, v29, s3 :: v_dual_cndmask_b32 v41, v41, v28, s3
	v_dual_cndmask_b32 v40, v40, v31, s2 :: v_dual_cndmask_b32 v42, v41, v30, s2
	v_cmp_eq_u32_e64 s2, 15, v39
	s_delay_alu instid0(VALU_DEP_1) | instskip(SKIP_1) | instid1(VALU_DEP_1)
	v_dual_cndmask_b32 v41, v40, v33, s2 :: v_dual_cndmask_b32 v40, v42, v32, s2
	s_wait_dscnt 0x0
	v_fmac_f64_e32 v[34:35], v[40:41], v[36:37]
	v_cmpx_ne_u32_e32 5, v0
	s_cbranch_execz .LBB79_56
; %bb.47:
	v_add_nc_u32_e32 v39, 3, v0
	s_delay_alu instid0(VALU_DEP_1) | instskip(NEXT) | instid1(VALU_DEP_1)
	v_cmp_eq_u32_e64 s2, 1, v39
	v_dual_cndmask_b32 v36, v3, v5, s2 :: v_dual_cndmask_b32 v37, v2, v4, s2
	v_cmp_eq_u32_e64 s2, 2, v39
	v_cmp_eq_u32_e64 s3, 13, v39
	s_delay_alu instid0(VALU_DEP_2) | instskip(SKIP_1) | instid1(VALU_DEP_1)
	v_dual_cndmask_b32 v36, v36, v7, s2 :: v_dual_cndmask_b32 v37, v37, v6, s2
	v_cmp_eq_u32_e64 s2, 3, v39
	v_dual_cndmask_b32 v36, v36, v9, s2 :: v_dual_cndmask_b32 v37, v37, v8, s2
	v_cmp_eq_u32_e64 s2, 4, v39
	s_delay_alu instid0(VALU_DEP_1) | instskip(SKIP_1) | instid1(VALU_DEP_1)
	v_dual_cndmask_b32 v36, v36, v11, s2 :: v_dual_cndmask_b32 v37, v37, v10, s2
	v_cmp_eq_u32_e64 s2, 5, v39
	v_dual_cndmask_b32 v36, v36, v13, s2 :: v_dual_cndmask_b32 v37, v37, v12, s2
	v_cmp_eq_u32_e64 s2, 6, v39
	s_delay_alu instid0(VALU_DEP_1) | instskip(SKIP_1) | instid1(VALU_DEP_1)
	;; [unrolled: 5-line block ×4, first 2 shown]
	v_dual_cndmask_b32 v36, v36, v23, s2 :: v_dual_cndmask_b32 v37, v37, v22, s2
	v_cmp_eq_u32_e64 s2, 11, v39
	v_dual_cndmask_b32 v36, v36, v25, s2 :: v_dual_cndmask_b32 v37, v37, v24, s2
	v_cmp_eq_u32_e64 s2, 12, v39
	s_delay_alu instid0(VALU_DEP_1) | instskip(SKIP_3) | instid1(VALU_DEP_1)
	v_dual_cndmask_b32 v40, v36, v27, s2 :: v_dual_cndmask_b32 v41, v37, v26, s2
	ds_load_b64 v[36:37], v38 offset:24
	v_cmp_eq_u32_e64 s2, 14, v39
	v_dual_cndmask_b32 v40, v40, v29, s3 :: v_dual_cndmask_b32 v41, v41, v28, s3
	v_dual_cndmask_b32 v40, v40, v31, s2 :: v_dual_cndmask_b32 v42, v41, v30, s2
	v_cmp_eq_u32_e64 s2, 15, v39
	s_delay_alu instid0(VALU_DEP_1) | instskip(SKIP_1) | instid1(VALU_DEP_1)
	v_dual_cndmask_b32 v41, v40, v33, s2 :: v_dual_cndmask_b32 v40, v42, v32, s2
	s_wait_dscnt 0x0
	v_fmac_f64_e32 v[34:35], v[40:41], v[36:37]
	s_and_saveexec_b32 s3, s1
	s_cbranch_execz .LBB79_55
; %bb.48:
	v_or_b32_e32 v39, 4, v0
	s_mov_b32 s8, exec_lo
	s_delay_alu instid0(VALU_DEP_1) | instskip(NEXT) | instid1(VALU_DEP_1)
	v_cmp_eq_u32_e64 s1, 1, v39
	v_dual_cndmask_b32 v36, v3, v5, s1 :: v_dual_cndmask_b32 v37, v2, v4, s1
	v_cmp_eq_u32_e64 s1, 2, v39
	v_cmp_eq_u32_e64 s2, 13, v39
	s_delay_alu instid0(VALU_DEP_2) | instskip(SKIP_1) | instid1(VALU_DEP_1)
	v_dual_cndmask_b32 v36, v36, v7, s1 :: v_dual_cndmask_b32 v37, v37, v6, s1
	v_cmp_eq_u32_e64 s1, 3, v39
	v_dual_cndmask_b32 v36, v36, v9, s1 :: v_dual_cndmask_b32 v37, v37, v8, s1
	v_cmp_eq_u32_e64 s1, 4, v39
	s_delay_alu instid0(VALU_DEP_1) | instskip(SKIP_1) | instid1(VALU_DEP_1)
	v_dual_cndmask_b32 v36, v36, v11, s1 :: v_dual_cndmask_b32 v37, v37, v10, s1
	v_cmp_eq_u32_e64 s1, 5, v39
	v_dual_cndmask_b32 v36, v36, v13, s1 :: v_dual_cndmask_b32 v37, v37, v12, s1
	v_cmp_eq_u32_e64 s1, 6, v39
	s_delay_alu instid0(VALU_DEP_1) | instskip(SKIP_1) | instid1(VALU_DEP_1)
	;; [unrolled: 5-line block ×4, first 2 shown]
	v_dual_cndmask_b32 v36, v36, v23, s1 :: v_dual_cndmask_b32 v37, v37, v22, s1
	v_cmp_eq_u32_e64 s1, 11, v39
	v_dual_cndmask_b32 v36, v36, v25, s1 :: v_dual_cndmask_b32 v37, v37, v24, s1
	v_cmp_eq_u32_e64 s1, 12, v39
	s_delay_alu instid0(VALU_DEP_1) | instskip(SKIP_3) | instid1(VALU_DEP_1)
	v_dual_cndmask_b32 v40, v36, v27, s1 :: v_dual_cndmask_b32 v41, v37, v26, s1
	ds_load_b64 v[36:37], v38 offset:32
	v_cmp_eq_u32_e64 s1, 14, v39
	v_dual_cndmask_b32 v40, v40, v29, s2 :: v_dual_cndmask_b32 v41, v41, v28, s2
	v_dual_cndmask_b32 v40, v40, v31, s1 :: v_dual_cndmask_b32 v42, v41, v30, s1
	v_cmp_eq_u32_e64 s1, 15, v39
	s_delay_alu instid0(VALU_DEP_1) | instskip(SKIP_1) | instid1(VALU_DEP_1)
	v_dual_cndmask_b32 v41, v40, v33, s1 :: v_dual_cndmask_b32 v40, v42, v32, s1
	s_wait_dscnt 0x0
	v_fmac_f64_e32 v[34:35], v[40:41], v[36:37]
	v_cmpx_ne_u32_e32 3, v0
	s_cbranch_execz .LBB79_54
; %bb.49:
	v_add_nc_u32_e32 v39, 5, v0
	s_delay_alu instid0(VALU_DEP_1) | instskip(NEXT) | instid1(VALU_DEP_1)
	v_cmp_eq_u32_e64 s1, 1, v39
	v_dual_cndmask_b32 v36, v3, v5, s1 :: v_dual_cndmask_b32 v37, v2, v4, s1
	v_cmp_eq_u32_e64 s1, 2, v39
	v_cmp_eq_u32_e64 s2, 13, v39
	s_delay_alu instid0(VALU_DEP_2) | instskip(SKIP_1) | instid1(VALU_DEP_1)
	v_dual_cndmask_b32 v36, v36, v7, s1 :: v_dual_cndmask_b32 v37, v37, v6, s1
	v_cmp_eq_u32_e64 s1, 3, v39
	v_dual_cndmask_b32 v36, v36, v9, s1 :: v_dual_cndmask_b32 v37, v37, v8, s1
	v_cmp_eq_u32_e64 s1, 4, v39
	s_delay_alu instid0(VALU_DEP_1) | instskip(SKIP_1) | instid1(VALU_DEP_1)
	v_dual_cndmask_b32 v36, v36, v11, s1 :: v_dual_cndmask_b32 v37, v37, v10, s1
	v_cmp_eq_u32_e64 s1, 5, v39
	v_dual_cndmask_b32 v36, v36, v13, s1 :: v_dual_cndmask_b32 v37, v37, v12, s1
	v_cmp_eq_u32_e64 s1, 6, v39
	s_delay_alu instid0(VALU_DEP_1) | instskip(SKIP_1) | instid1(VALU_DEP_1)
	;; [unrolled: 5-line block ×4, first 2 shown]
	v_dual_cndmask_b32 v36, v36, v23, s1 :: v_dual_cndmask_b32 v37, v37, v22, s1
	v_cmp_eq_u32_e64 s1, 11, v39
	v_dual_cndmask_b32 v36, v36, v25, s1 :: v_dual_cndmask_b32 v37, v37, v24, s1
	v_cmp_eq_u32_e64 s1, 12, v39
	s_delay_alu instid0(VALU_DEP_1) | instskip(SKIP_3) | instid1(VALU_DEP_1)
	v_dual_cndmask_b32 v40, v36, v27, s1 :: v_dual_cndmask_b32 v41, v37, v26, s1
	ds_load_b64 v[36:37], v38 offset:40
	v_cmp_eq_u32_e64 s1, 14, v39
	v_dual_cndmask_b32 v40, v40, v29, s2 :: v_dual_cndmask_b32 v41, v41, v28, s2
	v_dual_cndmask_b32 v40, v40, v31, s1 :: v_dual_cndmask_b32 v42, v41, v30, s1
	v_cmp_eq_u32_e64 s1, 15, v39
	s_delay_alu instid0(VALU_DEP_1) | instskip(SKIP_1) | instid1(VALU_DEP_1)
	v_dual_cndmask_b32 v41, v40, v33, s1 :: v_dual_cndmask_b32 v40, v42, v32, s1
	s_wait_dscnt 0x0
	v_fmac_f64_e32 v[34:35], v[40:41], v[36:37]
	s_and_saveexec_b32 s2, vcc_lo
	s_cbranch_execz .LBB79_53
; %bb.50:
	v_or_b32_e32 v36, 6, v0
	s_delay_alu instid0(VALU_DEP_1) | instskip(SKIP_3) | instid1(VALU_DEP_3)
	v_cmp_eq_u32_e32 vcc_lo, 1, v36
	v_dual_cndmask_b32 v37, v3, v5, vcc_lo :: v_dual_cndmask_b32 v39, v2, v4, vcc_lo
	v_cmp_eq_u32_e32 vcc_lo, 2, v36
	v_cmp_eq_u32_e64 s1, 13, v36
	v_dual_cndmask_b32 v37, v37, v7, vcc_lo :: v_dual_cndmask_b32 v39, v39, v6, vcc_lo
	v_cmp_eq_u32_e32 vcc_lo, 3, v36
	s_delay_alu instid0(VALU_DEP_2) | instskip(SKIP_1) | instid1(VALU_DEP_2)
	v_dual_cndmask_b32 v37, v37, v9, vcc_lo :: v_dual_cndmask_b32 v39, v39, v8, vcc_lo
	v_cmp_eq_u32_e32 vcc_lo, 4, v36
	v_dual_cndmask_b32 v37, v37, v11, vcc_lo :: v_dual_cndmask_b32 v39, v39, v10, vcc_lo
	v_cmp_eq_u32_e32 vcc_lo, 5, v36
	s_delay_alu instid0(VALU_DEP_2) | instskip(SKIP_1) | instid1(VALU_DEP_2)
	v_dual_cndmask_b32 v37, v37, v13, vcc_lo :: v_dual_cndmask_b32 v39, v39, v12, vcc_lo
	v_cmp_eq_u32_e32 vcc_lo, 6, v36
	;; [unrolled: 5-line block ×3, first 2 shown]
	v_dual_cndmask_b32 v19, v37, v19 :: v_dual_cndmask_b32 v18, v39, v18
	v_cmp_eq_u32_e32 vcc_lo, 9, v36
	s_delay_alu instid0(VALU_DEP_2) | instskip(SKIP_1) | instid1(VALU_DEP_2)
	v_dual_cndmask_b32 v19, v19, v21 :: v_dual_cndmask_b32 v18, v18, v20
	v_cmp_eq_u32_e32 vcc_lo, 10, v36
	v_dual_cndmask_b32 v19, v19, v23 :: v_dual_cndmask_b32 v18, v18, v22
	v_cmp_eq_u32_e32 vcc_lo, 11, v36
	s_delay_alu instid0(VALU_DEP_2) | instskip(SKIP_1) | instid1(VALU_DEP_2)
	v_dual_cndmask_b32 v19, v19, v25 :: v_dual_cndmask_b32 v18, v18, v24
	v_cmp_eq_u32_e32 vcc_lo, 12, v36
	v_dual_cndmask_b32 v37, v19, v27, vcc_lo :: v_dual_cndmask_b32 v39, v18, v26, vcc_lo
	ds_load_b64 v[18:19], v38 offset:48
	v_cmp_eq_u32_e32 vcc_lo, 14, v36
	v_dual_cndmask_b32 v37, v37, v29, s1 :: v_dual_cndmask_b32 v39, v39, v28, s1
	s_delay_alu instid0(VALU_DEP_1) | instskip(SKIP_1) | instid1(VALU_DEP_2)
	v_dual_cndmask_b32 v37, v37, v31, vcc_lo :: v_dual_cndmask_b32 v39, v39, v30, vcc_lo
	v_cmp_eq_u32_e32 vcc_lo, 15, v36
	v_dual_cndmask_b32 v37, v37, v33 :: v_dual_cndmask_b32 v36, v39, v32
	s_wait_dscnt 0x0
	s_delay_alu instid0(VALU_DEP_1)
	v_fmac_f64_e32 v[34:35], v[36:37], v[18:19]
	s_and_saveexec_b32 s1, s0
	s_cbranch_execz .LBB79_52
; %bb.51:
	ds_load_b64 v[18:19], v38 offset:56
	s_wait_dscnt 0x0
	v_fmac_f64_e32 v[34:35], v[16:17], v[18:19]
.LBB79_52:
	s_or_b32 exec_lo, exec_lo, s1
.LBB79_53:
	s_delay_alu instid0(SALU_CYCLE_1)
	s_or_b32 exec_lo, exec_lo, s2
.LBB79_54:
	s_delay_alu instid0(SALU_CYCLE_1)
	s_or_b32 exec_lo, exec_lo, s8
.LBB79_55:
	s_delay_alu instid0(SALU_CYCLE_1)
	s_or_b32 exec_lo, exec_lo, s3
.LBB79_56:
	s_delay_alu instid0(SALU_CYCLE_1)
	s_or_b32 exec_lo, exec_lo, s7
.LBB79_57:
	s_delay_alu instid0(SALU_CYCLE_1)
	s_or_b32 exec_lo, exec_lo, s4
.LBB79_58:
	s_delay_alu instid0(SALU_CYCLE_1)
	s_or_b32 exec_lo, exec_lo, s6
	v_mov_b32_e32 v18, 0
	ds_load_b64 v[18:19], v18 offset:64
	s_wait_dscnt 0x0
	v_mul_f64_e32 v[18:19], v[34:35], v[18:19]
.LBB79_59:
	s_or_b32 exec_lo, exec_lo, s5
	s_delay_alu instid0(SALU_CYCLE_1)
	s_mov_b32 s1, exec_lo
	s_barrier_signal -1
	s_barrier_wait -1
	ds_store_b64 v38, v[20:21]
	s_wait_dscnt 0x0
	s_barrier_signal -1
	s_barrier_wait -1
	v_cmpx_gt_u32_e32 9, v0
	s_cbranch_execz .LBB79_63
; %bb.60:
	v_mov_b64_e32 v[34:35], 0
	v_mov_b64_e32 v[36:37], v[0:1]
	v_lshl_add_u32 v39, v0, 3, 0x80
	s_mov_b32 s2, 0
.LBB79_61:                              ; =>This Inner Loop Header: Depth=1
	s_delay_alu instid0(VALU_DEP_2) | instskip(SKIP_3) | instid1(VALU_DEP_2)
	v_cmp_eq_u32_e32 vcc_lo, 1, v36
	v_cmp_eq_u32_e64 s0, 2, v36
	v_dual_cndmask_b32 v40, v3, v5 :: v_dual_cndmask_b32 v41, v2, v4
	v_cmp_eq_u32_e32 vcc_lo, 3, v36
	v_dual_cndmask_b32 v40, v40, v7, s0 :: v_dual_cndmask_b32 v41, v41, v6, s0
	v_cmp_eq_u32_e64 s0, 4, v36
	s_delay_alu instid0(VALU_DEP_2) | instskip(SKIP_1) | instid1(VALU_DEP_2)
	v_dual_cndmask_b32 v40, v40, v9 :: v_dual_cndmask_b32 v41, v41, v8
	v_cmp_eq_u32_e32 vcc_lo, 5, v36
	v_dual_cndmask_b32 v40, v40, v11, s0 :: v_dual_cndmask_b32 v41, v41, v10, s0
	v_cmp_eq_u32_e64 s0, 6, v36
	s_delay_alu instid0(VALU_DEP_2) | instskip(SKIP_1) | instid1(VALU_DEP_2)
	;; [unrolled: 5-line block ×4, first 2 shown]
	v_dual_cndmask_b32 v40, v40, v21 :: v_dual_cndmask_b32 v41, v41, v20
	v_cmp_eq_u32_e32 vcc_lo, 11, v36
	v_dual_cndmask_b32 v40, v40, v23, s0 :: v_dual_cndmask_b32 v41, v41, v22, s0
	v_cmp_eq_u32_e64 s0, 12, v36
	s_delay_alu instid0(VALU_DEP_2)
	v_dual_cndmask_b32 v42, v40, v25 :: v_dual_cndmask_b32 v43, v41, v24
	ds_load_b64 v[40:41], v39
	v_cmp_eq_u32_e32 vcc_lo, 13, v36
	v_add_nc_u32_e32 v39, 8, v39
	v_dual_cndmask_b32 v42, v42, v27, s0 :: v_dual_cndmask_b32 v43, v43, v26, s0
	v_cmp_eq_u32_e64 s0, 14, v36
	s_delay_alu instid0(VALU_DEP_2) | instskip(SKIP_2) | instid1(VALU_DEP_3)
	v_dual_cndmask_b32 v42, v42, v29 :: v_dual_cndmask_b32 v43, v43, v28
	v_cmp_eq_u32_e32 vcc_lo, 15, v36
	v_add_nc_u64_e32 v[36:37], 1, v[36:37]
	v_dual_cndmask_b32 v42, v42, v31, s0 :: v_dual_cndmask_b32 v44, v43, v30, s0
	s_delay_alu instid0(VALU_DEP_1) | instskip(SKIP_1) | instid1(VALU_DEP_1)
	v_dual_cndmask_b32 v43, v42, v33 :: v_dual_cndmask_b32 v42, v44, v32
	s_wait_dscnt 0x0
	v_fmac_f64_e32 v[34:35], v[42:43], v[40:41]
	s_delay_alu instid0(VALU_DEP_4) | instskip(NEXT) | instid1(VALU_DEP_1)
	v_add_nc_u32_e32 v40, -1, v36
	v_cmp_lt_u32_e32 vcc_lo, 7, v40
	s_or_b32 s2, vcc_lo, s2
	s_delay_alu instid0(SALU_CYCLE_1)
	s_and_not1_b32 exec_lo, exec_lo, s2
	s_cbranch_execnz .LBB79_61
; %bb.62:
	s_or_b32 exec_lo, exec_lo, s2
	v_mov_b32_e32 v20, 0
	ds_load_b64 v[20:21], v20 offset:72
	s_wait_dscnt 0x0
	v_mul_f64_e32 v[20:21], v[34:35], v[20:21]
.LBB79_63:
	s_or_b32 exec_lo, exec_lo, s1
	s_delay_alu instid0(SALU_CYCLE_1)
	s_mov_b32 s1, exec_lo
	s_barrier_signal -1
	s_barrier_wait -1
	ds_store_b64 v38, v[22:23]
	s_wait_dscnt 0x0
	s_barrier_signal -1
	s_barrier_wait -1
	v_cmpx_gt_u32_e32 10, v0
	s_cbranch_execz .LBB79_67
; %bb.64:
	v_mov_b64_e32 v[34:35], 0
	v_mov_b64_e32 v[36:37], v[0:1]
	v_lshl_add_u32 v39, v0, 3, 0x80
	s_mov_b32 s2, 0
.LBB79_65:                              ; =>This Inner Loop Header: Depth=1
	s_delay_alu instid0(VALU_DEP_2) | instskip(SKIP_3) | instid1(VALU_DEP_2)
	v_cmp_eq_u32_e32 vcc_lo, 1, v36
	v_cmp_eq_u32_e64 s0, 2, v36
	v_dual_cndmask_b32 v40, v3, v5 :: v_dual_cndmask_b32 v41, v2, v4
	v_cmp_eq_u32_e32 vcc_lo, 3, v36
	v_dual_cndmask_b32 v40, v40, v7, s0 :: v_dual_cndmask_b32 v41, v41, v6, s0
	v_cmp_eq_u32_e64 s0, 4, v36
	s_delay_alu instid0(VALU_DEP_2) | instskip(SKIP_1) | instid1(VALU_DEP_2)
	v_dual_cndmask_b32 v40, v40, v9 :: v_dual_cndmask_b32 v41, v41, v8
	v_cmp_eq_u32_e32 vcc_lo, 5, v36
	v_dual_cndmask_b32 v40, v40, v11, s0 :: v_dual_cndmask_b32 v41, v41, v10, s0
	v_cmp_eq_u32_e64 s0, 6, v36
	s_delay_alu instid0(VALU_DEP_2) | instskip(SKIP_1) | instid1(VALU_DEP_2)
	;; [unrolled: 5-line block ×4, first 2 shown]
	v_dual_cndmask_b32 v40, v40, v21 :: v_dual_cndmask_b32 v41, v41, v20
	v_cmp_eq_u32_e32 vcc_lo, 11, v36
	v_dual_cndmask_b32 v40, v40, v23, s0 :: v_dual_cndmask_b32 v41, v41, v22, s0
	v_cmp_eq_u32_e64 s0, 12, v36
	s_delay_alu instid0(VALU_DEP_2)
	v_dual_cndmask_b32 v42, v40, v25 :: v_dual_cndmask_b32 v43, v41, v24
	ds_load_b64 v[40:41], v39
	v_cmp_eq_u32_e32 vcc_lo, 13, v36
	v_add_nc_u32_e32 v39, 8, v39
	v_dual_cndmask_b32 v42, v42, v27, s0 :: v_dual_cndmask_b32 v43, v43, v26, s0
	v_cmp_eq_u32_e64 s0, 14, v36
	s_delay_alu instid0(VALU_DEP_2) | instskip(SKIP_2) | instid1(VALU_DEP_3)
	v_dual_cndmask_b32 v42, v42, v29 :: v_dual_cndmask_b32 v43, v43, v28
	v_cmp_eq_u32_e32 vcc_lo, 15, v36
	v_add_nc_u64_e32 v[36:37], 1, v[36:37]
	v_dual_cndmask_b32 v42, v42, v31, s0 :: v_dual_cndmask_b32 v44, v43, v30, s0
	s_delay_alu instid0(VALU_DEP_1) | instskip(SKIP_1) | instid1(VALU_DEP_1)
	v_dual_cndmask_b32 v43, v42, v33 :: v_dual_cndmask_b32 v42, v44, v32
	s_wait_dscnt 0x0
	v_fmac_f64_e32 v[34:35], v[42:43], v[40:41]
	s_delay_alu instid0(VALU_DEP_4) | instskip(NEXT) | instid1(VALU_DEP_1)
	v_add_nc_u32_e32 v40, -1, v36
	v_cmp_lt_u32_e32 vcc_lo, 8, v40
	s_or_b32 s2, vcc_lo, s2
	s_delay_alu instid0(SALU_CYCLE_1)
	s_and_not1_b32 exec_lo, exec_lo, s2
	s_cbranch_execnz .LBB79_65
; %bb.66:
	s_or_b32 exec_lo, exec_lo, s2
	v_mov_b32_e32 v22, 0
	ds_load_b64 v[22:23], v22 offset:80
	s_wait_dscnt 0x0
	v_mul_f64_e32 v[22:23], v[34:35], v[22:23]
.LBB79_67:
	s_or_b32 exec_lo, exec_lo, s1
	s_delay_alu instid0(SALU_CYCLE_1)
	s_mov_b32 s1, exec_lo
	s_barrier_signal -1
	s_barrier_wait -1
	ds_store_b64 v38, v[24:25]
	s_wait_dscnt 0x0
	s_barrier_signal -1
	s_barrier_wait -1
	v_cmpx_gt_u32_e32 11, v0
	s_cbranch_execz .LBB79_71
; %bb.68:
	v_mov_b64_e32 v[34:35], 0
	v_mov_b64_e32 v[36:37], v[0:1]
	v_lshl_add_u32 v39, v0, 3, 0x80
	s_mov_b32 s2, 0
.LBB79_69:                              ; =>This Inner Loop Header: Depth=1
	s_delay_alu instid0(VALU_DEP_2) | instskip(SKIP_3) | instid1(VALU_DEP_2)
	v_cmp_eq_u32_e32 vcc_lo, 1, v36
	v_cmp_eq_u32_e64 s0, 2, v36
	v_dual_cndmask_b32 v40, v3, v5 :: v_dual_cndmask_b32 v41, v2, v4
	v_cmp_eq_u32_e32 vcc_lo, 3, v36
	v_dual_cndmask_b32 v40, v40, v7, s0 :: v_dual_cndmask_b32 v41, v41, v6, s0
	v_cmp_eq_u32_e64 s0, 4, v36
	s_delay_alu instid0(VALU_DEP_2) | instskip(SKIP_1) | instid1(VALU_DEP_2)
	v_dual_cndmask_b32 v40, v40, v9 :: v_dual_cndmask_b32 v41, v41, v8
	v_cmp_eq_u32_e32 vcc_lo, 5, v36
	v_dual_cndmask_b32 v40, v40, v11, s0 :: v_dual_cndmask_b32 v41, v41, v10, s0
	v_cmp_eq_u32_e64 s0, 6, v36
	s_delay_alu instid0(VALU_DEP_2) | instskip(SKIP_1) | instid1(VALU_DEP_2)
	v_dual_cndmask_b32 v40, v40, v13 :: v_dual_cndmask_b32 v41, v41, v12
	v_cmp_eq_u32_e32 vcc_lo, 7, v36
	v_dual_cndmask_b32 v40, v40, v15, s0 :: v_dual_cndmask_b32 v41, v41, v14, s0
	v_cmp_eq_u32_e64 s0, 8, v36
	s_delay_alu instid0(VALU_DEP_2) | instskip(SKIP_1) | instid1(VALU_DEP_2)
	v_dual_cndmask_b32 v40, v40, v17 :: v_dual_cndmask_b32 v41, v41, v16
	v_cmp_eq_u32_e32 vcc_lo, 9, v36
	v_dual_cndmask_b32 v40, v40, v19, s0 :: v_dual_cndmask_b32 v41, v41, v18, s0
	v_cmp_eq_u32_e64 s0, 10, v36
	s_delay_alu instid0(VALU_DEP_2) | instskip(SKIP_1) | instid1(VALU_DEP_2)
	v_dual_cndmask_b32 v40, v40, v21 :: v_dual_cndmask_b32 v41, v41, v20
	v_cmp_eq_u32_e32 vcc_lo, 11, v36
	v_dual_cndmask_b32 v40, v40, v23, s0 :: v_dual_cndmask_b32 v41, v41, v22, s0
	v_cmp_eq_u32_e64 s0, 12, v36
	s_delay_alu instid0(VALU_DEP_2)
	v_dual_cndmask_b32 v42, v40, v25 :: v_dual_cndmask_b32 v43, v41, v24
	ds_load_b64 v[40:41], v39
	v_cmp_eq_u32_e32 vcc_lo, 13, v36
	v_add_nc_u32_e32 v39, 8, v39
	v_dual_cndmask_b32 v42, v42, v27, s0 :: v_dual_cndmask_b32 v43, v43, v26, s0
	v_cmp_eq_u32_e64 s0, 14, v36
	s_delay_alu instid0(VALU_DEP_2) | instskip(SKIP_2) | instid1(VALU_DEP_3)
	v_dual_cndmask_b32 v42, v42, v29 :: v_dual_cndmask_b32 v43, v43, v28
	v_cmp_eq_u32_e32 vcc_lo, 15, v36
	v_add_nc_u64_e32 v[36:37], 1, v[36:37]
	v_dual_cndmask_b32 v42, v42, v31, s0 :: v_dual_cndmask_b32 v44, v43, v30, s0
	s_delay_alu instid0(VALU_DEP_1) | instskip(SKIP_1) | instid1(VALU_DEP_1)
	v_dual_cndmask_b32 v43, v42, v33 :: v_dual_cndmask_b32 v42, v44, v32
	s_wait_dscnt 0x0
	v_fmac_f64_e32 v[34:35], v[42:43], v[40:41]
	s_delay_alu instid0(VALU_DEP_4) | instskip(NEXT) | instid1(VALU_DEP_1)
	v_add_nc_u32_e32 v40, -1, v36
	v_cmp_lt_u32_e32 vcc_lo, 9, v40
	s_or_b32 s2, vcc_lo, s2
	s_delay_alu instid0(SALU_CYCLE_1)
	s_and_not1_b32 exec_lo, exec_lo, s2
	s_cbranch_execnz .LBB79_69
; %bb.70:
	s_or_b32 exec_lo, exec_lo, s2
	v_mov_b32_e32 v24, 0
	ds_load_b64 v[24:25], v24 offset:88
	s_wait_dscnt 0x0
	v_mul_f64_e32 v[24:25], v[34:35], v[24:25]
.LBB79_71:
	s_or_b32 exec_lo, exec_lo, s1
	s_delay_alu instid0(SALU_CYCLE_1)
	s_mov_b32 s1, exec_lo
	s_barrier_signal -1
	s_barrier_wait -1
	ds_store_b64 v38, v[26:27]
	s_wait_dscnt 0x0
	s_barrier_signal -1
	s_barrier_wait -1
	v_cmpx_gt_u32_e32 12, v0
	s_cbranch_execz .LBB79_75
; %bb.72:
	v_mov_b64_e32 v[34:35], 0
	v_mov_b64_e32 v[36:37], v[0:1]
	v_lshl_add_u32 v39, v0, 3, 0x80
	s_mov_b32 s2, 0
.LBB79_73:                              ; =>This Inner Loop Header: Depth=1
	s_delay_alu instid0(VALU_DEP_2) | instskip(SKIP_3) | instid1(VALU_DEP_2)
	v_cmp_eq_u32_e32 vcc_lo, 1, v36
	v_cmp_eq_u32_e64 s0, 2, v36
	v_dual_cndmask_b32 v40, v3, v5 :: v_dual_cndmask_b32 v41, v2, v4
	v_cmp_eq_u32_e32 vcc_lo, 3, v36
	v_dual_cndmask_b32 v40, v40, v7, s0 :: v_dual_cndmask_b32 v41, v41, v6, s0
	v_cmp_eq_u32_e64 s0, 4, v36
	s_delay_alu instid0(VALU_DEP_2) | instskip(SKIP_1) | instid1(VALU_DEP_2)
	v_dual_cndmask_b32 v40, v40, v9 :: v_dual_cndmask_b32 v41, v41, v8
	v_cmp_eq_u32_e32 vcc_lo, 5, v36
	v_dual_cndmask_b32 v40, v40, v11, s0 :: v_dual_cndmask_b32 v41, v41, v10, s0
	v_cmp_eq_u32_e64 s0, 6, v36
	s_delay_alu instid0(VALU_DEP_2) | instskip(SKIP_1) | instid1(VALU_DEP_2)
	;; [unrolled: 5-line block ×4, first 2 shown]
	v_dual_cndmask_b32 v40, v40, v21 :: v_dual_cndmask_b32 v41, v41, v20
	v_cmp_eq_u32_e32 vcc_lo, 11, v36
	v_dual_cndmask_b32 v40, v40, v23, s0 :: v_dual_cndmask_b32 v41, v41, v22, s0
	v_cmp_eq_u32_e64 s0, 12, v36
	s_delay_alu instid0(VALU_DEP_2)
	v_dual_cndmask_b32 v42, v40, v25 :: v_dual_cndmask_b32 v43, v41, v24
	ds_load_b64 v[40:41], v39
	v_cmp_eq_u32_e32 vcc_lo, 13, v36
	v_add_nc_u32_e32 v39, 8, v39
	v_dual_cndmask_b32 v42, v42, v27, s0 :: v_dual_cndmask_b32 v43, v43, v26, s0
	v_cmp_eq_u32_e64 s0, 14, v36
	s_delay_alu instid0(VALU_DEP_2) | instskip(SKIP_2) | instid1(VALU_DEP_3)
	v_dual_cndmask_b32 v42, v42, v29 :: v_dual_cndmask_b32 v43, v43, v28
	v_cmp_eq_u32_e32 vcc_lo, 15, v36
	v_add_nc_u64_e32 v[36:37], 1, v[36:37]
	v_dual_cndmask_b32 v42, v42, v31, s0 :: v_dual_cndmask_b32 v44, v43, v30, s0
	s_delay_alu instid0(VALU_DEP_1) | instskip(SKIP_1) | instid1(VALU_DEP_1)
	v_dual_cndmask_b32 v43, v42, v33 :: v_dual_cndmask_b32 v42, v44, v32
	s_wait_dscnt 0x0
	v_fmac_f64_e32 v[34:35], v[42:43], v[40:41]
	s_delay_alu instid0(VALU_DEP_4) | instskip(NEXT) | instid1(VALU_DEP_1)
	v_add_nc_u32_e32 v40, -1, v36
	v_cmp_lt_u32_e32 vcc_lo, 10, v40
	s_or_b32 s2, vcc_lo, s2
	s_delay_alu instid0(SALU_CYCLE_1)
	s_and_not1_b32 exec_lo, exec_lo, s2
	s_cbranch_execnz .LBB79_73
; %bb.74:
	s_or_b32 exec_lo, exec_lo, s2
	v_mov_b32_e32 v26, 0
	ds_load_b64 v[26:27], v26 offset:96
	s_wait_dscnt 0x0
	v_mul_f64_e32 v[26:27], v[34:35], v[26:27]
.LBB79_75:
	s_or_b32 exec_lo, exec_lo, s1
	s_delay_alu instid0(SALU_CYCLE_1)
	s_mov_b32 s1, exec_lo
	s_barrier_signal -1
	s_barrier_wait -1
	ds_store_b64 v38, v[28:29]
	s_wait_dscnt 0x0
	s_barrier_signal -1
	s_barrier_wait -1
	v_cmpx_gt_u32_e32 13, v0
	s_cbranch_execz .LBB79_79
; %bb.76:
	v_mov_b64_e32 v[34:35], 0
	v_mov_b64_e32 v[36:37], v[0:1]
	v_lshl_add_u32 v39, v0, 3, 0x80
	s_mov_b32 s2, 0
.LBB79_77:                              ; =>This Inner Loop Header: Depth=1
	s_delay_alu instid0(VALU_DEP_2) | instskip(SKIP_3) | instid1(VALU_DEP_2)
	v_cmp_eq_u32_e32 vcc_lo, 1, v36
	v_cmp_eq_u32_e64 s0, 2, v36
	v_dual_cndmask_b32 v40, v3, v5 :: v_dual_cndmask_b32 v41, v2, v4
	v_cmp_eq_u32_e32 vcc_lo, 3, v36
	v_dual_cndmask_b32 v40, v40, v7, s0 :: v_dual_cndmask_b32 v41, v41, v6, s0
	v_cmp_eq_u32_e64 s0, 4, v36
	s_delay_alu instid0(VALU_DEP_2) | instskip(SKIP_1) | instid1(VALU_DEP_2)
	v_dual_cndmask_b32 v40, v40, v9 :: v_dual_cndmask_b32 v41, v41, v8
	v_cmp_eq_u32_e32 vcc_lo, 5, v36
	v_dual_cndmask_b32 v40, v40, v11, s0 :: v_dual_cndmask_b32 v41, v41, v10, s0
	v_cmp_eq_u32_e64 s0, 6, v36
	s_delay_alu instid0(VALU_DEP_2) | instskip(SKIP_1) | instid1(VALU_DEP_2)
	;; [unrolled: 5-line block ×4, first 2 shown]
	v_dual_cndmask_b32 v40, v40, v21 :: v_dual_cndmask_b32 v41, v41, v20
	v_cmp_eq_u32_e32 vcc_lo, 11, v36
	v_dual_cndmask_b32 v40, v40, v23, s0 :: v_dual_cndmask_b32 v41, v41, v22, s0
	v_cmp_eq_u32_e64 s0, 12, v36
	s_delay_alu instid0(VALU_DEP_2)
	v_dual_cndmask_b32 v42, v40, v25 :: v_dual_cndmask_b32 v43, v41, v24
	ds_load_b64 v[40:41], v39
	v_cmp_eq_u32_e32 vcc_lo, 13, v36
	v_add_nc_u32_e32 v39, 8, v39
	v_dual_cndmask_b32 v42, v42, v27, s0 :: v_dual_cndmask_b32 v43, v43, v26, s0
	v_cmp_eq_u32_e64 s0, 14, v36
	s_delay_alu instid0(VALU_DEP_2) | instskip(SKIP_2) | instid1(VALU_DEP_3)
	v_dual_cndmask_b32 v42, v42, v29 :: v_dual_cndmask_b32 v43, v43, v28
	v_cmp_eq_u32_e32 vcc_lo, 15, v36
	v_add_nc_u64_e32 v[36:37], 1, v[36:37]
	v_dual_cndmask_b32 v42, v42, v31, s0 :: v_dual_cndmask_b32 v44, v43, v30, s0
	s_delay_alu instid0(VALU_DEP_1) | instskip(SKIP_1) | instid1(VALU_DEP_1)
	v_dual_cndmask_b32 v43, v42, v33 :: v_dual_cndmask_b32 v42, v44, v32
	s_wait_dscnt 0x0
	v_fmac_f64_e32 v[34:35], v[42:43], v[40:41]
	s_delay_alu instid0(VALU_DEP_4) | instskip(NEXT) | instid1(VALU_DEP_1)
	v_add_nc_u32_e32 v40, -1, v36
	v_cmp_lt_u32_e32 vcc_lo, 11, v40
	s_or_b32 s2, vcc_lo, s2
	s_delay_alu instid0(SALU_CYCLE_1)
	s_and_not1_b32 exec_lo, exec_lo, s2
	s_cbranch_execnz .LBB79_77
; %bb.78:
	s_or_b32 exec_lo, exec_lo, s2
	v_mov_b32_e32 v28, 0
	ds_load_b64 v[28:29], v28 offset:104
	s_wait_dscnt 0x0
	v_mul_f64_e32 v[28:29], v[34:35], v[28:29]
.LBB79_79:
	s_or_b32 exec_lo, exec_lo, s1
	s_delay_alu instid0(SALU_CYCLE_1)
	s_mov_b32 s1, exec_lo
	s_barrier_signal -1
	s_barrier_wait -1
	ds_store_b64 v38, v[30:31]
	s_wait_dscnt 0x0
	s_barrier_signal -1
	s_barrier_wait -1
	v_cmpx_gt_u32_e32 14, v0
	s_cbranch_execz .LBB79_83
; %bb.80:
	v_mov_b64_e32 v[34:35], 0
	v_mov_b64_e32 v[36:37], v[0:1]
	v_lshl_add_u32 v39, v0, 3, 0x80
	s_mov_b32 s2, 0
.LBB79_81:                              ; =>This Inner Loop Header: Depth=1
	s_delay_alu instid0(VALU_DEP_2) | instskip(SKIP_3) | instid1(VALU_DEP_2)
	v_cmp_eq_u32_e32 vcc_lo, 1, v36
	v_cmp_eq_u32_e64 s0, 2, v36
	v_dual_cndmask_b32 v40, v3, v5 :: v_dual_cndmask_b32 v41, v2, v4
	v_cmp_eq_u32_e32 vcc_lo, 3, v36
	v_dual_cndmask_b32 v40, v40, v7, s0 :: v_dual_cndmask_b32 v41, v41, v6, s0
	v_cmp_eq_u32_e64 s0, 4, v36
	s_delay_alu instid0(VALU_DEP_2) | instskip(SKIP_1) | instid1(VALU_DEP_2)
	v_dual_cndmask_b32 v40, v40, v9 :: v_dual_cndmask_b32 v41, v41, v8
	v_cmp_eq_u32_e32 vcc_lo, 5, v36
	v_dual_cndmask_b32 v40, v40, v11, s0 :: v_dual_cndmask_b32 v41, v41, v10, s0
	v_cmp_eq_u32_e64 s0, 6, v36
	s_delay_alu instid0(VALU_DEP_2) | instskip(SKIP_1) | instid1(VALU_DEP_2)
	;; [unrolled: 5-line block ×4, first 2 shown]
	v_dual_cndmask_b32 v40, v40, v21 :: v_dual_cndmask_b32 v41, v41, v20
	v_cmp_eq_u32_e32 vcc_lo, 11, v36
	v_dual_cndmask_b32 v40, v40, v23, s0 :: v_dual_cndmask_b32 v41, v41, v22, s0
	v_cmp_eq_u32_e64 s0, 12, v36
	s_delay_alu instid0(VALU_DEP_2)
	v_dual_cndmask_b32 v42, v40, v25 :: v_dual_cndmask_b32 v43, v41, v24
	ds_load_b64 v[40:41], v39
	v_cmp_eq_u32_e32 vcc_lo, 13, v36
	v_add_nc_u32_e32 v39, 8, v39
	v_dual_cndmask_b32 v42, v42, v27, s0 :: v_dual_cndmask_b32 v43, v43, v26, s0
	v_cmp_eq_u32_e64 s0, 14, v36
	s_delay_alu instid0(VALU_DEP_2) | instskip(SKIP_2) | instid1(VALU_DEP_3)
	v_dual_cndmask_b32 v42, v42, v29 :: v_dual_cndmask_b32 v43, v43, v28
	v_cmp_eq_u32_e32 vcc_lo, 15, v36
	v_add_nc_u64_e32 v[36:37], 1, v[36:37]
	v_dual_cndmask_b32 v42, v42, v31, s0 :: v_dual_cndmask_b32 v44, v43, v30, s0
	s_delay_alu instid0(VALU_DEP_1) | instskip(SKIP_1) | instid1(VALU_DEP_1)
	v_dual_cndmask_b32 v43, v42, v33 :: v_dual_cndmask_b32 v42, v44, v32
	s_wait_dscnt 0x0
	v_fmac_f64_e32 v[34:35], v[42:43], v[40:41]
	s_delay_alu instid0(VALU_DEP_4) | instskip(NEXT) | instid1(VALU_DEP_1)
	v_add_nc_u32_e32 v40, -1, v36
	v_cmp_lt_u32_e32 vcc_lo, 12, v40
	s_or_b32 s2, vcc_lo, s2
	s_delay_alu instid0(SALU_CYCLE_1)
	s_and_not1_b32 exec_lo, exec_lo, s2
	s_cbranch_execnz .LBB79_81
; %bb.82:
	s_or_b32 exec_lo, exec_lo, s2
	v_mov_b32_e32 v30, 0
	ds_load_b64 v[30:31], v30 offset:112
	s_wait_dscnt 0x0
	v_mul_f64_e32 v[30:31], v[34:35], v[30:31]
.LBB79_83:
	s_or_b32 exec_lo, exec_lo, s1
	s_delay_alu instid0(SALU_CYCLE_1)
	s_mov_b32 s1, exec_lo
	s_barrier_signal -1
	s_barrier_wait -1
	ds_store_b64 v38, v[32:33]
	s_wait_dscnt 0x0
	s_barrier_signal -1
	s_barrier_wait -1
	v_cmpx_ne_u32_e32 15, v0
	s_cbranch_execz .LBB79_87
; %bb.84:
	v_mov_b64_e32 v[34:35], 0
	v_mov_b64_e32 v[36:37], v[0:1]
	v_lshl_add_u32 v38, v0, 3, 0x80
	s_mov_b32 s2, 0
.LBB79_85:                              ; =>This Inner Loop Header: Depth=1
	s_delay_alu instid0(VALU_DEP_2)
	v_cmp_eq_u32_e32 vcc_lo, 1, v36
	v_cmp_eq_u32_e64 s0, 2, v36
	ds_load_b64 v[40:41], v38
	v_dual_cndmask_b32 v1, v3, v5 :: v_dual_add_nc_u32 v38, 8, v38
	v_cndmask_b32_e32 v39, v2, v4, vcc_lo
	v_cmp_eq_u32_e32 vcc_lo, 3, v36
	s_delay_alu instid0(VALU_DEP_2) | instskip(SKIP_1) | instid1(VALU_DEP_2)
	v_dual_cndmask_b32 v1, v1, v7, s0 :: v_dual_cndmask_b32 v39, v39, v6, s0
	v_cmp_eq_u32_e64 s0, 4, v36
	v_dual_cndmask_b32 v1, v1, v9, vcc_lo :: v_dual_cndmask_b32 v39, v39, v8, vcc_lo
	v_cmp_eq_u32_e32 vcc_lo, 5, v36
	s_delay_alu instid0(VALU_DEP_2) | instskip(SKIP_1) | instid1(VALU_DEP_2)
	v_dual_cndmask_b32 v1, v1, v11, s0 :: v_dual_cndmask_b32 v39, v39, v10, s0
	v_cmp_eq_u32_e64 s0, 6, v36
	v_dual_cndmask_b32 v1, v1, v13, vcc_lo :: v_dual_cndmask_b32 v39, v39, v12, vcc_lo
	v_cmp_eq_u32_e32 vcc_lo, 7, v36
	s_delay_alu instid0(VALU_DEP_2) | instskip(SKIP_1) | instid1(VALU_DEP_2)
	v_dual_cndmask_b32 v1, v1, v15, s0 :: v_dual_cndmask_b32 v39, v39, v14, s0
	v_cmp_eq_u32_e64 s0, 8, v36
	v_dual_cndmask_b32 v1, v1, v17, vcc_lo :: v_dual_cndmask_b32 v39, v39, v16, vcc_lo
	v_cmp_eq_u32_e32 vcc_lo, 9, v36
	s_delay_alu instid0(VALU_DEP_2) | instskip(SKIP_1) | instid1(VALU_DEP_2)
	v_dual_cndmask_b32 v1, v1, v19, s0 :: v_dual_cndmask_b32 v39, v39, v18, s0
	v_cmp_eq_u32_e64 s0, 10, v36
	v_dual_cndmask_b32 v1, v1, v21, vcc_lo :: v_dual_cndmask_b32 v39, v39, v20, vcc_lo
	v_cmp_eq_u32_e32 vcc_lo, 11, v36
	s_delay_alu instid0(VALU_DEP_2) | instskip(SKIP_1) | instid1(VALU_DEP_2)
	v_dual_cndmask_b32 v1, v1, v23, s0 :: v_dual_cndmask_b32 v39, v39, v22, s0
	v_cmp_eq_u32_e64 s0, 12, v36
	v_dual_cndmask_b32 v1, v1, v25, vcc_lo :: v_dual_cndmask_b32 v39, v39, v24, vcc_lo
	v_cmp_eq_u32_e32 vcc_lo, 13, v36
	s_delay_alu instid0(VALU_DEP_2) | instskip(SKIP_1) | instid1(VALU_DEP_2)
	v_dual_cndmask_b32 v1, v1, v27, s0 :: v_dual_cndmask_b32 v39, v39, v26, s0
	v_cmp_eq_u32_e64 s0, 14, v36
	v_dual_cndmask_b32 v1, v1, v29, vcc_lo :: v_dual_cndmask_b32 v39, v39, v28, vcc_lo
	v_cmp_eq_u32_e32 vcc_lo, 15, v36
	v_add_nc_u64_e32 v[36:37], 1, v[36:37]
	s_delay_alu instid0(VALU_DEP_3) | instskip(NEXT) | instid1(VALU_DEP_1)
	v_dual_cndmask_b32 v1, v1, v31, s0 :: v_dual_cndmask_b32 v39, v39, v30, s0
	v_dual_cndmask_b32 v43, v1, v33 :: v_dual_cndmask_b32 v42, v39, v32
	s_delay_alu instid0(VALU_DEP_3) | instskip(SKIP_1) | instid1(VALU_DEP_2)
	v_add_nc_u32_e32 v1, -1, v36
	s_wait_dscnt 0x0
	v_fmac_f64_e32 v[34:35], v[42:43], v[40:41]
	s_delay_alu instid0(VALU_DEP_2) | instskip(SKIP_1) | instid1(SALU_CYCLE_1)
	v_cmp_lt_u32_e32 vcc_lo, 13, v1
	s_or_b32 s2, vcc_lo, s2
	s_and_not1_b32 exec_lo, exec_lo, s2
	s_cbranch_execnz .LBB79_85
; %bb.86:
	s_or_b32 exec_lo, exec_lo, s2
	v_mov_b32_e32 v1, 0
	ds_load_b64 v[32:33], v1 offset:120
	s_wait_dscnt 0x0
	v_mul_f64_e32 v[32:33], v[34:35], v[32:33]
.LBB79_87:
	s_or_b32 exec_lo, exec_lo, s1
	s_barrier_signal -1
	s_barrier_wait -1
	s_cbranch_execnz .LBB79_15
	s_branch .LBB79_16
.LBB79_88:
	s_wait_xcnt 0x0
	v_lshl_add_u32 v1, v0, 3, 0x80
	s_mov_b32 s0, exec_lo
	v_cmpx_eq_u32_e32 15, v0
	s_cbranch_execz .LBB79_90
; %bb.89:
	s_wait_dscnt 0x0
	v_mov_b64_e32 v[62:63], v[32:33]
	v_mov_b64_e32 v[60:61], v[30:31]
	;; [unrolled: 1-line block ×16, first 2 shown]
	s_mov_b32 s1, 0
	ds_store_b64 v1, v[30:31]
	v_dual_mov_b32 v60, s1 :: v_dual_mov_b32 v61, s1
	v_mov_b64_e32 v[2:3], v[32:33]
	v_mov_b64_e32 v[4:5], v[34:35]
	;; [unrolled: 1-line block ×16, first 2 shown]
.LBB79_90:
	s_or_b32 exec_lo, exec_lo, s0
	v_mov_b32_e32 v62, 0
	s_wait_storecnt_dscnt 0x0
	s_barrier_signal -1
	s_barrier_wait -1
	ds_load_b64 v[34:35], v62 offset:248
	s_mov_b32 s0, exec_lo
	s_wait_dscnt 0x0
	v_fma_f64 v[34:35], v[32:33], v[34:35], 0
	s_delay_alu instid0(VALU_DEP_1)
	v_add_f64_e64 v[30:31], v[30:31], -v[34:35]
	v_cmpx_lt_u32_e32 13, v0
	s_cbranch_execz .LBB79_92
; %bb.91:
	v_mov_b64_e32 v[60:61], v[32:33]
	s_delay_alu instid0(VALU_DEP_3)
	v_mov_b64_e32 v[58:59], v[30:31]
	v_mov_b64_e32 v[56:57], v[28:29]
	;; [unrolled: 1-line block ×15, first 2 shown]
	s_mov_b32 s1, 0
	ds_store_b64 v1, v[28:29]
	v_dual_mov_b32 v56, s1 :: v_dual_mov_b32 v57, s1
	v_mov_b64_e32 v[2:3], v[30:31]
	v_mov_b64_e32 v[4:5], v[32:33]
	v_mov_b64_e32 v[6:7], v[34:35]
	v_mov_b64_e32 v[8:9], v[36:37]
	v_mov_b64_e32 v[10:11], v[38:39]
	v_mov_b64_e32 v[12:13], v[40:41]
	v_mov_b64_e32 v[14:15], v[42:43]
	v_mov_b64_e32 v[16:17], v[44:45]
	v_mov_b64_e32 v[18:19], v[46:47]
	v_mov_b64_e32 v[20:21], v[48:49]
	v_mov_b64_e32 v[22:23], v[50:51]
	v_mov_b64_e32 v[24:25], v[52:53]
	v_mov_b64_e32 v[26:27], v[54:55]
	v_mov_b64_e32 v[28:29], v[56:57]
	v_mov_b64_e32 v[30:31], v[58:59]
	v_mov_b64_e32 v[32:33], v[60:61]
.LBB79_92:
	s_or_b32 exec_lo, exec_lo, s0
	s_wait_dscnt 0x0
	s_barrier_signal -1
	s_barrier_wait -1
	ds_load_b128 v[34:37], v62 offset:240
	s_mov_b32 s0, exec_lo
	s_wait_dscnt 0x0
	v_fma_f64 v[34:35], v[30:31], v[34:35], 0
	s_delay_alu instid0(VALU_DEP_1) | instskip(NEXT) | instid1(VALU_DEP_1)
	v_fmac_f64_e32 v[34:35], v[32:33], v[36:37]
	v_add_f64_e64 v[28:29], v[28:29], -v[34:35]
	v_cmpx_lt_u32_e32 12, v0
	s_cbranch_execz .LBB79_94
; %bb.93:
	v_mov_b64_e32 v[58:59], v[32:33]
	v_mov_b64_e32 v[56:57], v[30:31]
	s_delay_alu instid0(VALU_DEP_4)
	v_mov_b64_e32 v[54:55], v[28:29]
	v_mov_b64_e32 v[52:53], v[26:27]
	;; [unrolled: 1-line block ×14, first 2 shown]
	s_mov_b32 s1, 0
	ds_store_b64 v1, v[26:27]
	v_dual_mov_b32 v52, s1 :: v_dual_mov_b32 v53, s1
	v_mov_b64_e32 v[2:3], v[28:29]
	v_mov_b64_e32 v[4:5], v[30:31]
	v_mov_b64_e32 v[6:7], v[32:33]
	v_mov_b64_e32 v[8:9], v[34:35]
	v_mov_b64_e32 v[10:11], v[36:37]
	v_mov_b64_e32 v[12:13], v[38:39]
	v_mov_b64_e32 v[14:15], v[40:41]
	v_mov_b64_e32 v[16:17], v[42:43]
	v_mov_b64_e32 v[18:19], v[44:45]
	v_mov_b64_e32 v[20:21], v[46:47]
	v_mov_b64_e32 v[22:23], v[48:49]
	v_mov_b64_e32 v[24:25], v[50:51]
	v_mov_b64_e32 v[26:27], v[52:53]
	v_mov_b64_e32 v[28:29], v[54:55]
	v_mov_b64_e32 v[30:31], v[56:57]
	v_mov_b64_e32 v[32:33], v[58:59]
.LBB79_94:
	s_or_b32 exec_lo, exec_lo, s0
	v_mov_b32_e32 v58, 0
	s_wait_dscnt 0x0
	s_barrier_signal -1
	s_barrier_wait -1
	ds_load_2addr_b64 v[34:37], v58 offset0:29 offset1:30
	ds_load_b64 v[38:39], v58 offset:248
	s_mov_b32 s0, exec_lo
	s_wait_dscnt 0x1
	v_fma_f64 v[34:35], v[28:29], v[34:35], 0
	s_delay_alu instid0(VALU_DEP_1) | instskip(SKIP_1) | instid1(VALU_DEP_1)
	v_fmac_f64_e32 v[34:35], v[30:31], v[36:37]
	s_wait_dscnt 0x0
	v_fmac_f64_e32 v[34:35], v[32:33], v[38:39]
	s_delay_alu instid0(VALU_DEP_1)
	v_add_f64_e64 v[26:27], v[26:27], -v[34:35]
	v_cmpx_lt_u32_e32 11, v0
	s_cbranch_execz .LBB79_96
; %bb.95:
	v_mov_b64_e32 v[56:57], v[32:33]
	v_mov_b64_e32 v[54:55], v[30:31]
	;; [unrolled: 1-line block ×16, first 2 shown]
	s_mov_b32 s1, 0
	ds_store_b64 v1, v[24:25]
	v_dual_mov_b32 v48, s1 :: v_dual_mov_b32 v49, s1
	v_mov_b64_e32 v[2:3], v[26:27]
	v_mov_b64_e32 v[4:5], v[28:29]
	;; [unrolled: 1-line block ×16, first 2 shown]
.LBB79_96:
	s_or_b32 exec_lo, exec_lo, s0
	s_wait_dscnt 0x0
	s_barrier_signal -1
	s_barrier_wait -1
	ds_load_b128 v[34:37], v58 offset:224
	ds_load_b128 v[38:41], v58 offset:240
	s_mov_b32 s0, exec_lo
	s_wait_dscnt 0x1
	v_fma_f64 v[34:35], v[26:27], v[34:35], 0
	s_delay_alu instid0(VALU_DEP_1) | instskip(SKIP_1) | instid1(VALU_DEP_1)
	v_fmac_f64_e32 v[34:35], v[28:29], v[36:37]
	s_wait_dscnt 0x0
	v_fmac_f64_e32 v[34:35], v[30:31], v[38:39]
	s_delay_alu instid0(VALU_DEP_1) | instskip(NEXT) | instid1(VALU_DEP_1)
	v_fmac_f64_e32 v[34:35], v[32:33], v[40:41]
	v_add_f64_e64 v[24:25], v[24:25], -v[34:35]
	v_cmpx_lt_u32_e32 10, v0
	s_cbranch_execz .LBB79_98
; %bb.97:
	v_mov_b64_e32 v[54:55], v[32:33]
	v_mov_b64_e32 v[52:53], v[30:31]
	;; [unrolled: 1-line block ×16, first 2 shown]
	s_mov_b32 s1, 0
	ds_store_b64 v1, v[22:23]
	v_dual_mov_b32 v44, s1 :: v_dual_mov_b32 v45, s1
	v_mov_b64_e32 v[2:3], v[24:25]
	v_mov_b64_e32 v[4:5], v[26:27]
	;; [unrolled: 1-line block ×16, first 2 shown]
.LBB79_98:
	s_or_b32 exec_lo, exec_lo, s0
	v_mov_b32_e32 v54, 0
	s_wait_dscnt 0x0
	s_barrier_signal -1
	s_barrier_wait -1
	ds_load_2addr_b64 v[34:37], v54 offset0:27 offset1:28
	ds_load_2addr_b64 v[38:41], v54 offset0:29 offset1:30
	s_mov_b32 s0, exec_lo
	s_wait_dscnt 0x1
	v_fma_f64 v[34:35], v[24:25], v[34:35], 0
	s_delay_alu instid0(VALU_DEP_1) | instskip(SKIP_3) | instid1(VALU_DEP_1)
	v_fmac_f64_e32 v[34:35], v[26:27], v[36:37]
	ds_load_b64 v[36:37], v54 offset:248
	s_wait_dscnt 0x1
	v_fmac_f64_e32 v[34:35], v[28:29], v[38:39]
	v_fmac_f64_e32 v[34:35], v[30:31], v[40:41]
	s_wait_dscnt 0x0
	s_delay_alu instid0(VALU_DEP_1) | instskip(NEXT) | instid1(VALU_DEP_1)
	v_fmac_f64_e32 v[34:35], v[32:33], v[36:37]
	v_add_f64_e64 v[22:23], v[22:23], -v[34:35]
	v_cmpx_lt_u32_e32 9, v0
	s_cbranch_execz .LBB79_100
; %bb.99:
	v_mov_b64_e32 v[52:53], v[32:33]
	v_mov_b64_e32 v[50:51], v[30:31]
	;; [unrolled: 1-line block ×16, first 2 shown]
	s_mov_b32 s1, 0
	ds_store_b64 v1, v[20:21]
	v_dual_mov_b32 v40, s1 :: v_dual_mov_b32 v41, s1
	v_mov_b64_e32 v[2:3], v[22:23]
	v_mov_b64_e32 v[4:5], v[24:25]
	;; [unrolled: 1-line block ×16, first 2 shown]
.LBB79_100:
	s_or_b32 exec_lo, exec_lo, s0
	s_wait_dscnt 0x0
	s_barrier_signal -1
	s_barrier_wait -1
	ds_load_b128 v[34:37], v54 offset:208
	ds_load_b128 v[38:41], v54 offset:224
	s_mov_b32 s0, exec_lo
	s_wait_dscnt 0x1
	v_fma_f64 v[42:43], v[22:23], v[34:35], 0
	s_delay_alu instid0(VALU_DEP_1) | instskip(SKIP_3) | instid1(VALU_DEP_1)
	v_fmac_f64_e32 v[42:43], v[24:25], v[36:37]
	ds_load_b128 v[34:37], v54 offset:240
	s_wait_dscnt 0x1
	v_fmac_f64_e32 v[42:43], v[26:27], v[38:39]
	v_fmac_f64_e32 v[42:43], v[28:29], v[40:41]
	s_wait_dscnt 0x0
	s_delay_alu instid0(VALU_DEP_1) | instskip(NEXT) | instid1(VALU_DEP_1)
	v_fmac_f64_e32 v[42:43], v[30:31], v[34:35]
	v_fmac_f64_e32 v[42:43], v[32:33], v[36:37]
	s_delay_alu instid0(VALU_DEP_1)
	v_add_f64_e64 v[20:21], v[20:21], -v[42:43]
	v_cmpx_lt_u32_e32 8, v0
	s_cbranch_execz .LBB79_102
; %bb.101:
	v_mov_b64_e32 v[50:51], v[32:33]
	v_mov_b64_e32 v[48:49], v[30:31]
	;; [unrolled: 1-line block ×16, first 2 shown]
	s_mov_b32 s1, 0
	ds_store_b64 v1, v[18:19]
	v_dual_mov_b32 v36, s1 :: v_dual_mov_b32 v37, s1
	v_mov_b64_e32 v[2:3], v[20:21]
	v_mov_b64_e32 v[4:5], v[22:23]
	v_mov_b64_e32 v[6:7], v[24:25]
	v_mov_b64_e32 v[8:9], v[26:27]
	v_mov_b64_e32 v[10:11], v[28:29]
	v_mov_b64_e32 v[12:13], v[30:31]
	v_mov_b64_e32 v[14:15], v[32:33]
	v_mov_b64_e32 v[16:17], v[34:35]
	v_mov_b64_e32 v[18:19], v[36:37]
	v_mov_b64_e32 v[20:21], v[38:39]
	v_mov_b64_e32 v[22:23], v[40:41]
	v_mov_b64_e32 v[24:25], v[42:43]
	v_mov_b64_e32 v[26:27], v[44:45]
	v_mov_b64_e32 v[28:29], v[46:47]
	v_mov_b64_e32 v[30:31], v[48:49]
	v_mov_b64_e32 v[32:33], v[50:51]
.LBB79_102:
	s_or_b32 exec_lo, exec_lo, s0
	v_mov_b32_e32 v50, 0
	s_wait_dscnt 0x0
	s_barrier_signal -1
	s_barrier_wait -1
	ds_load_2addr_b64 v[34:37], v50 offset0:25 offset1:26
	ds_load_2addr_b64 v[38:41], v50 offset0:27 offset1:28
	s_mov_b32 s0, exec_lo
	s_wait_dscnt 0x1
	v_fma_f64 v[42:43], v[20:21], v[34:35], 0
	s_delay_alu instid0(VALU_DEP_1) | instskip(SKIP_1) | instid1(VALU_DEP_1)
	v_fmac_f64_e32 v[42:43], v[22:23], v[36:37]
	s_wait_dscnt 0x0
	v_fmac_f64_e32 v[42:43], v[24:25], v[38:39]
	ds_load_2addr_b64 v[34:37], v50 offset0:29 offset1:30
	ds_load_b64 v[38:39], v50 offset:248
	v_fmac_f64_e32 v[42:43], v[26:27], v[40:41]
	s_wait_dscnt 0x1
	s_delay_alu instid0(VALU_DEP_1) | instskip(NEXT) | instid1(VALU_DEP_1)
	v_fmac_f64_e32 v[42:43], v[28:29], v[34:35]
	v_fmac_f64_e32 v[42:43], v[30:31], v[36:37]
	s_wait_dscnt 0x0
	s_delay_alu instid0(VALU_DEP_1) | instskip(NEXT) | instid1(VALU_DEP_1)
	v_fmac_f64_e32 v[42:43], v[32:33], v[38:39]
	v_add_f64_e64 v[18:19], v[18:19], -v[42:43]
	v_cmpx_lt_u32_e32 7, v0
	s_cbranch_execz .LBB79_104
; %bb.103:
	v_mov_b64_e32 v[48:49], v[32:33]
	v_mov_b64_e32 v[46:47], v[30:31]
	;; [unrolled: 1-line block ×16, first 2 shown]
	s_mov_b32 s1, 0
	ds_store_b64 v1, v[16:17]
	v_dual_mov_b32 v32, s1 :: v_dual_mov_b32 v33, s1
	v_mov_b64_e32 v[2:3], v[18:19]
	v_mov_b64_e32 v[4:5], v[20:21]
	;; [unrolled: 1-line block ×16, first 2 shown]
.LBB79_104:
	s_or_b32 exec_lo, exec_lo, s0
	s_wait_dscnt 0x0
	s_barrier_signal -1
	s_barrier_wait -1
	ds_load_b128 v[34:37], v50 offset:192
	ds_load_b128 v[38:41], v50 offset:208
	s_mov_b32 s0, exec_lo
	s_wait_dscnt 0x1
	v_fma_f64 v[42:43], v[18:19], v[34:35], 0
	s_delay_alu instid0(VALU_DEP_1) | instskip(SKIP_1) | instid1(VALU_DEP_1)
	v_fmac_f64_e32 v[42:43], v[20:21], v[36:37]
	s_wait_dscnt 0x0
	v_fmac_f64_e32 v[42:43], v[22:23], v[38:39]
	s_delay_alu instid0(VALU_DEP_1) | instskip(SKIP_4) | instid1(VALU_DEP_1)
	v_fmac_f64_e32 v[42:43], v[24:25], v[40:41]
	ds_load_b128 v[34:37], v50 offset:224
	ds_load_b128 v[38:41], v50 offset:240
	s_wait_dscnt 0x1
	v_fmac_f64_e32 v[42:43], v[26:27], v[34:35]
	v_fmac_f64_e32 v[42:43], v[28:29], v[36:37]
	s_wait_dscnt 0x0
	s_delay_alu instid0(VALU_DEP_1) | instskip(NEXT) | instid1(VALU_DEP_1)
	v_fmac_f64_e32 v[42:43], v[30:31], v[38:39]
	v_fmac_f64_e32 v[42:43], v[32:33], v[40:41]
	s_delay_alu instid0(VALU_DEP_1)
	v_add_f64_e64 v[16:17], v[16:17], -v[42:43]
	v_cmpx_lt_u32_e32 6, v0
	s_cbranch_execz .LBB79_106
; %bb.105:
	v_mov_b64_e32 v[46:47], v[32:33]
	v_mov_b64_e32 v[44:45], v[30:31]
	;; [unrolled: 1-line block ×16, first 2 shown]
	s_mov_b32 s1, 0
	ds_store_b64 v1, v[14:15]
	v_dual_mov_b32 v28, s1 :: v_dual_mov_b32 v29, s1
	v_mov_b64_e32 v[2:3], v[16:17]
	v_mov_b64_e32 v[4:5], v[18:19]
	;; [unrolled: 1-line block ×16, first 2 shown]
.LBB79_106:
	s_or_b32 exec_lo, exec_lo, s0
	v_mov_b32_e32 v46, 0
	s_wait_dscnt 0x0
	s_barrier_signal -1
	s_barrier_wait -1
	ds_load_2addr_b64 v[34:37], v46 offset0:23 offset1:24
	ds_load_2addr_b64 v[38:41], v46 offset0:25 offset1:26
	s_mov_b32 s0, exec_lo
	s_wait_dscnt 0x1
	v_fma_f64 v[42:43], v[16:17], v[34:35], 0
	s_delay_alu instid0(VALU_DEP_1) | instskip(SKIP_1) | instid1(VALU_DEP_1)
	v_fmac_f64_e32 v[42:43], v[18:19], v[36:37]
	s_wait_dscnt 0x0
	v_fmac_f64_e32 v[42:43], v[20:21], v[38:39]
	s_delay_alu instid0(VALU_DEP_1)
	v_fmac_f64_e32 v[42:43], v[22:23], v[40:41]
	ds_load_2addr_b64 v[34:37], v46 offset0:27 offset1:28
	ds_load_2addr_b64 v[38:41], v46 offset0:29 offset1:30
	s_wait_dscnt 0x1
	v_fmac_f64_e32 v[42:43], v[24:25], v[34:35]
	ds_load_b64 v[34:35], v46 offset:248
	v_fmac_f64_e32 v[42:43], v[26:27], v[36:37]
	s_wait_dscnt 0x1
	s_delay_alu instid0(VALU_DEP_1) | instskip(NEXT) | instid1(VALU_DEP_1)
	v_fmac_f64_e32 v[42:43], v[28:29], v[38:39]
	v_fmac_f64_e32 v[42:43], v[30:31], v[40:41]
	s_wait_dscnt 0x0
	s_delay_alu instid0(VALU_DEP_1) | instskip(NEXT) | instid1(VALU_DEP_1)
	v_fmac_f64_e32 v[42:43], v[32:33], v[34:35]
	v_add_f64_e64 v[14:15], v[14:15], -v[42:43]
	v_cmpx_lt_u32_e32 5, v0
	s_cbranch_execz .LBB79_108
; %bb.107:
	v_mov_b64_e32 v[44:45], v[32:33]
	v_mov_b64_e32 v[42:43], v[30:31]
	v_mov_b64_e32 v[40:41], v[28:29]
	v_mov_b64_e32 v[38:39], v[26:27]
	v_mov_b64_e32 v[36:37], v[24:25]
	v_mov_b64_e32 v[34:35], v[22:23]
	v_mov_b64_e32 v[32:33], v[20:21]
	v_mov_b64_e32 v[30:31], v[18:19]
	v_mov_b64_e32 v[28:29], v[16:17]
	v_mov_b64_e32 v[26:27], v[14:15]
	v_mov_b64_e32 v[24:25], v[12:13]
	v_mov_b64_e32 v[22:23], v[10:11]
	v_mov_b64_e32 v[20:21], v[8:9]
	v_mov_b64_e32 v[18:19], v[6:7]
	v_mov_b64_e32 v[16:17], v[4:5]
	v_mov_b64_e32 v[14:15], v[2:3]
	s_mov_b32 s1, 0
	ds_store_b64 v1, v[12:13]
	v_dual_mov_b32 v24, s1 :: v_dual_mov_b32 v25, s1
	v_mov_b64_e32 v[2:3], v[14:15]
	v_mov_b64_e32 v[4:5], v[16:17]
	;; [unrolled: 1-line block ×16, first 2 shown]
.LBB79_108:
	s_or_b32 exec_lo, exec_lo, s0
	s_wait_dscnt 0x0
	s_barrier_signal -1
	s_barrier_wait -1
	ds_load_b128 v[34:37], v46 offset:176
	ds_load_b128 v[38:41], v46 offset:192
	s_mov_b32 s0, exec_lo
	s_wait_dscnt 0x1
	v_fma_f64 v[42:43], v[14:15], v[34:35], 0
	s_delay_alu instid0(VALU_DEP_1) | instskip(SKIP_1) | instid1(VALU_DEP_1)
	v_fmac_f64_e32 v[42:43], v[16:17], v[36:37]
	s_wait_dscnt 0x0
	v_fmac_f64_e32 v[42:43], v[18:19], v[38:39]
	s_delay_alu instid0(VALU_DEP_1) | instskip(SKIP_4) | instid1(VALU_DEP_1)
	v_fmac_f64_e32 v[42:43], v[20:21], v[40:41]
	ds_load_b128 v[34:37], v46 offset:208
	ds_load_b128 v[38:41], v46 offset:224
	s_wait_dscnt 0x1
	v_fmac_f64_e32 v[42:43], v[22:23], v[34:35]
	v_fmac_f64_e32 v[42:43], v[24:25], v[36:37]
	ds_load_b128 v[34:37], v46 offset:240
	s_wait_dscnt 0x1
	v_fmac_f64_e32 v[42:43], v[26:27], v[38:39]
	s_delay_alu instid0(VALU_DEP_1) | instskip(SKIP_1) | instid1(VALU_DEP_1)
	v_fmac_f64_e32 v[42:43], v[28:29], v[40:41]
	s_wait_dscnt 0x0
	v_fmac_f64_e32 v[42:43], v[30:31], v[34:35]
	s_delay_alu instid0(VALU_DEP_1) | instskip(NEXT) | instid1(VALU_DEP_1)
	v_fmac_f64_e32 v[42:43], v[32:33], v[36:37]
	v_add_f64_e64 v[12:13], v[12:13], -v[42:43]
	v_cmpx_lt_u32_e32 4, v0
	s_cbranch_execz .LBB79_110
; %bb.109:
	v_mov_b64_e32 v[42:43], v[32:33]
	v_mov_b64_e32 v[40:41], v[30:31]
	;; [unrolled: 1-line block ×16, first 2 shown]
	s_mov_b32 s1, 0
	ds_store_b64 v1, v[10:11]
	v_dual_mov_b32 v20, s1 :: v_dual_mov_b32 v21, s1
	v_mov_b64_e32 v[2:3], v[12:13]
	v_mov_b64_e32 v[4:5], v[14:15]
	;; [unrolled: 1-line block ×16, first 2 shown]
.LBB79_110:
	s_or_b32 exec_lo, exec_lo, s0
	v_mov_b32_e32 v42, 0
	s_wait_dscnt 0x0
	s_barrier_signal -1
	s_barrier_wait -1
	ds_load_2addr_b64 v[34:37], v42 offset0:21 offset1:22
	ds_load_2addr_b64 v[38:41], v42 offset0:23 offset1:24
	s_mov_b32 s0, exec_lo
	s_wait_dscnt 0x1
	v_fma_f64 v[44:45], v[12:13], v[34:35], 0
	s_delay_alu instid0(VALU_DEP_1) | instskip(SKIP_1) | instid1(VALU_DEP_1)
	v_fmac_f64_e32 v[44:45], v[14:15], v[36:37]
	s_wait_dscnt 0x0
	v_fmac_f64_e32 v[44:45], v[16:17], v[38:39]
	s_delay_alu instid0(VALU_DEP_1) | instskip(SKIP_4) | instid1(VALU_DEP_1)
	v_fmac_f64_e32 v[44:45], v[18:19], v[40:41]
	ds_load_2addr_b64 v[34:37], v42 offset0:25 offset1:26
	ds_load_2addr_b64 v[38:41], v42 offset0:27 offset1:28
	s_wait_dscnt 0x1
	v_fmac_f64_e32 v[44:45], v[20:21], v[34:35]
	v_fmac_f64_e32 v[44:45], v[22:23], v[36:37]
	s_wait_dscnt 0x0
	s_delay_alu instid0(VALU_DEP_1) | instskip(SKIP_4) | instid1(VALU_DEP_1)
	v_fmac_f64_e32 v[44:45], v[24:25], v[38:39]
	ds_load_2addr_b64 v[34:37], v42 offset0:29 offset1:30
	ds_load_b64 v[38:39], v42 offset:248
	v_fmac_f64_e32 v[44:45], v[26:27], v[40:41]
	s_wait_dscnt 0x1
	v_fmac_f64_e32 v[44:45], v[28:29], v[34:35]
	s_delay_alu instid0(VALU_DEP_1) | instskip(SKIP_1) | instid1(VALU_DEP_1)
	v_fmac_f64_e32 v[44:45], v[30:31], v[36:37]
	s_wait_dscnt 0x0
	v_fmac_f64_e32 v[44:45], v[32:33], v[38:39]
	s_delay_alu instid0(VALU_DEP_1)
	v_add_f64_e64 v[10:11], v[10:11], -v[44:45]
	v_cmpx_lt_u32_e32 3, v0
	s_cbranch_execz .LBB79_112
; %bb.111:
	v_mov_b64_e32 v[40:41], v[32:33]
	v_mov_b64_e32 v[38:39], v[30:31]
	;; [unrolled: 1-line block ×16, first 2 shown]
	s_mov_b32 s1, 0
	ds_store_b64 v1, v[8:9]
	v_dual_mov_b32 v16, s1 :: v_dual_mov_b32 v17, s1
	v_mov_b64_e32 v[2:3], v[10:11]
	v_mov_b64_e32 v[4:5], v[12:13]
	;; [unrolled: 1-line block ×3, first 2 shown]
	s_delay_alu instid0(VALU_DEP_4)
	v_mov_b64_e32 v[8:9], v[16:17]
	v_mov_b64_e32 v[10:11], v[18:19]
	;; [unrolled: 1-line block ×13, first 2 shown]
.LBB79_112:
	s_or_b32 exec_lo, exec_lo, s0
	s_wait_dscnt 0x0
	s_barrier_signal -1
	s_barrier_wait -1
	ds_load_b128 v[34:37], v42 offset:160
	ds_load_b128 v[38:41], v42 offset:176
	s_mov_b32 s0, exec_lo
	s_wait_dscnt 0x1
	v_fma_f64 v[44:45], v[10:11], v[34:35], 0
	s_delay_alu instid0(VALU_DEP_1) | instskip(SKIP_1) | instid1(VALU_DEP_1)
	v_fmac_f64_e32 v[44:45], v[12:13], v[36:37]
	s_wait_dscnt 0x0
	v_fmac_f64_e32 v[44:45], v[14:15], v[38:39]
	s_delay_alu instid0(VALU_DEP_1) | instskip(SKIP_4) | instid1(VALU_DEP_1)
	v_fmac_f64_e32 v[44:45], v[16:17], v[40:41]
	ds_load_b128 v[34:37], v42 offset:192
	ds_load_b128 v[38:41], v42 offset:208
	s_wait_dscnt 0x1
	v_fmac_f64_e32 v[44:45], v[18:19], v[34:35]
	v_fmac_f64_e32 v[44:45], v[20:21], v[36:37]
	s_wait_dscnt 0x0
	s_delay_alu instid0(VALU_DEP_1) | instskip(NEXT) | instid1(VALU_DEP_1)
	v_fmac_f64_e32 v[44:45], v[22:23], v[38:39]
	v_fmac_f64_e32 v[44:45], v[24:25], v[40:41]
	ds_load_b128 v[34:37], v42 offset:224
	ds_load_b128 v[38:41], v42 offset:240
	s_wait_dscnt 0x1
	v_fmac_f64_e32 v[44:45], v[26:27], v[34:35]
	s_delay_alu instid0(VALU_DEP_1) | instskip(SKIP_1) | instid1(VALU_DEP_1)
	v_fmac_f64_e32 v[44:45], v[28:29], v[36:37]
	s_wait_dscnt 0x0
	v_fmac_f64_e32 v[44:45], v[30:31], v[38:39]
	s_delay_alu instid0(VALU_DEP_1) | instskip(NEXT) | instid1(VALU_DEP_1)
	v_fmac_f64_e32 v[44:45], v[32:33], v[40:41]
	v_add_f64_e64 v[8:9], v[8:9], -v[44:45]
	v_cmpx_lt_u32_e32 2, v0
	s_cbranch_execz .LBB79_114
; %bb.113:
	v_mov_b64_e32 v[38:39], v[32:33]
	v_mov_b64_e32 v[36:37], v[30:31]
	;; [unrolled: 1-line block ×16, first 2 shown]
	s_mov_b32 s1, 0
	ds_store_b64 v1, v[6:7]
	v_dual_mov_b32 v12, s1 :: v_dual_mov_b32 v13, s1
	v_mov_b64_e32 v[2:3], v[8:9]
	v_mov_b64_e32 v[4:5], v[10:11]
	s_delay_alu instid0(VALU_DEP_3)
	v_mov_b64_e32 v[6:7], v[12:13]
	v_mov_b64_e32 v[8:9], v[14:15]
	;; [unrolled: 1-line block ×14, first 2 shown]
.LBB79_114:
	s_or_b32 exec_lo, exec_lo, s0
	v_mov_b32_e32 v38, 0
	s_wait_dscnt 0x0
	s_barrier_signal -1
	s_barrier_wait -1
	ds_load_2addr_b64 v[34:37], v38 offset0:19 offset1:20
	ds_load_2addr_b64 v[40:43], v38 offset0:21 offset1:22
	s_mov_b32 s0, exec_lo
	s_wait_dscnt 0x1
	v_fma_f64 v[44:45], v[8:9], v[34:35], 0
	s_delay_alu instid0(VALU_DEP_1) | instskip(SKIP_1) | instid1(VALU_DEP_1)
	v_fmac_f64_e32 v[44:45], v[10:11], v[36:37]
	s_wait_dscnt 0x0
	v_fmac_f64_e32 v[44:45], v[12:13], v[40:41]
	s_delay_alu instid0(VALU_DEP_1) | instskip(SKIP_4) | instid1(VALU_DEP_1)
	v_fmac_f64_e32 v[44:45], v[14:15], v[42:43]
	ds_load_2addr_b64 v[34:37], v38 offset0:23 offset1:24
	ds_load_2addr_b64 v[40:43], v38 offset0:25 offset1:26
	s_wait_dscnt 0x1
	v_fmac_f64_e32 v[44:45], v[16:17], v[34:35]
	v_fmac_f64_e32 v[44:45], v[18:19], v[36:37]
	s_wait_dscnt 0x0
	s_delay_alu instid0(VALU_DEP_1) | instskip(NEXT) | instid1(VALU_DEP_1)
	v_fmac_f64_e32 v[44:45], v[20:21], v[40:41]
	v_fmac_f64_e32 v[44:45], v[22:23], v[42:43]
	ds_load_2addr_b64 v[34:37], v38 offset0:27 offset1:28
	ds_load_2addr_b64 v[40:43], v38 offset0:29 offset1:30
	s_wait_dscnt 0x1
	v_fmac_f64_e32 v[44:45], v[24:25], v[34:35]
	ds_load_b64 v[34:35], v38 offset:248
	v_fmac_f64_e32 v[44:45], v[26:27], v[36:37]
	s_wait_dscnt 0x1
	s_delay_alu instid0(VALU_DEP_1) | instskip(NEXT) | instid1(VALU_DEP_1)
	v_fmac_f64_e32 v[44:45], v[28:29], v[40:41]
	v_fmac_f64_e32 v[44:45], v[30:31], v[42:43]
	s_wait_dscnt 0x0
	s_delay_alu instid0(VALU_DEP_1) | instskip(NEXT) | instid1(VALU_DEP_1)
	v_fmac_f64_e32 v[44:45], v[32:33], v[34:35]
	v_add_f64_e64 v[6:7], v[6:7], -v[44:45]
	v_cmpx_lt_u32_e32 1, v0
	s_cbranch_execz .LBB79_116
; %bb.115:
	v_mov_b64_e32 v[36:37], v[32:33]
	v_mov_b64_e32 v[34:35], v[30:31]
	;; [unrolled: 1-line block ×16, first 2 shown]
	s_mov_b32 s1, 0
	ds_store_b64 v1, v[4:5]
	v_dual_mov_b32 v8, s1 :: v_dual_mov_b32 v9, s1
	v_mov_b64_e32 v[2:3], v[6:7]
	s_delay_alu instid0(VALU_DEP_2)
	v_mov_b64_e32 v[4:5], v[8:9]
	v_mov_b64_e32 v[6:7], v[10:11]
	;; [unrolled: 1-line block ×15, first 2 shown]
.LBB79_116:
	s_or_b32 exec_lo, exec_lo, s0
	s_wait_dscnt 0x0
	s_barrier_signal -1
	s_barrier_wait -1
	ds_load_b128 v[34:37], v38 offset:144
	ds_load_b128 v[40:43], v38 offset:160
	v_dual_ashrrev_i32 v65, 31, v64 :: v_dual_ashrrev_i32 v71, 31, v70
	v_dual_ashrrev_i32 v69, 31, v68 :: v_dual_ashrrev_i32 v75, 31, v74
	;; [unrolled: 1-line block ×5, first 2 shown]
	v_ashrrev_i32_e32 v85, 31, v84
	v_ashrrev_i32_e32 v89, 31, v88
	v_ashrrev_i32_e32 v93, 31, v92
	s_mov_b32 s1, 0
	s_mov_b32 s0, exec_lo
	v_ashrrev_i32_e32 v67, 31, v66
	s_wait_dscnt 0x1
	v_fma_f64 v[44:45], v[6:7], v[34:35], 0
	s_delay_alu instid0(VALU_DEP_1) | instskip(SKIP_1) | instid1(VALU_DEP_1)
	v_fmac_f64_e32 v[44:45], v[8:9], v[36:37]
	s_wait_dscnt 0x0
	v_fmac_f64_e32 v[44:45], v[10:11], v[40:41]
	s_delay_alu instid0(VALU_DEP_1) | instskip(SKIP_4) | instid1(VALU_DEP_1)
	v_fmac_f64_e32 v[44:45], v[12:13], v[42:43]
	ds_load_b128 v[34:37], v38 offset:176
	ds_load_b128 v[40:43], v38 offset:192
	s_wait_dscnt 0x1
	v_fmac_f64_e32 v[44:45], v[14:15], v[34:35]
	v_fmac_f64_e32 v[44:45], v[16:17], v[36:37]
	s_wait_dscnt 0x0
	s_delay_alu instid0(VALU_DEP_1) | instskip(NEXT) | instid1(VALU_DEP_1)
	v_fmac_f64_e32 v[44:45], v[18:19], v[40:41]
	v_fmac_f64_e32 v[44:45], v[20:21], v[42:43]
	ds_load_b128 v[34:37], v38 offset:208
	ds_load_b128 v[40:43], v38 offset:224
	s_wait_dscnt 0x1
	v_fmac_f64_e32 v[44:45], v[22:23], v[34:35]
	s_delay_alu instid0(VALU_DEP_1) | instskip(SKIP_3) | instid1(VALU_DEP_1)
	v_fmac_f64_e32 v[44:45], v[24:25], v[36:37]
	ds_load_b128 v[34:37], v38 offset:240
	s_wait_dscnt 0x1
	v_fmac_f64_e32 v[44:45], v[26:27], v[40:41]
	v_fmac_f64_e32 v[44:45], v[28:29], v[42:43]
	s_wait_dscnt 0x0
	s_delay_alu instid0(VALU_DEP_1) | instskip(NEXT) | instid1(VALU_DEP_1)
	v_fmac_f64_e32 v[44:45], v[30:31], v[34:35]
	v_fmac_f64_e32 v[44:45], v[32:33], v[36:37]
	s_delay_alu instid0(VALU_DEP_1)
	v_add_f64_e64 v[4:5], v[4:5], -v[44:45]
	v_cmpx_ne_u32_e32 0, v0
	s_cbranch_execz .LBB79_118
; %bb.117:
	v_mov_b64_e32 v[34:35], v[32:33]
	v_mov_b64_e32 v[32:33], v[30:31]
	;; [unrolled: 1-line block ×16, first 2 shown]
	v_dual_mov_b32 v4, s1 :: v_dual_mov_b32 v5, s1
	ds_store_b64 v1, v[2:3]
	v_mov_b64_e32 v[2:3], v[4:5]
	v_mov_b64_e32 v[4:5], v[6:7]
	;; [unrolled: 1-line block ×16, first 2 shown]
.LBB79_118:
	s_or_b32 exec_lo, exec_lo, s0
	v_mov_b32_e32 v0, 0
	s_wait_dscnt 0x0
	s_barrier_signal -1
	s_barrier_wait -1
	ds_load_2addr_b64 v[34:37], v0 offset0:17 offset1:18
	ds_load_2addr_b64 v[38:41], v0 offset0:19 offset1:20
	s_and_b32 vcc_lo, exec_lo, s24
	s_wait_dscnt 0x1
	v_fma_f64 v[42:43], v[4:5], v[34:35], 0
	s_delay_alu instid0(VALU_DEP_1) | instskip(SKIP_1) | instid1(VALU_DEP_1)
	v_fmac_f64_e32 v[42:43], v[6:7], v[36:37]
	s_wait_dscnt 0x0
	v_fmac_f64_e32 v[42:43], v[8:9], v[38:39]
	s_delay_alu instid0(VALU_DEP_1) | instskip(SKIP_4) | instid1(VALU_DEP_1)
	v_fmac_f64_e32 v[42:43], v[10:11], v[40:41]
	ds_load_2addr_b64 v[34:37], v0 offset0:21 offset1:22
	ds_load_2addr_b64 v[38:41], v0 offset0:23 offset1:24
	s_wait_dscnt 0x1
	v_fmac_f64_e32 v[42:43], v[12:13], v[34:35]
	v_fmac_f64_e32 v[42:43], v[14:15], v[36:37]
	s_wait_dscnt 0x0
	s_delay_alu instid0(VALU_DEP_1) | instskip(NEXT) | instid1(VALU_DEP_1)
	v_fmac_f64_e32 v[42:43], v[16:17], v[38:39]
	v_fmac_f64_e32 v[42:43], v[18:19], v[40:41]
	ds_load_2addr_b64 v[34:37], v0 offset0:25 offset1:26
	ds_load_2addr_b64 v[38:41], v0 offset0:27 offset1:28
	s_wait_dscnt 0x1
	v_fmac_f64_e32 v[42:43], v[20:21], v[34:35]
	s_delay_alu instid0(VALU_DEP_1) | instskip(SKIP_1) | instid1(VALU_DEP_1)
	v_fmac_f64_e32 v[42:43], v[22:23], v[36:37]
	s_wait_dscnt 0x0
	v_fmac_f64_e32 v[42:43], v[24:25], v[38:39]
	ds_load_2addr_b64 v[34:37], v0 offset0:29 offset1:30
	ds_load_b64 v[38:39], v0 offset:248
	v_fmac_f64_e32 v[42:43], v[26:27], v[40:41]
	s_wait_dscnt 0x1
	s_delay_alu instid0(VALU_DEP_1) | instskip(NEXT) | instid1(VALU_DEP_1)
	v_fmac_f64_e32 v[42:43], v[28:29], v[34:35]
	v_fmac_f64_e32 v[42:43], v[30:31], v[36:37]
	s_wait_dscnt 0x0
	s_delay_alu instid0(VALU_DEP_1) | instskip(NEXT) | instid1(VALU_DEP_1)
	v_fmac_f64_e32 v[42:43], v[32:33], v[38:39]
	v_add_f64_e64 v[2:3], v[2:3], -v[42:43]
	s_cbranch_vccz .LBB79_149
; %bb.119:
	global_load_b32 v0, v0, s[20:21] offset:56
	s_wait_loadcnt 0x0
	v_readfirstlane_b32 s0, v0
	s_add_co_i32 s0, s0, -1
	s_delay_alu instid0(SALU_CYCLE_1)
	s_cmp_lg_u32 s0, 14
	s_cbranch_scc0 .LBB79_121
; %bb.120:
	s_lshl_b32 m0, s0, 1
	v_movrels_b32_e32 v0, v2
	v_movrels_b32_e32 v1, v3
	v_mov_b64_e32 v[62:63], v[32:33]
	v_mov_b64_e32 v[60:61], v[30:31]
	;; [unrolled: 1-line block ×16, first 2 shown]
	v_dual_mov_b32 v60, v0 :: v_dual_mov_b32 v61, v1
	s_delay_alu instid0(VALU_DEP_2) | instskip(NEXT) | instid1(VALU_DEP_3)
	v_movreld_b32_e32 v32, v30
	v_movreld_b32_e32 v33, v31
	v_mov_b64_e32 v[2:3], v[32:33]
	v_mov_b64_e32 v[4:5], v[34:35]
	;; [unrolled: 1-line block ×16, first 2 shown]
.LBB79_121:
	v_mov_b32_e32 v0, 0
	global_load_b32 v1, v0, s[20:21] offset:52
	s_wait_loadcnt 0x0
	v_readfirstlane_b32 s0, v1
	s_add_co_i32 s0, s0, -1
	s_delay_alu instid0(SALU_CYCLE_1)
	s_cmp_eq_u32 s0, 13
	s_cbranch_scc1 .LBB79_123
; %bb.122:
	s_lshl_b32 m0, s0, 1
	v_movrels_b32_e32 v1, v2
	v_movrels_b32_e32 v62, v3
	v_mov_b64_e32 v[60:61], v[32:33]
	v_mov_b64_e32 v[58:59], v[30:31]
	v_mov_b64_e32 v[56:57], v[28:29]
	v_mov_b64_e32 v[54:55], v[26:27]
	v_mov_b64_e32 v[52:53], v[24:25]
	v_mov_b64_e32 v[50:51], v[22:23]
	v_mov_b64_e32 v[48:49], v[20:21]
	v_mov_b64_e32 v[46:47], v[18:19]
	v_mov_b64_e32 v[44:45], v[16:17]
	v_mov_b64_e32 v[42:43], v[14:15]
	v_mov_b64_e32 v[40:41], v[12:13]
	v_mov_b64_e32 v[38:39], v[10:11]
	v_mov_b64_e32 v[36:37], v[8:9]
	v_mov_b64_e32 v[34:35], v[6:7]
	v_mov_b64_e32 v[32:33], v[4:5]
	v_mov_b64_e32 v[30:31], v[2:3]
	v_dual_mov_b32 v56, v1 :: v_dual_mov_b32 v57, v62
	s_delay_alu instid0(VALU_DEP_2) | instskip(NEXT) | instid1(VALU_DEP_3)
	v_movreld_b32_e32 v30, v28
	v_movreld_b32_e32 v31, v29
	v_mov_b64_e32 v[2:3], v[30:31]
	v_mov_b64_e32 v[4:5], v[32:33]
	;; [unrolled: 1-line block ×16, first 2 shown]
.LBB79_123:
	global_load_b32 v0, v0, s[20:21] offset:48
	s_wait_loadcnt 0x0
	v_readfirstlane_b32 s0, v0
	s_add_co_i32 s0, s0, -1
	s_delay_alu instid0(SALU_CYCLE_1)
	s_cmp_eq_u32 s0, 12
	s_cbranch_scc1 .LBB79_125
; %bb.124:
	s_lshl_b32 m0, s0, 1
	v_movrels_b32_e32 v0, v2
	v_movrels_b32_e32 v1, v3
	v_mov_b64_e32 v[58:59], v[32:33]
	v_mov_b64_e32 v[56:57], v[30:31]
	;; [unrolled: 1-line block ×16, first 2 shown]
	v_dual_mov_b32 v52, v0 :: v_dual_mov_b32 v53, v1
	s_delay_alu instid0(VALU_DEP_2) | instskip(NEXT) | instid1(VALU_DEP_3)
	v_movreld_b32_e32 v28, v26
	v_movreld_b32_e32 v29, v27
	v_mov_b64_e32 v[2:3], v[28:29]
	v_mov_b64_e32 v[4:5], v[30:31]
	;; [unrolled: 1-line block ×16, first 2 shown]
.LBB79_125:
	v_mov_b32_e32 v0, 0
	global_load_b32 v1, v0, s[20:21] offset:44
	s_wait_loadcnt 0x0
	v_readfirstlane_b32 s0, v1
	s_add_co_i32 s0, s0, -1
	s_delay_alu instid0(SALU_CYCLE_1)
	s_cmp_eq_u32 s0, 11
	s_cbranch_scc1 .LBB79_127
; %bb.126:
	s_lshl_b32 m0, s0, 1
	v_movrels_b32_e32 v1, v2
	v_movrels_b32_e32 v58, v3
	v_mov_b64_e32 v[56:57], v[32:33]
	v_mov_b64_e32 v[54:55], v[30:31]
	v_mov_b64_e32 v[52:53], v[28:29]
	v_mov_b64_e32 v[50:51], v[26:27]
	v_mov_b64_e32 v[48:49], v[24:25]
	v_mov_b64_e32 v[46:47], v[22:23]
	v_mov_b64_e32 v[44:45], v[20:21]
	v_mov_b64_e32 v[42:43], v[18:19]
	v_mov_b64_e32 v[40:41], v[16:17]
	v_mov_b64_e32 v[38:39], v[14:15]
	v_mov_b64_e32 v[36:37], v[12:13]
	v_mov_b64_e32 v[34:35], v[10:11]
	v_mov_b64_e32 v[32:33], v[8:9]
	v_mov_b64_e32 v[30:31], v[6:7]
	v_mov_b64_e32 v[28:29], v[4:5]
	v_mov_b64_e32 v[26:27], v[2:3]
	v_dual_mov_b32 v48, v1 :: v_dual_mov_b32 v49, v58
	s_delay_alu instid0(VALU_DEP_2) | instskip(NEXT) | instid1(VALU_DEP_3)
	v_movreld_b32_e32 v26, v24
	v_movreld_b32_e32 v27, v25
	v_mov_b64_e32 v[2:3], v[26:27]
	v_mov_b64_e32 v[4:5], v[28:29]
	;; [unrolled: 1-line block ×16, first 2 shown]
.LBB79_127:
	global_load_b32 v0, v0, s[20:21] offset:40
	s_wait_loadcnt 0x0
	v_readfirstlane_b32 s0, v0
	s_add_co_i32 s0, s0, -1
	s_delay_alu instid0(SALU_CYCLE_1)
	s_cmp_eq_u32 s0, 10
	s_cbranch_scc1 .LBB79_129
; %bb.128:
	s_lshl_b32 m0, s0, 1
	v_movrels_b32_e32 v0, v2
	v_movrels_b32_e32 v1, v3
	v_mov_b64_e32 v[54:55], v[32:33]
	v_mov_b64_e32 v[52:53], v[30:31]
	;; [unrolled: 1-line block ×16, first 2 shown]
	v_dual_mov_b32 v44, v0 :: v_dual_mov_b32 v45, v1
	s_delay_alu instid0(VALU_DEP_2) | instskip(NEXT) | instid1(VALU_DEP_3)
	v_movreld_b32_e32 v24, v22
	v_movreld_b32_e32 v25, v23
	v_mov_b64_e32 v[2:3], v[24:25]
	v_mov_b64_e32 v[4:5], v[26:27]
	;; [unrolled: 1-line block ×16, first 2 shown]
.LBB79_129:
	v_mov_b32_e32 v0, 0
	global_load_b32 v1, v0, s[20:21] offset:36
	s_wait_loadcnt 0x0
	v_readfirstlane_b32 s0, v1
	s_add_co_i32 s0, s0, -1
	s_delay_alu instid0(SALU_CYCLE_1)
	s_cmp_eq_u32 s0, 9
	s_cbranch_scc1 .LBB79_131
; %bb.130:
	s_lshl_b32 m0, s0, 1
	v_movrels_b32_e32 v1, v2
	v_movrels_b32_e32 v54, v3
	v_mov_b64_e32 v[52:53], v[32:33]
	v_mov_b64_e32 v[50:51], v[30:31]
	;; [unrolled: 1-line block ×16, first 2 shown]
	v_dual_mov_b32 v40, v1 :: v_dual_mov_b32 v41, v54
	s_delay_alu instid0(VALU_DEP_2) | instskip(NEXT) | instid1(VALU_DEP_3)
	v_movreld_b32_e32 v22, v20
	v_movreld_b32_e32 v23, v21
	v_mov_b64_e32 v[2:3], v[22:23]
	v_mov_b64_e32 v[4:5], v[24:25]
	;; [unrolled: 1-line block ×16, first 2 shown]
.LBB79_131:
	global_load_b32 v0, v0, s[20:21] offset:32
	s_wait_loadcnt 0x0
	v_readfirstlane_b32 s0, v0
	s_add_co_i32 s0, s0, -1
	s_delay_alu instid0(SALU_CYCLE_1)
	s_cmp_eq_u32 s0, 8
	s_cbranch_scc1 .LBB79_133
; %bb.132:
	s_lshl_b32 m0, s0, 1
	v_movrels_b32_e32 v0, v2
	v_movrels_b32_e32 v1, v3
	v_mov_b64_e32 v[50:51], v[32:33]
	v_mov_b64_e32 v[48:49], v[30:31]
	;; [unrolled: 1-line block ×16, first 2 shown]
	v_dual_mov_b32 v36, v0 :: v_dual_mov_b32 v37, v1
	s_delay_alu instid0(VALU_DEP_2) | instskip(NEXT) | instid1(VALU_DEP_3)
	v_movreld_b32_e32 v20, v18
	v_movreld_b32_e32 v21, v19
	v_mov_b64_e32 v[2:3], v[20:21]
	v_mov_b64_e32 v[4:5], v[22:23]
	;; [unrolled: 1-line block ×16, first 2 shown]
.LBB79_133:
	v_mov_b32_e32 v0, 0
	global_load_b32 v1, v0, s[20:21] offset:28
	s_wait_loadcnt 0x0
	v_readfirstlane_b32 s0, v1
	s_add_co_i32 s0, s0, -1
	s_delay_alu instid0(SALU_CYCLE_1)
	s_cmp_eq_u32 s0, 7
	s_cbranch_scc1 .LBB79_135
; %bb.134:
	s_lshl_b32 m0, s0, 1
	v_movrels_b32_e32 v1, v2
	v_movrels_b32_e32 v50, v3
	v_mov_b64_e32 v[48:49], v[32:33]
	v_mov_b64_e32 v[46:47], v[30:31]
	;; [unrolled: 1-line block ×16, first 2 shown]
	v_dual_mov_b32 v32, v1 :: v_dual_mov_b32 v33, v50
	s_delay_alu instid0(VALU_DEP_2) | instskip(NEXT) | instid1(VALU_DEP_3)
	v_movreld_b32_e32 v18, v16
	v_movreld_b32_e32 v19, v17
	v_mov_b64_e32 v[2:3], v[18:19]
	v_mov_b64_e32 v[4:5], v[20:21]
	;; [unrolled: 1-line block ×16, first 2 shown]
.LBB79_135:
	global_load_b32 v0, v0, s[20:21] offset:24
	s_wait_loadcnt 0x0
	v_readfirstlane_b32 s0, v0
	s_add_co_i32 s0, s0, -1
	s_delay_alu instid0(SALU_CYCLE_1)
	s_cmp_eq_u32 s0, 6
	s_cbranch_scc1 .LBB79_137
; %bb.136:
	s_lshl_b32 m0, s0, 1
	v_movrels_b32_e32 v0, v2
	v_movrels_b32_e32 v1, v3
	v_mov_b64_e32 v[46:47], v[32:33]
	v_mov_b64_e32 v[44:45], v[30:31]
	;; [unrolled: 1-line block ×16, first 2 shown]
	v_dual_mov_b32 v28, v0 :: v_dual_mov_b32 v29, v1
	s_delay_alu instid0(VALU_DEP_2) | instskip(NEXT) | instid1(VALU_DEP_3)
	v_movreld_b32_e32 v16, v14
	v_movreld_b32_e32 v17, v15
	v_mov_b64_e32 v[2:3], v[16:17]
	v_mov_b64_e32 v[4:5], v[18:19]
	;; [unrolled: 1-line block ×16, first 2 shown]
.LBB79_137:
	v_mov_b32_e32 v0, 0
	global_load_b32 v1, v0, s[20:21] offset:20
	s_wait_loadcnt 0x0
	v_readfirstlane_b32 s0, v1
	s_add_co_i32 s0, s0, -1
	s_delay_alu instid0(SALU_CYCLE_1)
	s_cmp_eq_u32 s0, 5
	s_cbranch_scc1 .LBB79_139
; %bb.138:
	s_lshl_b32 m0, s0, 1
	v_movrels_b32_e32 v1, v2
	v_movrels_b32_e32 v46, v3
	v_mov_b64_e32 v[44:45], v[32:33]
	v_mov_b64_e32 v[42:43], v[30:31]
	;; [unrolled: 1-line block ×16, first 2 shown]
	v_dual_mov_b32 v24, v1 :: v_dual_mov_b32 v25, v46
	s_delay_alu instid0(VALU_DEP_2) | instskip(NEXT) | instid1(VALU_DEP_3)
	v_movreld_b32_e32 v14, v12
	v_movreld_b32_e32 v15, v13
	v_mov_b64_e32 v[2:3], v[14:15]
	v_mov_b64_e32 v[4:5], v[16:17]
	v_mov_b64_e32 v[6:7], v[18:19]
	v_mov_b64_e32 v[8:9], v[20:21]
	v_mov_b64_e32 v[10:11], v[22:23]
	v_mov_b64_e32 v[12:13], v[24:25]
	v_mov_b64_e32 v[14:15], v[26:27]
	v_mov_b64_e32 v[16:17], v[28:29]
	v_mov_b64_e32 v[18:19], v[30:31]
	v_mov_b64_e32 v[20:21], v[32:33]
	v_mov_b64_e32 v[22:23], v[34:35]
	v_mov_b64_e32 v[24:25], v[36:37]
	v_mov_b64_e32 v[26:27], v[38:39]
	v_mov_b64_e32 v[28:29], v[40:41]
	v_mov_b64_e32 v[30:31], v[42:43]
	v_mov_b64_e32 v[32:33], v[44:45]
.LBB79_139:
	global_load_b32 v0, v0, s[20:21] offset:16
	s_wait_loadcnt 0x0
	v_readfirstlane_b32 s0, v0
	s_add_co_i32 s0, s0, -1
	s_delay_alu instid0(SALU_CYCLE_1)
	s_cmp_eq_u32 s0, 4
	s_cbranch_scc1 .LBB79_141
; %bb.140:
	s_lshl_b32 m0, s0, 1
	v_movrels_b32_e32 v0, v2
	v_movrels_b32_e32 v1, v3
	v_mov_b64_e32 v[42:43], v[32:33]
	v_mov_b64_e32 v[40:41], v[30:31]
	;; [unrolled: 1-line block ×16, first 2 shown]
	v_dual_mov_b32 v20, v0 :: v_dual_mov_b32 v21, v1
	s_delay_alu instid0(VALU_DEP_2) | instskip(NEXT) | instid1(VALU_DEP_3)
	v_movreld_b32_e32 v12, v10
	v_movreld_b32_e32 v13, v11
	v_mov_b64_e32 v[2:3], v[12:13]
	v_mov_b64_e32 v[4:5], v[14:15]
	;; [unrolled: 1-line block ×16, first 2 shown]
.LBB79_141:
	v_mov_b32_e32 v0, 0
	global_load_b32 v1, v0, s[20:21] offset:12
	s_wait_loadcnt 0x0
	v_readfirstlane_b32 s0, v1
	s_add_co_i32 s0, s0, -1
	s_delay_alu instid0(SALU_CYCLE_1)
	s_cmp_eq_u32 s0, 3
	s_cbranch_scc1 .LBB79_143
; %bb.142:
	s_lshl_b32 m0, s0, 1
	v_movrels_b32_e32 v1, v2
	v_movrels_b32_e32 v42, v3
	v_mov_b64_e32 v[40:41], v[32:33]
	v_mov_b64_e32 v[38:39], v[30:31]
	;; [unrolled: 1-line block ×16, first 2 shown]
	v_dual_mov_b32 v16, v1 :: v_dual_mov_b32 v17, v42
	s_delay_alu instid0(VALU_DEP_2) | instskip(NEXT) | instid1(VALU_DEP_3)
	v_movreld_b32_e32 v10, v8
	v_movreld_b32_e32 v11, v9
	v_mov_b64_e32 v[2:3], v[10:11]
	v_mov_b64_e32 v[4:5], v[12:13]
	;; [unrolled: 1-line block ×16, first 2 shown]
.LBB79_143:
	global_load_b32 v0, v0, s[20:21] offset:8
	s_wait_loadcnt 0x0
	v_readfirstlane_b32 s0, v0
	s_add_co_i32 s0, s0, -1
	s_delay_alu instid0(SALU_CYCLE_1)
	s_cmp_eq_u32 s0, 2
	s_cbranch_scc1 .LBB79_145
; %bb.144:
	s_lshl_b32 m0, s0, 1
	v_movrels_b32_e32 v0, v2
	v_movrels_b32_e32 v1, v3
	v_mov_b64_e32 v[38:39], v[32:33]
	v_mov_b64_e32 v[36:37], v[30:31]
	;; [unrolled: 1-line block ×16, first 2 shown]
	v_dual_mov_b32 v12, v0 :: v_dual_mov_b32 v13, v1
	s_delay_alu instid0(VALU_DEP_2) | instskip(NEXT) | instid1(VALU_DEP_3)
	v_movreld_b32_e32 v8, v6
	v_movreld_b32_e32 v9, v7
	v_mov_b64_e32 v[2:3], v[8:9]
	v_mov_b64_e32 v[4:5], v[10:11]
	v_mov_b64_e32 v[6:7], v[12:13]
	v_mov_b64_e32 v[8:9], v[14:15]
	v_mov_b64_e32 v[10:11], v[16:17]
	v_mov_b64_e32 v[12:13], v[18:19]
	v_mov_b64_e32 v[14:15], v[20:21]
	v_mov_b64_e32 v[16:17], v[22:23]
	v_mov_b64_e32 v[18:19], v[24:25]
	v_mov_b64_e32 v[20:21], v[26:27]
	v_mov_b64_e32 v[22:23], v[28:29]
	v_mov_b64_e32 v[24:25], v[30:31]
	v_mov_b64_e32 v[26:27], v[32:33]
	v_mov_b64_e32 v[28:29], v[34:35]
	v_mov_b64_e32 v[30:31], v[36:37]
	v_mov_b64_e32 v[32:33], v[38:39]
.LBB79_145:
	v_mov_b32_e32 v0, 0
	global_load_b32 v1, v0, s[20:21] offset:4
	s_wait_loadcnt 0x0
	v_readfirstlane_b32 s0, v1
	s_add_co_i32 s0, s0, -1
	s_delay_alu instid0(SALU_CYCLE_1)
	s_cmp_eq_u32 s0, 1
	s_cbranch_scc1 .LBB79_147
; %bb.146:
	s_lshl_b32 m0, s0, 1
	v_movrels_b32_e32 v1, v2
	v_movrels_b32_e32 v38, v3
	v_mov_b64_e32 v[36:37], v[32:33]
	v_mov_b64_e32 v[34:35], v[30:31]
	;; [unrolled: 1-line block ×16, first 2 shown]
	v_dual_mov_b32 v8, v1 :: v_dual_mov_b32 v9, v38
	s_delay_alu instid0(VALU_DEP_2) | instskip(NEXT) | instid1(VALU_DEP_3)
	v_movreld_b32_e32 v6, v4
	v_movreld_b32_e32 v7, v5
	v_mov_b64_e32 v[2:3], v[6:7]
	s_delay_alu instid0(VALU_DEP_4)
	v_mov_b64_e32 v[4:5], v[8:9]
	v_mov_b64_e32 v[6:7], v[10:11]
	;; [unrolled: 1-line block ×15, first 2 shown]
.LBB79_147:
	global_load_b32 v0, v0, s[20:21]
	s_wait_loadcnt 0x0
	v_readfirstlane_b32 s0, v0
	s_add_co_i32 s0, s0, -1
	s_delay_alu instid0(SALU_CYCLE_1)
	s_cmp_eq_u32 s0, 0
	s_cbranch_scc1 .LBB79_149
; %bb.148:
	s_lshl_b32 m0, s0, 1
	v_movrels_b32_e32 v0, v2
	v_movrels_b32_e32 v1, v3
	v_mov_b64_e32 v[34:35], v[32:33]
	v_mov_b64_e32 v[32:33], v[30:31]
	;; [unrolled: 1-line block ×16, first 2 shown]
	v_dual_mov_b32 v4, v0 :: v_dual_mov_b32 v5, v1
	s_delay_alu instid0(VALU_DEP_1) | instskip(NEXT) | instid1(VALU_DEP_2)
	v_movreld_b32_e32 v4, v2
	v_movreld_b32_e32 v5, v3
	v_mov_b64_e32 v[2:3], v[4:5]
	v_mov_b64_e32 v[4:5], v[6:7]
	;; [unrolled: 1-line block ×16, first 2 shown]
.LBB79_149:
	v_lshl_add_u64 v[58:59], v[64:65], 3, s[16:17]
	v_lshl_add_u64 v[56:57], v[66:67], 3, s[16:17]
	;; [unrolled: 1-line block ×14, first 2 shown]
	s_clause 0xf
	flat_store_b64 v[78:79], v[2:3]
	flat_store_b64 v[82:83], v[4:5]
	;; [unrolled: 1-line block ×16, first 2 shown]
	s_sendmsg sendmsg(MSG_DEALLOC_VGPRS)
	s_endpgm
	.section	.rodata,"a",@progbits
	.p2align	6, 0x0
	.amdhsa_kernel _ZN9rocsolver6v33100L18getri_kernel_smallILi16EdPKPdEEvT1_iilPiilS6_bb
		.amdhsa_group_segment_fixed_size 264
		.amdhsa_private_segment_fixed_size 0
		.amdhsa_kernarg_size 60
		.amdhsa_user_sgpr_count 2
		.amdhsa_user_sgpr_dispatch_ptr 0
		.amdhsa_user_sgpr_queue_ptr 0
		.amdhsa_user_sgpr_kernarg_segment_ptr 1
		.amdhsa_user_sgpr_dispatch_id 0
		.amdhsa_user_sgpr_kernarg_preload_length 0
		.amdhsa_user_sgpr_kernarg_preload_offset 0
		.amdhsa_user_sgpr_private_segment_size 0
		.amdhsa_wavefront_size32 1
		.amdhsa_uses_dynamic_stack 0
		.amdhsa_enable_private_segment 0
		.amdhsa_system_sgpr_workgroup_id_x 1
		.amdhsa_system_sgpr_workgroup_id_y 0
		.amdhsa_system_sgpr_workgroup_id_z 0
		.amdhsa_system_sgpr_workgroup_info 0
		.amdhsa_system_vgpr_workitem_id 0
		.amdhsa_next_free_vgpr 96
		.amdhsa_next_free_sgpr 25
		.amdhsa_named_barrier_count 0
		.amdhsa_reserve_vcc 1
		.amdhsa_float_round_mode_32 0
		.amdhsa_float_round_mode_16_64 0
		.amdhsa_float_denorm_mode_32 3
		.amdhsa_float_denorm_mode_16_64 3
		.amdhsa_fp16_overflow 0
		.amdhsa_memory_ordered 1
		.amdhsa_forward_progress 1
		.amdhsa_inst_pref_size 139
		.amdhsa_round_robin_scheduling 0
		.amdhsa_exception_fp_ieee_invalid_op 0
		.amdhsa_exception_fp_denorm_src 0
		.amdhsa_exception_fp_ieee_div_zero 0
		.amdhsa_exception_fp_ieee_overflow 0
		.amdhsa_exception_fp_ieee_underflow 0
		.amdhsa_exception_fp_ieee_inexact 0
		.amdhsa_exception_int_div_zero 0
	.end_amdhsa_kernel
	.section	.text._ZN9rocsolver6v33100L18getri_kernel_smallILi16EdPKPdEEvT1_iilPiilS6_bb,"axG",@progbits,_ZN9rocsolver6v33100L18getri_kernel_smallILi16EdPKPdEEvT1_iilPiilS6_bb,comdat
.Lfunc_end79:
	.size	_ZN9rocsolver6v33100L18getri_kernel_smallILi16EdPKPdEEvT1_iilPiilS6_bb, .Lfunc_end79-_ZN9rocsolver6v33100L18getri_kernel_smallILi16EdPKPdEEvT1_iilPiilS6_bb
                                        ; -- End function
	.set _ZN9rocsolver6v33100L18getri_kernel_smallILi16EdPKPdEEvT1_iilPiilS6_bb.num_vgpr, 96
	.set _ZN9rocsolver6v33100L18getri_kernel_smallILi16EdPKPdEEvT1_iilPiilS6_bb.num_agpr, 0
	.set _ZN9rocsolver6v33100L18getri_kernel_smallILi16EdPKPdEEvT1_iilPiilS6_bb.numbered_sgpr, 25
	.set _ZN9rocsolver6v33100L18getri_kernel_smallILi16EdPKPdEEvT1_iilPiilS6_bb.num_named_barrier, 0
	.set _ZN9rocsolver6v33100L18getri_kernel_smallILi16EdPKPdEEvT1_iilPiilS6_bb.private_seg_size, 0
	.set _ZN9rocsolver6v33100L18getri_kernel_smallILi16EdPKPdEEvT1_iilPiilS6_bb.uses_vcc, 1
	.set _ZN9rocsolver6v33100L18getri_kernel_smallILi16EdPKPdEEvT1_iilPiilS6_bb.uses_flat_scratch, 1
	.set _ZN9rocsolver6v33100L18getri_kernel_smallILi16EdPKPdEEvT1_iilPiilS6_bb.has_dyn_sized_stack, 0
	.set _ZN9rocsolver6v33100L18getri_kernel_smallILi16EdPKPdEEvT1_iilPiilS6_bb.has_recursion, 0
	.set _ZN9rocsolver6v33100L18getri_kernel_smallILi16EdPKPdEEvT1_iilPiilS6_bb.has_indirect_call, 0
	.section	.AMDGPU.csdata,"",@progbits
; Kernel info:
; codeLenInByte = 17720
; TotalNumSgprs: 27
; NumVgprs: 96
; ScratchSize: 0
; MemoryBound: 0
; FloatMode: 240
; IeeeMode: 1
; LDSByteSize: 264 bytes/workgroup (compile time only)
; SGPRBlocks: 0
; VGPRBlocks: 5
; NumSGPRsForWavesPerEU: 27
; NumVGPRsForWavesPerEU: 96
; NamedBarCnt: 0
; Occupancy: 10
; WaveLimiterHint : 1
; COMPUTE_PGM_RSRC2:SCRATCH_EN: 0
; COMPUTE_PGM_RSRC2:USER_SGPR: 2
; COMPUTE_PGM_RSRC2:TRAP_HANDLER: 0
; COMPUTE_PGM_RSRC2:TGID_X_EN: 1
; COMPUTE_PGM_RSRC2:TGID_Y_EN: 0
; COMPUTE_PGM_RSRC2:TGID_Z_EN: 0
; COMPUTE_PGM_RSRC2:TIDIG_COMP_CNT: 0
	.section	.text._ZN9rocsolver6v33100L18getri_kernel_smallILi17EdPKPdEEvT1_iilPiilS6_bb,"axG",@progbits,_ZN9rocsolver6v33100L18getri_kernel_smallILi17EdPKPdEEvT1_iilPiilS6_bb,comdat
	.globl	_ZN9rocsolver6v33100L18getri_kernel_smallILi17EdPKPdEEvT1_iilPiilS6_bb ; -- Begin function _ZN9rocsolver6v33100L18getri_kernel_smallILi17EdPKPdEEvT1_iilPiilS6_bb
	.p2align	8
	.type	_ZN9rocsolver6v33100L18getri_kernel_smallILi17EdPKPdEEvT1_iilPiilS6_bb,@function
_ZN9rocsolver6v33100L18getri_kernel_smallILi17EdPKPdEEvT1_iilPiilS6_bb: ; @_ZN9rocsolver6v33100L18getri_kernel_smallILi17EdPKPdEEvT1_iilPiilS6_bb
; %bb.0:
	v_and_b32_e32 v38, 0x3ff, v0
	s_mov_b32 s4, exec_lo
	s_delay_alu instid0(VALU_DEP_1)
	v_cmpx_gt_u32_e32 17, v38
	s_cbranch_execz .LBB80_78
; %bb.1:
	s_clause 0x1
	s_load_b32 s15, s[2:3], 0x38
	s_load_b64 s[8:9], s[2:3], 0x0
	s_getreg_b32 s6, hwreg(HW_REG_IB_STS2, 6, 4)
	s_wait_kmcnt 0x0
	s_bitcmp1_b32 s15, 8
	s_cselect_b32 s14, -1, 0
	s_bfe_u32 s4, ttmp6, 0x4000c
	s_and_b32 s5, ttmp6, 15
	s_add_co_i32 s4, s4, 1
	s_delay_alu instid0(SALU_CYCLE_1) | instskip(NEXT) | instid1(SALU_CYCLE_1)
	s_mul_i32 s4, ttmp9, s4
	s_add_co_i32 s5, s5, s4
	s_cmp_eq_u32 s6, 0
	s_cselect_b32 s10, ttmp9, s5
	s_load_b128 s[4:7], s[2:3], 0x28
	s_ashr_i32 s11, s10, 31
	s_delay_alu instid0(SALU_CYCLE_1) | instskip(NEXT) | instid1(SALU_CYCLE_1)
	s_lshl_b64 s[12:13], s[10:11], 3
	s_add_nc_u64 s[8:9], s[8:9], s[12:13]
	s_load_b64 s[12:13], s[8:9], 0x0
	s_wait_xcnt 0x0
	s_bfe_u32 s8, s15, 0x10008
	s_delay_alu instid0(SALU_CYCLE_1)
	s_cmp_eq_u32 s8, 0
                                        ; implicit-def: $sgpr8_sgpr9
	s_cbranch_scc1 .LBB80_3
; %bb.2:
	s_load_b96 s[16:18], s[2:3], 0x18
	s_wait_kmcnt 0x0
	s_mul_u64 s[4:5], s[4:5], s[10:11]
	s_delay_alu instid0(SALU_CYCLE_1) | instskip(SKIP_4) | instid1(SALU_CYCLE_1)
	s_lshl_b64 s[4:5], s[4:5], 2
	s_ashr_i32 s9, s18, 31
	s_mov_b32 s8, s18
	s_add_nc_u64 s[4:5], s[16:17], s[4:5]
	s_lshl_b64 s[8:9], s[8:9], 2
	s_add_nc_u64 s[8:9], s[4:5], s[8:9]
.LBB80_3:
	s_wait_kmcnt 0x0
	s_clause 0x1
	s_load_b64 s[4:5], s[2:3], 0x8
	s_load_b32 s15, s[2:3], 0x38
	v_bfe_u32 v1, v0, 10, 10
	v_bfe_u32 v0, v0, 20, 10
	s_wait_kmcnt 0x0
	s_ashr_i32 s3, s4, 31
	s_mov_b32 s2, s4
	v_add3_u32 v8, s5, s5, v38
	s_lshl_b64 s[2:3], s[2:3], 3
	s_delay_alu instid0(SALU_CYCLE_1) | instskip(SKIP_4) | instid1(VALU_DEP_1)
	s_add_nc_u64 s[2:3], s[12:13], s[2:3]
	s_load_b64 s[12:13], s[0:1], 0x4
	flat_load_b64 v[2:3], v38, s[2:3] scale_offset
	s_ashr_i32 s1, s5, 31
	v_add_nc_u32_e32 v10, s5, v8
	v_add_nc_u32_e32 v12, s5, v10
	s_delay_alu instid0(VALU_DEP_1) | instskip(NEXT) | instid1(VALU_DEP_1)
	v_add_nc_u32_e32 v14, s5, v12
	v_add_nc_u32_e32 v16, s5, v14
	s_wait_kmcnt 0x0
	s_lshr_b32 s0, s12, 16
	v_mul_u32_u24_e32 v1, s13, v1
	s_mul_i32 s0, s0, s13
	v_add_nc_u32_e32 v18, s5, v16
	v_mul_u32_u24_e32 v4, s0, v38
	s_mov_b32 s0, s5
	s_bitcmp0_b32 s15, 0
	s_delay_alu instid0(VALU_DEP_2) | instskip(NEXT) | instid1(VALU_DEP_2)
	v_add_nc_u32_e32 v20, s5, v18
	v_add3_u32 v4, v4, v1, v0
	v_dual_mov_b32 v1, 0 :: v_dual_lshlrev_b32 v0, 3, v38
	s_delay_alu instid0(VALU_DEP_3) | instskip(NEXT) | instid1(VALU_DEP_3)
	v_add_nc_u32_e32 v22, s5, v20
	v_mul_lo_u32 v9, 0x88, v4
	s_delay_alu instid0(VALU_DEP_3) | instskip(NEXT) | instid1(VALU_DEP_3)
	v_add_nc_u64_e32 v[4:5], s[2:3], v[0:1]
	v_add_nc_u32_e32 v24, s5, v22
	s_delay_alu instid0(VALU_DEP_2) | instskip(NEXT) | instid1(VALU_DEP_2)
	v_lshl_add_u64 v[6:7], s[0:1], 3, v[4:5]
	v_add_nc_u32_e32 v26, s5, v24
	v_add_nc_u32_e32 v52, 0x120, v9
	s_mov_b32 s1, -1
	s_delay_alu instid0(VALU_DEP_2) | instskip(NEXT) | instid1(VALU_DEP_1)
	v_add_nc_u32_e32 v28, s5, v26
	v_add_nc_u32_e32 v30, s5, v28
	s_delay_alu instid0(VALU_DEP_1) | instskip(NEXT) | instid1(VALU_DEP_1)
	v_add_nc_u32_e32 v32, s5, v30
	v_add_nc_u32_e32 v34, s5, v32
	s_delay_alu instid0(VALU_DEP_1)
	v_add_nc_u32_e32 v36, s5, v34
	s_wait_loadcnt_dscnt 0x0
	ds_store_b64 v9, v[2:3] offset:288
	flat_load_b64 v[2:3], v[6:7]
	s_wait_loadcnt_dscnt 0x0
	ds_store_b64 v9, v[2:3] offset:296
	flat_load_b64 v[2:3], v8, s[2:3] scale_offset
	s_wait_loadcnt_dscnt 0x0
	ds_store_b64 v9, v[2:3] offset:304
	flat_load_b64 v[2:3], v10, s[2:3] scale_offset
	;; [unrolled: 3-line block ×15, first 2 shown]
	s_wait_loadcnt_dscnt 0x0
	ds_store_b64 v9, v[2:3] offset:416
	s_cbranch_scc1 .LBB80_76
; %bb.4:
	v_cmp_eq_u32_e64 s0, 0, v38
	s_and_saveexec_b32 s1, s0
; %bb.5:
	v_mov_b32_e32 v1, 0
	ds_store_b32 v1, v1 offset:136
; %bb.6:
	s_or_b32 exec_lo, exec_lo, s1
	v_lshl_add_u32 v2, v38, 3, v52
	s_wait_dscnt 0x0
	s_barrier_signal -1
	s_barrier_wait -1
	ds_load_b64 v[40:41], v2
	s_mov_b32 s4, exec_lo
	s_wait_dscnt 0x0
	v_cmpx_eq_f64_e32 0, v[40:41]
	s_cbranch_execz .LBB80_10
; %bb.7:
	v_mov_b32_e32 v1, 0
	s_mov_b32 s5, 0
	ds_load_b32 v3, v1 offset:136
	s_wait_dscnt 0x0
	v_readfirstlane_b32 s1, v3
	v_add_nc_u32_e32 v3, 1, v38
	s_cmp_eq_u32 s1, 0
	s_delay_alu instid0(VALU_DEP_1) | instskip(SKIP_1) | instid1(SALU_CYCLE_1)
	v_cmp_gt_i32_e32 vcc_lo, s1, v3
	s_cselect_b32 s12, -1, 0
	s_or_b32 s12, s12, vcc_lo
	s_delay_alu instid0(SALU_CYCLE_1)
	s_and_b32 exec_lo, exec_lo, s12
	s_cbranch_execz .LBB80_10
; %bb.8:
	v_mov_b32_e32 v11, s1
.LBB80_9:                               ; =>This Inner Loop Header: Depth=1
	ds_cmpstore_rtn_b32 v11, v1, v3, v11 offset:136
	s_wait_dscnt 0x0
	v_cmp_ne_u32_e32 vcc_lo, 0, v11
	v_cmp_le_i32_e64 s1, v11, v3
	s_and_b32 s1, vcc_lo, s1
	s_delay_alu instid0(SALU_CYCLE_1) | instskip(NEXT) | instid1(SALU_CYCLE_1)
	s_and_b32 s1, exec_lo, s1
	s_or_b32 s5, s1, s5
	s_delay_alu instid0(SALU_CYCLE_1)
	s_and_not1_b32 exec_lo, exec_lo, s5
	s_cbranch_execnz .LBB80_9
.LBB80_10:
	s_or_b32 exec_lo, exec_lo, s4
	v_mov_b32_e32 v1, 0
	s_barrier_signal -1
	s_barrier_wait -1
	ds_load_b32 v3, v1 offset:136
	s_and_saveexec_b32 s1, s0
	s_cbranch_execz .LBB80_12
; %bb.11:
	s_lshl_b64 s[4:5], s[10:11], 2
	s_delay_alu instid0(SALU_CYCLE_1)
	s_add_nc_u64 s[4:5], s[6:7], s[4:5]
	s_wait_dscnt 0x0
	global_store_b32 v1, v3, s[4:5]
.LBB80_12:
	s_wait_xcnt 0x0
	s_or_b32 exec_lo, exec_lo, s1
	s_wait_dscnt 0x0
	v_cmp_ne_u32_e32 vcc_lo, 0, v3
	s_mov_b32 s1, 0
	s_cbranch_vccnz .LBB80_76
; %bb.13:
	ds_load_b64 v[40:41], v2
	v_add_nc_u32_e32 v1, 0x90, v0
	s_wait_dscnt 0x0
	v_div_scale_f64 v[42:43], null, v[40:41], v[40:41], 1.0
	v_div_scale_f64 v[48:49], vcc_lo, 1.0, v[40:41], 1.0
	s_delay_alu instid0(VALU_DEP_2) | instskip(SKIP_1) | instid1(TRANS32_DEP_1)
	v_rcp_f64_e32 v[44:45], v[42:43]
	v_nop
	v_fma_f64 v[46:47], -v[42:43], v[44:45], 1.0
	s_delay_alu instid0(VALU_DEP_1) | instskip(NEXT) | instid1(VALU_DEP_1)
	v_fmac_f64_e32 v[44:45], v[44:45], v[46:47]
	v_fma_f64 v[46:47], -v[42:43], v[44:45], 1.0
	s_delay_alu instid0(VALU_DEP_1) | instskip(NEXT) | instid1(VALU_DEP_1)
	v_fmac_f64_e32 v[44:45], v[44:45], v[46:47]
	v_mul_f64_e32 v[46:47], v[48:49], v[44:45]
	s_delay_alu instid0(VALU_DEP_1) | instskip(NEXT) | instid1(VALU_DEP_1)
	v_fma_f64 v[42:43], -v[42:43], v[46:47], v[48:49]
	v_div_fmas_f64 v[42:43], v[42:43], v[44:45], v[46:47]
	s_delay_alu instid0(VALU_DEP_1)
	v_div_fixup_f64 v[40:41], v[42:43], v[40:41], 1.0
	ds_store_b64 v2, v[40:41]
	ds_load_b64 v[42:43], v52 offset:8
	v_xor_b32_e32 v41, 0x80000000, v41
	s_wait_dscnt 0x0
	ds_store_2addr_b64 v0, v[40:41], v[42:43] offset1:18
	s_wait_storecnt_dscnt 0x0
	s_barrier_signal -1
	s_barrier_wait -1
	s_and_saveexec_b32 s1, s0
	s_cbranch_execz .LBB80_15
; %bb.14:
	ds_load_b64 v[40:41], v2
	ds_load_b64 v[42:43], v1
	s_wait_dscnt 0x0
	v_fma_f64 v[40:41], v[40:41], v[42:43], 0
	v_mov_b32_e32 v3, 0
	ds_load_b64 v[44:45], v3 offset:8
	s_wait_dscnt 0x0
	v_mul_f64_e32 v[40:41], v[40:41], v[44:45]
	ds_store_b64 v52, v[40:41] offset:8
.LBB80_15:
	s_or_b32 exec_lo, exec_lo, s1
	s_wait_dscnt 0x0
	s_barrier_signal -1
	s_barrier_wait -1
	ds_load_b64 v[40:41], v52 offset:16
	s_mov_b32 s1, exec_lo
	s_wait_dscnt 0x0
	ds_store_b64 v1, v[40:41]
	s_wait_dscnt 0x0
	s_barrier_signal -1
	s_barrier_wait -1
	v_cmpx_gt_u32_e32 2, v38
	s_cbranch_execz .LBB80_19
; %bb.16:
	ds_load_b64 v[2:3], v2
	ds_load_b64 v[40:41], v1
	s_wait_dscnt 0x0
	v_fma_f64 v[2:3], v[2:3], v[40:41], 0
	s_and_saveexec_b32 s4, s0
	s_cbranch_execz .LBB80_18
; %bb.17:
	v_mov_b32_e32 v11, 0
	ds_load_b64 v[40:41], v52 offset:8
	ds_load_b64 v[42:43], v11 offset:152
	s_wait_dscnt 0x0
	v_fmac_f64_e32 v[2:3], v[40:41], v[42:43]
.LBB80_18:
	s_or_b32 exec_lo, exec_lo, s4
	v_mov_b32_e32 v11, 0
	ds_load_b64 v[40:41], v11 offset:16
	s_wait_dscnt 0x0
	v_mul_f64_e32 v[2:3], v[2:3], v[40:41]
	ds_store_b64 v52, v[2:3] offset:16
.LBB80_19:
	s_or_b32 exec_lo, exec_lo, s1
	s_wait_dscnt 0x0
	s_barrier_signal -1
	s_barrier_wait -1
	ds_load_b64 v[2:3], v52 offset:24
	v_add_nc_u32_e32 v11, -1, v38
	s_mov_b32 s0, exec_lo
	s_wait_dscnt 0x0
	ds_store_b64 v1, v[2:3]
	s_wait_dscnt 0x0
	s_barrier_signal -1
	s_barrier_wait -1
	v_cmpx_gt_u32_e32 3, v38
	s_cbranch_execz .LBB80_23
; %bb.20:
	v_mov_b64_e32 v[2:3], 0
	v_add_nc_u32_e32 v13, -1, v38
	v_add_nc_u32_e32 v15, 0x90, v0
	v_add3_u32 v17, v9, v0, 0x120
	s_mov_b32 s1, 0
.LBB80_21:                              ; =>This Inner Loop Header: Depth=1
	ds_load_b64 v[40:41], v17
	ds_load_b64 v[42:43], v15
	v_dual_add_nc_u32 v13, 1, v13 :: v_dual_add_nc_u32 v15, 8, v15
	v_add_nc_u32_e32 v17, 8, v17
	s_delay_alu instid0(VALU_DEP_2)
	v_cmp_lt_u32_e32 vcc_lo, 1, v13
	s_or_b32 s1, vcc_lo, s1
	s_wait_dscnt 0x0
	v_fmac_f64_e32 v[2:3], v[40:41], v[42:43]
	s_and_not1_b32 exec_lo, exec_lo, s1
	s_cbranch_execnz .LBB80_21
; %bb.22:
	s_or_b32 exec_lo, exec_lo, s1
	v_mov_b32_e32 v13, 0
	ds_load_b64 v[40:41], v13 offset:24
	s_wait_dscnt 0x0
	v_mul_f64_e32 v[2:3], v[2:3], v[40:41]
	ds_store_b64 v52, v[2:3] offset:24
.LBB80_23:
	s_or_b32 exec_lo, exec_lo, s0
	s_wait_dscnt 0x0
	s_barrier_signal -1
	s_barrier_wait -1
	ds_load_b64 v[2:3], v52 offset:32
	s_mov_b32 s0, exec_lo
	s_wait_dscnt 0x0
	ds_store_b64 v1, v[2:3]
	s_wait_dscnt 0x0
	s_barrier_signal -1
	s_barrier_wait -1
	v_cmpx_gt_u32_e32 4, v38
	s_cbranch_execz .LBB80_27
; %bb.24:
	v_mov_b64_e32 v[2:3], 0
	v_add_nc_u32_e32 v13, -1, v38
	v_add_nc_u32_e32 v15, 0x90, v0
	v_add3_u32 v17, v9, v0, 0x120
	s_mov_b32 s1, 0
.LBB80_25:                              ; =>This Inner Loop Header: Depth=1
	ds_load_b64 v[40:41], v17
	ds_load_b64 v[42:43], v15
	v_dual_add_nc_u32 v13, 1, v13 :: v_dual_add_nc_u32 v15, 8, v15
	v_add_nc_u32_e32 v17, 8, v17
	s_delay_alu instid0(VALU_DEP_2)
	v_cmp_lt_u32_e32 vcc_lo, 2, v13
	s_or_b32 s1, vcc_lo, s1
	s_wait_dscnt 0x0
	v_fmac_f64_e32 v[2:3], v[40:41], v[42:43]
	s_and_not1_b32 exec_lo, exec_lo, s1
	s_cbranch_execnz .LBB80_25
; %bb.26:
	s_or_b32 exec_lo, exec_lo, s1
	v_mov_b32_e32 v13, 0
	ds_load_b64 v[40:41], v13 offset:32
	s_wait_dscnt 0x0
	v_mul_f64_e32 v[2:3], v[2:3], v[40:41]
	ds_store_b64 v52, v[2:3] offset:32
.LBB80_27:
	s_or_b32 exec_lo, exec_lo, s0
	s_wait_dscnt 0x0
	s_barrier_signal -1
	s_barrier_wait -1
	ds_load_b64 v[2:3], v52 offset:40
	;; [unrolled: 39-line block ×13, first 2 shown]
	s_mov_b32 s0, exec_lo
	s_wait_dscnt 0x0
	ds_store_b64 v1, v[2:3]
	s_wait_dscnt 0x0
	s_barrier_signal -1
	s_barrier_wait -1
	v_cmpx_ne_u32_e32 16, v38
	s_cbranch_execz .LBB80_75
; %bb.72:
	v_mov_b64_e32 v[2:3], 0
	v_add3_u32 v0, v9, v0, 0x120
	s_mov_b32 s1, 0
.LBB80_73:                              ; =>This Inner Loop Header: Depth=1
	ds_load_b64 v[40:41], v0
	ds_load_b64 v[42:43], v1
	v_dual_add_nc_u32 v11, 1, v11 :: v_dual_add_nc_u32 v1, 8, v1
	v_add_nc_u32_e32 v0, 8, v0
	s_delay_alu instid0(VALU_DEP_2)
	v_cmp_lt_u32_e32 vcc_lo, 14, v11
	s_or_b32 s1, vcc_lo, s1
	s_wait_dscnt 0x0
	v_fmac_f64_e32 v[2:3], v[40:41], v[42:43]
	s_and_not1_b32 exec_lo, exec_lo, s1
	s_cbranch_execnz .LBB80_73
; %bb.74:
	s_or_b32 exec_lo, exec_lo, s1
	v_mov_b32_e32 v0, 0
	ds_load_b64 v[0:1], v0 offset:128
	s_wait_dscnt 0x0
	v_mul_f64_e32 v[0:1], v[2:3], v[0:1]
	ds_store_b64 v52, v[0:1] offset:128
.LBB80_75:
	s_or_b32 exec_lo, exec_lo, s0
	s_mov_b32 s1, -1
	s_wait_dscnt 0x0
	s_barrier_signal -1
	s_barrier_wait -1
.LBB80_76:
	s_and_b32 vcc_lo, exec_lo, s1
	s_cbranch_vccz .LBB80_78
; %bb.77:
	v_mov_b32_e32 v0, 0
	s_lshl_b64 s[0:1], s[10:11], 2
	s_delay_alu instid0(SALU_CYCLE_1)
	s_add_nc_u64 s[0:1], s[6:7], s[0:1]
	global_load_b32 v0, v0, s[0:1]
	s_wait_loadcnt 0x0
	v_cmp_ne_u32_e32 vcc_lo, 0, v0
	s_cbranch_vccz .LBB80_79
.LBB80_78:
	s_endpgm
.LBB80_79:
	s_wait_xcnt 0x0
	v_lshl_add_u32 v0, v38, 3, 0x90
	s_mov_b32 s0, exec_lo
	v_cmpx_eq_u32_e32 16, v38
	s_cbranch_execz .LBB80_81
; %bb.80:
	ds_load_b64 v[2:3], v52 offset:120
	v_mov_b64_e32 v[40:41], 0
	s_wait_dscnt 0x0
	ds_store_b64 v0, v[2:3]
	ds_store_b64 v52, v[40:41] offset:120
.LBB80_81:
	s_or_b32 exec_lo, exec_lo, s0
	v_mov_b32_e32 v1, 0
	s_wait_storecnt_dscnt 0x0
	s_barrier_signal -1
	s_barrier_wait -1
	ds_load_2addr_b64 v[40:43], v52 offset0:15 offset1:16
	ds_load_b64 v[2:3], v1 offset:272
	s_mov_b32 s0, exec_lo
	s_wait_dscnt 0x0
	v_fma_f64 v[2:3], v[42:43], v[2:3], 0
	s_delay_alu instid0(VALU_DEP_1)
	v_add_f64_e64 v[2:3], v[40:41], -v[2:3]
	ds_store_b64 v52, v[2:3] offset:120
	v_cmpx_lt_u32_e32 14, v38
	s_cbranch_execz .LBB80_83
; %bb.82:
	ds_load_b64 v[2:3], v52 offset:112
	v_mov_b64_e32 v[40:41], 0
	s_wait_dscnt 0x0
	ds_store_b64 v0, v[2:3]
	ds_store_b64 v52, v[40:41] offset:112
.LBB80_83:
	s_or_b32 exec_lo, exec_lo, s0
	s_wait_dscnt 0x0
	s_barrier_signal -1
	s_barrier_wait -1
	ds_load_2addr_b64 v[40:43], v1 offset0:33 offset1:34
	ds_load_b128 v[44:47], v52 offset:112
	ds_load_b64 v[2:3], v52 offset:128
	s_mov_b32 s0, exec_lo
	s_wait_dscnt 0x1
	v_fma_f64 v[40:41], v[46:47], v[40:41], 0
	s_wait_dscnt 0x0
	s_delay_alu instid0(VALU_DEP_1) | instskip(NEXT) | instid1(VALU_DEP_1)
	v_fmac_f64_e32 v[40:41], v[2:3], v[42:43]
	v_add_f64_e64 v[2:3], v[44:45], -v[40:41]
	ds_store_b64 v52, v[2:3] offset:112
	v_cmpx_lt_u32_e32 13, v38
	s_cbranch_execz .LBB80_85
; %bb.84:
	ds_load_b64 v[2:3], v52 offset:104
	v_mov_b64_e32 v[40:41], 0
	s_wait_dscnt 0x0
	ds_store_b64 v0, v[2:3]
	ds_store_b64 v52, v[40:41] offset:104
.LBB80_85:
	s_or_b32 exec_lo, exec_lo, s0
	v_mov_b32_e32 v1, 0
	s_wait_dscnt 0x0
	s_barrier_signal -1
	s_barrier_wait -1
	ds_load_2addr_b64 v[40:43], v52 offset0:13 offset1:14
	ds_load_b128 v[44:47], v1 offset:256
	ds_load_b64 v[2:3], v1 offset:272
	ds_load_2addr_b64 v[48:51], v52 offset0:15 offset1:16
	s_mov_b32 s0, exec_lo
	s_wait_dscnt 0x2
	v_fma_f64 v[42:43], v[42:43], v[44:45], 0
	s_wait_dscnt 0x0
	s_delay_alu instid0(VALU_DEP_1) | instskip(NEXT) | instid1(VALU_DEP_1)
	v_fmac_f64_e32 v[42:43], v[48:49], v[46:47]
	v_fmac_f64_e32 v[42:43], v[50:51], v[2:3]
	s_delay_alu instid0(VALU_DEP_1)
	v_add_f64_e64 v[2:3], v[40:41], -v[42:43]
	ds_store_b64 v52, v[2:3] offset:104
	v_cmpx_lt_u32_e32 12, v38
	s_cbranch_execz .LBB80_87
; %bb.86:
	ds_load_b64 v[2:3], v52 offset:96
	v_mov_b64_e32 v[40:41], 0
	s_wait_dscnt 0x0
	ds_store_b64 v0, v[2:3]
	ds_store_b64 v52, v[40:41] offset:96
.LBB80_87:
	s_or_b32 exec_lo, exec_lo, s0
	s_wait_dscnt 0x0
	s_barrier_signal -1
	s_barrier_wait -1
	ds_load_2addr_b64 v[40:43], v1 offset0:31 offset1:32
	ds_load_b128 v[44:47], v52 offset:96
	ds_load_b128 v[48:51], v52 offset:112
	ds_load_2addr_b64 v[54:57], v1 offset0:33 offset1:34
	s_mov_b32 s0, exec_lo
	s_wait_dscnt 0x2
	v_fma_f64 v[2:3], v[46:47], v[40:41], 0
	ds_load_b64 v[40:41], v52 offset:128
	s_wait_dscnt 0x2
	v_fmac_f64_e32 v[2:3], v[48:49], v[42:43]
	s_wait_dscnt 0x1
	s_delay_alu instid0(VALU_DEP_1) | instskip(SKIP_1) | instid1(VALU_DEP_1)
	v_fmac_f64_e32 v[2:3], v[50:51], v[54:55]
	s_wait_dscnt 0x0
	v_fmac_f64_e32 v[2:3], v[40:41], v[56:57]
	s_delay_alu instid0(VALU_DEP_1)
	v_add_f64_e64 v[2:3], v[44:45], -v[2:3]
	ds_store_b64 v52, v[2:3] offset:96
	v_cmpx_lt_u32_e32 11, v38
	s_cbranch_execz .LBB80_89
; %bb.88:
	ds_load_b64 v[2:3], v52 offset:88
	v_mov_b64_e32 v[40:41], 0
	s_wait_dscnt 0x0
	ds_store_b64 v0, v[2:3]
	ds_store_b64 v52, v[40:41] offset:88
.LBB80_89:
	s_or_b32 exec_lo, exec_lo, s0
	v_mov_b32_e32 v1, 0
	s_wait_dscnt 0x0
	s_barrier_signal -1
	s_barrier_wait -1
	ds_load_2addr_b64 v[40:43], v52 offset0:11 offset1:12
	ds_load_b128 v[44:47], v1 offset:240
	ds_load_b128 v[48:51], v1 offset:256
	ds_load_2addr_b64 v[54:57], v52 offset0:13 offset1:14
	s_mov_b32 s0, exec_lo
	s_wait_dscnt 0x2
	v_fma_f64 v[2:3], v[42:43], v[44:45], 0
	ds_load_2addr_b64 v[42:45], v52 offset0:15 offset1:16
	s_wait_dscnt 0x1
	v_fmac_f64_e32 v[2:3], v[54:55], v[46:47]
	s_delay_alu instid0(VALU_DEP_1) | instskip(SKIP_1) | instid1(VALU_DEP_1)
	v_fmac_f64_e32 v[2:3], v[56:57], v[48:49]
	s_wait_dscnt 0x0
	v_fmac_f64_e32 v[2:3], v[42:43], v[50:51]
	ds_load_b64 v[42:43], v1 offset:272
	s_wait_dscnt 0x0
	v_fmac_f64_e32 v[2:3], v[44:45], v[42:43]
	s_delay_alu instid0(VALU_DEP_1)
	v_add_f64_e64 v[2:3], v[40:41], -v[2:3]
	ds_store_b64 v52, v[2:3] offset:88
	v_cmpx_lt_u32_e32 10, v38
	s_cbranch_execz .LBB80_91
; %bb.90:
	ds_load_b64 v[2:3], v52 offset:80
	v_mov_b64_e32 v[40:41], 0
	s_wait_dscnt 0x0
	ds_store_b64 v0, v[2:3]
	ds_store_b64 v52, v[40:41] offset:80
.LBB80_91:
	s_or_b32 exec_lo, exec_lo, s0
	s_wait_dscnt 0x0
	s_barrier_signal -1
	s_barrier_wait -1
	ds_load_2addr_b64 v[40:43], v1 offset0:29 offset1:30
	ds_load_b128 v[44:47], v52 offset:80
	ds_load_b128 v[48:51], v52 offset:96
	ds_load_2addr_b64 v[54:57], v1 offset0:31 offset1:32
	s_mov_b32 s0, exec_lo
	s_wait_dscnt 0x2
	v_fma_f64 v[2:3], v[46:47], v[40:41], 0
	s_wait_dscnt 0x1
	s_delay_alu instid0(VALU_DEP_1) | instskip(SKIP_1) | instid1(VALU_DEP_1)
	v_fmac_f64_e32 v[2:3], v[48:49], v[42:43]
	s_wait_dscnt 0x0
	v_fmac_f64_e32 v[2:3], v[50:51], v[54:55]
	ds_load_b128 v[40:43], v52 offset:112
	ds_load_b64 v[50:51], v52 offset:128
	ds_load_2addr_b64 v[46:49], v1 offset0:33 offset1:34
	s_wait_dscnt 0x2
	v_fmac_f64_e32 v[2:3], v[40:41], v[56:57]
	s_wait_dscnt 0x0
	s_delay_alu instid0(VALU_DEP_1) | instskip(NEXT) | instid1(VALU_DEP_1)
	v_fmac_f64_e32 v[2:3], v[42:43], v[46:47]
	v_fmac_f64_e32 v[2:3], v[50:51], v[48:49]
	s_delay_alu instid0(VALU_DEP_1)
	v_add_f64_e64 v[2:3], v[44:45], -v[2:3]
	ds_store_b64 v52, v[2:3] offset:80
	v_cmpx_lt_u32_e32 9, v38
	s_cbranch_execz .LBB80_93
; %bb.92:
	ds_load_b64 v[2:3], v52 offset:72
	v_mov_b64_e32 v[40:41], 0
	s_wait_dscnt 0x0
	ds_store_b64 v0, v[2:3]
	ds_store_b64 v52, v[40:41] offset:72
.LBB80_93:
	s_or_b32 exec_lo, exec_lo, s0
	v_mov_b32_e32 v1, 0
	s_wait_dscnt 0x0
	s_barrier_signal -1
	s_barrier_wait -1
	ds_load_2addr_b64 v[40:43], v52 offset0:9 offset1:10
	ds_load_b128 v[44:47], v1 offset:224
	ds_load_b128 v[48:51], v1 offset:240
	ds_load_2addr_b64 v[54:57], v52 offset0:11 offset1:12
	s_mov_b32 s0, exec_lo
	s_wait_dscnt 0x2
	v_fma_f64 v[2:3], v[42:43], v[44:45], 0
	s_wait_dscnt 0x0
	s_delay_alu instid0(VALU_DEP_1) | instskip(NEXT) | instid1(VALU_DEP_1)
	v_fmac_f64_e32 v[2:3], v[54:55], v[46:47]
	v_fmac_f64_e32 v[2:3], v[56:57], v[48:49]
	ds_load_2addr_b64 v[42:45], v52 offset0:13 offset1:14
	ds_load_2addr_b64 v[46:49], v52 offset0:15 offset1:16
	s_wait_dscnt 0x1
	v_fmac_f64_e32 v[2:3], v[42:43], v[50:51]
	ds_load_b128 v[54:57], v1 offset:256
	ds_load_b64 v[42:43], v1 offset:272
	s_wait_dscnt 0x1
	v_fmac_f64_e32 v[2:3], v[44:45], v[54:55]
	s_delay_alu instid0(VALU_DEP_1) | instskip(SKIP_1) | instid1(VALU_DEP_1)
	v_fmac_f64_e32 v[2:3], v[46:47], v[56:57]
	s_wait_dscnt 0x0
	v_fmac_f64_e32 v[2:3], v[48:49], v[42:43]
	s_delay_alu instid0(VALU_DEP_1)
	v_add_f64_e64 v[2:3], v[40:41], -v[2:3]
	ds_store_b64 v52, v[2:3] offset:72
	v_cmpx_lt_u32_e32 8, v38
	s_cbranch_execz .LBB80_95
; %bb.94:
	ds_load_b64 v[2:3], v52 offset:64
	v_mov_b64_e32 v[40:41], 0
	s_wait_dscnt 0x0
	ds_store_b64 v0, v[2:3]
	ds_store_b64 v52, v[40:41] offset:64
.LBB80_95:
	s_or_b32 exec_lo, exec_lo, s0
	s_wait_dscnt 0x0
	s_barrier_signal -1
	s_barrier_wait -1
	ds_load_2addr_b64 v[40:43], v1 offset0:27 offset1:28
	ds_load_b128 v[44:47], v52 offset:64
	ds_load_b128 v[48:51], v52 offset:80
	ds_load_2addr_b64 v[54:57], v1 offset0:29 offset1:30
	s_mov_b32 s0, exec_lo
	s_wait_dscnt 0x2
	v_fma_f64 v[2:3], v[46:47], v[40:41], 0
	s_wait_dscnt 0x1
	s_delay_alu instid0(VALU_DEP_1)
	v_fmac_f64_e32 v[2:3], v[48:49], v[42:43]
	ds_load_b128 v[40:43], v52 offset:96
	ds_load_b128 v[46:49], v52 offset:112
	s_wait_dscnt 0x2
	v_fmac_f64_e32 v[2:3], v[50:51], v[54:55]
	s_wait_dscnt 0x1
	s_delay_alu instid0(VALU_DEP_1)
	v_fmac_f64_e32 v[2:3], v[40:41], v[56:57]
	ds_load_2addr_b64 v[54:57], v1 offset0:31 offset1:32
	ds_load_2addr_b64 v[58:61], v1 offset0:33 offset1:34
	ds_load_b64 v[40:41], v52 offset:128
	s_wait_dscnt 0x2
	v_fmac_f64_e32 v[2:3], v[42:43], v[54:55]
	s_delay_alu instid0(VALU_DEP_1) | instskip(SKIP_1) | instid1(VALU_DEP_1)
	v_fmac_f64_e32 v[2:3], v[46:47], v[56:57]
	s_wait_dscnt 0x1
	v_fmac_f64_e32 v[2:3], v[48:49], v[58:59]
	s_wait_dscnt 0x0
	s_delay_alu instid0(VALU_DEP_1) | instskip(NEXT) | instid1(VALU_DEP_1)
	v_fmac_f64_e32 v[2:3], v[40:41], v[60:61]
	v_add_f64_e64 v[2:3], v[44:45], -v[2:3]
	ds_store_b64 v52, v[2:3] offset:64
	v_cmpx_lt_u32_e32 7, v38
	s_cbranch_execz .LBB80_97
; %bb.96:
	ds_load_b64 v[2:3], v52 offset:56
	v_mov_b64_e32 v[40:41], 0
	s_wait_dscnt 0x0
	ds_store_b64 v0, v[2:3]
	ds_store_b64 v52, v[40:41] offset:56
.LBB80_97:
	s_or_b32 exec_lo, exec_lo, s0
	v_mov_b32_e32 v1, 0
	s_wait_dscnt 0x0
	s_barrier_signal -1
	s_barrier_wait -1
	ds_load_2addr_b64 v[40:43], v52 offset0:7 offset1:8
	ds_load_b128 v[44:47], v1 offset:208
	ds_load_b128 v[48:51], v1 offset:224
	ds_load_2addr_b64 v[54:57], v52 offset0:9 offset1:10
	s_mov_b32 s0, exec_lo
	s_wait_dscnt 0x2
	v_fma_f64 v[2:3], v[42:43], v[44:45], 0
	s_wait_dscnt 0x0
	s_delay_alu instid0(VALU_DEP_1) | instskip(NEXT) | instid1(VALU_DEP_1)
	v_fmac_f64_e32 v[2:3], v[54:55], v[46:47]
	v_fmac_f64_e32 v[2:3], v[56:57], v[48:49]
	ds_load_2addr_b64 v[42:45], v52 offset0:11 offset1:12
	ds_load_2addr_b64 v[46:49], v52 offset0:13 offset1:14
	ds_load_b128 v[54:57], v1 offset:240
	ds_load_b128 v[58:61], v1 offset:256
	s_wait_dscnt 0x3
	v_fmac_f64_e32 v[2:3], v[42:43], v[50:51]
	s_wait_dscnt 0x1
	s_delay_alu instid0(VALU_DEP_1) | instskip(SKIP_3) | instid1(VALU_DEP_1)
	v_fmac_f64_e32 v[2:3], v[44:45], v[54:55]
	ds_load_2addr_b64 v[42:45], v52 offset0:15 offset1:16
	v_fmac_f64_e32 v[2:3], v[46:47], v[56:57]
	s_wait_dscnt 0x1
	v_fmac_f64_e32 v[2:3], v[48:49], v[58:59]
	s_wait_dscnt 0x0
	s_delay_alu instid0(VALU_DEP_1) | instskip(SKIP_3) | instid1(VALU_DEP_1)
	v_fmac_f64_e32 v[2:3], v[42:43], v[60:61]
	ds_load_b64 v[42:43], v1 offset:272
	s_wait_dscnt 0x0
	v_fmac_f64_e32 v[2:3], v[44:45], v[42:43]
	v_add_f64_e64 v[2:3], v[40:41], -v[2:3]
	ds_store_b64 v52, v[2:3] offset:56
	v_cmpx_lt_u32_e32 6, v38
	s_cbranch_execz .LBB80_99
; %bb.98:
	ds_load_b64 v[2:3], v52 offset:48
	v_mov_b64_e32 v[40:41], 0
	s_wait_dscnt 0x0
	ds_store_b64 v0, v[2:3]
	ds_store_b64 v52, v[40:41] offset:48
.LBB80_99:
	s_or_b32 exec_lo, exec_lo, s0
	s_wait_dscnt 0x0
	s_barrier_signal -1
	s_barrier_wait -1
	ds_load_2addr_b64 v[40:43], v1 offset0:25 offset1:26
	ds_load_b128 v[44:47], v52 offset:48
	ds_load_b128 v[48:51], v52 offset:64
	ds_load_2addr_b64 v[54:57], v1 offset0:27 offset1:28
	s_mov_b32 s0, exec_lo
	s_wait_dscnt 0x2
	v_fma_f64 v[2:3], v[46:47], v[40:41], 0
	s_wait_dscnt 0x1
	s_delay_alu instid0(VALU_DEP_1)
	v_fmac_f64_e32 v[2:3], v[48:49], v[42:43]
	ds_load_b128 v[40:43], v52 offset:80
	ds_load_b128 v[46:49], v52 offset:96
	s_wait_dscnt 0x2
	v_fmac_f64_e32 v[2:3], v[50:51], v[54:55]
	s_wait_dscnt 0x1
	s_delay_alu instid0(VALU_DEP_1)
	v_fmac_f64_e32 v[2:3], v[40:41], v[56:57]
	ds_load_2addr_b64 v[54:57], v1 offset0:29 offset1:30
	ds_load_2addr_b64 v[58:61], v1 offset0:31 offset1:32
	s_wait_dscnt 0x1
	v_fmac_f64_e32 v[2:3], v[42:43], v[54:55]
	ds_load_b128 v[40:43], v52 offset:112
	ds_load_b64 v[50:51], v52 offset:128
	v_fmac_f64_e32 v[2:3], v[46:47], v[56:57]
	s_wait_dscnt 0x2
	s_delay_alu instid0(VALU_DEP_1) | instskip(SKIP_4) | instid1(VALU_DEP_1)
	v_fmac_f64_e32 v[2:3], v[48:49], v[58:59]
	ds_load_2addr_b64 v[46:49], v1 offset0:33 offset1:34
	s_wait_dscnt 0x2
	v_fmac_f64_e32 v[2:3], v[40:41], v[60:61]
	s_wait_dscnt 0x0
	v_fmac_f64_e32 v[2:3], v[42:43], v[46:47]
	s_delay_alu instid0(VALU_DEP_1) | instskip(NEXT) | instid1(VALU_DEP_1)
	v_fmac_f64_e32 v[2:3], v[50:51], v[48:49]
	v_add_f64_e64 v[2:3], v[44:45], -v[2:3]
	ds_store_b64 v52, v[2:3] offset:48
	v_cmpx_lt_u32_e32 5, v38
	s_cbranch_execz .LBB80_101
; %bb.100:
	ds_load_b64 v[2:3], v52 offset:40
	v_mov_b64_e32 v[40:41], 0
	s_wait_dscnt 0x0
	ds_store_b64 v0, v[2:3]
	ds_store_b64 v52, v[40:41] offset:40
.LBB80_101:
	s_or_b32 exec_lo, exec_lo, s0
	v_mov_b32_e32 v1, 0
	s_wait_dscnt 0x0
	s_barrier_signal -1
	s_barrier_wait -1
	ds_load_2addr_b64 v[40:43], v52 offset0:5 offset1:6
	ds_load_b128 v[44:47], v1 offset:192
	ds_load_b128 v[48:51], v1 offset:208
	ds_load_2addr_b64 v[54:57], v52 offset0:7 offset1:8
	s_mov_b32 s0, exec_lo
	s_wait_dscnt 0x2
	v_fma_f64 v[2:3], v[42:43], v[44:45], 0
	s_wait_dscnt 0x0
	s_delay_alu instid0(VALU_DEP_1) | instskip(NEXT) | instid1(VALU_DEP_1)
	v_fmac_f64_e32 v[2:3], v[54:55], v[46:47]
	v_fmac_f64_e32 v[2:3], v[56:57], v[48:49]
	ds_load_2addr_b64 v[42:45], v52 offset0:9 offset1:10
	ds_load_2addr_b64 v[46:49], v52 offset0:11 offset1:12
	ds_load_b128 v[54:57], v1 offset:224
	ds_load_b128 v[58:61], v1 offset:240
	s_wait_dscnt 0x3
	v_fmac_f64_e32 v[2:3], v[42:43], v[50:51]
	s_wait_dscnt 0x1
	s_delay_alu instid0(VALU_DEP_1) | instskip(NEXT) | instid1(VALU_DEP_1)
	v_fmac_f64_e32 v[2:3], v[44:45], v[54:55]
	v_fmac_f64_e32 v[2:3], v[46:47], v[56:57]
	s_wait_dscnt 0x0
	s_delay_alu instid0(VALU_DEP_1)
	v_fmac_f64_e32 v[2:3], v[48:49], v[58:59]
	ds_load_2addr_b64 v[42:45], v52 offset0:13 offset1:14
	ds_load_2addr_b64 v[46:49], v52 offset0:15 offset1:16
	s_wait_dscnt 0x1
	v_fmac_f64_e32 v[2:3], v[42:43], v[60:61]
	ds_load_b128 v[54:57], v1 offset:256
	ds_load_b64 v[42:43], v1 offset:272
	s_wait_dscnt 0x1
	v_fmac_f64_e32 v[2:3], v[44:45], v[54:55]
	s_delay_alu instid0(VALU_DEP_1) | instskip(SKIP_1) | instid1(VALU_DEP_1)
	v_fmac_f64_e32 v[2:3], v[46:47], v[56:57]
	s_wait_dscnt 0x0
	v_fmac_f64_e32 v[2:3], v[48:49], v[42:43]
	s_delay_alu instid0(VALU_DEP_1)
	v_add_f64_e64 v[2:3], v[40:41], -v[2:3]
	ds_store_b64 v52, v[2:3] offset:40
	v_cmpx_lt_u32_e32 4, v38
	s_cbranch_execz .LBB80_103
; %bb.102:
	ds_load_b64 v[2:3], v52 offset:32
	v_mov_b64_e32 v[40:41], 0
	s_wait_dscnt 0x0
	ds_store_b64 v0, v[2:3]
	ds_store_b64 v52, v[40:41] offset:32
.LBB80_103:
	s_or_b32 exec_lo, exec_lo, s0
	s_wait_dscnt 0x0
	s_barrier_signal -1
	s_barrier_wait -1
	ds_load_2addr_b64 v[40:43], v1 offset0:23 offset1:24
	ds_load_b128 v[44:47], v52 offset:32
	ds_load_b128 v[48:51], v52 offset:48
	ds_load_2addr_b64 v[54:57], v1 offset0:25 offset1:26
	s_mov_b32 s0, exec_lo
	s_wait_dscnt 0x2
	v_fma_f64 v[2:3], v[46:47], v[40:41], 0
	s_wait_dscnt 0x1
	s_delay_alu instid0(VALU_DEP_1)
	v_fmac_f64_e32 v[2:3], v[48:49], v[42:43]
	ds_load_b128 v[40:43], v52 offset:64
	ds_load_b128 v[46:49], v52 offset:80
	s_wait_dscnt 0x2
	v_fmac_f64_e32 v[2:3], v[50:51], v[54:55]
	s_wait_dscnt 0x1
	s_delay_alu instid0(VALU_DEP_1) | instskip(SKIP_4) | instid1(VALU_DEP_1)
	v_fmac_f64_e32 v[2:3], v[40:41], v[56:57]
	ds_load_2addr_b64 v[54:57], v1 offset0:27 offset1:28
	ds_load_2addr_b64 v[58:61], v1 offset0:29 offset1:30
	s_wait_dscnt 0x1
	v_fmac_f64_e32 v[2:3], v[42:43], v[54:55]
	v_fmac_f64_e32 v[2:3], v[46:47], v[56:57]
	s_wait_dscnt 0x0
	s_delay_alu instid0(VALU_DEP_1)
	v_fmac_f64_e32 v[2:3], v[48:49], v[58:59]
	ds_load_b128 v[40:43], v52 offset:96
	ds_load_b128 v[46:49], v52 offset:112
	s_wait_dscnt 0x1
	v_fmac_f64_e32 v[2:3], v[40:41], v[60:61]
	ds_load_2addr_b64 v[54:57], v1 offset0:31 offset1:32
	ds_load_2addr_b64 v[58:61], v1 offset0:33 offset1:34
	ds_load_b64 v[40:41], v52 offset:128
	s_wait_dscnt 0x2
	v_fmac_f64_e32 v[2:3], v[42:43], v[54:55]
	s_delay_alu instid0(VALU_DEP_1) | instskip(SKIP_1) | instid1(VALU_DEP_1)
	v_fmac_f64_e32 v[2:3], v[46:47], v[56:57]
	s_wait_dscnt 0x1
	v_fmac_f64_e32 v[2:3], v[48:49], v[58:59]
	s_wait_dscnt 0x0
	s_delay_alu instid0(VALU_DEP_1) | instskip(NEXT) | instid1(VALU_DEP_1)
	v_fmac_f64_e32 v[2:3], v[40:41], v[60:61]
	v_add_f64_e64 v[2:3], v[44:45], -v[2:3]
	ds_store_b64 v52, v[2:3] offset:32
	v_cmpx_lt_u32_e32 3, v38
	s_cbranch_execz .LBB80_105
; %bb.104:
	ds_load_b64 v[2:3], v52 offset:24
	v_mov_b64_e32 v[40:41], 0
	s_wait_dscnt 0x0
	ds_store_b64 v0, v[2:3]
	ds_store_b64 v52, v[40:41] offset:24
.LBB80_105:
	s_or_b32 exec_lo, exec_lo, s0
	v_mov_b32_e32 v1, 0
	s_wait_dscnt 0x0
	s_barrier_signal -1
	s_barrier_wait -1
	ds_load_2addr_b64 v[40:43], v52 offset0:3 offset1:4
	ds_load_b128 v[44:47], v1 offset:176
	ds_load_b128 v[48:51], v1 offset:192
	ds_load_2addr_b64 v[54:57], v52 offset0:5 offset1:6
	s_mov_b32 s0, exec_lo
	s_wait_dscnt 0x2
	v_fma_f64 v[2:3], v[42:43], v[44:45], 0
	s_wait_dscnt 0x0
	s_delay_alu instid0(VALU_DEP_1) | instskip(NEXT) | instid1(VALU_DEP_1)
	v_fmac_f64_e32 v[2:3], v[54:55], v[46:47]
	v_fmac_f64_e32 v[2:3], v[56:57], v[48:49]
	ds_load_2addr_b64 v[42:45], v52 offset0:7 offset1:8
	ds_load_2addr_b64 v[46:49], v52 offset0:9 offset1:10
	ds_load_b128 v[54:57], v1 offset:208
	ds_load_b128 v[58:61], v1 offset:224
	s_wait_dscnt 0x3
	v_fmac_f64_e32 v[2:3], v[42:43], v[50:51]
	s_wait_dscnt 0x1
	s_delay_alu instid0(VALU_DEP_1) | instskip(NEXT) | instid1(VALU_DEP_1)
	v_fmac_f64_e32 v[2:3], v[44:45], v[54:55]
	v_fmac_f64_e32 v[2:3], v[46:47], v[56:57]
	s_wait_dscnt 0x0
	s_delay_alu instid0(VALU_DEP_1)
	v_fmac_f64_e32 v[2:3], v[48:49], v[58:59]
	ds_load_2addr_b64 v[42:45], v52 offset0:11 offset1:12
	ds_load_2addr_b64 v[46:49], v52 offset0:13 offset1:14
	s_wait_dscnt 0x1
	v_fmac_f64_e32 v[2:3], v[42:43], v[60:61]
	ds_load_b128 v[54:57], v1 offset:240
	ds_load_b128 v[58:61], v1 offset:256
	s_wait_dscnt 0x1
	v_fmac_f64_e32 v[2:3], v[44:45], v[54:55]
	ds_load_2addr_b64 v[42:45], v52 offset0:15 offset1:16
	v_fmac_f64_e32 v[2:3], v[46:47], v[56:57]
	s_wait_dscnt 0x1
	s_delay_alu instid0(VALU_DEP_1) | instskip(SKIP_1) | instid1(VALU_DEP_1)
	v_fmac_f64_e32 v[2:3], v[48:49], v[58:59]
	s_wait_dscnt 0x0
	v_fmac_f64_e32 v[2:3], v[42:43], v[60:61]
	ds_load_b64 v[42:43], v1 offset:272
	s_wait_dscnt 0x0
	v_fmac_f64_e32 v[2:3], v[44:45], v[42:43]
	s_delay_alu instid0(VALU_DEP_1)
	v_add_f64_e64 v[2:3], v[40:41], -v[2:3]
	ds_store_b64 v52, v[2:3] offset:24
	v_cmpx_lt_u32_e32 2, v38
	s_cbranch_execz .LBB80_107
; %bb.106:
	ds_load_b64 v[2:3], v52 offset:16
	v_mov_b64_e32 v[40:41], 0
	s_wait_dscnt 0x0
	ds_store_b64 v0, v[2:3]
	ds_store_b64 v52, v[40:41] offset:16
.LBB80_107:
	s_or_b32 exec_lo, exec_lo, s0
	s_wait_dscnt 0x0
	s_barrier_signal -1
	s_barrier_wait -1
	ds_load_2addr_b64 v[40:43], v1 offset0:21 offset1:22
	ds_load_b128 v[44:47], v52 offset:16
	ds_load_b128 v[48:51], v52 offset:32
	ds_load_2addr_b64 v[54:57], v1 offset0:23 offset1:24
	s_mov_b32 s0, exec_lo
	s_wait_dscnt 0x2
	v_fma_f64 v[2:3], v[46:47], v[40:41], 0
	s_wait_dscnt 0x1
	s_delay_alu instid0(VALU_DEP_1)
	v_fmac_f64_e32 v[2:3], v[48:49], v[42:43]
	ds_load_b128 v[40:43], v52 offset:48
	ds_load_b128 v[46:49], v52 offset:64
	s_wait_dscnt 0x2
	v_fmac_f64_e32 v[2:3], v[50:51], v[54:55]
	s_wait_dscnt 0x1
	s_delay_alu instid0(VALU_DEP_1) | instskip(SKIP_4) | instid1(VALU_DEP_1)
	v_fmac_f64_e32 v[2:3], v[40:41], v[56:57]
	ds_load_2addr_b64 v[54:57], v1 offset0:25 offset1:26
	ds_load_2addr_b64 v[58:61], v1 offset0:27 offset1:28
	s_wait_dscnt 0x1
	v_fmac_f64_e32 v[2:3], v[42:43], v[54:55]
	v_fmac_f64_e32 v[2:3], v[46:47], v[56:57]
	s_wait_dscnt 0x0
	s_delay_alu instid0(VALU_DEP_1)
	v_fmac_f64_e32 v[2:3], v[48:49], v[58:59]
	ds_load_b128 v[40:43], v52 offset:80
	ds_load_b128 v[46:49], v52 offset:96
	s_wait_dscnt 0x1
	v_fmac_f64_e32 v[2:3], v[40:41], v[60:61]
	ds_load_2addr_b64 v[54:57], v1 offset0:29 offset1:30
	ds_load_2addr_b64 v[58:61], v1 offset0:31 offset1:32
	s_wait_dscnt 0x1
	v_fmac_f64_e32 v[2:3], v[42:43], v[54:55]
	ds_load_b128 v[40:43], v52 offset:112
	ds_load_b64 v[50:51], v52 offset:128
	v_fmac_f64_e32 v[2:3], v[46:47], v[56:57]
	s_wait_dscnt 0x2
	s_delay_alu instid0(VALU_DEP_1) | instskip(SKIP_4) | instid1(VALU_DEP_1)
	v_fmac_f64_e32 v[2:3], v[48:49], v[58:59]
	ds_load_2addr_b64 v[46:49], v1 offset0:33 offset1:34
	s_wait_dscnt 0x2
	v_fmac_f64_e32 v[2:3], v[40:41], v[60:61]
	s_wait_dscnt 0x0
	v_fmac_f64_e32 v[2:3], v[42:43], v[46:47]
	s_delay_alu instid0(VALU_DEP_1) | instskip(NEXT) | instid1(VALU_DEP_1)
	v_fmac_f64_e32 v[2:3], v[50:51], v[48:49]
	v_add_f64_e64 v[2:3], v[44:45], -v[2:3]
	ds_store_b64 v52, v[2:3] offset:16
	v_cmpx_lt_u32_e32 1, v38
	s_cbranch_execz .LBB80_109
; %bb.108:
	ds_load_b64 v[2:3], v52 offset:8
	v_mov_b64_e32 v[40:41], 0
	s_wait_dscnt 0x0
	ds_store_b64 v0, v[2:3]
	ds_store_b64 v52, v[40:41] offset:8
.LBB80_109:
	s_or_b32 exec_lo, exec_lo, s0
	v_mov_b32_e32 v39, 0
	s_wait_dscnt 0x0
	s_barrier_signal -1
	s_barrier_wait -1
	ds_load_2addr_b64 v[40:43], v52 offset0:1 offset1:2
	ds_load_b128 v[44:47], v39 offset:160
	ds_load_b128 v[48:51], v39 offset:176
	ds_load_2addr_b64 v[54:57], v52 offset0:3 offset1:4
	v_dual_ashrrev_i32 v9, 31, v8 :: v_dual_ashrrev_i32 v11, 31, v10
	v_dual_ashrrev_i32 v13, 31, v12 :: v_dual_ashrrev_i32 v15, 31, v14
	;; [unrolled: 1-line block ×7, first 2 shown]
	v_ashrrev_i32_e32 v37, 31, v36
	s_mov_b32 s0, exec_lo
	s_wait_dscnt 0x2
	v_fma_f64 v[2:3], v[42:43], v[44:45], 0
	s_wait_dscnt 0x0
	s_delay_alu instid0(VALU_DEP_1) | instskip(NEXT) | instid1(VALU_DEP_1)
	v_fmac_f64_e32 v[2:3], v[54:55], v[46:47]
	v_fmac_f64_e32 v[2:3], v[56:57], v[48:49]
	ds_load_2addr_b64 v[42:45], v52 offset0:5 offset1:6
	ds_load_2addr_b64 v[46:49], v52 offset0:7 offset1:8
	ds_load_b128 v[54:57], v39 offset:192
	ds_load_b128 v[58:61], v39 offset:208
	s_wait_dscnt 0x3
	v_fmac_f64_e32 v[2:3], v[42:43], v[50:51]
	s_wait_dscnt 0x1
	s_delay_alu instid0(VALU_DEP_1) | instskip(NEXT) | instid1(VALU_DEP_1)
	v_fmac_f64_e32 v[2:3], v[44:45], v[54:55]
	v_fmac_f64_e32 v[2:3], v[46:47], v[56:57]
	s_wait_dscnt 0x0
	s_delay_alu instid0(VALU_DEP_1)
	v_fmac_f64_e32 v[2:3], v[48:49], v[58:59]
	ds_load_2addr_b64 v[42:45], v52 offset0:9 offset1:10
	ds_load_2addr_b64 v[46:49], v52 offset0:11 offset1:12
	s_wait_dscnt 0x1
	v_fmac_f64_e32 v[2:3], v[42:43], v[60:61]
	ds_load_b128 v[54:57], v39 offset:224
	ds_load_b128 v[58:61], v39 offset:240
	s_wait_dscnt 0x1
	v_fmac_f64_e32 v[2:3], v[44:45], v[54:55]
	s_delay_alu instid0(VALU_DEP_1) | instskip(SKIP_1) | instid1(VALU_DEP_1)
	v_fmac_f64_e32 v[2:3], v[46:47], v[56:57]
	s_wait_dscnt 0x0
	v_fmac_f64_e32 v[2:3], v[48:49], v[58:59]
	ds_load_2addr_b64 v[42:45], v52 offset0:13 offset1:14
	ds_load_2addr_b64 v[46:49], v52 offset0:15 offset1:16
	s_wait_dscnt 0x1
	v_fmac_f64_e32 v[2:3], v[42:43], v[60:61]
	ds_load_b128 v[54:57], v39 offset:256
	ds_load_b64 v[42:43], v39 offset:272
	s_wait_dscnt 0x1
	v_fmac_f64_e32 v[2:3], v[44:45], v[54:55]
	s_delay_alu instid0(VALU_DEP_1) | instskip(SKIP_1) | instid1(VALU_DEP_1)
	v_fmac_f64_e32 v[2:3], v[46:47], v[56:57]
	s_wait_dscnt 0x0
	v_fmac_f64_e32 v[2:3], v[48:49], v[42:43]
	s_delay_alu instid0(VALU_DEP_1)
	v_add_f64_e64 v[2:3], v[40:41], -v[2:3]
	ds_store_b64 v52, v[2:3] offset:8
	v_cmpx_ne_u32_e32 0, v38
	s_cbranch_execz .LBB80_111
; %bb.110:
	ds_load_b64 v[2:3], v52
	v_mov_b64_e32 v[40:41], 0
	s_wait_dscnt 0x0
	ds_store_b64 v0, v[2:3]
	ds_store_b64 v52, v[40:41]
.LBB80_111:
	s_or_b32 exec_lo, exec_lo, s0
	s_wait_dscnt 0x0
	s_barrier_signal -1
	s_barrier_wait -1
	ds_load_2addr_b64 v[0:3], v39 offset0:19 offset1:20
	ds_load_b128 v[40:43], v52
	ds_load_b128 v[44:47], v52 offset:16
	ds_load_2addr_b64 v[48:51], v39 offset0:21 offset1:22
	s_and_b32 vcc_lo, exec_lo, s14
	s_wait_dscnt 0x2
	v_fma_f64 v[58:59], v[42:43], v[0:1], 0
	s_wait_dscnt 0x1
	s_delay_alu instid0(VALU_DEP_1)
	v_fmac_f64_e32 v[58:59], v[44:45], v[2:3]
	ds_load_b128 v[0:3], v52 offset:32
	ds_load_b128 v[42:45], v52 offset:48
	s_wait_dscnt 0x2
	v_fmac_f64_e32 v[58:59], v[46:47], v[48:49]
	ds_load_2addr_b64 v[46:49], v39 offset0:23 offset1:24
	ds_load_2addr_b64 v[54:57], v39 offset0:25 offset1:26
	s_wait_dscnt 0x3
	v_fmac_f64_e32 v[58:59], v[0:1], v[50:51]
	s_wait_dscnt 0x1
	s_delay_alu instid0(VALU_DEP_1) | instskip(NEXT) | instid1(VALU_DEP_1)
	v_fmac_f64_e32 v[58:59], v[2:3], v[46:47]
	v_fmac_f64_e32 v[58:59], v[42:43], v[48:49]
	s_wait_dscnt 0x0
	s_delay_alu instid0(VALU_DEP_1)
	v_fmac_f64_e32 v[58:59], v[44:45], v[54:55]
	ds_load_b128 v[0:3], v52 offset:64
	ds_load_b128 v[42:45], v52 offset:80
	s_wait_dscnt 0x1
	v_fmac_f64_e32 v[58:59], v[0:1], v[56:57]
	ds_load_2addr_b64 v[46:49], v39 offset0:27 offset1:28
	ds_load_2addr_b64 v[54:57], v39 offset0:29 offset1:30
	s_wait_dscnt 0x1
	v_fmac_f64_e32 v[58:59], v[2:3], v[46:47]
	s_delay_alu instid0(VALU_DEP_1) | instskip(SKIP_1) | instid1(VALU_DEP_1)
	v_fmac_f64_e32 v[58:59], v[42:43], v[48:49]
	s_wait_dscnt 0x0
	v_fmac_f64_e32 v[58:59], v[44:45], v[54:55]
	ds_load_b128 v[42:45], v52 offset:96
	ds_load_b128 v[0:3], v52 offset:112
	s_wait_dscnt 0x1
	v_fmac_f64_e32 v[58:59], v[42:43], v[56:57]
	ds_load_2addr_b64 v[46:49], v39 offset0:31 offset1:32
	ds_load_2addr_b64 v[54:57], v39 offset0:33 offset1:34
	s_wait_dscnt 0x1
	v_fmac_f64_e32 v[58:59], v[44:45], v[46:47]
	s_delay_alu instid0(VALU_DEP_1) | instskip(SKIP_4) | instid1(VALU_DEP_1)
	v_fmac_f64_e32 v[58:59], v[0:1], v[48:49]
	ds_load_b64 v[0:1], v52 offset:128
	s_wait_dscnt 0x1
	v_fmac_f64_e32 v[58:59], v[2:3], v[54:55]
	s_wait_dscnt 0x0
	v_fmac_f64_e32 v[58:59], v[0:1], v[56:57]
	s_delay_alu instid0(VALU_DEP_1)
	v_add_f64_e64 v[0:1], v[40:41], -v[58:59]
	ds_store_b64 v52, v[0:1]
	s_cbranch_vccz .LBB80_144
; %bb.112:
	v_mov_b32_e32 v0, 0
	global_load_b32 v1, v0, s[8:9] offset:60
	s_wait_loadcnt 0x0
	v_add_nc_u32_e32 v1, -1, v1
	s_delay_alu instid0(VALU_DEP_1)
	v_cmp_ne_u32_e32 vcc_lo, 15, v1
	s_cbranch_vccz .LBB80_114
; %bb.113:
	v_lshl_add_u32 v1, v1, 3, v52
	ds_load_b64 v[38:39], v1
	s_wait_dscnt 0x0
	ds_store_b64 v52, v[38:39] offset:120
	ds_store_b64 v1, v[2:3]
.LBB80_114:
	global_load_b32 v0, v0, s[8:9] offset:56
	s_wait_loadcnt 0x0
	v_add_nc_u32_e32 v0, -1, v0
	s_delay_alu instid0(VALU_DEP_1)
	v_cmp_eq_u32_e32 vcc_lo, 14, v0
	s_cbranch_vccnz .LBB80_116
; %bb.115:
	v_lshl_add_u32 v38, v0, 3, v52
	ds_load_b64 v[0:1], v38
	ds_load_b64 v[2:3], v52 offset:112
	s_wait_dscnt 0x1
	ds_store_b64 v52, v[0:1] offset:112
	s_wait_dscnt 0x1
	ds_store_b64 v38, v[2:3]
.LBB80_116:
	v_mov_b32_e32 v0, 0
	global_load_b32 v1, v0, s[8:9] offset:52
	s_wait_loadcnt 0x0
	v_add_nc_u32_e32 v1, -1, v1
	s_delay_alu instid0(VALU_DEP_1)
	v_cmp_eq_u32_e32 vcc_lo, 13, v1
	s_cbranch_vccnz .LBB80_118
; %bb.117:
	v_lshl_add_u32 v1, v1, 3, v52
	ds_load_b64 v[2:3], v1
	ds_load_b64 v[38:39], v52 offset:104
	s_wait_dscnt 0x1
	ds_store_b64 v52, v[2:3] offset:104
	s_wait_dscnt 0x1
	ds_store_b64 v1, v[38:39]
.LBB80_118:
	global_load_b32 v0, v0, s[8:9] offset:48
	s_wait_loadcnt 0x0
	v_add_nc_u32_e32 v0, -1, v0
	s_delay_alu instid0(VALU_DEP_1)
	v_cmp_eq_u32_e32 vcc_lo, 12, v0
	s_cbranch_vccnz .LBB80_120
; %bb.119:
	v_lshl_add_u32 v38, v0, 3, v52
	ds_load_b64 v[0:1], v38
	ds_load_b64 v[2:3], v52 offset:96
	s_wait_dscnt 0x1
	ds_store_b64 v52, v[0:1] offset:96
	s_wait_dscnt 0x1
	ds_store_b64 v38, v[2:3]
.LBB80_120:
	v_mov_b32_e32 v0, 0
	global_load_b32 v1, v0, s[8:9] offset:44
	s_wait_loadcnt 0x0
	v_add_nc_u32_e32 v1, -1, v1
	s_delay_alu instid0(VALU_DEP_1)
	v_cmp_eq_u32_e32 vcc_lo, 11, v1
	s_cbranch_vccnz .LBB80_122
; %bb.121:
	v_lshl_add_u32 v1, v1, 3, v52
	ds_load_b64 v[2:3], v1
	ds_load_b64 v[38:39], v52 offset:88
	s_wait_dscnt 0x1
	ds_store_b64 v52, v[2:3] offset:88
	s_wait_dscnt 0x1
	ds_store_b64 v1, v[38:39]
.LBB80_122:
	;; [unrolled: 31-line block ×7, first 2 shown]
	global_load_b32 v2, v0, s[8:9]
	s_wait_xcnt 0x0
	ds_load_b64 v[0:1], v52
	s_wait_loadcnt 0x0
	v_add_nc_u32_e32 v2, -1, v2
	s_delay_alu instid0(VALU_DEP_1)
	v_cmp_eq_u32_e32 vcc_lo, 0, v2
	s_cbranch_vccnz .LBB80_144
; %bb.143:
	v_lshl_add_u32 v38, v2, 3, v52
	ds_load_b64 v[2:3], v38
	s_wait_dscnt 0x0
	ds_store_b64 v52, v[2:3]
	ds_store_b64 v38, v[0:1]
	ds_load_b64 v[0:1], v52
.LBB80_144:
	s_wait_dscnt 0x0
	flat_store_b64 v[4:5], v[0:1]
	s_wait_xcnt 0x0
	ds_load_b64 v[0:1], v52 offset:8
	v_lshl_add_u64 v[50:51], v[8:9], 3, s[2:3]
	v_lshl_add_u64 v[48:49], v[10:11], 3, s[2:3]
	;; [unrolled: 1-line block ×15, first 2 shown]
	s_wait_dscnt 0x0
	flat_store_b64 v[6:7], v[0:1]
	s_wait_xcnt 0x0
	ds_load_b64 v[0:1], v52 offset:16
	s_wait_dscnt 0x0
	flat_store_b64 v[50:51], v[0:1]
	s_wait_xcnt 0x0
	ds_load_b64 v[0:1], v52 offset:24
	;; [unrolled: 4-line block ×15, first 2 shown]
	s_wait_dscnt 0x0
	flat_store_b64 v[2:3], v[0:1]
	s_endpgm
	.section	.rodata,"a",@progbits
	.p2align	6, 0x0
	.amdhsa_kernel _ZN9rocsolver6v33100L18getri_kernel_smallILi17EdPKPdEEvT1_iilPiilS6_bb
		.amdhsa_group_segment_fixed_size 8992
		.amdhsa_private_segment_fixed_size 0
		.amdhsa_kernarg_size 60
		.amdhsa_user_sgpr_count 4
		.amdhsa_user_sgpr_dispatch_ptr 1
		.amdhsa_user_sgpr_queue_ptr 0
		.amdhsa_user_sgpr_kernarg_segment_ptr 1
		.amdhsa_user_sgpr_dispatch_id 0
		.amdhsa_user_sgpr_kernarg_preload_length 0
		.amdhsa_user_sgpr_kernarg_preload_offset 0
		.amdhsa_user_sgpr_private_segment_size 0
		.amdhsa_wavefront_size32 1
		.amdhsa_uses_dynamic_stack 0
		.amdhsa_enable_private_segment 0
		.amdhsa_system_sgpr_workgroup_id_x 1
		.amdhsa_system_sgpr_workgroup_id_y 0
		.amdhsa_system_sgpr_workgroup_id_z 0
		.amdhsa_system_sgpr_workgroup_info 0
		.amdhsa_system_vgpr_workitem_id 2
		.amdhsa_next_free_vgpr 62
		.amdhsa_next_free_sgpr 19
		.amdhsa_named_barrier_count 0
		.amdhsa_reserve_vcc 1
		.amdhsa_float_round_mode_32 0
		.amdhsa_float_round_mode_16_64 0
		.amdhsa_float_denorm_mode_32 3
		.amdhsa_float_denorm_mode_16_64 3
		.amdhsa_fp16_overflow 0
		.amdhsa_memory_ordered 1
		.amdhsa_forward_progress 1
		.amdhsa_inst_pref_size 78
		.amdhsa_round_robin_scheduling 0
		.amdhsa_exception_fp_ieee_invalid_op 0
		.amdhsa_exception_fp_denorm_src 0
		.amdhsa_exception_fp_ieee_div_zero 0
		.amdhsa_exception_fp_ieee_overflow 0
		.amdhsa_exception_fp_ieee_underflow 0
		.amdhsa_exception_fp_ieee_inexact 0
		.amdhsa_exception_int_div_zero 0
	.end_amdhsa_kernel
	.section	.text._ZN9rocsolver6v33100L18getri_kernel_smallILi17EdPKPdEEvT1_iilPiilS6_bb,"axG",@progbits,_ZN9rocsolver6v33100L18getri_kernel_smallILi17EdPKPdEEvT1_iilPiilS6_bb,comdat
.Lfunc_end80:
	.size	_ZN9rocsolver6v33100L18getri_kernel_smallILi17EdPKPdEEvT1_iilPiilS6_bb, .Lfunc_end80-_ZN9rocsolver6v33100L18getri_kernel_smallILi17EdPKPdEEvT1_iilPiilS6_bb
                                        ; -- End function
	.set _ZN9rocsolver6v33100L18getri_kernel_smallILi17EdPKPdEEvT1_iilPiilS6_bb.num_vgpr, 62
	.set _ZN9rocsolver6v33100L18getri_kernel_smallILi17EdPKPdEEvT1_iilPiilS6_bb.num_agpr, 0
	.set _ZN9rocsolver6v33100L18getri_kernel_smallILi17EdPKPdEEvT1_iilPiilS6_bb.numbered_sgpr, 19
	.set _ZN9rocsolver6v33100L18getri_kernel_smallILi17EdPKPdEEvT1_iilPiilS6_bb.num_named_barrier, 0
	.set _ZN9rocsolver6v33100L18getri_kernel_smallILi17EdPKPdEEvT1_iilPiilS6_bb.private_seg_size, 0
	.set _ZN9rocsolver6v33100L18getri_kernel_smallILi17EdPKPdEEvT1_iilPiilS6_bb.uses_vcc, 1
	.set _ZN9rocsolver6v33100L18getri_kernel_smallILi17EdPKPdEEvT1_iilPiilS6_bb.uses_flat_scratch, 0
	.set _ZN9rocsolver6v33100L18getri_kernel_smallILi17EdPKPdEEvT1_iilPiilS6_bb.has_dyn_sized_stack, 0
	.set _ZN9rocsolver6v33100L18getri_kernel_smallILi17EdPKPdEEvT1_iilPiilS6_bb.has_recursion, 0
	.set _ZN9rocsolver6v33100L18getri_kernel_smallILi17EdPKPdEEvT1_iilPiilS6_bb.has_indirect_call, 0
	.section	.AMDGPU.csdata,"",@progbits
; Kernel info:
; codeLenInByte = 9896
; TotalNumSgprs: 21
; NumVgprs: 62
; ScratchSize: 0
; MemoryBound: 0
; FloatMode: 240
; IeeeMode: 1
; LDSByteSize: 8992 bytes/workgroup (compile time only)
; SGPRBlocks: 0
; VGPRBlocks: 3
; NumSGPRsForWavesPerEU: 21
; NumVGPRsForWavesPerEU: 62
; NamedBarCnt: 0
; Occupancy: 9
; WaveLimiterHint : 1
; COMPUTE_PGM_RSRC2:SCRATCH_EN: 0
; COMPUTE_PGM_RSRC2:USER_SGPR: 4
; COMPUTE_PGM_RSRC2:TRAP_HANDLER: 0
; COMPUTE_PGM_RSRC2:TGID_X_EN: 1
; COMPUTE_PGM_RSRC2:TGID_Y_EN: 0
; COMPUTE_PGM_RSRC2:TGID_Z_EN: 0
; COMPUTE_PGM_RSRC2:TIDIG_COMP_CNT: 2
	.section	.text._ZN9rocsolver6v33100L18getri_kernel_smallILi18EdPKPdEEvT1_iilPiilS6_bb,"axG",@progbits,_ZN9rocsolver6v33100L18getri_kernel_smallILi18EdPKPdEEvT1_iilPiilS6_bb,comdat
	.globl	_ZN9rocsolver6v33100L18getri_kernel_smallILi18EdPKPdEEvT1_iilPiilS6_bb ; -- Begin function _ZN9rocsolver6v33100L18getri_kernel_smallILi18EdPKPdEEvT1_iilPiilS6_bb
	.p2align	8
	.type	_ZN9rocsolver6v33100L18getri_kernel_smallILi18EdPKPdEEvT1_iilPiilS6_bb,@function
_ZN9rocsolver6v33100L18getri_kernel_smallILi18EdPKPdEEvT1_iilPiilS6_bb: ; @_ZN9rocsolver6v33100L18getri_kernel_smallILi18EdPKPdEEvT1_iilPiilS6_bb
; %bb.0:
	v_and_b32_e32 v40, 0x3ff, v0
	s_mov_b32 s4, exec_lo
	s_delay_alu instid0(VALU_DEP_1)
	v_cmpx_gt_u32_e32 18, v40
	s_cbranch_execz .LBB81_82
; %bb.1:
	s_clause 0x1
	s_load_b32 s15, s[2:3], 0x38
	s_load_b64 s[8:9], s[2:3], 0x0
	s_getreg_b32 s6, hwreg(HW_REG_IB_STS2, 6, 4)
	s_wait_kmcnt 0x0
	s_bitcmp1_b32 s15, 8
	s_cselect_b32 s14, -1, 0
	s_bfe_u32 s4, ttmp6, 0x4000c
	s_and_b32 s5, ttmp6, 15
	s_add_co_i32 s4, s4, 1
	s_delay_alu instid0(SALU_CYCLE_1) | instskip(NEXT) | instid1(SALU_CYCLE_1)
	s_mul_i32 s4, ttmp9, s4
	s_add_co_i32 s5, s5, s4
	s_cmp_eq_u32 s6, 0
	s_cselect_b32 s10, ttmp9, s5
	s_load_b128 s[4:7], s[2:3], 0x28
	s_ashr_i32 s11, s10, 31
	s_delay_alu instid0(SALU_CYCLE_1) | instskip(NEXT) | instid1(SALU_CYCLE_1)
	s_lshl_b64 s[12:13], s[10:11], 3
	s_add_nc_u64 s[8:9], s[8:9], s[12:13]
	s_load_b64 s[12:13], s[8:9], 0x0
	s_wait_xcnt 0x0
	s_bfe_u32 s8, s15, 0x10008
	s_delay_alu instid0(SALU_CYCLE_1)
	s_cmp_eq_u32 s8, 0
                                        ; implicit-def: $sgpr8_sgpr9
	s_cbranch_scc1 .LBB81_3
; %bb.2:
	s_load_b96 s[16:18], s[2:3], 0x18
	s_wait_kmcnt 0x0
	s_mul_u64 s[4:5], s[4:5], s[10:11]
	s_delay_alu instid0(SALU_CYCLE_1) | instskip(SKIP_4) | instid1(SALU_CYCLE_1)
	s_lshl_b64 s[4:5], s[4:5], 2
	s_ashr_i32 s9, s18, 31
	s_mov_b32 s8, s18
	s_add_nc_u64 s[4:5], s[16:17], s[4:5]
	s_lshl_b64 s[8:9], s[8:9], 2
	s_add_nc_u64 s[8:9], s[4:5], s[8:9]
.LBB81_3:
	s_wait_kmcnt 0x0
	s_clause 0x1
	s_load_b64 s[4:5], s[2:3], 0x8
	s_load_b32 s15, s[2:3], 0x38
	v_bfe_u32 v1, v0, 10, 10
	v_bfe_u32 v0, v0, 20, 10
	s_wait_kmcnt 0x0
	s_ashr_i32 s3, s4, 31
	s_mov_b32 s2, s4
	v_add3_u32 v8, s5, s5, v40
	s_lshl_b64 s[2:3], s[2:3], 3
	s_delay_alu instid0(SALU_CYCLE_1) | instskip(SKIP_4) | instid1(VALU_DEP_1)
	s_add_nc_u64 s[2:3], s[12:13], s[2:3]
	s_load_b64 s[12:13], s[0:1], 0x4
	flat_load_b64 v[2:3], v40, s[2:3] scale_offset
	s_ashr_i32 s1, s5, 31
	v_add_nc_u32_e32 v10, s5, v8
	v_add_nc_u32_e32 v12, s5, v10
	s_delay_alu instid0(VALU_DEP_1) | instskip(NEXT) | instid1(VALU_DEP_1)
	v_add_nc_u32_e32 v14, s5, v12
	v_add_nc_u32_e32 v16, s5, v14
	s_wait_kmcnt 0x0
	s_lshr_b32 s0, s12, 16
	v_mul_u32_u24_e32 v1, s13, v1
	s_mul_i32 s0, s0, s13
	v_add_nc_u32_e32 v18, s5, v16
	v_mul_u32_u24_e32 v4, s0, v40
	s_mov_b32 s0, s5
	s_bitcmp0_b32 s15, 0
	s_delay_alu instid0(VALU_DEP_2) | instskip(NEXT) | instid1(VALU_DEP_2)
	v_add_nc_u32_e32 v20, s5, v18
	v_add3_u32 v4, v4, v1, v0
	v_dual_mov_b32 v1, 0 :: v_dual_lshlrev_b32 v0, 3, v40
	s_delay_alu instid0(VALU_DEP_3) | instskip(NEXT) | instid1(VALU_DEP_3)
	v_add_nc_u32_e32 v22, s5, v20
	v_mul_lo_u32 v9, 0x90, v4
	s_delay_alu instid0(VALU_DEP_3) | instskip(NEXT) | instid1(VALU_DEP_3)
	v_add_nc_u64_e32 v[4:5], s[2:3], v[0:1]
	v_add_nc_u32_e32 v24, s5, v22
	s_delay_alu instid0(VALU_DEP_2) | instskip(NEXT) | instid1(VALU_DEP_2)
	v_lshl_add_u64 v[6:7], s[0:1], 3, v[4:5]
	v_add_nc_u32_e32 v26, s5, v24
	v_add_nc_u32_e32 v54, 0x130, v9
	s_mov_b32 s1, -1
	s_delay_alu instid0(VALU_DEP_2) | instskip(NEXT) | instid1(VALU_DEP_1)
	v_add_nc_u32_e32 v28, s5, v26
	v_add_nc_u32_e32 v30, s5, v28
	s_delay_alu instid0(VALU_DEP_1) | instskip(NEXT) | instid1(VALU_DEP_1)
	v_add_nc_u32_e32 v32, s5, v30
	v_add_nc_u32_e32 v34, s5, v32
	s_delay_alu instid0(VALU_DEP_1) | instskip(NEXT) | instid1(VALU_DEP_1)
	v_add_nc_u32_e32 v36, s5, v34
	v_add_nc_u32_e32 v38, s5, v36
	s_wait_loadcnt_dscnt 0x0
	ds_store_b64 v9, v[2:3] offset:304
	flat_load_b64 v[2:3], v[6:7]
	s_wait_loadcnt_dscnt 0x0
	ds_store_b64 v9, v[2:3] offset:312
	flat_load_b64 v[2:3], v8, s[2:3] scale_offset
	s_wait_loadcnt_dscnt 0x0
	ds_store_b64 v9, v[2:3] offset:320
	flat_load_b64 v[2:3], v10, s[2:3] scale_offset
	;; [unrolled: 3-line block ×16, first 2 shown]
	s_wait_loadcnt_dscnt 0x0
	ds_store_b64 v9, v[2:3] offset:440
	s_cbranch_scc1 .LBB81_80
; %bb.4:
	v_cmp_eq_u32_e64 s0, 0, v40
	s_and_saveexec_b32 s1, s0
; %bb.5:
	v_mov_b32_e32 v1, 0
	ds_store_b32 v1, v1 offset:288
; %bb.6:
	s_or_b32 exec_lo, exec_lo, s1
	v_lshl_add_u32 v2, v40, 3, v54
	s_wait_dscnt 0x0
	s_barrier_signal -1
	s_barrier_wait -1
	ds_load_b64 v[42:43], v2
	s_mov_b32 s4, exec_lo
	s_wait_dscnt 0x0
	v_cmpx_eq_f64_e32 0, v[42:43]
	s_cbranch_execz .LBB81_10
; %bb.7:
	v_mov_b32_e32 v1, 0
	s_mov_b32 s5, 0
	ds_load_b32 v3, v1 offset:288
	s_wait_dscnt 0x0
	v_readfirstlane_b32 s1, v3
	v_add_nc_u32_e32 v3, 1, v40
	s_cmp_eq_u32 s1, 0
	s_delay_alu instid0(VALU_DEP_1) | instskip(SKIP_1) | instid1(SALU_CYCLE_1)
	v_cmp_gt_i32_e32 vcc_lo, s1, v3
	s_cselect_b32 s12, -1, 0
	s_or_b32 s12, s12, vcc_lo
	s_delay_alu instid0(SALU_CYCLE_1)
	s_and_b32 exec_lo, exec_lo, s12
	s_cbranch_execz .LBB81_10
; %bb.8:
	v_mov_b32_e32 v11, s1
.LBB81_9:                               ; =>This Inner Loop Header: Depth=1
	ds_cmpstore_rtn_b32 v11, v1, v3, v11 offset:288
	s_wait_dscnt 0x0
	v_cmp_ne_u32_e32 vcc_lo, 0, v11
	v_cmp_le_i32_e64 s1, v11, v3
	s_and_b32 s1, vcc_lo, s1
	s_delay_alu instid0(SALU_CYCLE_1) | instskip(NEXT) | instid1(SALU_CYCLE_1)
	s_and_b32 s1, exec_lo, s1
	s_or_b32 s5, s1, s5
	s_delay_alu instid0(SALU_CYCLE_1)
	s_and_not1_b32 exec_lo, exec_lo, s5
	s_cbranch_execnz .LBB81_9
.LBB81_10:
	s_or_b32 exec_lo, exec_lo, s4
	v_mov_b32_e32 v1, 0
	s_barrier_signal -1
	s_barrier_wait -1
	ds_load_b32 v3, v1 offset:288
	s_and_saveexec_b32 s1, s0
	s_cbranch_execz .LBB81_12
; %bb.11:
	s_lshl_b64 s[4:5], s[10:11], 2
	s_delay_alu instid0(SALU_CYCLE_1)
	s_add_nc_u64 s[4:5], s[6:7], s[4:5]
	s_wait_dscnt 0x0
	global_store_b32 v1, v3, s[4:5]
.LBB81_12:
	s_wait_xcnt 0x0
	s_or_b32 exec_lo, exec_lo, s1
	s_wait_dscnt 0x0
	v_cmp_ne_u32_e32 vcc_lo, 0, v3
	s_mov_b32 s1, 0
	s_cbranch_vccnz .LBB81_80
; %bb.13:
	ds_load_b64 v[42:43], v2
	v_add_nc_u32_e32 v1, 0x90, v0
	s_wait_dscnt 0x0
	v_div_scale_f64 v[44:45], null, v[42:43], v[42:43], 1.0
	v_div_scale_f64 v[50:51], vcc_lo, 1.0, v[42:43], 1.0
	s_delay_alu instid0(VALU_DEP_2) | instskip(SKIP_1) | instid1(TRANS32_DEP_1)
	v_rcp_f64_e32 v[46:47], v[44:45]
	v_nop
	v_fma_f64 v[48:49], -v[44:45], v[46:47], 1.0
	s_delay_alu instid0(VALU_DEP_1) | instskip(NEXT) | instid1(VALU_DEP_1)
	v_fmac_f64_e32 v[46:47], v[46:47], v[48:49]
	v_fma_f64 v[48:49], -v[44:45], v[46:47], 1.0
	s_delay_alu instid0(VALU_DEP_1) | instskip(NEXT) | instid1(VALU_DEP_1)
	v_fmac_f64_e32 v[46:47], v[46:47], v[48:49]
	v_mul_f64_e32 v[48:49], v[50:51], v[46:47]
	s_delay_alu instid0(VALU_DEP_1) | instskip(NEXT) | instid1(VALU_DEP_1)
	v_fma_f64 v[44:45], -v[44:45], v[48:49], v[50:51]
	v_div_fmas_f64 v[44:45], v[44:45], v[46:47], v[48:49]
	s_delay_alu instid0(VALU_DEP_1)
	v_div_fixup_f64 v[42:43], v[44:45], v[42:43], 1.0
	ds_store_b64 v2, v[42:43]
	ds_load_b64 v[44:45], v54 offset:8
	v_xor_b32_e32 v43, 0x80000000, v43
	s_wait_dscnt 0x0
	ds_store_2addr_b64 v0, v[42:43], v[44:45] offset1:18
	s_wait_storecnt_dscnt 0x0
	s_barrier_signal -1
	s_barrier_wait -1
	s_and_saveexec_b32 s1, s0
	s_cbranch_execz .LBB81_15
; %bb.14:
	ds_load_b64 v[42:43], v2
	ds_load_b64 v[44:45], v1
	s_wait_dscnt 0x0
	v_fma_f64 v[42:43], v[42:43], v[44:45], 0
	v_mov_b32_e32 v3, 0
	ds_load_b64 v[46:47], v3 offset:8
	s_wait_dscnt 0x0
	v_mul_f64_e32 v[42:43], v[42:43], v[46:47]
	ds_store_b64 v54, v[42:43] offset:8
.LBB81_15:
	s_or_b32 exec_lo, exec_lo, s1
	s_wait_dscnt 0x0
	s_barrier_signal -1
	s_barrier_wait -1
	ds_load_b64 v[42:43], v54 offset:16
	s_mov_b32 s1, exec_lo
	s_wait_dscnt 0x0
	ds_store_b64 v1, v[42:43]
	s_wait_dscnt 0x0
	s_barrier_signal -1
	s_barrier_wait -1
	v_cmpx_gt_u32_e32 2, v40
	s_cbranch_execz .LBB81_19
; %bb.16:
	ds_load_b64 v[2:3], v2
	ds_load_b64 v[42:43], v1
	s_wait_dscnt 0x0
	v_fma_f64 v[2:3], v[2:3], v[42:43], 0
	s_and_saveexec_b32 s4, s0
	s_cbranch_execz .LBB81_18
; %bb.17:
	v_mov_b32_e32 v11, 0
	ds_load_b64 v[42:43], v54 offset:8
	ds_load_b64 v[44:45], v11 offset:152
	s_wait_dscnt 0x0
	v_fmac_f64_e32 v[2:3], v[42:43], v[44:45]
.LBB81_18:
	s_or_b32 exec_lo, exec_lo, s4
	v_mov_b32_e32 v11, 0
	ds_load_b64 v[42:43], v11 offset:16
	s_wait_dscnt 0x0
	v_mul_f64_e32 v[2:3], v[2:3], v[42:43]
	ds_store_b64 v54, v[2:3] offset:16
.LBB81_19:
	s_or_b32 exec_lo, exec_lo, s1
	s_wait_dscnt 0x0
	s_barrier_signal -1
	s_barrier_wait -1
	ds_load_b64 v[2:3], v54 offset:24
	v_add_nc_u32_e32 v11, -1, v40
	s_mov_b32 s0, exec_lo
	s_wait_dscnt 0x0
	ds_store_b64 v1, v[2:3]
	s_wait_dscnt 0x0
	s_barrier_signal -1
	s_barrier_wait -1
	v_cmpx_gt_u32_e32 3, v40
	s_cbranch_execz .LBB81_23
; %bb.20:
	v_mov_b64_e32 v[2:3], 0
	v_add_nc_u32_e32 v13, -1, v40
	v_add_nc_u32_e32 v15, 0x90, v0
	v_add3_u32 v17, v9, v0, 0x130
	s_mov_b32 s1, 0
.LBB81_21:                              ; =>This Inner Loop Header: Depth=1
	ds_load_b64 v[42:43], v17
	ds_load_b64 v[44:45], v15
	v_dual_add_nc_u32 v13, 1, v13 :: v_dual_add_nc_u32 v15, 8, v15
	v_add_nc_u32_e32 v17, 8, v17
	s_delay_alu instid0(VALU_DEP_2)
	v_cmp_lt_u32_e32 vcc_lo, 1, v13
	s_or_b32 s1, vcc_lo, s1
	s_wait_dscnt 0x0
	v_fmac_f64_e32 v[2:3], v[42:43], v[44:45]
	s_and_not1_b32 exec_lo, exec_lo, s1
	s_cbranch_execnz .LBB81_21
; %bb.22:
	s_or_b32 exec_lo, exec_lo, s1
	v_mov_b32_e32 v13, 0
	ds_load_b64 v[42:43], v13 offset:24
	s_wait_dscnt 0x0
	v_mul_f64_e32 v[2:3], v[2:3], v[42:43]
	ds_store_b64 v54, v[2:3] offset:24
.LBB81_23:
	s_or_b32 exec_lo, exec_lo, s0
	s_wait_dscnt 0x0
	s_barrier_signal -1
	s_barrier_wait -1
	ds_load_b64 v[2:3], v54 offset:32
	s_mov_b32 s0, exec_lo
	s_wait_dscnt 0x0
	ds_store_b64 v1, v[2:3]
	s_wait_dscnt 0x0
	s_barrier_signal -1
	s_barrier_wait -1
	v_cmpx_gt_u32_e32 4, v40
	s_cbranch_execz .LBB81_27
; %bb.24:
	v_mov_b64_e32 v[2:3], 0
	v_add_nc_u32_e32 v13, -1, v40
	v_add_nc_u32_e32 v15, 0x90, v0
	v_add3_u32 v17, v9, v0, 0x130
	s_mov_b32 s1, 0
.LBB81_25:                              ; =>This Inner Loop Header: Depth=1
	ds_load_b64 v[42:43], v17
	ds_load_b64 v[44:45], v15
	v_dual_add_nc_u32 v13, 1, v13 :: v_dual_add_nc_u32 v15, 8, v15
	v_add_nc_u32_e32 v17, 8, v17
	s_delay_alu instid0(VALU_DEP_2)
	v_cmp_lt_u32_e32 vcc_lo, 2, v13
	s_or_b32 s1, vcc_lo, s1
	s_wait_dscnt 0x0
	v_fmac_f64_e32 v[2:3], v[42:43], v[44:45]
	s_and_not1_b32 exec_lo, exec_lo, s1
	s_cbranch_execnz .LBB81_25
; %bb.26:
	s_or_b32 exec_lo, exec_lo, s1
	v_mov_b32_e32 v13, 0
	ds_load_b64 v[42:43], v13 offset:32
	s_wait_dscnt 0x0
	v_mul_f64_e32 v[2:3], v[2:3], v[42:43]
	ds_store_b64 v54, v[2:3] offset:32
.LBB81_27:
	s_or_b32 exec_lo, exec_lo, s0
	s_wait_dscnt 0x0
	s_barrier_signal -1
	s_barrier_wait -1
	ds_load_b64 v[2:3], v54 offset:40
	s_mov_b32 s0, exec_lo
	s_wait_dscnt 0x0
	ds_store_b64 v1, v[2:3]
	s_wait_dscnt 0x0
	s_barrier_signal -1
	s_barrier_wait -1
	v_cmpx_gt_u32_e32 5, v40
	s_cbranch_execz .LBB81_31
; %bb.28:
	v_mov_b64_e32 v[2:3], 0
	v_add_nc_u32_e32 v13, -1, v40
	v_add_nc_u32_e32 v15, 0x90, v0
	v_add3_u32 v17, v9, v0, 0x130
	s_mov_b32 s1, 0
.LBB81_29:                              ; =>This Inner Loop Header: Depth=1
	ds_load_b64 v[42:43], v17
	ds_load_b64 v[44:45], v15
	v_dual_add_nc_u32 v13, 1, v13 :: v_dual_add_nc_u32 v15, 8, v15
	v_add_nc_u32_e32 v17, 8, v17
	s_delay_alu instid0(VALU_DEP_2)
	v_cmp_lt_u32_e32 vcc_lo, 3, v13
	s_or_b32 s1, vcc_lo, s1
	s_wait_dscnt 0x0
	v_fmac_f64_e32 v[2:3], v[42:43], v[44:45]
	s_and_not1_b32 exec_lo, exec_lo, s1
	s_cbranch_execnz .LBB81_29
; %bb.30:
	s_or_b32 exec_lo, exec_lo, s1
	v_mov_b32_e32 v13, 0
	ds_load_b64 v[42:43], v13 offset:40
	s_wait_dscnt 0x0
	v_mul_f64_e32 v[2:3], v[2:3], v[42:43]
	ds_store_b64 v54, v[2:3] offset:40
.LBB81_31:
	s_or_b32 exec_lo, exec_lo, s0
	s_wait_dscnt 0x0
	s_barrier_signal -1
	s_barrier_wait -1
	ds_load_b64 v[2:3], v54 offset:48
	s_mov_b32 s0, exec_lo
	s_wait_dscnt 0x0
	ds_store_b64 v1, v[2:3]
	s_wait_dscnt 0x0
	s_barrier_signal -1
	s_barrier_wait -1
	v_cmpx_gt_u32_e32 6, v40
	s_cbranch_execz .LBB81_35
; %bb.32:
	v_mov_b64_e32 v[2:3], 0
	v_add_nc_u32_e32 v13, -1, v40
	v_add_nc_u32_e32 v15, 0x90, v0
	v_add3_u32 v17, v9, v0, 0x130
	s_mov_b32 s1, 0
.LBB81_33:                              ; =>This Inner Loop Header: Depth=1
	ds_load_b64 v[42:43], v17
	ds_load_b64 v[44:45], v15
	v_dual_add_nc_u32 v13, 1, v13 :: v_dual_add_nc_u32 v15, 8, v15
	v_add_nc_u32_e32 v17, 8, v17
	s_delay_alu instid0(VALU_DEP_2)
	v_cmp_lt_u32_e32 vcc_lo, 4, v13
	s_or_b32 s1, vcc_lo, s1
	s_wait_dscnt 0x0
	v_fmac_f64_e32 v[2:3], v[42:43], v[44:45]
	s_and_not1_b32 exec_lo, exec_lo, s1
	s_cbranch_execnz .LBB81_33
; %bb.34:
	s_or_b32 exec_lo, exec_lo, s1
	v_mov_b32_e32 v13, 0
	ds_load_b64 v[42:43], v13 offset:48
	s_wait_dscnt 0x0
	v_mul_f64_e32 v[2:3], v[2:3], v[42:43]
	ds_store_b64 v54, v[2:3] offset:48
.LBB81_35:
	s_or_b32 exec_lo, exec_lo, s0
	s_wait_dscnt 0x0
	s_barrier_signal -1
	s_barrier_wait -1
	ds_load_b64 v[2:3], v54 offset:56
	s_mov_b32 s0, exec_lo
	s_wait_dscnt 0x0
	ds_store_b64 v1, v[2:3]
	s_wait_dscnt 0x0
	s_barrier_signal -1
	s_barrier_wait -1
	v_cmpx_gt_u32_e32 7, v40
	s_cbranch_execz .LBB81_39
; %bb.36:
	v_mov_b64_e32 v[2:3], 0
	v_add_nc_u32_e32 v13, -1, v40
	v_add_nc_u32_e32 v15, 0x90, v0
	v_add3_u32 v17, v9, v0, 0x130
	s_mov_b32 s1, 0
.LBB81_37:                              ; =>This Inner Loop Header: Depth=1
	ds_load_b64 v[42:43], v17
	ds_load_b64 v[44:45], v15
	v_dual_add_nc_u32 v13, 1, v13 :: v_dual_add_nc_u32 v15, 8, v15
	v_add_nc_u32_e32 v17, 8, v17
	s_delay_alu instid0(VALU_DEP_2)
	v_cmp_lt_u32_e32 vcc_lo, 5, v13
	s_or_b32 s1, vcc_lo, s1
	s_wait_dscnt 0x0
	v_fmac_f64_e32 v[2:3], v[42:43], v[44:45]
	s_and_not1_b32 exec_lo, exec_lo, s1
	s_cbranch_execnz .LBB81_37
; %bb.38:
	s_or_b32 exec_lo, exec_lo, s1
	v_mov_b32_e32 v13, 0
	ds_load_b64 v[42:43], v13 offset:56
	s_wait_dscnt 0x0
	v_mul_f64_e32 v[2:3], v[2:3], v[42:43]
	ds_store_b64 v54, v[2:3] offset:56
.LBB81_39:
	s_or_b32 exec_lo, exec_lo, s0
	s_wait_dscnt 0x0
	s_barrier_signal -1
	s_barrier_wait -1
	ds_load_b64 v[2:3], v54 offset:64
	s_mov_b32 s0, exec_lo
	s_wait_dscnt 0x0
	ds_store_b64 v1, v[2:3]
	s_wait_dscnt 0x0
	s_barrier_signal -1
	s_barrier_wait -1
	v_cmpx_gt_u32_e32 8, v40
	s_cbranch_execz .LBB81_43
; %bb.40:
	v_mov_b64_e32 v[2:3], 0
	v_add_nc_u32_e32 v13, -1, v40
	v_add_nc_u32_e32 v15, 0x90, v0
	v_add3_u32 v17, v9, v0, 0x130
	s_mov_b32 s1, 0
.LBB81_41:                              ; =>This Inner Loop Header: Depth=1
	ds_load_b64 v[42:43], v17
	ds_load_b64 v[44:45], v15
	v_dual_add_nc_u32 v13, 1, v13 :: v_dual_add_nc_u32 v15, 8, v15
	v_add_nc_u32_e32 v17, 8, v17
	s_delay_alu instid0(VALU_DEP_2)
	v_cmp_lt_u32_e32 vcc_lo, 6, v13
	s_or_b32 s1, vcc_lo, s1
	s_wait_dscnt 0x0
	v_fmac_f64_e32 v[2:3], v[42:43], v[44:45]
	s_and_not1_b32 exec_lo, exec_lo, s1
	s_cbranch_execnz .LBB81_41
; %bb.42:
	s_or_b32 exec_lo, exec_lo, s1
	v_mov_b32_e32 v13, 0
	ds_load_b64 v[42:43], v13 offset:64
	s_wait_dscnt 0x0
	v_mul_f64_e32 v[2:3], v[2:3], v[42:43]
	ds_store_b64 v54, v[2:3] offset:64
.LBB81_43:
	s_or_b32 exec_lo, exec_lo, s0
	s_wait_dscnt 0x0
	s_barrier_signal -1
	s_barrier_wait -1
	ds_load_b64 v[2:3], v54 offset:72
	s_mov_b32 s0, exec_lo
	s_wait_dscnt 0x0
	ds_store_b64 v1, v[2:3]
	s_wait_dscnt 0x0
	s_barrier_signal -1
	s_barrier_wait -1
	v_cmpx_gt_u32_e32 9, v40
	s_cbranch_execz .LBB81_47
; %bb.44:
	v_mov_b64_e32 v[2:3], 0
	v_add_nc_u32_e32 v13, -1, v40
	v_add_nc_u32_e32 v15, 0x90, v0
	v_add3_u32 v17, v9, v0, 0x130
	s_mov_b32 s1, 0
.LBB81_45:                              ; =>This Inner Loop Header: Depth=1
	ds_load_b64 v[42:43], v17
	ds_load_b64 v[44:45], v15
	v_dual_add_nc_u32 v13, 1, v13 :: v_dual_add_nc_u32 v15, 8, v15
	v_add_nc_u32_e32 v17, 8, v17
	s_delay_alu instid0(VALU_DEP_2)
	v_cmp_lt_u32_e32 vcc_lo, 7, v13
	s_or_b32 s1, vcc_lo, s1
	s_wait_dscnt 0x0
	v_fmac_f64_e32 v[2:3], v[42:43], v[44:45]
	s_and_not1_b32 exec_lo, exec_lo, s1
	s_cbranch_execnz .LBB81_45
; %bb.46:
	s_or_b32 exec_lo, exec_lo, s1
	v_mov_b32_e32 v13, 0
	ds_load_b64 v[42:43], v13 offset:72
	s_wait_dscnt 0x0
	v_mul_f64_e32 v[2:3], v[2:3], v[42:43]
	ds_store_b64 v54, v[2:3] offset:72
.LBB81_47:
	s_or_b32 exec_lo, exec_lo, s0
	s_wait_dscnt 0x0
	s_barrier_signal -1
	s_barrier_wait -1
	ds_load_b64 v[2:3], v54 offset:80
	s_mov_b32 s0, exec_lo
	s_wait_dscnt 0x0
	ds_store_b64 v1, v[2:3]
	s_wait_dscnt 0x0
	s_barrier_signal -1
	s_barrier_wait -1
	v_cmpx_gt_u32_e32 10, v40
	s_cbranch_execz .LBB81_51
; %bb.48:
	v_mov_b64_e32 v[2:3], 0
	v_add_nc_u32_e32 v13, -1, v40
	v_add_nc_u32_e32 v15, 0x90, v0
	v_add3_u32 v17, v9, v0, 0x130
	s_mov_b32 s1, 0
.LBB81_49:                              ; =>This Inner Loop Header: Depth=1
	ds_load_b64 v[42:43], v17
	ds_load_b64 v[44:45], v15
	v_dual_add_nc_u32 v13, 1, v13 :: v_dual_add_nc_u32 v15, 8, v15
	v_add_nc_u32_e32 v17, 8, v17
	s_delay_alu instid0(VALU_DEP_2)
	v_cmp_lt_u32_e32 vcc_lo, 8, v13
	s_or_b32 s1, vcc_lo, s1
	s_wait_dscnt 0x0
	v_fmac_f64_e32 v[2:3], v[42:43], v[44:45]
	s_and_not1_b32 exec_lo, exec_lo, s1
	s_cbranch_execnz .LBB81_49
; %bb.50:
	s_or_b32 exec_lo, exec_lo, s1
	v_mov_b32_e32 v13, 0
	ds_load_b64 v[42:43], v13 offset:80
	s_wait_dscnt 0x0
	v_mul_f64_e32 v[2:3], v[2:3], v[42:43]
	ds_store_b64 v54, v[2:3] offset:80
.LBB81_51:
	s_or_b32 exec_lo, exec_lo, s0
	s_wait_dscnt 0x0
	s_barrier_signal -1
	s_barrier_wait -1
	ds_load_b64 v[2:3], v54 offset:88
	s_mov_b32 s0, exec_lo
	s_wait_dscnt 0x0
	ds_store_b64 v1, v[2:3]
	s_wait_dscnt 0x0
	s_barrier_signal -1
	s_barrier_wait -1
	v_cmpx_gt_u32_e32 11, v40
	s_cbranch_execz .LBB81_55
; %bb.52:
	v_mov_b64_e32 v[2:3], 0
	v_add_nc_u32_e32 v13, -1, v40
	v_add_nc_u32_e32 v15, 0x90, v0
	v_add3_u32 v17, v9, v0, 0x130
	s_mov_b32 s1, 0
.LBB81_53:                              ; =>This Inner Loop Header: Depth=1
	ds_load_b64 v[42:43], v17
	ds_load_b64 v[44:45], v15
	v_dual_add_nc_u32 v13, 1, v13 :: v_dual_add_nc_u32 v15, 8, v15
	v_add_nc_u32_e32 v17, 8, v17
	s_delay_alu instid0(VALU_DEP_2)
	v_cmp_lt_u32_e32 vcc_lo, 9, v13
	s_or_b32 s1, vcc_lo, s1
	s_wait_dscnt 0x0
	v_fmac_f64_e32 v[2:3], v[42:43], v[44:45]
	s_and_not1_b32 exec_lo, exec_lo, s1
	s_cbranch_execnz .LBB81_53
; %bb.54:
	s_or_b32 exec_lo, exec_lo, s1
	v_mov_b32_e32 v13, 0
	ds_load_b64 v[42:43], v13 offset:88
	s_wait_dscnt 0x0
	v_mul_f64_e32 v[2:3], v[2:3], v[42:43]
	ds_store_b64 v54, v[2:3] offset:88
.LBB81_55:
	s_or_b32 exec_lo, exec_lo, s0
	s_wait_dscnt 0x0
	s_barrier_signal -1
	s_barrier_wait -1
	ds_load_b64 v[2:3], v54 offset:96
	s_mov_b32 s0, exec_lo
	s_wait_dscnt 0x0
	ds_store_b64 v1, v[2:3]
	s_wait_dscnt 0x0
	s_barrier_signal -1
	s_barrier_wait -1
	v_cmpx_gt_u32_e32 12, v40
	s_cbranch_execz .LBB81_59
; %bb.56:
	v_mov_b64_e32 v[2:3], 0
	v_add_nc_u32_e32 v13, -1, v40
	v_add_nc_u32_e32 v15, 0x90, v0
	v_add3_u32 v17, v9, v0, 0x130
	s_mov_b32 s1, 0
.LBB81_57:                              ; =>This Inner Loop Header: Depth=1
	ds_load_b64 v[42:43], v17
	ds_load_b64 v[44:45], v15
	v_dual_add_nc_u32 v13, 1, v13 :: v_dual_add_nc_u32 v15, 8, v15
	v_add_nc_u32_e32 v17, 8, v17
	s_delay_alu instid0(VALU_DEP_2)
	v_cmp_lt_u32_e32 vcc_lo, 10, v13
	s_or_b32 s1, vcc_lo, s1
	s_wait_dscnt 0x0
	v_fmac_f64_e32 v[2:3], v[42:43], v[44:45]
	s_and_not1_b32 exec_lo, exec_lo, s1
	s_cbranch_execnz .LBB81_57
; %bb.58:
	s_or_b32 exec_lo, exec_lo, s1
	v_mov_b32_e32 v13, 0
	ds_load_b64 v[42:43], v13 offset:96
	s_wait_dscnt 0x0
	v_mul_f64_e32 v[2:3], v[2:3], v[42:43]
	ds_store_b64 v54, v[2:3] offset:96
.LBB81_59:
	s_or_b32 exec_lo, exec_lo, s0
	s_wait_dscnt 0x0
	s_barrier_signal -1
	s_barrier_wait -1
	ds_load_b64 v[2:3], v54 offset:104
	s_mov_b32 s0, exec_lo
	s_wait_dscnt 0x0
	ds_store_b64 v1, v[2:3]
	s_wait_dscnt 0x0
	s_barrier_signal -1
	s_barrier_wait -1
	v_cmpx_gt_u32_e32 13, v40
	s_cbranch_execz .LBB81_63
; %bb.60:
	v_mov_b64_e32 v[2:3], 0
	v_add_nc_u32_e32 v13, -1, v40
	v_add_nc_u32_e32 v15, 0x90, v0
	v_add3_u32 v17, v9, v0, 0x130
	s_mov_b32 s1, 0
.LBB81_61:                              ; =>This Inner Loop Header: Depth=1
	ds_load_b64 v[42:43], v17
	ds_load_b64 v[44:45], v15
	v_dual_add_nc_u32 v13, 1, v13 :: v_dual_add_nc_u32 v15, 8, v15
	v_add_nc_u32_e32 v17, 8, v17
	s_delay_alu instid0(VALU_DEP_2)
	v_cmp_lt_u32_e32 vcc_lo, 11, v13
	s_or_b32 s1, vcc_lo, s1
	s_wait_dscnt 0x0
	v_fmac_f64_e32 v[2:3], v[42:43], v[44:45]
	s_and_not1_b32 exec_lo, exec_lo, s1
	s_cbranch_execnz .LBB81_61
; %bb.62:
	s_or_b32 exec_lo, exec_lo, s1
	v_mov_b32_e32 v13, 0
	ds_load_b64 v[42:43], v13 offset:104
	s_wait_dscnt 0x0
	v_mul_f64_e32 v[2:3], v[2:3], v[42:43]
	ds_store_b64 v54, v[2:3] offset:104
.LBB81_63:
	s_or_b32 exec_lo, exec_lo, s0
	s_wait_dscnt 0x0
	s_barrier_signal -1
	s_barrier_wait -1
	ds_load_b64 v[2:3], v54 offset:112
	s_mov_b32 s0, exec_lo
	s_wait_dscnt 0x0
	ds_store_b64 v1, v[2:3]
	s_wait_dscnt 0x0
	s_barrier_signal -1
	s_barrier_wait -1
	v_cmpx_gt_u32_e32 14, v40
	s_cbranch_execz .LBB81_67
; %bb.64:
	v_mov_b64_e32 v[2:3], 0
	v_add_nc_u32_e32 v13, -1, v40
	v_add_nc_u32_e32 v15, 0x90, v0
	v_add3_u32 v17, v9, v0, 0x130
	s_mov_b32 s1, 0
.LBB81_65:                              ; =>This Inner Loop Header: Depth=1
	ds_load_b64 v[42:43], v17
	ds_load_b64 v[44:45], v15
	v_dual_add_nc_u32 v13, 1, v13 :: v_dual_add_nc_u32 v15, 8, v15
	v_add_nc_u32_e32 v17, 8, v17
	s_delay_alu instid0(VALU_DEP_2)
	v_cmp_lt_u32_e32 vcc_lo, 12, v13
	s_or_b32 s1, vcc_lo, s1
	s_wait_dscnt 0x0
	v_fmac_f64_e32 v[2:3], v[42:43], v[44:45]
	s_and_not1_b32 exec_lo, exec_lo, s1
	s_cbranch_execnz .LBB81_65
; %bb.66:
	s_or_b32 exec_lo, exec_lo, s1
	v_mov_b32_e32 v13, 0
	ds_load_b64 v[42:43], v13 offset:112
	s_wait_dscnt 0x0
	v_mul_f64_e32 v[2:3], v[2:3], v[42:43]
	ds_store_b64 v54, v[2:3] offset:112
.LBB81_67:
	s_or_b32 exec_lo, exec_lo, s0
	s_wait_dscnt 0x0
	s_barrier_signal -1
	s_barrier_wait -1
	ds_load_b64 v[2:3], v54 offset:120
	s_mov_b32 s0, exec_lo
	s_wait_dscnt 0x0
	ds_store_b64 v1, v[2:3]
	s_wait_dscnt 0x0
	s_barrier_signal -1
	s_barrier_wait -1
	v_cmpx_gt_u32_e32 15, v40
	s_cbranch_execz .LBB81_71
; %bb.68:
	v_mov_b64_e32 v[2:3], 0
	v_add_nc_u32_e32 v13, -1, v40
	v_add_nc_u32_e32 v15, 0x90, v0
	v_add3_u32 v17, v9, v0, 0x130
	s_mov_b32 s1, 0
.LBB81_69:                              ; =>This Inner Loop Header: Depth=1
	ds_load_b64 v[42:43], v17
	ds_load_b64 v[44:45], v15
	v_dual_add_nc_u32 v13, 1, v13 :: v_dual_add_nc_u32 v15, 8, v15
	v_add_nc_u32_e32 v17, 8, v17
	s_delay_alu instid0(VALU_DEP_2)
	v_cmp_lt_u32_e32 vcc_lo, 13, v13
	s_or_b32 s1, vcc_lo, s1
	s_wait_dscnt 0x0
	v_fmac_f64_e32 v[2:3], v[42:43], v[44:45]
	s_and_not1_b32 exec_lo, exec_lo, s1
	s_cbranch_execnz .LBB81_69
; %bb.70:
	s_or_b32 exec_lo, exec_lo, s1
	v_mov_b32_e32 v13, 0
	ds_load_b64 v[42:43], v13 offset:120
	s_wait_dscnt 0x0
	v_mul_f64_e32 v[2:3], v[2:3], v[42:43]
	ds_store_b64 v54, v[2:3] offset:120
.LBB81_71:
	s_or_b32 exec_lo, exec_lo, s0
	s_wait_dscnt 0x0
	s_barrier_signal -1
	s_barrier_wait -1
	ds_load_b64 v[2:3], v54 offset:128
	s_mov_b32 s0, exec_lo
	s_wait_dscnt 0x0
	ds_store_b64 v1, v[2:3]
	s_wait_dscnt 0x0
	s_barrier_signal -1
	s_barrier_wait -1
	v_cmpx_gt_u32_e32 16, v40
	s_cbranch_execz .LBB81_75
; %bb.72:
	v_mov_b64_e32 v[2:3], 0
	v_add_nc_u32_e32 v13, -1, v40
	v_add_nc_u32_e32 v15, 0x90, v0
	v_add3_u32 v17, v9, v0, 0x130
	s_mov_b32 s1, 0
.LBB81_73:                              ; =>This Inner Loop Header: Depth=1
	ds_load_b64 v[42:43], v17
	ds_load_b64 v[44:45], v15
	v_dual_add_nc_u32 v13, 1, v13 :: v_dual_add_nc_u32 v15, 8, v15
	v_add_nc_u32_e32 v17, 8, v17
	s_delay_alu instid0(VALU_DEP_2)
	v_cmp_lt_u32_e32 vcc_lo, 14, v13
	s_or_b32 s1, vcc_lo, s1
	s_wait_dscnt 0x0
	v_fmac_f64_e32 v[2:3], v[42:43], v[44:45]
	s_and_not1_b32 exec_lo, exec_lo, s1
	s_cbranch_execnz .LBB81_73
; %bb.74:
	s_or_b32 exec_lo, exec_lo, s1
	v_mov_b32_e32 v13, 0
	ds_load_b64 v[42:43], v13 offset:128
	s_wait_dscnt 0x0
	v_mul_f64_e32 v[2:3], v[2:3], v[42:43]
	ds_store_b64 v54, v[2:3] offset:128
.LBB81_75:
	s_or_b32 exec_lo, exec_lo, s0
	s_wait_dscnt 0x0
	s_barrier_signal -1
	s_barrier_wait -1
	ds_load_b64 v[2:3], v54 offset:136
	s_mov_b32 s0, exec_lo
	s_wait_dscnt 0x0
	ds_store_b64 v1, v[2:3]
	s_wait_dscnt 0x0
	s_barrier_signal -1
	s_barrier_wait -1
	v_cmpx_ne_u32_e32 17, v40
	s_cbranch_execz .LBB81_79
; %bb.76:
	v_mov_b64_e32 v[2:3], 0
	v_add3_u32 v0, v9, v0, 0x130
	s_mov_b32 s1, 0
.LBB81_77:                              ; =>This Inner Loop Header: Depth=1
	ds_load_b64 v[42:43], v0
	ds_load_b64 v[44:45], v1
	v_dual_add_nc_u32 v11, 1, v11 :: v_dual_add_nc_u32 v1, 8, v1
	v_add_nc_u32_e32 v0, 8, v0
	s_delay_alu instid0(VALU_DEP_2)
	v_cmp_lt_u32_e32 vcc_lo, 15, v11
	s_or_b32 s1, vcc_lo, s1
	s_wait_dscnt 0x0
	v_fmac_f64_e32 v[2:3], v[42:43], v[44:45]
	s_and_not1_b32 exec_lo, exec_lo, s1
	s_cbranch_execnz .LBB81_77
; %bb.78:
	s_or_b32 exec_lo, exec_lo, s1
	v_mov_b32_e32 v0, 0
	ds_load_b64 v[0:1], v0 offset:136
	s_wait_dscnt 0x0
	v_mul_f64_e32 v[0:1], v[2:3], v[0:1]
	ds_store_b64 v54, v[0:1] offset:136
.LBB81_79:
	s_or_b32 exec_lo, exec_lo, s0
	s_mov_b32 s1, -1
	s_wait_dscnt 0x0
	s_barrier_signal -1
	s_barrier_wait -1
.LBB81_80:
	s_and_b32 vcc_lo, exec_lo, s1
	s_cbranch_vccz .LBB81_82
; %bb.81:
	v_mov_b32_e32 v0, 0
	s_lshl_b64 s[0:1], s[10:11], 2
	s_delay_alu instid0(SALU_CYCLE_1)
	s_add_nc_u64 s[0:1], s[6:7], s[0:1]
	global_load_b32 v0, v0, s[0:1]
	s_wait_loadcnt 0x0
	v_cmp_ne_u32_e32 vcc_lo, 0, v0
	s_cbranch_vccz .LBB81_83
.LBB81_82:
	s_endpgm
.LBB81_83:
	s_wait_xcnt 0x0
	v_lshl_add_u32 v0, v40, 3, 0x90
	s_mov_b32 s0, exec_lo
	v_cmpx_eq_u32_e32 17, v40
	s_cbranch_execz .LBB81_85
; %bb.84:
	ds_load_b64 v[2:3], v54 offset:128
	v_mov_b64_e32 v[42:43], 0
	s_wait_dscnt 0x0
	ds_store_b64 v0, v[2:3]
	ds_store_b64 v54, v[42:43] offset:128
.LBB81_85:
	s_or_b32 exec_lo, exec_lo, s0
	v_mov_b32_e32 v1, 0
	s_wait_storecnt_dscnt 0x0
	s_barrier_signal -1
	s_barrier_wait -1
	ds_load_b128 v[42:45], v54 offset:128
	ds_load_b64 v[2:3], v1 offset:280
	s_mov_b32 s0, exec_lo
	s_wait_dscnt 0x0
	v_fma_f64 v[2:3], v[44:45], v[2:3], 0
	s_delay_alu instid0(VALU_DEP_1)
	v_add_f64_e64 v[2:3], v[42:43], -v[2:3]
	ds_store_b64 v54, v[2:3] offset:128
	v_cmpx_lt_u32_e32 15, v40
	s_cbranch_execz .LBB81_87
; %bb.86:
	ds_load_b64 v[2:3], v54 offset:120
	v_mov_b64_e32 v[42:43], 0
	s_wait_dscnt 0x0
	ds_store_b64 v0, v[2:3]
	ds_store_b64 v54, v[42:43] offset:120
.LBB81_87:
	s_or_b32 exec_lo, exec_lo, s0
	s_wait_dscnt 0x0
	s_barrier_signal -1
	s_barrier_wait -1
	ds_load_b128 v[42:45], v1 offset:272
	ds_load_2addr_b64 v[46:49], v54 offset0:15 offset1:16
	ds_load_b64 v[2:3], v54 offset:136
	s_mov_b32 s0, exec_lo
	s_wait_dscnt 0x1
	v_fma_f64 v[42:43], v[48:49], v[42:43], 0
	s_wait_dscnt 0x0
	s_delay_alu instid0(VALU_DEP_1) | instskip(NEXT) | instid1(VALU_DEP_1)
	v_fmac_f64_e32 v[42:43], v[2:3], v[44:45]
	v_add_f64_e64 v[2:3], v[46:47], -v[42:43]
	ds_store_b64 v54, v[2:3] offset:120
	v_cmpx_lt_u32_e32 14, v40
	s_cbranch_execz .LBB81_89
; %bb.88:
	ds_load_b64 v[2:3], v54 offset:112
	v_mov_b64_e32 v[42:43], 0
	s_wait_dscnt 0x0
	ds_store_b64 v0, v[2:3]
	ds_store_b64 v54, v[42:43] offset:112
.LBB81_89:
	s_or_b32 exec_lo, exec_lo, s0
	v_mov_b32_e32 v1, 0
	s_wait_dscnt 0x0
	s_barrier_signal -1
	s_barrier_wait -1
	ds_load_2addr_b64 v[42:45], v1 offset0:33 offset1:34
	ds_load_b128 v[46:49], v54 offset:112
	ds_load_b128 v[50:53], v54 offset:128
	ds_load_b64 v[2:3], v1 offset:280
	s_mov_b32 s0, exec_lo
	s_wait_dscnt 0x2
	v_fma_f64 v[42:43], v[48:49], v[42:43], 0
	s_wait_dscnt 0x1
	s_delay_alu instid0(VALU_DEP_1) | instskip(SKIP_1) | instid1(VALU_DEP_1)
	v_fmac_f64_e32 v[42:43], v[50:51], v[44:45]
	s_wait_dscnt 0x0
	v_fmac_f64_e32 v[42:43], v[52:53], v[2:3]
	s_delay_alu instid0(VALU_DEP_1)
	v_add_f64_e64 v[2:3], v[46:47], -v[42:43]
	ds_store_b64 v54, v[2:3] offset:112
	v_cmpx_lt_u32_e32 13, v40
	s_cbranch_execz .LBB81_91
; %bb.90:
	ds_load_b64 v[2:3], v54 offset:104
	v_mov_b64_e32 v[42:43], 0
	s_wait_dscnt 0x0
	ds_store_b64 v0, v[2:3]
	ds_store_b64 v54, v[42:43] offset:104
.LBB81_91:
	s_or_b32 exec_lo, exec_lo, s0
	s_wait_dscnt 0x0
	s_barrier_signal -1
	s_barrier_wait -1
	ds_load_2addr_b64 v[42:45], v54 offset0:13 offset1:14
	ds_load_b128 v[46:49], v1 offset:256
	ds_load_b128 v[50:53], v1 offset:272
	ds_load_2addr_b64 v[56:59], v54 offset0:15 offset1:16
	s_mov_b32 s0, exec_lo
	s_wait_dscnt 0x2
	v_fma_f64 v[2:3], v[44:45], v[46:47], 0
	ds_load_b64 v[44:45], v54 offset:136
	s_wait_dscnt 0x1
	v_fmac_f64_e32 v[2:3], v[56:57], v[48:49]
	s_delay_alu instid0(VALU_DEP_1) | instskip(SKIP_1) | instid1(VALU_DEP_1)
	v_fmac_f64_e32 v[2:3], v[58:59], v[50:51]
	s_wait_dscnt 0x0
	v_fmac_f64_e32 v[2:3], v[44:45], v[52:53]
	s_delay_alu instid0(VALU_DEP_1)
	v_add_f64_e64 v[2:3], v[42:43], -v[2:3]
	ds_store_b64 v54, v[2:3] offset:104
	v_cmpx_lt_u32_e32 12, v40
	s_cbranch_execz .LBB81_93
; %bb.92:
	ds_load_b64 v[2:3], v54 offset:96
	v_mov_b64_e32 v[42:43], 0
	s_wait_dscnt 0x0
	ds_store_b64 v0, v[2:3]
	ds_store_b64 v54, v[42:43] offset:96
.LBB81_93:
	s_or_b32 exec_lo, exec_lo, s0
	v_mov_b32_e32 v1, 0
	s_wait_dscnt 0x0
	s_barrier_signal -1
	s_barrier_wait -1
	ds_load_2addr_b64 v[42:45], v1 offset0:31 offset1:32
	ds_load_b128 v[46:49], v54 offset:96
	ds_load_b128 v[50:53], v54 offset:112
	ds_load_2addr_b64 v[56:59], v1 offset0:33 offset1:34
	s_mov_b32 s0, exec_lo
	s_wait_dscnt 0x2
	v_fma_f64 v[2:3], v[48:49], v[42:43], 0
	s_wait_dscnt 0x1
	s_delay_alu instid0(VALU_DEP_1) | instskip(SKIP_4) | instid1(VALU_DEP_1)
	v_fmac_f64_e32 v[2:3], v[50:51], v[44:45]
	ds_load_b128 v[42:45], v54 offset:128
	s_wait_dscnt 0x1
	v_fmac_f64_e32 v[2:3], v[52:53], v[56:57]
	s_wait_dscnt 0x0
	v_fmac_f64_e32 v[2:3], v[42:43], v[58:59]
	ds_load_b64 v[42:43], v1 offset:280
	s_wait_dscnt 0x0
	v_fmac_f64_e32 v[2:3], v[44:45], v[42:43]
	s_delay_alu instid0(VALU_DEP_1)
	v_add_f64_e64 v[2:3], v[46:47], -v[2:3]
	ds_store_b64 v54, v[2:3] offset:96
	v_cmpx_lt_u32_e32 11, v40
	s_cbranch_execz .LBB81_95
; %bb.94:
	ds_load_b64 v[2:3], v54 offset:88
	v_mov_b64_e32 v[42:43], 0
	s_wait_dscnt 0x0
	ds_store_b64 v0, v[2:3]
	ds_store_b64 v54, v[42:43] offset:88
.LBB81_95:
	s_or_b32 exec_lo, exec_lo, s0
	s_wait_dscnt 0x0
	s_barrier_signal -1
	s_barrier_wait -1
	ds_load_2addr_b64 v[42:45], v54 offset0:11 offset1:12
	ds_load_b128 v[46:49], v1 offset:240
	ds_load_b128 v[50:53], v1 offset:256
	ds_load_2addr_b64 v[56:59], v54 offset0:13 offset1:14
	s_mov_b32 s0, exec_lo
	s_wait_dscnt 0x2
	v_fma_f64 v[2:3], v[44:45], v[46:47], 0
	s_wait_dscnt 0x0
	s_delay_alu instid0(VALU_DEP_1)
	v_fmac_f64_e32 v[2:3], v[56:57], v[48:49]
	ds_load_2addr_b64 v[44:47], v54 offset0:15 offset1:16
	ds_load_b64 v[56:57], v54 offset:136
	v_fmac_f64_e32 v[2:3], v[58:59], v[50:51]
	ds_load_b128 v[48:51], v1 offset:272
	s_wait_dscnt 0x2
	v_fmac_f64_e32 v[2:3], v[44:45], v[52:53]
	s_wait_dscnt 0x0
	s_delay_alu instid0(VALU_DEP_1) | instskip(NEXT) | instid1(VALU_DEP_1)
	v_fmac_f64_e32 v[2:3], v[46:47], v[48:49]
	v_fmac_f64_e32 v[2:3], v[56:57], v[50:51]
	s_delay_alu instid0(VALU_DEP_1)
	v_add_f64_e64 v[2:3], v[42:43], -v[2:3]
	ds_store_b64 v54, v[2:3] offset:88
	v_cmpx_lt_u32_e32 10, v40
	s_cbranch_execz .LBB81_97
; %bb.96:
	ds_load_b64 v[2:3], v54 offset:80
	v_mov_b64_e32 v[42:43], 0
	s_wait_dscnt 0x0
	ds_store_b64 v0, v[2:3]
	ds_store_b64 v54, v[42:43] offset:80
.LBB81_97:
	s_or_b32 exec_lo, exec_lo, s0
	v_mov_b32_e32 v1, 0
	s_wait_dscnt 0x0
	s_barrier_signal -1
	s_barrier_wait -1
	ds_load_2addr_b64 v[42:45], v1 offset0:29 offset1:30
	ds_load_b128 v[46:49], v54 offset:80
	ds_load_b128 v[50:53], v54 offset:96
	ds_load_2addr_b64 v[56:59], v1 offset0:31 offset1:32
	s_mov_b32 s0, exec_lo
	s_wait_dscnt 0x2
	v_fma_f64 v[2:3], v[48:49], v[42:43], 0
	s_wait_dscnt 0x1
	s_delay_alu instid0(VALU_DEP_1)
	v_fmac_f64_e32 v[2:3], v[50:51], v[44:45]
	ds_load_b128 v[42:45], v54 offset:112
	ds_load_b128 v[48:51], v54 offset:128
	s_wait_dscnt 0x2
	v_fmac_f64_e32 v[2:3], v[52:53], v[56:57]
	s_wait_dscnt 0x1
	s_delay_alu instid0(VALU_DEP_1) | instskip(SKIP_4) | instid1(VALU_DEP_1)
	v_fmac_f64_e32 v[2:3], v[42:43], v[58:59]
	ds_load_2addr_b64 v[56:59], v1 offset0:33 offset1:34
	ds_load_b64 v[42:43], v1 offset:280
	s_wait_dscnt 0x1
	v_fmac_f64_e32 v[2:3], v[44:45], v[56:57]
	v_fmac_f64_e32 v[2:3], v[48:49], v[58:59]
	s_wait_dscnt 0x0
	s_delay_alu instid0(VALU_DEP_1) | instskip(NEXT) | instid1(VALU_DEP_1)
	v_fmac_f64_e32 v[2:3], v[50:51], v[42:43]
	v_add_f64_e64 v[2:3], v[46:47], -v[2:3]
	ds_store_b64 v54, v[2:3] offset:80
	v_cmpx_lt_u32_e32 9, v40
	s_cbranch_execz .LBB81_99
; %bb.98:
	ds_load_b64 v[2:3], v54 offset:72
	v_mov_b64_e32 v[42:43], 0
	s_wait_dscnt 0x0
	ds_store_b64 v0, v[2:3]
	ds_store_b64 v54, v[42:43] offset:72
.LBB81_99:
	s_or_b32 exec_lo, exec_lo, s0
	s_wait_dscnt 0x0
	s_barrier_signal -1
	s_barrier_wait -1
	ds_load_2addr_b64 v[42:45], v54 offset0:9 offset1:10
	ds_load_b128 v[46:49], v1 offset:224
	ds_load_b128 v[50:53], v1 offset:240
	ds_load_2addr_b64 v[56:59], v54 offset0:11 offset1:12
	s_mov_b32 s0, exec_lo
	s_wait_dscnt 0x2
	v_fma_f64 v[2:3], v[44:45], v[46:47], 0
	s_wait_dscnt 0x0
	s_delay_alu instid0(VALU_DEP_1) | instskip(NEXT) | instid1(VALU_DEP_1)
	v_fmac_f64_e32 v[2:3], v[56:57], v[48:49]
	v_fmac_f64_e32 v[2:3], v[58:59], v[50:51]
	ds_load_2addr_b64 v[44:47], v54 offset0:13 offset1:14
	ds_load_2addr_b64 v[48:51], v54 offset0:15 offset1:16
	ds_load_b128 v[56:59], v1 offset:256
	ds_load_b128 v[60:63], v1 offset:272
	s_wait_dscnt 0x3
	v_fmac_f64_e32 v[2:3], v[44:45], v[52:53]
	ds_load_b64 v[44:45], v54 offset:136
	s_wait_dscnt 0x2
	v_fmac_f64_e32 v[2:3], v[46:47], v[56:57]
	s_delay_alu instid0(VALU_DEP_1) | instskip(SKIP_1) | instid1(VALU_DEP_1)
	v_fmac_f64_e32 v[2:3], v[48:49], v[58:59]
	s_wait_dscnt 0x1
	v_fmac_f64_e32 v[2:3], v[50:51], v[60:61]
	s_wait_dscnt 0x0
	s_delay_alu instid0(VALU_DEP_1) | instskip(NEXT) | instid1(VALU_DEP_1)
	v_fmac_f64_e32 v[2:3], v[44:45], v[62:63]
	v_add_f64_e64 v[2:3], v[42:43], -v[2:3]
	ds_store_b64 v54, v[2:3] offset:72
	v_cmpx_lt_u32_e32 8, v40
	s_cbranch_execz .LBB81_101
; %bb.100:
	ds_load_b64 v[2:3], v54 offset:64
	v_mov_b64_e32 v[42:43], 0
	s_wait_dscnt 0x0
	ds_store_b64 v0, v[2:3]
	ds_store_b64 v54, v[42:43] offset:64
.LBB81_101:
	s_or_b32 exec_lo, exec_lo, s0
	v_mov_b32_e32 v1, 0
	s_wait_dscnt 0x0
	s_barrier_signal -1
	s_barrier_wait -1
	ds_load_2addr_b64 v[42:45], v1 offset0:27 offset1:28
	ds_load_b128 v[46:49], v54 offset:64
	ds_load_b128 v[50:53], v54 offset:80
	ds_load_2addr_b64 v[56:59], v1 offset0:29 offset1:30
	s_mov_b32 s0, exec_lo
	s_wait_dscnt 0x2
	v_fma_f64 v[2:3], v[48:49], v[42:43], 0
	s_wait_dscnt 0x1
	s_delay_alu instid0(VALU_DEP_1)
	v_fmac_f64_e32 v[2:3], v[50:51], v[44:45]
	ds_load_b128 v[42:45], v54 offset:96
	ds_load_b128 v[48:51], v54 offset:112
	s_wait_dscnt 0x2
	v_fmac_f64_e32 v[2:3], v[52:53], v[56:57]
	s_wait_dscnt 0x1
	s_delay_alu instid0(VALU_DEP_1)
	v_fmac_f64_e32 v[2:3], v[42:43], v[58:59]
	ds_load_2addr_b64 v[56:59], v1 offset0:31 offset1:32
	ds_load_2addr_b64 v[60:63], v1 offset0:33 offset1:34
	s_wait_dscnt 0x1
	v_fmac_f64_e32 v[2:3], v[44:45], v[56:57]
	ds_load_b128 v[42:45], v54 offset:128
	v_fmac_f64_e32 v[2:3], v[48:49], v[58:59]
	s_wait_dscnt 0x1
	s_delay_alu instid0(VALU_DEP_1) | instskip(SKIP_1) | instid1(VALU_DEP_1)
	v_fmac_f64_e32 v[2:3], v[50:51], v[60:61]
	s_wait_dscnt 0x0
	v_fmac_f64_e32 v[2:3], v[42:43], v[62:63]
	ds_load_b64 v[42:43], v1 offset:280
	s_wait_dscnt 0x0
	v_fmac_f64_e32 v[2:3], v[44:45], v[42:43]
	s_delay_alu instid0(VALU_DEP_1)
	v_add_f64_e64 v[2:3], v[46:47], -v[2:3]
	ds_store_b64 v54, v[2:3] offset:64
	v_cmpx_lt_u32_e32 7, v40
	s_cbranch_execz .LBB81_103
; %bb.102:
	ds_load_b64 v[2:3], v54 offset:56
	v_mov_b64_e32 v[42:43], 0
	s_wait_dscnt 0x0
	ds_store_b64 v0, v[2:3]
	ds_store_b64 v54, v[42:43] offset:56
.LBB81_103:
	s_or_b32 exec_lo, exec_lo, s0
	s_wait_dscnt 0x0
	s_barrier_signal -1
	s_barrier_wait -1
	ds_load_2addr_b64 v[42:45], v54 offset0:7 offset1:8
	ds_load_b128 v[46:49], v1 offset:208
	ds_load_b128 v[50:53], v1 offset:224
	ds_load_2addr_b64 v[56:59], v54 offset0:9 offset1:10
	s_mov_b32 s0, exec_lo
	s_wait_dscnt 0x2
	v_fma_f64 v[2:3], v[44:45], v[46:47], 0
	s_wait_dscnt 0x0
	s_delay_alu instid0(VALU_DEP_1) | instskip(NEXT) | instid1(VALU_DEP_1)
	v_fmac_f64_e32 v[2:3], v[56:57], v[48:49]
	v_fmac_f64_e32 v[2:3], v[58:59], v[50:51]
	ds_load_2addr_b64 v[44:47], v54 offset0:11 offset1:12
	ds_load_2addr_b64 v[48:51], v54 offset0:13 offset1:14
	ds_load_b128 v[56:59], v1 offset:240
	ds_load_b128 v[60:63], v1 offset:256
	s_wait_dscnt 0x3
	v_fmac_f64_e32 v[2:3], v[44:45], v[52:53]
	s_wait_dscnt 0x1
	s_delay_alu instid0(VALU_DEP_1) | instskip(SKIP_4) | instid1(VALU_DEP_1)
	v_fmac_f64_e32 v[2:3], v[46:47], v[56:57]
	ds_load_2addr_b64 v[44:47], v54 offset0:15 offset1:16
	ds_load_b64 v[52:53], v54 offset:136
	v_fmac_f64_e32 v[2:3], v[48:49], v[58:59]
	s_wait_dscnt 0x2
	v_fmac_f64_e32 v[2:3], v[50:51], v[60:61]
	ds_load_b128 v[48:51], v1 offset:272
	s_wait_dscnt 0x2
	v_fmac_f64_e32 v[2:3], v[44:45], v[62:63]
	s_wait_dscnt 0x0
	s_delay_alu instid0(VALU_DEP_1) | instskip(NEXT) | instid1(VALU_DEP_1)
	v_fmac_f64_e32 v[2:3], v[46:47], v[48:49]
	v_fmac_f64_e32 v[2:3], v[52:53], v[50:51]
	s_delay_alu instid0(VALU_DEP_1)
	v_add_f64_e64 v[2:3], v[42:43], -v[2:3]
	ds_store_b64 v54, v[2:3] offset:56
	v_cmpx_lt_u32_e32 6, v40
	s_cbranch_execz .LBB81_105
; %bb.104:
	ds_load_b64 v[2:3], v54 offset:48
	v_mov_b64_e32 v[42:43], 0
	s_wait_dscnt 0x0
	ds_store_b64 v0, v[2:3]
	ds_store_b64 v54, v[42:43] offset:48
.LBB81_105:
	s_or_b32 exec_lo, exec_lo, s0
	v_mov_b32_e32 v1, 0
	s_wait_dscnt 0x0
	s_barrier_signal -1
	s_barrier_wait -1
	ds_load_2addr_b64 v[42:45], v1 offset0:25 offset1:26
	ds_load_b128 v[46:49], v54 offset:48
	ds_load_b128 v[50:53], v54 offset:64
	ds_load_2addr_b64 v[56:59], v1 offset0:27 offset1:28
	s_mov_b32 s0, exec_lo
	s_wait_dscnt 0x2
	v_fma_f64 v[2:3], v[48:49], v[42:43], 0
	s_wait_dscnt 0x1
	s_delay_alu instid0(VALU_DEP_1)
	v_fmac_f64_e32 v[2:3], v[50:51], v[44:45]
	ds_load_b128 v[42:45], v54 offset:80
	ds_load_b128 v[48:51], v54 offset:96
	s_wait_dscnt 0x2
	v_fmac_f64_e32 v[2:3], v[52:53], v[56:57]
	s_wait_dscnt 0x1
	s_delay_alu instid0(VALU_DEP_1) | instskip(SKIP_4) | instid1(VALU_DEP_1)
	v_fmac_f64_e32 v[2:3], v[42:43], v[58:59]
	ds_load_2addr_b64 v[56:59], v1 offset0:29 offset1:30
	ds_load_2addr_b64 v[60:63], v1 offset0:31 offset1:32
	s_wait_dscnt 0x1
	v_fmac_f64_e32 v[2:3], v[44:45], v[56:57]
	v_fmac_f64_e32 v[2:3], v[48:49], v[58:59]
	s_wait_dscnt 0x0
	s_delay_alu instid0(VALU_DEP_1)
	v_fmac_f64_e32 v[2:3], v[50:51], v[60:61]
	ds_load_b128 v[42:45], v54 offset:112
	ds_load_b128 v[48:51], v54 offset:128
	s_wait_dscnt 0x1
	v_fmac_f64_e32 v[2:3], v[42:43], v[62:63]
	ds_load_2addr_b64 v[56:59], v1 offset0:33 offset1:34
	ds_load_b64 v[42:43], v1 offset:280
	s_wait_dscnt 0x1
	v_fmac_f64_e32 v[2:3], v[44:45], v[56:57]
	s_delay_alu instid0(VALU_DEP_1) | instskip(SKIP_1) | instid1(VALU_DEP_1)
	v_fmac_f64_e32 v[2:3], v[48:49], v[58:59]
	s_wait_dscnt 0x0
	v_fmac_f64_e32 v[2:3], v[50:51], v[42:43]
	s_delay_alu instid0(VALU_DEP_1)
	v_add_f64_e64 v[2:3], v[46:47], -v[2:3]
	ds_store_b64 v54, v[2:3] offset:48
	v_cmpx_lt_u32_e32 5, v40
	s_cbranch_execz .LBB81_107
; %bb.106:
	ds_load_b64 v[2:3], v54 offset:40
	v_mov_b64_e32 v[42:43], 0
	s_wait_dscnt 0x0
	ds_store_b64 v0, v[2:3]
	ds_store_b64 v54, v[42:43] offset:40
.LBB81_107:
	s_or_b32 exec_lo, exec_lo, s0
	s_wait_dscnt 0x0
	s_barrier_signal -1
	s_barrier_wait -1
	ds_load_2addr_b64 v[42:45], v54 offset0:5 offset1:6
	ds_load_b128 v[46:49], v1 offset:192
	ds_load_b128 v[50:53], v1 offset:208
	ds_load_2addr_b64 v[56:59], v54 offset0:7 offset1:8
	s_mov_b32 s0, exec_lo
	s_wait_dscnt 0x2
	v_fma_f64 v[2:3], v[44:45], v[46:47], 0
	s_wait_dscnt 0x0
	s_delay_alu instid0(VALU_DEP_1) | instskip(NEXT) | instid1(VALU_DEP_1)
	v_fmac_f64_e32 v[2:3], v[56:57], v[48:49]
	v_fmac_f64_e32 v[2:3], v[58:59], v[50:51]
	ds_load_2addr_b64 v[44:47], v54 offset0:9 offset1:10
	ds_load_2addr_b64 v[48:51], v54 offset0:11 offset1:12
	ds_load_b128 v[56:59], v1 offset:224
	ds_load_b128 v[60:63], v1 offset:240
	s_wait_dscnt 0x3
	v_fmac_f64_e32 v[2:3], v[44:45], v[52:53]
	s_wait_dscnt 0x1
	s_delay_alu instid0(VALU_DEP_1) | instskip(NEXT) | instid1(VALU_DEP_1)
	v_fmac_f64_e32 v[2:3], v[46:47], v[56:57]
	v_fmac_f64_e32 v[2:3], v[48:49], v[58:59]
	s_wait_dscnt 0x0
	s_delay_alu instid0(VALU_DEP_1)
	v_fmac_f64_e32 v[2:3], v[50:51], v[60:61]
	ds_load_2addr_b64 v[44:47], v54 offset0:13 offset1:14
	ds_load_2addr_b64 v[48:51], v54 offset0:15 offset1:16
	s_wait_dscnt 0x1
	v_fmac_f64_e32 v[2:3], v[44:45], v[62:63]
	ds_load_b128 v[56:59], v1 offset:256
	ds_load_b128 v[60:63], v1 offset:272
	ds_load_b64 v[44:45], v54 offset:136
	s_wait_dscnt 0x2
	v_fmac_f64_e32 v[2:3], v[46:47], v[56:57]
	s_delay_alu instid0(VALU_DEP_1) | instskip(SKIP_1) | instid1(VALU_DEP_1)
	v_fmac_f64_e32 v[2:3], v[48:49], v[58:59]
	s_wait_dscnt 0x1
	v_fmac_f64_e32 v[2:3], v[50:51], v[60:61]
	s_wait_dscnt 0x0
	s_delay_alu instid0(VALU_DEP_1) | instskip(NEXT) | instid1(VALU_DEP_1)
	v_fmac_f64_e32 v[2:3], v[44:45], v[62:63]
	v_add_f64_e64 v[2:3], v[42:43], -v[2:3]
	ds_store_b64 v54, v[2:3] offset:40
	v_cmpx_lt_u32_e32 4, v40
	s_cbranch_execz .LBB81_109
; %bb.108:
	ds_load_b64 v[2:3], v54 offset:32
	v_mov_b64_e32 v[42:43], 0
	s_wait_dscnt 0x0
	ds_store_b64 v0, v[2:3]
	ds_store_b64 v54, v[42:43] offset:32
.LBB81_109:
	s_or_b32 exec_lo, exec_lo, s0
	v_mov_b32_e32 v1, 0
	s_wait_dscnt 0x0
	s_barrier_signal -1
	s_barrier_wait -1
	ds_load_2addr_b64 v[42:45], v1 offset0:23 offset1:24
	ds_load_b128 v[46:49], v54 offset:32
	ds_load_b128 v[50:53], v54 offset:48
	ds_load_2addr_b64 v[56:59], v1 offset0:25 offset1:26
	s_mov_b32 s0, exec_lo
	s_wait_dscnt 0x2
	v_fma_f64 v[2:3], v[48:49], v[42:43], 0
	s_wait_dscnt 0x1
	s_delay_alu instid0(VALU_DEP_1)
	v_fmac_f64_e32 v[2:3], v[50:51], v[44:45]
	ds_load_b128 v[42:45], v54 offset:64
	ds_load_b128 v[48:51], v54 offset:80
	s_wait_dscnt 0x2
	v_fmac_f64_e32 v[2:3], v[52:53], v[56:57]
	s_wait_dscnt 0x1
	s_delay_alu instid0(VALU_DEP_1) | instskip(SKIP_4) | instid1(VALU_DEP_1)
	v_fmac_f64_e32 v[2:3], v[42:43], v[58:59]
	ds_load_2addr_b64 v[56:59], v1 offset0:27 offset1:28
	ds_load_2addr_b64 v[60:63], v1 offset0:29 offset1:30
	s_wait_dscnt 0x1
	v_fmac_f64_e32 v[2:3], v[44:45], v[56:57]
	v_fmac_f64_e32 v[2:3], v[48:49], v[58:59]
	s_wait_dscnt 0x0
	s_delay_alu instid0(VALU_DEP_1)
	v_fmac_f64_e32 v[2:3], v[50:51], v[60:61]
	ds_load_b128 v[42:45], v54 offset:96
	ds_load_b128 v[48:51], v54 offset:112
	s_wait_dscnt 0x1
	v_fmac_f64_e32 v[2:3], v[42:43], v[62:63]
	ds_load_2addr_b64 v[56:59], v1 offset0:31 offset1:32
	ds_load_2addr_b64 v[60:63], v1 offset0:33 offset1:34
	s_wait_dscnt 0x1
	v_fmac_f64_e32 v[2:3], v[44:45], v[56:57]
	ds_load_b128 v[42:45], v54 offset:128
	v_fmac_f64_e32 v[2:3], v[48:49], v[58:59]
	s_wait_dscnt 0x1
	s_delay_alu instid0(VALU_DEP_1) | instskip(SKIP_1) | instid1(VALU_DEP_1)
	v_fmac_f64_e32 v[2:3], v[50:51], v[60:61]
	s_wait_dscnt 0x0
	v_fmac_f64_e32 v[2:3], v[42:43], v[62:63]
	ds_load_b64 v[42:43], v1 offset:280
	s_wait_dscnt 0x0
	v_fmac_f64_e32 v[2:3], v[44:45], v[42:43]
	s_delay_alu instid0(VALU_DEP_1)
	v_add_f64_e64 v[2:3], v[46:47], -v[2:3]
	ds_store_b64 v54, v[2:3] offset:32
	v_cmpx_lt_u32_e32 3, v40
	s_cbranch_execz .LBB81_111
; %bb.110:
	ds_load_b64 v[2:3], v54 offset:24
	v_mov_b64_e32 v[42:43], 0
	s_wait_dscnt 0x0
	ds_store_b64 v0, v[2:3]
	ds_store_b64 v54, v[42:43] offset:24
.LBB81_111:
	s_or_b32 exec_lo, exec_lo, s0
	s_wait_dscnt 0x0
	s_barrier_signal -1
	s_barrier_wait -1
	ds_load_2addr_b64 v[42:45], v54 offset0:3 offset1:4
	ds_load_b128 v[46:49], v1 offset:176
	ds_load_b128 v[50:53], v1 offset:192
	ds_load_2addr_b64 v[56:59], v54 offset0:5 offset1:6
	s_mov_b32 s0, exec_lo
	s_wait_dscnt 0x2
	v_fma_f64 v[2:3], v[44:45], v[46:47], 0
	s_wait_dscnt 0x0
	s_delay_alu instid0(VALU_DEP_1) | instskip(NEXT) | instid1(VALU_DEP_1)
	v_fmac_f64_e32 v[2:3], v[56:57], v[48:49]
	v_fmac_f64_e32 v[2:3], v[58:59], v[50:51]
	ds_load_2addr_b64 v[44:47], v54 offset0:7 offset1:8
	ds_load_2addr_b64 v[48:51], v54 offset0:9 offset1:10
	ds_load_b128 v[56:59], v1 offset:208
	ds_load_b128 v[60:63], v1 offset:224
	s_wait_dscnt 0x3
	v_fmac_f64_e32 v[2:3], v[44:45], v[52:53]
	s_wait_dscnt 0x1
	s_delay_alu instid0(VALU_DEP_1) | instskip(NEXT) | instid1(VALU_DEP_1)
	v_fmac_f64_e32 v[2:3], v[46:47], v[56:57]
	v_fmac_f64_e32 v[2:3], v[48:49], v[58:59]
	s_wait_dscnt 0x0
	s_delay_alu instid0(VALU_DEP_1)
	v_fmac_f64_e32 v[2:3], v[50:51], v[60:61]
	ds_load_2addr_b64 v[44:47], v54 offset0:11 offset1:12
	ds_load_2addr_b64 v[48:51], v54 offset0:13 offset1:14
	s_wait_dscnt 0x1
	v_fmac_f64_e32 v[2:3], v[44:45], v[62:63]
	ds_load_b128 v[56:59], v1 offset:240
	ds_load_b128 v[60:63], v1 offset:256
	s_wait_dscnt 0x1
	v_fmac_f64_e32 v[2:3], v[46:47], v[56:57]
	ds_load_2addr_b64 v[44:47], v54 offset0:15 offset1:16
	ds_load_b64 v[52:53], v54 offset:136
	v_fmac_f64_e32 v[2:3], v[48:49], v[58:59]
	s_wait_dscnt 0x2
	s_delay_alu instid0(VALU_DEP_1) | instskip(SKIP_4) | instid1(VALU_DEP_1)
	v_fmac_f64_e32 v[2:3], v[50:51], v[60:61]
	ds_load_b128 v[48:51], v1 offset:272
	s_wait_dscnt 0x2
	v_fmac_f64_e32 v[2:3], v[44:45], v[62:63]
	s_wait_dscnt 0x0
	v_fmac_f64_e32 v[2:3], v[46:47], v[48:49]
	s_delay_alu instid0(VALU_DEP_1) | instskip(NEXT) | instid1(VALU_DEP_1)
	v_fmac_f64_e32 v[2:3], v[52:53], v[50:51]
	v_add_f64_e64 v[2:3], v[42:43], -v[2:3]
	ds_store_b64 v54, v[2:3] offset:24
	v_cmpx_lt_u32_e32 2, v40
	s_cbranch_execz .LBB81_113
; %bb.112:
	ds_load_b64 v[2:3], v54 offset:16
	v_mov_b64_e32 v[42:43], 0
	s_wait_dscnt 0x0
	ds_store_b64 v0, v[2:3]
	ds_store_b64 v54, v[42:43] offset:16
.LBB81_113:
	s_or_b32 exec_lo, exec_lo, s0
	v_mov_b32_e32 v1, 0
	s_wait_dscnt 0x0
	s_barrier_signal -1
	s_barrier_wait -1
	ds_load_2addr_b64 v[42:45], v1 offset0:21 offset1:22
	ds_load_b128 v[46:49], v54 offset:16
	ds_load_b128 v[50:53], v54 offset:32
	ds_load_2addr_b64 v[56:59], v1 offset0:23 offset1:24
	s_mov_b32 s0, exec_lo
	s_wait_dscnt 0x2
	v_fma_f64 v[2:3], v[48:49], v[42:43], 0
	s_wait_dscnt 0x1
	s_delay_alu instid0(VALU_DEP_1)
	v_fmac_f64_e32 v[2:3], v[50:51], v[44:45]
	ds_load_b128 v[42:45], v54 offset:48
	ds_load_b128 v[48:51], v54 offset:64
	s_wait_dscnt 0x2
	v_fmac_f64_e32 v[2:3], v[52:53], v[56:57]
	s_wait_dscnt 0x1
	s_delay_alu instid0(VALU_DEP_1) | instskip(SKIP_4) | instid1(VALU_DEP_1)
	v_fmac_f64_e32 v[2:3], v[42:43], v[58:59]
	ds_load_2addr_b64 v[56:59], v1 offset0:25 offset1:26
	ds_load_2addr_b64 v[60:63], v1 offset0:27 offset1:28
	s_wait_dscnt 0x1
	v_fmac_f64_e32 v[2:3], v[44:45], v[56:57]
	v_fmac_f64_e32 v[2:3], v[48:49], v[58:59]
	s_wait_dscnt 0x0
	s_delay_alu instid0(VALU_DEP_1)
	v_fmac_f64_e32 v[2:3], v[50:51], v[60:61]
	ds_load_b128 v[42:45], v54 offset:80
	ds_load_b128 v[48:51], v54 offset:96
	s_wait_dscnt 0x1
	v_fmac_f64_e32 v[2:3], v[42:43], v[62:63]
	ds_load_2addr_b64 v[56:59], v1 offset0:29 offset1:30
	ds_load_2addr_b64 v[60:63], v1 offset0:31 offset1:32
	s_wait_dscnt 0x1
	v_fmac_f64_e32 v[2:3], v[44:45], v[56:57]
	s_delay_alu instid0(VALU_DEP_1) | instskip(SKIP_1) | instid1(VALU_DEP_1)
	v_fmac_f64_e32 v[2:3], v[48:49], v[58:59]
	s_wait_dscnt 0x0
	v_fmac_f64_e32 v[2:3], v[50:51], v[60:61]
	ds_load_b128 v[42:45], v54 offset:112
	ds_load_b128 v[48:51], v54 offset:128
	s_wait_dscnt 0x1
	v_fmac_f64_e32 v[2:3], v[42:43], v[62:63]
	ds_load_2addr_b64 v[56:59], v1 offset0:33 offset1:34
	ds_load_b64 v[42:43], v1 offset:280
	s_wait_dscnt 0x1
	v_fmac_f64_e32 v[2:3], v[44:45], v[56:57]
	s_delay_alu instid0(VALU_DEP_1) | instskip(SKIP_1) | instid1(VALU_DEP_1)
	v_fmac_f64_e32 v[2:3], v[48:49], v[58:59]
	s_wait_dscnt 0x0
	v_fmac_f64_e32 v[2:3], v[50:51], v[42:43]
	s_delay_alu instid0(VALU_DEP_1)
	v_add_f64_e64 v[2:3], v[46:47], -v[2:3]
	ds_store_b64 v54, v[2:3] offset:16
	v_cmpx_lt_u32_e32 1, v40
	s_cbranch_execz .LBB81_115
; %bb.114:
	ds_load_b64 v[2:3], v54 offset:8
	v_mov_b64_e32 v[42:43], 0
	s_wait_dscnt 0x0
	ds_store_b64 v0, v[2:3]
	ds_store_b64 v54, v[42:43] offset:8
.LBB81_115:
	s_or_b32 exec_lo, exec_lo, s0
	s_wait_dscnt 0x0
	s_barrier_signal -1
	s_barrier_wait -1
	ds_load_2addr_b64 v[42:45], v54 offset0:1 offset1:2
	ds_load_b128 v[46:49], v1 offset:160
	ds_load_b128 v[50:53], v1 offset:176
	ds_load_2addr_b64 v[56:59], v54 offset0:3 offset1:4
	v_dual_ashrrev_i32 v11, 31, v10 :: v_dual_ashrrev_i32 v13, 31, v12
	v_dual_ashrrev_i32 v15, 31, v14 :: v_dual_ashrrev_i32 v17, 31, v16
	;; [unrolled: 1-line block ×7, first 2 shown]
	v_ashrrev_i32_e32 v39, 31, v38
	s_mov_b32 s0, exec_lo
	v_ashrrev_i32_e32 v9, 31, v8
	s_wait_dscnt 0x2
	v_fma_f64 v[2:3], v[44:45], v[46:47], 0
	s_wait_dscnt 0x0
	s_delay_alu instid0(VALU_DEP_1) | instskip(NEXT) | instid1(VALU_DEP_1)
	v_fmac_f64_e32 v[2:3], v[56:57], v[48:49]
	v_fmac_f64_e32 v[2:3], v[58:59], v[50:51]
	ds_load_2addr_b64 v[44:47], v54 offset0:5 offset1:6
	ds_load_2addr_b64 v[48:51], v54 offset0:7 offset1:8
	ds_load_b128 v[56:59], v1 offset:192
	ds_load_b128 v[60:63], v1 offset:208
	s_wait_dscnt 0x3
	v_fmac_f64_e32 v[2:3], v[44:45], v[52:53]
	s_wait_dscnt 0x1
	s_delay_alu instid0(VALU_DEP_1) | instskip(NEXT) | instid1(VALU_DEP_1)
	v_fmac_f64_e32 v[2:3], v[46:47], v[56:57]
	v_fmac_f64_e32 v[2:3], v[48:49], v[58:59]
	s_wait_dscnt 0x0
	s_delay_alu instid0(VALU_DEP_1)
	v_fmac_f64_e32 v[2:3], v[50:51], v[60:61]
	ds_load_2addr_b64 v[44:47], v54 offset0:9 offset1:10
	ds_load_2addr_b64 v[48:51], v54 offset0:11 offset1:12
	s_wait_dscnt 0x1
	v_fmac_f64_e32 v[2:3], v[44:45], v[62:63]
	ds_load_b128 v[56:59], v1 offset:224
	ds_load_b128 v[60:63], v1 offset:240
	s_wait_dscnt 0x1
	v_fmac_f64_e32 v[2:3], v[46:47], v[56:57]
	s_delay_alu instid0(VALU_DEP_1) | instskip(SKIP_1) | instid1(VALU_DEP_1)
	v_fmac_f64_e32 v[2:3], v[48:49], v[58:59]
	s_wait_dscnt 0x0
	v_fmac_f64_e32 v[2:3], v[50:51], v[60:61]
	ds_load_2addr_b64 v[44:47], v54 offset0:13 offset1:14
	ds_load_2addr_b64 v[48:51], v54 offset0:15 offset1:16
	s_wait_dscnt 0x1
	v_fmac_f64_e32 v[2:3], v[44:45], v[62:63]
	ds_load_b128 v[56:59], v1 offset:256
	ds_load_b128 v[60:63], v1 offset:272
	ds_load_b64 v[44:45], v54 offset:136
	s_wait_dscnt 0x2
	v_fmac_f64_e32 v[2:3], v[46:47], v[56:57]
	s_delay_alu instid0(VALU_DEP_1) | instskip(SKIP_1) | instid1(VALU_DEP_1)
	v_fmac_f64_e32 v[2:3], v[48:49], v[58:59]
	s_wait_dscnt 0x1
	v_fmac_f64_e32 v[2:3], v[50:51], v[60:61]
	s_wait_dscnt 0x0
	s_delay_alu instid0(VALU_DEP_1) | instskip(NEXT) | instid1(VALU_DEP_1)
	v_fmac_f64_e32 v[2:3], v[44:45], v[62:63]
	v_add_f64_e64 v[2:3], v[42:43], -v[2:3]
	ds_store_b64 v54, v[2:3] offset:8
	v_cmpx_ne_u32_e32 0, v40
	s_cbranch_execz .LBB81_117
; %bb.116:
	ds_load_b64 v[2:3], v54
	v_mov_b64_e32 v[40:41], 0
	s_wait_dscnt 0x0
	ds_store_b64 v0, v[2:3]
	ds_store_b64 v54, v[40:41]
.LBB81_117:
	s_or_b32 exec_lo, exec_lo, s0
	v_mov_b32_e32 v40, 0
	s_wait_dscnt 0x0
	s_barrier_signal -1
	s_barrier_wait -1
	ds_load_2addr_b64 v[0:3], v40 offset0:19 offset1:20
	ds_load_b128 v[42:45], v54
	ds_load_b128 v[46:49], v54 offset:16
	ds_load_2addr_b64 v[50:53], v40 offset0:21 offset1:22
	s_and_b32 vcc_lo, exec_lo, s14
	s_wait_dscnt 0x2
	v_fma_f64 v[60:61], v[44:45], v[0:1], 0
	s_wait_dscnt 0x1
	s_delay_alu instid0(VALU_DEP_1)
	v_fmac_f64_e32 v[60:61], v[46:47], v[2:3]
	ds_load_b128 v[0:3], v54 offset:32
	ds_load_b128 v[44:47], v54 offset:48
	s_wait_dscnt 0x2
	v_fmac_f64_e32 v[60:61], v[48:49], v[50:51]
	ds_load_2addr_b64 v[48:51], v40 offset0:23 offset1:24
	ds_load_2addr_b64 v[56:59], v40 offset0:25 offset1:26
	s_wait_dscnt 0x3
	v_fmac_f64_e32 v[60:61], v[0:1], v[52:53]
	s_wait_dscnt 0x1
	s_delay_alu instid0(VALU_DEP_1) | instskip(NEXT) | instid1(VALU_DEP_1)
	v_fmac_f64_e32 v[60:61], v[2:3], v[48:49]
	v_fmac_f64_e32 v[60:61], v[44:45], v[50:51]
	s_wait_dscnt 0x0
	s_delay_alu instid0(VALU_DEP_1)
	v_fmac_f64_e32 v[60:61], v[46:47], v[56:57]
	ds_load_b128 v[0:3], v54 offset:64
	ds_load_b128 v[44:47], v54 offset:80
	s_wait_dscnt 0x1
	v_fmac_f64_e32 v[60:61], v[0:1], v[58:59]
	ds_load_2addr_b64 v[48:51], v40 offset0:27 offset1:28
	ds_load_2addr_b64 v[56:59], v40 offset0:29 offset1:30
	s_wait_dscnt 0x1
	v_fmac_f64_e32 v[60:61], v[2:3], v[48:49]
	s_delay_alu instid0(VALU_DEP_1) | instskip(SKIP_1) | instid1(VALU_DEP_1)
	v_fmac_f64_e32 v[60:61], v[44:45], v[50:51]
	s_wait_dscnt 0x0
	v_fmac_f64_e32 v[60:61], v[46:47], v[56:57]
	ds_load_b128 v[0:3], v54 offset:96
	ds_load_b128 v[44:47], v54 offset:112
	s_wait_dscnt 0x1
	v_fmac_f64_e32 v[60:61], v[0:1], v[58:59]
	ds_load_2addr_b64 v[48:51], v40 offset0:31 offset1:32
	ds_load_2addr_b64 v[56:59], v40 offset0:33 offset1:34
	s_wait_dscnt 0x1
	v_fmac_f64_e32 v[60:61], v[2:3], v[48:49]
	ds_load_b128 v[0:3], v54 offset:128
	v_fmac_f64_e32 v[60:61], v[44:45], v[50:51]
	ds_load_b64 v[44:45], v40 offset:280
	s_wait_dscnt 0x2
	v_fmac_f64_e32 v[60:61], v[46:47], v[56:57]
	s_wait_dscnt 0x1
	s_delay_alu instid0(VALU_DEP_1) | instskip(SKIP_1) | instid1(VALU_DEP_1)
	v_fmac_f64_e32 v[60:61], v[0:1], v[58:59]
	s_wait_dscnt 0x0
	v_fmac_f64_e32 v[60:61], v[2:3], v[44:45]
	s_delay_alu instid0(VALU_DEP_1)
	v_add_f64_e64 v[2:3], v[42:43], -v[60:61]
	ds_store_b64 v54, v[2:3]
	s_cbranch_vccz .LBB81_152
; %bb.118:
	global_load_b32 v2, v40, s[8:9] offset:64
	s_wait_loadcnt 0x0
	v_add_nc_u32_e32 v2, -1, v2
	s_delay_alu instid0(VALU_DEP_1)
	v_cmp_ne_u32_e32 vcc_lo, 16, v2
	s_cbranch_vccz .LBB81_120
; %bb.119:
	v_lshl_add_u32 v40, v2, 3, v54
	ds_load_b64 v[2:3], v40
	s_wait_dscnt 0x0
	ds_store_b64 v54, v[2:3] offset:128
	ds_store_b64 v40, v[0:1]
.LBB81_120:
	v_mov_b32_e32 v0, 0
	global_load_b32 v1, v0, s[8:9] offset:60
	s_wait_loadcnt 0x0
	v_add_nc_u32_e32 v1, -1, v1
	s_delay_alu instid0(VALU_DEP_1)
	v_cmp_eq_u32_e32 vcc_lo, 15, v1
	s_cbranch_vccnz .LBB81_122
; %bb.121:
	v_lshl_add_u32 v1, v1, 3, v54
	ds_load_b64 v[2:3], v1
	ds_load_b64 v[40:41], v54 offset:120
	s_wait_dscnt 0x1
	ds_store_b64 v54, v[2:3] offset:120
	s_wait_dscnt 0x1
	ds_store_b64 v1, v[40:41]
.LBB81_122:
	global_load_b32 v0, v0, s[8:9] offset:56
	s_wait_loadcnt 0x0
	v_add_nc_u32_e32 v0, -1, v0
	s_delay_alu instid0(VALU_DEP_1)
	v_cmp_eq_u32_e32 vcc_lo, 14, v0
	s_cbranch_vccnz .LBB81_124
; %bb.123:
	v_lshl_add_u32 v40, v0, 3, v54
	ds_load_b64 v[0:1], v40
	ds_load_b64 v[2:3], v54 offset:112
	s_wait_dscnt 0x1
	ds_store_b64 v54, v[0:1] offset:112
	s_wait_dscnt 0x1
	ds_store_b64 v40, v[2:3]
.LBB81_124:
	v_mov_b32_e32 v0, 0
	global_load_b32 v1, v0, s[8:9] offset:52
	s_wait_loadcnt 0x0
	v_add_nc_u32_e32 v1, -1, v1
	s_delay_alu instid0(VALU_DEP_1)
	v_cmp_eq_u32_e32 vcc_lo, 13, v1
	s_cbranch_vccnz .LBB81_126
; %bb.125:
	v_lshl_add_u32 v1, v1, 3, v54
	ds_load_b64 v[2:3], v1
	ds_load_b64 v[40:41], v54 offset:104
	s_wait_dscnt 0x1
	ds_store_b64 v54, v[2:3] offset:104
	s_wait_dscnt 0x1
	ds_store_b64 v1, v[40:41]
.LBB81_126:
	global_load_b32 v0, v0, s[8:9] offset:48
	s_wait_loadcnt 0x0
	v_add_nc_u32_e32 v0, -1, v0
	s_delay_alu instid0(VALU_DEP_1)
	v_cmp_eq_u32_e32 vcc_lo, 12, v0
	s_cbranch_vccnz .LBB81_128
; %bb.127:
	v_lshl_add_u32 v40, v0, 3, v54
	ds_load_b64 v[0:1], v40
	ds_load_b64 v[2:3], v54 offset:96
	s_wait_dscnt 0x1
	ds_store_b64 v54, v[0:1] offset:96
	s_wait_dscnt 0x1
	ds_store_b64 v40, v[2:3]
.LBB81_128:
	;; [unrolled: 31-line block ×7, first 2 shown]
	v_mov_b32_e32 v0, 0
	global_load_b32 v1, v0, s[8:9] offset:4
	s_wait_loadcnt 0x0
	v_add_nc_u32_e32 v1, -1, v1
	s_delay_alu instid0(VALU_DEP_1)
	v_cmp_eq_u32_e32 vcc_lo, 1, v1
	s_cbranch_vccnz .LBB81_150
; %bb.149:
	v_lshl_add_u32 v1, v1, 3, v54
	ds_load_b64 v[2:3], v1
	ds_load_b64 v[40:41], v54 offset:8
	s_wait_dscnt 0x1
	ds_store_b64 v54, v[2:3] offset:8
	s_wait_dscnt 0x1
	ds_store_b64 v1, v[40:41]
.LBB81_150:
	global_load_b32 v0, v0, s[8:9]
	ds_load_b64 v[2:3], v54
	s_wait_loadcnt 0x0
	v_add_nc_u32_e32 v0, -1, v0
	s_delay_alu instid0(VALU_DEP_1)
	v_cmp_eq_u32_e32 vcc_lo, 0, v0
	s_cbranch_vccnz .LBB81_152
; %bb.151:
	v_lshl_add_u32 v40, v0, 3, v54
	ds_load_b64 v[0:1], v40
	s_wait_dscnt 0x0
	ds_store_b64 v54, v[0:1]
	ds_store_b64 v40, v[2:3]
	ds_load_b64 v[2:3], v54
.LBB81_152:
	s_wait_dscnt 0x0
	flat_store_b64 v[4:5], v[2:3]
	s_wait_xcnt 0x0
	ds_load_b64 v[2:3], v54 offset:8
	v_lshl_add_u64 v[52:53], v[8:9], 3, s[2:3]
	v_lshl_add_u64 v[50:51], v[10:11], 3, s[2:3]
	;; [unrolled: 1-line block ×16, first 2 shown]
	s_wait_dscnt 0x0
	flat_store_b64 v[6:7], v[2:3]
	s_wait_xcnt 0x0
	ds_load_b64 v[2:3], v54 offset:16
	s_wait_dscnt 0x0
	flat_store_b64 v[52:53], v[2:3]
	s_wait_xcnt 0x0
	ds_load_b64 v[2:3], v54 offset:24
	;; [unrolled: 4-line block ×16, first 2 shown]
	s_wait_dscnt 0x0
	flat_store_b64 v[0:1], v[2:3]
	s_endpgm
	.section	.rodata,"a",@progbits
	.p2align	6, 0x0
	.amdhsa_kernel _ZN9rocsolver6v33100L18getri_kernel_smallILi18EdPKPdEEvT1_iilPiilS6_bb
		.amdhsa_group_segment_fixed_size 9520
		.amdhsa_private_segment_fixed_size 0
		.amdhsa_kernarg_size 60
		.amdhsa_user_sgpr_count 4
		.amdhsa_user_sgpr_dispatch_ptr 1
		.amdhsa_user_sgpr_queue_ptr 0
		.amdhsa_user_sgpr_kernarg_segment_ptr 1
		.amdhsa_user_sgpr_dispatch_id 0
		.amdhsa_user_sgpr_kernarg_preload_length 0
		.amdhsa_user_sgpr_kernarg_preload_offset 0
		.amdhsa_user_sgpr_private_segment_size 0
		.amdhsa_wavefront_size32 1
		.amdhsa_uses_dynamic_stack 0
		.amdhsa_enable_private_segment 0
		.amdhsa_system_sgpr_workgroup_id_x 1
		.amdhsa_system_sgpr_workgroup_id_y 0
		.amdhsa_system_sgpr_workgroup_id_z 0
		.amdhsa_system_sgpr_workgroup_info 0
		.amdhsa_system_vgpr_workitem_id 2
		.amdhsa_next_free_vgpr 64
		.amdhsa_next_free_sgpr 19
		.amdhsa_named_barrier_count 0
		.amdhsa_reserve_vcc 1
		.amdhsa_float_round_mode_32 0
		.amdhsa_float_round_mode_16_64 0
		.amdhsa_float_denorm_mode_32 3
		.amdhsa_float_denorm_mode_16_64 3
		.amdhsa_fp16_overflow 0
		.amdhsa_memory_ordered 1
		.amdhsa_forward_progress 1
		.amdhsa_inst_pref_size 83
		.amdhsa_round_robin_scheduling 0
		.amdhsa_exception_fp_ieee_invalid_op 0
		.amdhsa_exception_fp_denorm_src 0
		.amdhsa_exception_fp_ieee_div_zero 0
		.amdhsa_exception_fp_ieee_overflow 0
		.amdhsa_exception_fp_ieee_underflow 0
		.amdhsa_exception_fp_ieee_inexact 0
		.amdhsa_exception_int_div_zero 0
	.end_amdhsa_kernel
	.section	.text._ZN9rocsolver6v33100L18getri_kernel_smallILi18EdPKPdEEvT1_iilPiilS6_bb,"axG",@progbits,_ZN9rocsolver6v33100L18getri_kernel_smallILi18EdPKPdEEvT1_iilPiilS6_bb,comdat
.Lfunc_end81:
	.size	_ZN9rocsolver6v33100L18getri_kernel_smallILi18EdPKPdEEvT1_iilPiilS6_bb, .Lfunc_end81-_ZN9rocsolver6v33100L18getri_kernel_smallILi18EdPKPdEEvT1_iilPiilS6_bb
                                        ; -- End function
	.set _ZN9rocsolver6v33100L18getri_kernel_smallILi18EdPKPdEEvT1_iilPiilS6_bb.num_vgpr, 64
	.set _ZN9rocsolver6v33100L18getri_kernel_smallILi18EdPKPdEEvT1_iilPiilS6_bb.num_agpr, 0
	.set _ZN9rocsolver6v33100L18getri_kernel_smallILi18EdPKPdEEvT1_iilPiilS6_bb.numbered_sgpr, 19
	.set _ZN9rocsolver6v33100L18getri_kernel_smallILi18EdPKPdEEvT1_iilPiilS6_bb.num_named_barrier, 0
	.set _ZN9rocsolver6v33100L18getri_kernel_smallILi18EdPKPdEEvT1_iilPiilS6_bb.private_seg_size, 0
	.set _ZN9rocsolver6v33100L18getri_kernel_smallILi18EdPKPdEEvT1_iilPiilS6_bb.uses_vcc, 1
	.set _ZN9rocsolver6v33100L18getri_kernel_smallILi18EdPKPdEEvT1_iilPiilS6_bb.uses_flat_scratch, 0
	.set _ZN9rocsolver6v33100L18getri_kernel_smallILi18EdPKPdEEvT1_iilPiilS6_bb.has_dyn_sized_stack, 0
	.set _ZN9rocsolver6v33100L18getri_kernel_smallILi18EdPKPdEEvT1_iilPiilS6_bb.has_recursion, 0
	.set _ZN9rocsolver6v33100L18getri_kernel_smallILi18EdPKPdEEvT1_iilPiilS6_bb.has_indirect_call, 0
	.section	.AMDGPU.csdata,"",@progbits
; Kernel info:
; codeLenInByte = 10600
; TotalNumSgprs: 21
; NumVgprs: 64
; ScratchSize: 0
; MemoryBound: 0
; FloatMode: 240
; IeeeMode: 1
; LDSByteSize: 9520 bytes/workgroup (compile time only)
; SGPRBlocks: 0
; VGPRBlocks: 3
; NumSGPRsForWavesPerEU: 21
; NumVGPRsForWavesPerEU: 64
; NamedBarCnt: 0
; Occupancy: 9
; WaveLimiterHint : 1
; COMPUTE_PGM_RSRC2:SCRATCH_EN: 0
; COMPUTE_PGM_RSRC2:USER_SGPR: 4
; COMPUTE_PGM_RSRC2:TRAP_HANDLER: 0
; COMPUTE_PGM_RSRC2:TGID_X_EN: 1
; COMPUTE_PGM_RSRC2:TGID_Y_EN: 0
; COMPUTE_PGM_RSRC2:TGID_Z_EN: 0
; COMPUTE_PGM_RSRC2:TIDIG_COMP_CNT: 2
	.section	.text._ZN9rocsolver6v33100L18getri_kernel_smallILi19EdPKPdEEvT1_iilPiilS6_bb,"axG",@progbits,_ZN9rocsolver6v33100L18getri_kernel_smallILi19EdPKPdEEvT1_iilPiilS6_bb,comdat
	.globl	_ZN9rocsolver6v33100L18getri_kernel_smallILi19EdPKPdEEvT1_iilPiilS6_bb ; -- Begin function _ZN9rocsolver6v33100L18getri_kernel_smallILi19EdPKPdEEvT1_iilPiilS6_bb
	.p2align	8
	.type	_ZN9rocsolver6v33100L18getri_kernel_smallILi19EdPKPdEEvT1_iilPiilS6_bb,@function
_ZN9rocsolver6v33100L18getri_kernel_smallILi19EdPKPdEEvT1_iilPiilS6_bb: ; @_ZN9rocsolver6v33100L18getri_kernel_smallILi19EdPKPdEEvT1_iilPiilS6_bb
; %bb.0:
	v_and_b32_e32 v42, 0x3ff, v0
	s_mov_b32 s4, exec_lo
	s_delay_alu instid0(VALU_DEP_1)
	v_cmpx_gt_u32_e32 19, v42
	s_cbranch_execz .LBB82_86
; %bb.1:
	s_clause 0x1
	s_load_b32 s15, s[2:3], 0x38
	s_load_b64 s[8:9], s[2:3], 0x0
	s_getreg_b32 s6, hwreg(HW_REG_IB_STS2, 6, 4)
	s_wait_kmcnt 0x0
	s_bitcmp1_b32 s15, 8
	s_cselect_b32 s14, -1, 0
	s_bfe_u32 s4, ttmp6, 0x4000c
	s_and_b32 s5, ttmp6, 15
	s_add_co_i32 s4, s4, 1
	s_delay_alu instid0(SALU_CYCLE_1) | instskip(NEXT) | instid1(SALU_CYCLE_1)
	s_mul_i32 s4, ttmp9, s4
	s_add_co_i32 s5, s5, s4
	s_cmp_eq_u32 s6, 0
	s_cselect_b32 s10, ttmp9, s5
	s_load_b128 s[4:7], s[2:3], 0x28
	s_ashr_i32 s11, s10, 31
	s_delay_alu instid0(SALU_CYCLE_1) | instskip(NEXT) | instid1(SALU_CYCLE_1)
	s_lshl_b64 s[12:13], s[10:11], 3
	s_add_nc_u64 s[8:9], s[8:9], s[12:13]
	s_load_b64 s[12:13], s[8:9], 0x0
	s_wait_xcnt 0x0
	s_bfe_u32 s8, s15, 0x10008
	s_delay_alu instid0(SALU_CYCLE_1)
	s_cmp_eq_u32 s8, 0
                                        ; implicit-def: $sgpr8_sgpr9
	s_cbranch_scc1 .LBB82_3
; %bb.2:
	s_load_b96 s[16:18], s[2:3], 0x18
	s_wait_kmcnt 0x0
	s_mul_u64 s[4:5], s[4:5], s[10:11]
	s_delay_alu instid0(SALU_CYCLE_1) | instskip(SKIP_4) | instid1(SALU_CYCLE_1)
	s_lshl_b64 s[4:5], s[4:5], 2
	s_ashr_i32 s9, s18, 31
	s_mov_b32 s8, s18
	s_add_nc_u64 s[4:5], s[16:17], s[4:5]
	s_lshl_b64 s[8:9], s[8:9], 2
	s_add_nc_u64 s[8:9], s[4:5], s[8:9]
.LBB82_3:
	s_wait_kmcnt 0x0
	s_clause 0x1
	s_load_b64 s[4:5], s[2:3], 0x8
	s_load_b32 s15, s[2:3], 0x38
	v_bfe_u32 v1, v0, 10, 10
	v_bfe_u32 v0, v0, 20, 10
	s_wait_kmcnt 0x0
	s_ashr_i32 s3, s4, 31
	s_mov_b32 s2, s4
	v_add3_u32 v8, s5, s5, v42
	s_lshl_b64 s[2:3], s[2:3], 3
	s_delay_alu instid0(SALU_CYCLE_1) | instskip(SKIP_4) | instid1(VALU_DEP_1)
	s_add_nc_u64 s[2:3], s[12:13], s[2:3]
	s_load_b64 s[12:13], s[0:1], 0x4
	flat_load_b64 v[2:3], v42, s[2:3] scale_offset
	s_ashr_i32 s1, s5, 31
	v_add_nc_u32_e32 v10, s5, v8
	v_add_nc_u32_e32 v12, s5, v10
	s_delay_alu instid0(VALU_DEP_1) | instskip(NEXT) | instid1(VALU_DEP_1)
	v_add_nc_u32_e32 v14, s5, v12
	v_add_nc_u32_e32 v16, s5, v14
	s_wait_kmcnt 0x0
	s_lshr_b32 s0, s12, 16
	v_mul_u32_u24_e32 v1, s13, v1
	s_mul_i32 s0, s0, s13
	v_add_nc_u32_e32 v18, s5, v16
	v_mul_u32_u24_e32 v4, s0, v42
	s_mov_b32 s0, s5
	s_bitcmp0_b32 s15, 0
	s_delay_alu instid0(VALU_DEP_2) | instskip(NEXT) | instid1(VALU_DEP_2)
	v_add_nc_u32_e32 v20, s5, v18
	v_add3_u32 v4, v4, v1, v0
	v_dual_mov_b32 v1, 0 :: v_dual_lshlrev_b32 v0, 3, v42
	s_delay_alu instid0(VALU_DEP_3) | instskip(NEXT) | instid1(VALU_DEP_3)
	v_add_nc_u32_e32 v22, s5, v20
	v_mul_lo_u32 v9, 0x98, v4
	s_delay_alu instid0(VALU_DEP_3) | instskip(NEXT) | instid1(VALU_DEP_3)
	v_add_nc_u64_e32 v[4:5], s[2:3], v[0:1]
	v_add_nc_u32_e32 v24, s5, v22
	s_delay_alu instid0(VALU_DEP_2) | instskip(NEXT) | instid1(VALU_DEP_2)
	v_lshl_add_u64 v[6:7], s[0:1], 3, v[4:5]
	v_add_nc_u32_e32 v26, s5, v24
	v_add_nc_u32_e32 v58, 0x140, v9
	s_mov_b32 s1, -1
	s_delay_alu instid0(VALU_DEP_2) | instskip(NEXT) | instid1(VALU_DEP_1)
	v_add_nc_u32_e32 v28, s5, v26
	v_add_nc_u32_e32 v30, s5, v28
	s_delay_alu instid0(VALU_DEP_1) | instskip(NEXT) | instid1(VALU_DEP_1)
	v_add_nc_u32_e32 v32, s5, v30
	v_add_nc_u32_e32 v34, s5, v32
	s_delay_alu instid0(VALU_DEP_1) | instskip(NEXT) | instid1(VALU_DEP_1)
	v_add_nc_u32_e32 v36, s5, v34
	v_add_nc_u32_e32 v38, s5, v36
	s_delay_alu instid0(VALU_DEP_1)
	v_add_nc_u32_e32 v40, s5, v38
	s_wait_loadcnt_dscnt 0x0
	ds_store_b64 v9, v[2:3] offset:320
	flat_load_b64 v[2:3], v[6:7]
	s_wait_loadcnt_dscnt 0x0
	ds_store_b64 v9, v[2:3] offset:328
	flat_load_b64 v[2:3], v8, s[2:3] scale_offset
	s_wait_loadcnt_dscnt 0x0
	ds_store_b64 v9, v[2:3] offset:336
	flat_load_b64 v[2:3], v10, s[2:3] scale_offset
	;; [unrolled: 3-line block ×17, first 2 shown]
	s_wait_loadcnt_dscnt 0x0
	ds_store_b64 v9, v[2:3] offset:464
	s_cbranch_scc1 .LBB82_84
; %bb.4:
	v_cmp_eq_u32_e64 s0, 0, v42
	s_and_saveexec_b32 s1, s0
; %bb.5:
	v_mov_b32_e32 v1, 0
	ds_store_b32 v1, v1 offset:152
; %bb.6:
	s_or_b32 exec_lo, exec_lo, s1
	v_lshl_add_u32 v2, v42, 3, v58
	s_wait_dscnt 0x0
	s_barrier_signal -1
	s_barrier_wait -1
	ds_load_b64 v[44:45], v2
	s_mov_b32 s4, exec_lo
	s_wait_dscnt 0x0
	v_cmpx_eq_f64_e32 0, v[44:45]
	s_cbranch_execz .LBB82_10
; %bb.7:
	v_mov_b32_e32 v1, 0
	s_mov_b32 s5, 0
	ds_load_b32 v3, v1 offset:152
	s_wait_dscnt 0x0
	v_readfirstlane_b32 s1, v3
	v_add_nc_u32_e32 v3, 1, v42
	s_cmp_eq_u32 s1, 0
	s_delay_alu instid0(VALU_DEP_1) | instskip(SKIP_1) | instid1(SALU_CYCLE_1)
	v_cmp_gt_i32_e32 vcc_lo, s1, v3
	s_cselect_b32 s12, -1, 0
	s_or_b32 s12, s12, vcc_lo
	s_delay_alu instid0(SALU_CYCLE_1)
	s_and_b32 exec_lo, exec_lo, s12
	s_cbranch_execz .LBB82_10
; %bb.8:
	v_mov_b32_e32 v11, s1
.LBB82_9:                               ; =>This Inner Loop Header: Depth=1
	ds_cmpstore_rtn_b32 v11, v1, v3, v11 offset:152
	s_wait_dscnt 0x0
	v_cmp_ne_u32_e32 vcc_lo, 0, v11
	v_cmp_le_i32_e64 s1, v11, v3
	s_and_b32 s1, vcc_lo, s1
	s_delay_alu instid0(SALU_CYCLE_1) | instskip(NEXT) | instid1(SALU_CYCLE_1)
	s_and_b32 s1, exec_lo, s1
	s_or_b32 s5, s1, s5
	s_delay_alu instid0(SALU_CYCLE_1)
	s_and_not1_b32 exec_lo, exec_lo, s5
	s_cbranch_execnz .LBB82_9
.LBB82_10:
	s_or_b32 exec_lo, exec_lo, s4
	v_mov_b32_e32 v1, 0
	s_barrier_signal -1
	s_barrier_wait -1
	ds_load_b32 v3, v1 offset:152
	s_and_saveexec_b32 s1, s0
	s_cbranch_execz .LBB82_12
; %bb.11:
	s_lshl_b64 s[4:5], s[10:11], 2
	s_delay_alu instid0(SALU_CYCLE_1)
	s_add_nc_u64 s[4:5], s[6:7], s[4:5]
	s_wait_dscnt 0x0
	global_store_b32 v1, v3, s[4:5]
.LBB82_12:
	s_wait_xcnt 0x0
	s_or_b32 exec_lo, exec_lo, s1
	s_wait_dscnt 0x0
	v_cmp_ne_u32_e32 vcc_lo, 0, v3
	s_mov_b32 s1, 0
	s_cbranch_vccnz .LBB82_84
; %bb.13:
	ds_load_b64 v[44:45], v2
	v_add_nc_u32_e32 v1, 0xa0, v0
	s_wait_dscnt 0x0
	v_div_scale_f64 v[46:47], null, v[44:45], v[44:45], 1.0
	v_div_scale_f64 v[52:53], vcc_lo, 1.0, v[44:45], 1.0
	s_delay_alu instid0(VALU_DEP_2) | instskip(SKIP_1) | instid1(TRANS32_DEP_1)
	v_rcp_f64_e32 v[48:49], v[46:47]
	v_nop
	v_fma_f64 v[50:51], -v[46:47], v[48:49], 1.0
	s_delay_alu instid0(VALU_DEP_1) | instskip(NEXT) | instid1(VALU_DEP_1)
	v_fmac_f64_e32 v[48:49], v[48:49], v[50:51]
	v_fma_f64 v[50:51], -v[46:47], v[48:49], 1.0
	s_delay_alu instid0(VALU_DEP_1) | instskip(NEXT) | instid1(VALU_DEP_1)
	v_fmac_f64_e32 v[48:49], v[48:49], v[50:51]
	v_mul_f64_e32 v[50:51], v[52:53], v[48:49]
	s_delay_alu instid0(VALU_DEP_1) | instskip(NEXT) | instid1(VALU_DEP_1)
	v_fma_f64 v[46:47], -v[46:47], v[50:51], v[52:53]
	v_div_fmas_f64 v[46:47], v[46:47], v[48:49], v[50:51]
	s_delay_alu instid0(VALU_DEP_1)
	v_div_fixup_f64 v[44:45], v[46:47], v[44:45], 1.0
	ds_store_b64 v2, v[44:45]
	ds_load_b64 v[46:47], v58 offset:8
	v_xor_b32_e32 v45, 0x80000000, v45
	s_wait_dscnt 0x0
	ds_store_2addr_b64 v0, v[44:45], v[46:47] offset1:20
	s_wait_storecnt_dscnt 0x0
	s_barrier_signal -1
	s_barrier_wait -1
	s_and_saveexec_b32 s1, s0
	s_cbranch_execz .LBB82_15
; %bb.14:
	ds_load_b64 v[44:45], v2
	ds_load_b64 v[46:47], v1
	s_wait_dscnt 0x0
	v_fma_f64 v[44:45], v[44:45], v[46:47], 0
	v_mov_b32_e32 v3, 0
	ds_load_b64 v[48:49], v3 offset:8
	s_wait_dscnt 0x0
	v_mul_f64_e32 v[44:45], v[44:45], v[48:49]
	ds_store_b64 v58, v[44:45] offset:8
.LBB82_15:
	s_or_b32 exec_lo, exec_lo, s1
	s_wait_dscnt 0x0
	s_barrier_signal -1
	s_barrier_wait -1
	ds_load_b64 v[44:45], v58 offset:16
	s_mov_b32 s1, exec_lo
	s_wait_dscnt 0x0
	ds_store_b64 v1, v[44:45]
	s_wait_dscnt 0x0
	s_barrier_signal -1
	s_barrier_wait -1
	v_cmpx_gt_u32_e32 2, v42
	s_cbranch_execz .LBB82_19
; %bb.16:
	ds_load_b64 v[2:3], v2
	ds_load_b64 v[44:45], v1
	s_wait_dscnt 0x0
	v_fma_f64 v[2:3], v[2:3], v[44:45], 0
	s_and_saveexec_b32 s4, s0
	s_cbranch_execz .LBB82_18
; %bb.17:
	v_mov_b32_e32 v11, 0
	ds_load_b64 v[44:45], v58 offset:8
	ds_load_b64 v[46:47], v11 offset:168
	s_wait_dscnt 0x0
	v_fmac_f64_e32 v[2:3], v[44:45], v[46:47]
.LBB82_18:
	s_or_b32 exec_lo, exec_lo, s4
	v_mov_b32_e32 v11, 0
	ds_load_b64 v[44:45], v11 offset:16
	s_wait_dscnt 0x0
	v_mul_f64_e32 v[2:3], v[2:3], v[44:45]
	ds_store_b64 v58, v[2:3] offset:16
.LBB82_19:
	s_or_b32 exec_lo, exec_lo, s1
	s_wait_dscnt 0x0
	s_barrier_signal -1
	s_barrier_wait -1
	ds_load_b64 v[2:3], v58 offset:24
	v_add_nc_u32_e32 v11, -1, v42
	s_mov_b32 s0, exec_lo
	s_wait_dscnt 0x0
	ds_store_b64 v1, v[2:3]
	s_wait_dscnt 0x0
	s_barrier_signal -1
	s_barrier_wait -1
	v_cmpx_gt_u32_e32 3, v42
	s_cbranch_execz .LBB82_23
; %bb.20:
	v_mov_b64_e32 v[2:3], 0
	v_add_nc_u32_e32 v13, -1, v42
	v_add_nc_u32_e32 v15, 0xa0, v0
	v_add3_u32 v17, v9, v0, 0x140
	s_mov_b32 s1, 0
.LBB82_21:                              ; =>This Inner Loop Header: Depth=1
	ds_load_b64 v[44:45], v17
	ds_load_b64 v[46:47], v15
	v_dual_add_nc_u32 v13, 1, v13 :: v_dual_add_nc_u32 v15, 8, v15
	v_add_nc_u32_e32 v17, 8, v17
	s_delay_alu instid0(VALU_DEP_2)
	v_cmp_lt_u32_e32 vcc_lo, 1, v13
	s_or_b32 s1, vcc_lo, s1
	s_wait_dscnt 0x0
	v_fmac_f64_e32 v[2:3], v[44:45], v[46:47]
	s_and_not1_b32 exec_lo, exec_lo, s1
	s_cbranch_execnz .LBB82_21
; %bb.22:
	s_or_b32 exec_lo, exec_lo, s1
	v_mov_b32_e32 v13, 0
	ds_load_b64 v[44:45], v13 offset:24
	s_wait_dscnt 0x0
	v_mul_f64_e32 v[2:3], v[2:3], v[44:45]
	ds_store_b64 v58, v[2:3] offset:24
.LBB82_23:
	s_or_b32 exec_lo, exec_lo, s0
	s_wait_dscnt 0x0
	s_barrier_signal -1
	s_barrier_wait -1
	ds_load_b64 v[2:3], v58 offset:32
	s_mov_b32 s0, exec_lo
	s_wait_dscnt 0x0
	ds_store_b64 v1, v[2:3]
	s_wait_dscnt 0x0
	s_barrier_signal -1
	s_barrier_wait -1
	v_cmpx_gt_u32_e32 4, v42
	s_cbranch_execz .LBB82_27
; %bb.24:
	v_mov_b64_e32 v[2:3], 0
	v_add_nc_u32_e32 v13, -1, v42
	v_add_nc_u32_e32 v15, 0xa0, v0
	v_add3_u32 v17, v9, v0, 0x140
	s_mov_b32 s1, 0
.LBB82_25:                              ; =>This Inner Loop Header: Depth=1
	ds_load_b64 v[44:45], v17
	ds_load_b64 v[46:47], v15
	v_dual_add_nc_u32 v13, 1, v13 :: v_dual_add_nc_u32 v15, 8, v15
	v_add_nc_u32_e32 v17, 8, v17
	s_delay_alu instid0(VALU_DEP_2)
	v_cmp_lt_u32_e32 vcc_lo, 2, v13
	s_or_b32 s1, vcc_lo, s1
	s_wait_dscnt 0x0
	v_fmac_f64_e32 v[2:3], v[44:45], v[46:47]
	s_and_not1_b32 exec_lo, exec_lo, s1
	s_cbranch_execnz .LBB82_25
; %bb.26:
	s_or_b32 exec_lo, exec_lo, s1
	v_mov_b32_e32 v13, 0
	ds_load_b64 v[44:45], v13 offset:32
	s_wait_dscnt 0x0
	v_mul_f64_e32 v[2:3], v[2:3], v[44:45]
	ds_store_b64 v58, v[2:3] offset:32
.LBB82_27:
	s_or_b32 exec_lo, exec_lo, s0
	s_wait_dscnt 0x0
	s_barrier_signal -1
	s_barrier_wait -1
	ds_load_b64 v[2:3], v58 offset:40
	;; [unrolled: 39-line block ×15, first 2 shown]
	s_mov_b32 s0, exec_lo
	s_wait_dscnt 0x0
	ds_store_b64 v1, v[2:3]
	s_wait_dscnt 0x0
	s_barrier_signal -1
	s_barrier_wait -1
	v_cmpx_ne_u32_e32 18, v42
	s_cbranch_execz .LBB82_83
; %bb.80:
	v_mov_b64_e32 v[2:3], 0
	v_add3_u32 v0, v9, v0, 0x140
	s_mov_b32 s1, 0
.LBB82_81:                              ; =>This Inner Loop Header: Depth=1
	ds_load_b64 v[44:45], v0
	ds_load_b64 v[46:47], v1
	v_dual_add_nc_u32 v11, 1, v11 :: v_dual_add_nc_u32 v1, 8, v1
	v_add_nc_u32_e32 v0, 8, v0
	s_delay_alu instid0(VALU_DEP_2)
	v_cmp_lt_u32_e32 vcc_lo, 16, v11
	s_or_b32 s1, vcc_lo, s1
	s_wait_dscnt 0x0
	v_fmac_f64_e32 v[2:3], v[44:45], v[46:47]
	s_and_not1_b32 exec_lo, exec_lo, s1
	s_cbranch_execnz .LBB82_81
; %bb.82:
	s_or_b32 exec_lo, exec_lo, s1
	v_mov_b32_e32 v0, 0
	ds_load_b64 v[0:1], v0 offset:144
	s_wait_dscnt 0x0
	v_mul_f64_e32 v[0:1], v[2:3], v[0:1]
	ds_store_b64 v58, v[0:1] offset:144
.LBB82_83:
	s_or_b32 exec_lo, exec_lo, s0
	s_mov_b32 s1, -1
	s_wait_dscnt 0x0
	s_barrier_signal -1
	s_barrier_wait -1
.LBB82_84:
	s_and_b32 vcc_lo, exec_lo, s1
	s_cbranch_vccz .LBB82_86
; %bb.85:
	v_mov_b32_e32 v0, 0
	s_lshl_b64 s[0:1], s[10:11], 2
	s_delay_alu instid0(SALU_CYCLE_1)
	s_add_nc_u64 s[0:1], s[6:7], s[0:1]
	global_load_b32 v0, v0, s[0:1]
	s_wait_loadcnt 0x0
	v_cmp_ne_u32_e32 vcc_lo, 0, v0
	s_cbranch_vccz .LBB82_87
.LBB82_86:
	s_endpgm
.LBB82_87:
	s_wait_xcnt 0x0
	v_lshl_add_u32 v0, v42, 3, 0xa0
	s_mov_b32 s0, exec_lo
	v_cmpx_eq_u32_e32 18, v42
	s_cbranch_execz .LBB82_89
; %bb.88:
	ds_load_b64 v[2:3], v58 offset:136
	v_mov_b64_e32 v[44:45], 0
	s_wait_dscnt 0x0
	ds_store_b64 v0, v[2:3]
	ds_store_b64 v58, v[44:45] offset:136
.LBB82_89:
	s_or_b32 exec_lo, exec_lo, s0
	v_mov_b32_e32 v1, 0
	s_wait_storecnt_dscnt 0x0
	s_barrier_signal -1
	s_barrier_wait -1
	ds_load_2addr_b64 v[44:47], v58 offset0:17 offset1:18
	ds_load_b64 v[2:3], v1 offset:304
	s_mov_b32 s0, exec_lo
	s_wait_dscnt 0x0
	v_fma_f64 v[2:3], v[46:47], v[2:3], 0
	s_delay_alu instid0(VALU_DEP_1)
	v_add_f64_e64 v[2:3], v[44:45], -v[2:3]
	ds_store_b64 v58, v[2:3] offset:136
	v_cmpx_lt_u32_e32 16, v42
	s_cbranch_execz .LBB82_91
; %bb.90:
	ds_load_b64 v[2:3], v58 offset:128
	v_mov_b64_e32 v[44:45], 0
	s_wait_dscnt 0x0
	ds_store_b64 v0, v[2:3]
	ds_store_b64 v58, v[44:45] offset:128
.LBB82_91:
	s_or_b32 exec_lo, exec_lo, s0
	s_wait_dscnt 0x0
	s_barrier_signal -1
	s_barrier_wait -1
	ds_load_2addr_b64 v[44:47], v1 offset0:37 offset1:38
	ds_load_b128 v[48:51], v58 offset:128
	ds_load_b64 v[2:3], v58 offset:144
	s_mov_b32 s0, exec_lo
	s_wait_dscnt 0x1
	v_fma_f64 v[44:45], v[50:51], v[44:45], 0
	s_wait_dscnt 0x0
	s_delay_alu instid0(VALU_DEP_1) | instskip(NEXT) | instid1(VALU_DEP_1)
	v_fmac_f64_e32 v[44:45], v[2:3], v[46:47]
	v_add_f64_e64 v[2:3], v[48:49], -v[44:45]
	ds_store_b64 v58, v[2:3] offset:128
	v_cmpx_lt_u32_e32 15, v42
	s_cbranch_execz .LBB82_93
; %bb.92:
	ds_load_b64 v[2:3], v58 offset:120
	v_mov_b64_e32 v[44:45], 0
	s_wait_dscnt 0x0
	ds_store_b64 v0, v[2:3]
	ds_store_b64 v58, v[44:45] offset:120
.LBB82_93:
	s_or_b32 exec_lo, exec_lo, s0
	v_mov_b32_e32 v1, 0
	s_wait_dscnt 0x0
	s_barrier_signal -1
	s_barrier_wait -1
	ds_load_2addr_b64 v[44:47], v58 offset0:15 offset1:16
	ds_load_b128 v[48:51], v1 offset:288
	ds_load_b64 v[2:3], v1 offset:304
	ds_load_2addr_b64 v[52:55], v58 offset0:17 offset1:18
	s_mov_b32 s0, exec_lo
	s_wait_dscnt 0x2
	v_fma_f64 v[46:47], v[46:47], v[48:49], 0
	s_wait_dscnt 0x0
	s_delay_alu instid0(VALU_DEP_1) | instskip(NEXT) | instid1(VALU_DEP_1)
	v_fmac_f64_e32 v[46:47], v[52:53], v[50:51]
	v_fmac_f64_e32 v[46:47], v[54:55], v[2:3]
	s_delay_alu instid0(VALU_DEP_1)
	v_add_f64_e64 v[2:3], v[44:45], -v[46:47]
	ds_store_b64 v58, v[2:3] offset:120
	v_cmpx_lt_u32_e32 14, v42
	s_cbranch_execz .LBB82_95
; %bb.94:
	ds_load_b64 v[2:3], v58 offset:112
	v_mov_b64_e32 v[44:45], 0
	s_wait_dscnt 0x0
	ds_store_b64 v0, v[2:3]
	ds_store_b64 v58, v[44:45] offset:112
.LBB82_95:
	s_or_b32 exec_lo, exec_lo, s0
	s_wait_dscnt 0x0
	s_barrier_signal -1
	s_barrier_wait -1
	ds_load_2addr_b64 v[44:47], v1 offset0:35 offset1:36
	ds_load_b128 v[48:51], v58 offset:112
	ds_load_b128 v[52:55], v58 offset:128
	ds_load_2addr_b64 v[60:63], v1 offset0:37 offset1:38
	s_mov_b32 s0, exec_lo
	s_wait_dscnt 0x2
	v_fma_f64 v[2:3], v[50:51], v[44:45], 0
	ds_load_b64 v[44:45], v58 offset:144
	s_wait_dscnt 0x2
	v_fmac_f64_e32 v[2:3], v[52:53], v[46:47]
	s_wait_dscnt 0x1
	s_delay_alu instid0(VALU_DEP_1) | instskip(SKIP_1) | instid1(VALU_DEP_1)
	v_fmac_f64_e32 v[2:3], v[54:55], v[60:61]
	s_wait_dscnt 0x0
	v_fmac_f64_e32 v[2:3], v[44:45], v[62:63]
	s_delay_alu instid0(VALU_DEP_1)
	v_add_f64_e64 v[2:3], v[48:49], -v[2:3]
	ds_store_b64 v58, v[2:3] offset:112
	v_cmpx_lt_u32_e32 13, v42
	s_cbranch_execz .LBB82_97
; %bb.96:
	ds_load_b64 v[2:3], v58 offset:104
	v_mov_b64_e32 v[44:45], 0
	s_wait_dscnt 0x0
	ds_store_b64 v0, v[2:3]
	ds_store_b64 v58, v[44:45] offset:104
.LBB82_97:
	s_or_b32 exec_lo, exec_lo, s0
	v_mov_b32_e32 v1, 0
	s_wait_dscnt 0x0
	s_barrier_signal -1
	s_barrier_wait -1
	ds_load_2addr_b64 v[44:47], v58 offset0:13 offset1:14
	ds_load_b128 v[48:51], v1 offset:272
	ds_load_b128 v[52:55], v1 offset:288
	ds_load_2addr_b64 v[60:63], v58 offset0:15 offset1:16
	s_mov_b32 s0, exec_lo
	s_wait_dscnt 0x2
	v_fma_f64 v[2:3], v[46:47], v[48:49], 0
	ds_load_2addr_b64 v[46:49], v58 offset0:17 offset1:18
	s_wait_dscnt 0x1
	v_fmac_f64_e32 v[2:3], v[60:61], v[50:51]
	s_delay_alu instid0(VALU_DEP_1) | instskip(SKIP_1) | instid1(VALU_DEP_1)
	v_fmac_f64_e32 v[2:3], v[62:63], v[52:53]
	s_wait_dscnt 0x0
	v_fmac_f64_e32 v[2:3], v[46:47], v[54:55]
	ds_load_b64 v[46:47], v1 offset:304
	s_wait_dscnt 0x0
	v_fmac_f64_e32 v[2:3], v[48:49], v[46:47]
	s_delay_alu instid0(VALU_DEP_1)
	v_add_f64_e64 v[2:3], v[44:45], -v[2:3]
	ds_store_b64 v58, v[2:3] offset:104
	v_cmpx_lt_u32_e32 12, v42
	s_cbranch_execz .LBB82_99
; %bb.98:
	ds_load_b64 v[2:3], v58 offset:96
	v_mov_b64_e32 v[44:45], 0
	s_wait_dscnt 0x0
	ds_store_b64 v0, v[2:3]
	ds_store_b64 v58, v[44:45] offset:96
.LBB82_99:
	s_or_b32 exec_lo, exec_lo, s0
	s_wait_dscnt 0x0
	s_barrier_signal -1
	s_barrier_wait -1
	ds_load_2addr_b64 v[44:47], v1 offset0:33 offset1:34
	ds_load_b128 v[48:51], v58 offset:96
	ds_load_b128 v[52:55], v58 offset:112
	ds_load_2addr_b64 v[60:63], v1 offset0:35 offset1:36
	s_mov_b32 s0, exec_lo
	s_wait_dscnt 0x2
	v_fma_f64 v[2:3], v[50:51], v[44:45], 0
	s_wait_dscnt 0x1
	s_delay_alu instid0(VALU_DEP_1) | instskip(SKIP_1) | instid1(VALU_DEP_1)
	v_fmac_f64_e32 v[2:3], v[52:53], v[46:47]
	s_wait_dscnt 0x0
	v_fmac_f64_e32 v[2:3], v[54:55], v[60:61]
	ds_load_b128 v[44:47], v58 offset:128
	ds_load_b64 v[54:55], v58 offset:144
	ds_load_2addr_b64 v[50:53], v1 offset0:37 offset1:38
	s_wait_dscnt 0x2
	v_fmac_f64_e32 v[2:3], v[44:45], v[62:63]
	s_wait_dscnt 0x0
	s_delay_alu instid0(VALU_DEP_1) | instskip(NEXT) | instid1(VALU_DEP_1)
	v_fmac_f64_e32 v[2:3], v[46:47], v[50:51]
	v_fmac_f64_e32 v[2:3], v[54:55], v[52:53]
	s_delay_alu instid0(VALU_DEP_1)
	v_add_f64_e64 v[2:3], v[48:49], -v[2:3]
	ds_store_b64 v58, v[2:3] offset:96
	v_cmpx_lt_u32_e32 11, v42
	s_cbranch_execz .LBB82_101
; %bb.100:
	ds_load_b64 v[2:3], v58 offset:88
	v_mov_b64_e32 v[44:45], 0
	s_wait_dscnt 0x0
	ds_store_b64 v0, v[2:3]
	ds_store_b64 v58, v[44:45] offset:88
.LBB82_101:
	s_or_b32 exec_lo, exec_lo, s0
	v_mov_b32_e32 v1, 0
	s_wait_dscnt 0x0
	s_barrier_signal -1
	s_barrier_wait -1
	ds_load_2addr_b64 v[44:47], v58 offset0:11 offset1:12
	ds_load_b128 v[48:51], v1 offset:256
	ds_load_b128 v[52:55], v1 offset:272
	ds_load_2addr_b64 v[60:63], v58 offset0:13 offset1:14
	s_mov_b32 s0, exec_lo
	s_wait_dscnt 0x2
	v_fma_f64 v[2:3], v[46:47], v[48:49], 0
	s_wait_dscnt 0x0
	s_delay_alu instid0(VALU_DEP_1) | instskip(NEXT) | instid1(VALU_DEP_1)
	v_fmac_f64_e32 v[2:3], v[60:61], v[50:51]
	v_fmac_f64_e32 v[2:3], v[62:63], v[52:53]
	ds_load_2addr_b64 v[46:49], v58 offset0:15 offset1:16
	ds_load_2addr_b64 v[50:53], v58 offset0:17 offset1:18
	s_wait_dscnt 0x1
	v_fmac_f64_e32 v[2:3], v[46:47], v[54:55]
	ds_load_b128 v[54:57], v1 offset:288
	ds_load_b64 v[46:47], v1 offset:304
	s_wait_dscnt 0x1
	v_fmac_f64_e32 v[2:3], v[48:49], v[54:55]
	s_delay_alu instid0(VALU_DEP_1) | instskip(SKIP_1) | instid1(VALU_DEP_1)
	v_fmac_f64_e32 v[2:3], v[50:51], v[56:57]
	s_wait_dscnt 0x0
	v_fmac_f64_e32 v[2:3], v[52:53], v[46:47]
	s_delay_alu instid0(VALU_DEP_1)
	v_add_f64_e64 v[2:3], v[44:45], -v[2:3]
	ds_store_b64 v58, v[2:3] offset:88
	v_cmpx_lt_u32_e32 10, v42
	s_cbranch_execz .LBB82_103
; %bb.102:
	ds_load_b64 v[2:3], v58 offset:80
	v_mov_b64_e32 v[44:45], 0
	s_wait_dscnt 0x0
	ds_store_b64 v0, v[2:3]
	ds_store_b64 v58, v[44:45] offset:80
.LBB82_103:
	s_or_b32 exec_lo, exec_lo, s0
	s_wait_dscnt 0x0
	s_barrier_signal -1
	s_barrier_wait -1
	ds_load_2addr_b64 v[44:47], v1 offset0:31 offset1:32
	ds_load_b128 v[48:51], v58 offset:80
	ds_load_b128 v[52:55], v58 offset:96
	ds_load_2addr_b64 v[60:63], v1 offset0:33 offset1:34
	s_mov_b32 s0, exec_lo
	s_wait_dscnt 0x2
	v_fma_f64 v[2:3], v[50:51], v[44:45], 0
	s_wait_dscnt 0x1
	s_delay_alu instid0(VALU_DEP_1)
	v_fmac_f64_e32 v[2:3], v[52:53], v[46:47]
	ds_load_b128 v[44:47], v58 offset:112
	ds_load_b128 v[50:53], v58 offset:128
	s_wait_dscnt 0x2
	v_fmac_f64_e32 v[2:3], v[54:55], v[60:61]
	s_wait_dscnt 0x1
	s_delay_alu instid0(VALU_DEP_1)
	v_fmac_f64_e32 v[2:3], v[44:45], v[62:63]
	ds_load_2addr_b64 v[54:57], v1 offset0:35 offset1:36
	ds_load_2addr_b64 v[60:63], v1 offset0:37 offset1:38
	ds_load_b64 v[44:45], v58 offset:144
	s_wait_dscnt 0x2
	v_fmac_f64_e32 v[2:3], v[46:47], v[54:55]
	s_delay_alu instid0(VALU_DEP_1) | instskip(SKIP_1) | instid1(VALU_DEP_1)
	v_fmac_f64_e32 v[2:3], v[50:51], v[56:57]
	s_wait_dscnt 0x1
	v_fmac_f64_e32 v[2:3], v[52:53], v[60:61]
	s_wait_dscnt 0x0
	s_delay_alu instid0(VALU_DEP_1) | instskip(NEXT) | instid1(VALU_DEP_1)
	v_fmac_f64_e32 v[2:3], v[44:45], v[62:63]
	v_add_f64_e64 v[2:3], v[48:49], -v[2:3]
	ds_store_b64 v58, v[2:3] offset:80
	v_cmpx_lt_u32_e32 9, v42
	s_cbranch_execz .LBB82_105
; %bb.104:
	ds_load_b64 v[2:3], v58 offset:72
	v_mov_b64_e32 v[44:45], 0
	s_wait_dscnt 0x0
	ds_store_b64 v0, v[2:3]
	ds_store_b64 v58, v[44:45] offset:72
.LBB82_105:
	s_or_b32 exec_lo, exec_lo, s0
	v_mov_b32_e32 v1, 0
	s_wait_dscnt 0x0
	s_barrier_signal -1
	s_barrier_wait -1
	ds_load_2addr_b64 v[44:47], v58 offset0:9 offset1:10
	ds_load_b128 v[48:51], v1 offset:240
	ds_load_b128 v[52:55], v1 offset:256
	ds_load_2addr_b64 v[60:63], v58 offset0:11 offset1:12
	s_mov_b32 s0, exec_lo
	s_wait_dscnt 0x2
	v_fma_f64 v[2:3], v[46:47], v[48:49], 0
	s_wait_dscnt 0x0
	s_delay_alu instid0(VALU_DEP_1) | instskip(NEXT) | instid1(VALU_DEP_1)
	v_fmac_f64_e32 v[2:3], v[60:61], v[50:51]
	v_fmac_f64_e32 v[2:3], v[62:63], v[52:53]
	ds_load_2addr_b64 v[46:49], v58 offset0:13 offset1:14
	ds_load_2addr_b64 v[50:53], v58 offset0:15 offset1:16
	s_wait_dscnt 0x1
	v_fmac_f64_e32 v[2:3], v[46:47], v[54:55]
	ds_load_b128 v[54:57], v1 offset:272
	ds_load_b128 v[60:63], v1 offset:288
	s_wait_dscnt 0x1
	v_fmac_f64_e32 v[2:3], v[48:49], v[54:55]
	ds_load_2addr_b64 v[46:49], v58 offset0:17 offset1:18
	v_fmac_f64_e32 v[2:3], v[50:51], v[56:57]
	s_wait_dscnt 0x1
	s_delay_alu instid0(VALU_DEP_1) | instskip(SKIP_1) | instid1(VALU_DEP_1)
	v_fmac_f64_e32 v[2:3], v[52:53], v[60:61]
	s_wait_dscnt 0x0
	v_fmac_f64_e32 v[2:3], v[46:47], v[62:63]
	ds_load_b64 v[46:47], v1 offset:304
	s_wait_dscnt 0x0
	v_fmac_f64_e32 v[2:3], v[48:49], v[46:47]
	s_delay_alu instid0(VALU_DEP_1)
	v_add_f64_e64 v[2:3], v[44:45], -v[2:3]
	ds_store_b64 v58, v[2:3] offset:72
	v_cmpx_lt_u32_e32 8, v42
	s_cbranch_execz .LBB82_107
; %bb.106:
	ds_load_b64 v[2:3], v58 offset:64
	v_mov_b64_e32 v[44:45], 0
	s_wait_dscnt 0x0
	ds_store_b64 v0, v[2:3]
	ds_store_b64 v58, v[44:45] offset:64
.LBB82_107:
	s_or_b32 exec_lo, exec_lo, s0
	s_wait_dscnt 0x0
	s_barrier_signal -1
	s_barrier_wait -1
	ds_load_2addr_b64 v[44:47], v1 offset0:29 offset1:30
	ds_load_b128 v[48:51], v58 offset:64
	ds_load_b128 v[52:55], v58 offset:80
	ds_load_2addr_b64 v[60:63], v1 offset0:31 offset1:32
	s_mov_b32 s0, exec_lo
	s_wait_dscnt 0x2
	v_fma_f64 v[2:3], v[50:51], v[44:45], 0
	s_wait_dscnt 0x1
	s_delay_alu instid0(VALU_DEP_1)
	v_fmac_f64_e32 v[2:3], v[52:53], v[46:47]
	ds_load_b128 v[44:47], v58 offset:96
	ds_load_b128 v[50:53], v58 offset:112
	s_wait_dscnt 0x2
	v_fmac_f64_e32 v[2:3], v[54:55], v[60:61]
	s_wait_dscnt 0x1
	s_delay_alu instid0(VALU_DEP_1)
	v_fmac_f64_e32 v[2:3], v[44:45], v[62:63]
	ds_load_2addr_b64 v[54:57], v1 offset0:33 offset1:34
	ds_load_2addr_b64 v[60:63], v1 offset0:35 offset1:36
	s_wait_dscnt 0x1
	v_fmac_f64_e32 v[2:3], v[46:47], v[54:55]
	ds_load_b128 v[44:47], v58 offset:128
	ds_load_b64 v[54:55], v58 offset:144
	v_fmac_f64_e32 v[2:3], v[50:51], v[56:57]
	s_wait_dscnt 0x2
	s_delay_alu instid0(VALU_DEP_1) | instskip(SKIP_4) | instid1(VALU_DEP_1)
	v_fmac_f64_e32 v[2:3], v[52:53], v[60:61]
	ds_load_2addr_b64 v[50:53], v1 offset0:37 offset1:38
	s_wait_dscnt 0x2
	v_fmac_f64_e32 v[2:3], v[44:45], v[62:63]
	s_wait_dscnt 0x0
	v_fmac_f64_e32 v[2:3], v[46:47], v[50:51]
	s_delay_alu instid0(VALU_DEP_1) | instskip(NEXT) | instid1(VALU_DEP_1)
	v_fmac_f64_e32 v[2:3], v[54:55], v[52:53]
	v_add_f64_e64 v[2:3], v[48:49], -v[2:3]
	ds_store_b64 v58, v[2:3] offset:64
	v_cmpx_lt_u32_e32 7, v42
	s_cbranch_execz .LBB82_109
; %bb.108:
	ds_load_b64 v[2:3], v58 offset:56
	v_mov_b64_e32 v[44:45], 0
	s_wait_dscnt 0x0
	ds_store_b64 v0, v[2:3]
	ds_store_b64 v58, v[44:45] offset:56
.LBB82_109:
	s_or_b32 exec_lo, exec_lo, s0
	v_mov_b32_e32 v1, 0
	s_wait_dscnt 0x0
	s_barrier_signal -1
	s_barrier_wait -1
	ds_load_2addr_b64 v[44:47], v58 offset0:7 offset1:8
	ds_load_b128 v[48:51], v1 offset:224
	ds_load_b128 v[52:55], v1 offset:240
	ds_load_2addr_b64 v[60:63], v58 offset0:9 offset1:10
	s_mov_b32 s0, exec_lo
	s_wait_dscnt 0x2
	v_fma_f64 v[2:3], v[46:47], v[48:49], 0
	s_wait_dscnt 0x0
	s_delay_alu instid0(VALU_DEP_1) | instskip(NEXT) | instid1(VALU_DEP_1)
	v_fmac_f64_e32 v[2:3], v[60:61], v[50:51]
	v_fmac_f64_e32 v[2:3], v[62:63], v[52:53]
	ds_load_2addr_b64 v[46:49], v58 offset0:11 offset1:12
	ds_load_2addr_b64 v[50:53], v58 offset0:13 offset1:14
	s_wait_dscnt 0x1
	v_fmac_f64_e32 v[2:3], v[46:47], v[54:55]
	ds_load_b128 v[54:57], v1 offset:256
	ds_load_b128 v[60:63], v1 offset:272
	s_wait_dscnt 0x1
	v_fmac_f64_e32 v[2:3], v[48:49], v[54:55]
	s_delay_alu instid0(VALU_DEP_1) | instskip(SKIP_1) | instid1(VALU_DEP_1)
	v_fmac_f64_e32 v[2:3], v[50:51], v[56:57]
	s_wait_dscnt 0x0
	v_fmac_f64_e32 v[2:3], v[52:53], v[60:61]
	ds_load_2addr_b64 v[46:49], v58 offset0:15 offset1:16
	ds_load_2addr_b64 v[50:53], v58 offset0:17 offset1:18
	s_wait_dscnt 0x1
	v_fmac_f64_e32 v[2:3], v[46:47], v[62:63]
	ds_load_b128 v[54:57], v1 offset:288
	ds_load_b64 v[46:47], v1 offset:304
	s_wait_dscnt 0x1
	v_fmac_f64_e32 v[2:3], v[48:49], v[54:55]
	s_delay_alu instid0(VALU_DEP_1) | instskip(SKIP_1) | instid1(VALU_DEP_1)
	v_fmac_f64_e32 v[2:3], v[50:51], v[56:57]
	s_wait_dscnt 0x0
	v_fmac_f64_e32 v[2:3], v[52:53], v[46:47]
	s_delay_alu instid0(VALU_DEP_1)
	v_add_f64_e64 v[2:3], v[44:45], -v[2:3]
	ds_store_b64 v58, v[2:3] offset:56
	v_cmpx_lt_u32_e32 6, v42
	s_cbranch_execz .LBB82_111
; %bb.110:
	ds_load_b64 v[2:3], v58 offset:48
	v_mov_b64_e32 v[44:45], 0
	s_wait_dscnt 0x0
	ds_store_b64 v0, v[2:3]
	ds_store_b64 v58, v[44:45] offset:48
.LBB82_111:
	s_or_b32 exec_lo, exec_lo, s0
	s_wait_dscnt 0x0
	s_barrier_signal -1
	s_barrier_wait -1
	ds_load_2addr_b64 v[44:47], v1 offset0:27 offset1:28
	ds_load_b128 v[48:51], v58 offset:48
	ds_load_b128 v[52:55], v58 offset:64
	ds_load_2addr_b64 v[60:63], v1 offset0:29 offset1:30
	s_mov_b32 s0, exec_lo
	s_wait_dscnt 0x2
	v_fma_f64 v[2:3], v[50:51], v[44:45], 0
	s_wait_dscnt 0x1
	s_delay_alu instid0(VALU_DEP_1)
	v_fmac_f64_e32 v[2:3], v[52:53], v[46:47]
	ds_load_b128 v[44:47], v58 offset:80
	ds_load_b128 v[50:53], v58 offset:96
	s_wait_dscnt 0x2
	v_fmac_f64_e32 v[2:3], v[54:55], v[60:61]
	s_wait_dscnt 0x1
	s_delay_alu instid0(VALU_DEP_1) | instskip(SKIP_4) | instid1(VALU_DEP_1)
	v_fmac_f64_e32 v[2:3], v[44:45], v[62:63]
	ds_load_2addr_b64 v[54:57], v1 offset0:31 offset1:32
	ds_load_2addr_b64 v[60:63], v1 offset0:33 offset1:34
	s_wait_dscnt 0x1
	v_fmac_f64_e32 v[2:3], v[46:47], v[54:55]
	v_fmac_f64_e32 v[2:3], v[50:51], v[56:57]
	s_wait_dscnt 0x0
	s_delay_alu instid0(VALU_DEP_1)
	v_fmac_f64_e32 v[2:3], v[52:53], v[60:61]
	ds_load_b128 v[44:47], v58 offset:112
	ds_load_b128 v[50:53], v58 offset:128
	s_wait_dscnt 0x1
	v_fmac_f64_e32 v[2:3], v[44:45], v[62:63]
	ds_load_2addr_b64 v[54:57], v1 offset0:35 offset1:36
	ds_load_2addr_b64 v[60:63], v1 offset0:37 offset1:38
	ds_load_b64 v[44:45], v58 offset:144
	s_wait_dscnt 0x2
	v_fmac_f64_e32 v[2:3], v[46:47], v[54:55]
	s_delay_alu instid0(VALU_DEP_1) | instskip(SKIP_1) | instid1(VALU_DEP_1)
	v_fmac_f64_e32 v[2:3], v[50:51], v[56:57]
	s_wait_dscnt 0x1
	v_fmac_f64_e32 v[2:3], v[52:53], v[60:61]
	s_wait_dscnt 0x0
	s_delay_alu instid0(VALU_DEP_1) | instskip(NEXT) | instid1(VALU_DEP_1)
	v_fmac_f64_e32 v[2:3], v[44:45], v[62:63]
	v_add_f64_e64 v[2:3], v[48:49], -v[2:3]
	ds_store_b64 v58, v[2:3] offset:48
	v_cmpx_lt_u32_e32 5, v42
	s_cbranch_execz .LBB82_113
; %bb.112:
	ds_load_b64 v[2:3], v58 offset:40
	v_mov_b64_e32 v[44:45], 0
	s_wait_dscnt 0x0
	ds_store_b64 v0, v[2:3]
	ds_store_b64 v58, v[44:45] offset:40
.LBB82_113:
	s_or_b32 exec_lo, exec_lo, s0
	v_mov_b32_e32 v1, 0
	s_wait_dscnt 0x0
	s_barrier_signal -1
	s_barrier_wait -1
	ds_load_2addr_b64 v[44:47], v58 offset0:5 offset1:6
	ds_load_b128 v[48:51], v1 offset:208
	ds_load_b128 v[52:55], v1 offset:224
	ds_load_2addr_b64 v[60:63], v58 offset0:7 offset1:8
	s_mov_b32 s0, exec_lo
	s_wait_dscnt 0x2
	v_fma_f64 v[2:3], v[46:47], v[48:49], 0
	s_wait_dscnt 0x0
	s_delay_alu instid0(VALU_DEP_1) | instskip(NEXT) | instid1(VALU_DEP_1)
	v_fmac_f64_e32 v[2:3], v[60:61], v[50:51]
	v_fmac_f64_e32 v[2:3], v[62:63], v[52:53]
	ds_load_2addr_b64 v[46:49], v58 offset0:9 offset1:10
	ds_load_2addr_b64 v[50:53], v58 offset0:11 offset1:12
	s_wait_dscnt 0x1
	v_fmac_f64_e32 v[2:3], v[46:47], v[54:55]
	ds_load_b128 v[54:57], v1 offset:240
	ds_load_b128 v[60:63], v1 offset:256
	s_wait_dscnt 0x1
	v_fmac_f64_e32 v[2:3], v[48:49], v[54:55]
	s_delay_alu instid0(VALU_DEP_1) | instskip(SKIP_1) | instid1(VALU_DEP_1)
	v_fmac_f64_e32 v[2:3], v[50:51], v[56:57]
	s_wait_dscnt 0x0
	v_fmac_f64_e32 v[2:3], v[52:53], v[60:61]
	ds_load_2addr_b64 v[46:49], v58 offset0:13 offset1:14
	ds_load_2addr_b64 v[50:53], v58 offset0:15 offset1:16
	s_wait_dscnt 0x1
	v_fmac_f64_e32 v[2:3], v[46:47], v[62:63]
	ds_load_b128 v[54:57], v1 offset:272
	ds_load_b128 v[60:63], v1 offset:288
	s_wait_dscnt 0x1
	v_fmac_f64_e32 v[2:3], v[48:49], v[54:55]
	ds_load_2addr_b64 v[46:49], v58 offset0:17 offset1:18
	v_fmac_f64_e32 v[2:3], v[50:51], v[56:57]
	s_wait_dscnt 0x1
	s_delay_alu instid0(VALU_DEP_1) | instskip(SKIP_1) | instid1(VALU_DEP_1)
	v_fmac_f64_e32 v[2:3], v[52:53], v[60:61]
	s_wait_dscnt 0x0
	v_fmac_f64_e32 v[2:3], v[46:47], v[62:63]
	ds_load_b64 v[46:47], v1 offset:304
	s_wait_dscnt 0x0
	v_fmac_f64_e32 v[2:3], v[48:49], v[46:47]
	s_delay_alu instid0(VALU_DEP_1)
	v_add_f64_e64 v[2:3], v[44:45], -v[2:3]
	ds_store_b64 v58, v[2:3] offset:40
	v_cmpx_lt_u32_e32 4, v42
	s_cbranch_execz .LBB82_115
; %bb.114:
	ds_load_b64 v[2:3], v58 offset:32
	v_mov_b64_e32 v[44:45], 0
	s_wait_dscnt 0x0
	ds_store_b64 v0, v[2:3]
	ds_store_b64 v58, v[44:45] offset:32
.LBB82_115:
	s_or_b32 exec_lo, exec_lo, s0
	s_wait_dscnt 0x0
	s_barrier_signal -1
	s_barrier_wait -1
	ds_load_2addr_b64 v[44:47], v1 offset0:25 offset1:26
	ds_load_b128 v[48:51], v58 offset:32
	ds_load_b128 v[52:55], v58 offset:48
	ds_load_2addr_b64 v[60:63], v1 offset0:27 offset1:28
	s_mov_b32 s0, exec_lo
	s_wait_dscnt 0x2
	v_fma_f64 v[2:3], v[50:51], v[44:45], 0
	s_wait_dscnt 0x1
	s_delay_alu instid0(VALU_DEP_1)
	v_fmac_f64_e32 v[2:3], v[52:53], v[46:47]
	ds_load_b128 v[44:47], v58 offset:64
	ds_load_b128 v[50:53], v58 offset:80
	s_wait_dscnt 0x2
	v_fmac_f64_e32 v[2:3], v[54:55], v[60:61]
	s_wait_dscnt 0x1
	s_delay_alu instid0(VALU_DEP_1) | instskip(SKIP_4) | instid1(VALU_DEP_1)
	v_fmac_f64_e32 v[2:3], v[44:45], v[62:63]
	ds_load_2addr_b64 v[54:57], v1 offset0:29 offset1:30
	ds_load_2addr_b64 v[60:63], v1 offset0:31 offset1:32
	s_wait_dscnt 0x1
	v_fmac_f64_e32 v[2:3], v[46:47], v[54:55]
	v_fmac_f64_e32 v[2:3], v[50:51], v[56:57]
	s_wait_dscnt 0x0
	s_delay_alu instid0(VALU_DEP_1)
	v_fmac_f64_e32 v[2:3], v[52:53], v[60:61]
	ds_load_b128 v[44:47], v58 offset:96
	ds_load_b128 v[50:53], v58 offset:112
	s_wait_dscnt 0x1
	v_fmac_f64_e32 v[2:3], v[44:45], v[62:63]
	ds_load_2addr_b64 v[54:57], v1 offset0:33 offset1:34
	ds_load_2addr_b64 v[60:63], v1 offset0:35 offset1:36
	s_wait_dscnt 0x1
	v_fmac_f64_e32 v[2:3], v[46:47], v[54:55]
	ds_load_b128 v[44:47], v58 offset:128
	ds_load_b64 v[54:55], v58 offset:144
	v_fmac_f64_e32 v[2:3], v[50:51], v[56:57]
	s_wait_dscnt 0x2
	s_delay_alu instid0(VALU_DEP_1) | instskip(SKIP_4) | instid1(VALU_DEP_1)
	v_fmac_f64_e32 v[2:3], v[52:53], v[60:61]
	ds_load_2addr_b64 v[50:53], v1 offset0:37 offset1:38
	s_wait_dscnt 0x2
	v_fmac_f64_e32 v[2:3], v[44:45], v[62:63]
	s_wait_dscnt 0x0
	v_fmac_f64_e32 v[2:3], v[46:47], v[50:51]
	s_delay_alu instid0(VALU_DEP_1) | instskip(NEXT) | instid1(VALU_DEP_1)
	v_fmac_f64_e32 v[2:3], v[54:55], v[52:53]
	v_add_f64_e64 v[2:3], v[48:49], -v[2:3]
	ds_store_b64 v58, v[2:3] offset:32
	v_cmpx_lt_u32_e32 3, v42
	s_cbranch_execz .LBB82_117
; %bb.116:
	ds_load_b64 v[2:3], v58 offset:24
	v_mov_b64_e32 v[44:45], 0
	s_wait_dscnt 0x0
	ds_store_b64 v0, v[2:3]
	ds_store_b64 v58, v[44:45] offset:24
.LBB82_117:
	s_or_b32 exec_lo, exec_lo, s0
	v_mov_b32_e32 v1, 0
	s_wait_dscnt 0x0
	s_barrier_signal -1
	s_barrier_wait -1
	ds_load_2addr_b64 v[44:47], v58 offset0:3 offset1:4
	ds_load_b128 v[48:51], v1 offset:192
	ds_load_b128 v[52:55], v1 offset:208
	ds_load_2addr_b64 v[60:63], v58 offset0:5 offset1:6
	s_mov_b32 s0, exec_lo
	s_wait_dscnt 0x2
	v_fma_f64 v[2:3], v[46:47], v[48:49], 0
	s_wait_dscnt 0x0
	s_delay_alu instid0(VALU_DEP_1) | instskip(NEXT) | instid1(VALU_DEP_1)
	v_fmac_f64_e32 v[2:3], v[60:61], v[50:51]
	v_fmac_f64_e32 v[2:3], v[62:63], v[52:53]
	ds_load_2addr_b64 v[46:49], v58 offset0:7 offset1:8
	ds_load_2addr_b64 v[50:53], v58 offset0:9 offset1:10
	s_wait_dscnt 0x1
	v_fmac_f64_e32 v[2:3], v[46:47], v[54:55]
	ds_load_b128 v[54:57], v1 offset:224
	ds_load_b128 v[60:63], v1 offset:240
	s_wait_dscnt 0x1
	v_fmac_f64_e32 v[2:3], v[48:49], v[54:55]
	s_delay_alu instid0(VALU_DEP_1) | instskip(SKIP_1) | instid1(VALU_DEP_1)
	v_fmac_f64_e32 v[2:3], v[50:51], v[56:57]
	s_wait_dscnt 0x0
	v_fmac_f64_e32 v[2:3], v[52:53], v[60:61]
	ds_load_2addr_b64 v[46:49], v58 offset0:11 offset1:12
	ds_load_2addr_b64 v[50:53], v58 offset0:13 offset1:14
	s_wait_dscnt 0x1
	v_fmac_f64_e32 v[2:3], v[46:47], v[62:63]
	ds_load_b128 v[54:57], v1 offset:256
	ds_load_b128 v[60:63], v1 offset:272
	s_wait_dscnt 0x1
	v_fmac_f64_e32 v[2:3], v[48:49], v[54:55]
	s_delay_alu instid0(VALU_DEP_1) | instskip(SKIP_1) | instid1(VALU_DEP_1)
	v_fmac_f64_e32 v[2:3], v[50:51], v[56:57]
	s_wait_dscnt 0x0
	v_fmac_f64_e32 v[2:3], v[52:53], v[60:61]
	ds_load_2addr_b64 v[46:49], v58 offset0:15 offset1:16
	ds_load_2addr_b64 v[50:53], v58 offset0:17 offset1:18
	s_wait_dscnt 0x1
	v_fmac_f64_e32 v[2:3], v[46:47], v[62:63]
	ds_load_b128 v[54:57], v1 offset:288
	ds_load_b64 v[46:47], v1 offset:304
	s_wait_dscnt 0x1
	v_fmac_f64_e32 v[2:3], v[48:49], v[54:55]
	s_delay_alu instid0(VALU_DEP_1) | instskip(SKIP_1) | instid1(VALU_DEP_1)
	v_fmac_f64_e32 v[2:3], v[50:51], v[56:57]
	s_wait_dscnt 0x0
	v_fmac_f64_e32 v[2:3], v[52:53], v[46:47]
	s_delay_alu instid0(VALU_DEP_1)
	v_add_f64_e64 v[2:3], v[44:45], -v[2:3]
	ds_store_b64 v58, v[2:3] offset:24
	v_cmpx_lt_u32_e32 2, v42
	s_cbranch_execz .LBB82_119
; %bb.118:
	ds_load_b64 v[2:3], v58 offset:16
	v_mov_b64_e32 v[44:45], 0
	s_wait_dscnt 0x0
	ds_store_b64 v0, v[2:3]
	ds_store_b64 v58, v[44:45] offset:16
.LBB82_119:
	s_or_b32 exec_lo, exec_lo, s0
	s_wait_dscnt 0x0
	s_barrier_signal -1
	s_barrier_wait -1
	ds_load_2addr_b64 v[44:47], v1 offset0:23 offset1:24
	ds_load_b128 v[48:51], v58 offset:16
	ds_load_b128 v[52:55], v58 offset:32
	ds_load_2addr_b64 v[60:63], v1 offset0:25 offset1:26
	s_mov_b32 s0, exec_lo
	s_wait_dscnt 0x2
	v_fma_f64 v[2:3], v[50:51], v[44:45], 0
	s_wait_dscnt 0x1
	s_delay_alu instid0(VALU_DEP_1)
	v_fmac_f64_e32 v[2:3], v[52:53], v[46:47]
	ds_load_b128 v[44:47], v58 offset:48
	ds_load_b128 v[50:53], v58 offset:64
	s_wait_dscnt 0x2
	v_fmac_f64_e32 v[2:3], v[54:55], v[60:61]
	s_wait_dscnt 0x1
	s_delay_alu instid0(VALU_DEP_1) | instskip(SKIP_4) | instid1(VALU_DEP_1)
	v_fmac_f64_e32 v[2:3], v[44:45], v[62:63]
	ds_load_2addr_b64 v[54:57], v1 offset0:27 offset1:28
	ds_load_2addr_b64 v[60:63], v1 offset0:29 offset1:30
	s_wait_dscnt 0x1
	v_fmac_f64_e32 v[2:3], v[46:47], v[54:55]
	v_fmac_f64_e32 v[2:3], v[50:51], v[56:57]
	s_wait_dscnt 0x0
	s_delay_alu instid0(VALU_DEP_1)
	v_fmac_f64_e32 v[2:3], v[52:53], v[60:61]
	ds_load_b128 v[44:47], v58 offset:80
	ds_load_b128 v[50:53], v58 offset:96
	s_wait_dscnt 0x1
	v_fmac_f64_e32 v[2:3], v[44:45], v[62:63]
	ds_load_2addr_b64 v[54:57], v1 offset0:31 offset1:32
	ds_load_2addr_b64 v[60:63], v1 offset0:33 offset1:34
	s_wait_dscnt 0x1
	v_fmac_f64_e32 v[2:3], v[46:47], v[54:55]
	s_delay_alu instid0(VALU_DEP_1) | instskip(SKIP_1) | instid1(VALU_DEP_1)
	v_fmac_f64_e32 v[2:3], v[50:51], v[56:57]
	s_wait_dscnt 0x0
	v_fmac_f64_e32 v[2:3], v[52:53], v[60:61]
	ds_load_b128 v[44:47], v58 offset:112
	ds_load_b128 v[50:53], v58 offset:128
	s_wait_dscnt 0x1
	v_fmac_f64_e32 v[2:3], v[44:45], v[62:63]
	ds_load_2addr_b64 v[54:57], v1 offset0:35 offset1:36
	ds_load_2addr_b64 v[60:63], v1 offset0:37 offset1:38
	ds_load_b64 v[44:45], v58 offset:144
	s_wait_dscnt 0x2
	v_fmac_f64_e32 v[2:3], v[46:47], v[54:55]
	s_delay_alu instid0(VALU_DEP_1) | instskip(SKIP_1) | instid1(VALU_DEP_1)
	v_fmac_f64_e32 v[2:3], v[50:51], v[56:57]
	s_wait_dscnt 0x1
	v_fmac_f64_e32 v[2:3], v[52:53], v[60:61]
	s_wait_dscnt 0x0
	s_delay_alu instid0(VALU_DEP_1) | instskip(NEXT) | instid1(VALU_DEP_1)
	v_fmac_f64_e32 v[2:3], v[44:45], v[62:63]
	v_add_f64_e64 v[2:3], v[48:49], -v[2:3]
	ds_store_b64 v58, v[2:3] offset:16
	v_cmpx_lt_u32_e32 1, v42
	s_cbranch_execz .LBB82_121
; %bb.120:
	ds_load_b64 v[2:3], v58 offset:8
	v_mov_b64_e32 v[44:45], 0
	s_wait_dscnt 0x0
	ds_store_b64 v0, v[2:3]
	ds_store_b64 v58, v[44:45] offset:8
.LBB82_121:
	s_or_b32 exec_lo, exec_lo, s0
	v_mov_b32_e32 v43, 0
	s_wait_dscnt 0x0
	s_barrier_signal -1
	s_barrier_wait -1
	ds_load_2addr_b64 v[44:47], v58 offset0:1 offset1:2
	ds_load_b128 v[48:51], v43 offset:176
	ds_load_b128 v[52:55], v43 offset:192
	ds_load_2addr_b64 v[60:63], v58 offset0:3 offset1:4
	v_dual_ashrrev_i32 v9, 31, v8 :: v_dual_ashrrev_i32 v11, 31, v10
	v_dual_ashrrev_i32 v13, 31, v12 :: v_dual_ashrrev_i32 v15, 31, v14
	;; [unrolled: 1-line block ×8, first 2 shown]
	v_ashrrev_i32_e32 v41, 31, v40
	s_wait_dscnt 0x2
	v_fma_f64 v[2:3], v[46:47], v[48:49], 0
	s_mov_b32 s0, exec_lo
	s_wait_dscnt 0x0
	s_delay_alu instid0(VALU_DEP_1) | instskip(NEXT) | instid1(VALU_DEP_1)
	v_fmac_f64_e32 v[2:3], v[60:61], v[50:51]
	v_fmac_f64_e32 v[2:3], v[62:63], v[52:53]
	ds_load_2addr_b64 v[46:49], v58 offset0:5 offset1:6
	ds_load_2addr_b64 v[50:53], v58 offset0:7 offset1:8
	s_wait_dscnt 0x1
	v_fmac_f64_e32 v[2:3], v[46:47], v[54:55]
	ds_load_b128 v[54:57], v43 offset:208
	ds_load_b128 v[60:63], v43 offset:224
	s_wait_dscnt 0x1
	v_fmac_f64_e32 v[2:3], v[48:49], v[54:55]
	s_delay_alu instid0(VALU_DEP_1) | instskip(SKIP_1) | instid1(VALU_DEP_1)
	v_fmac_f64_e32 v[2:3], v[50:51], v[56:57]
	s_wait_dscnt 0x0
	v_fmac_f64_e32 v[2:3], v[52:53], v[60:61]
	ds_load_2addr_b64 v[46:49], v58 offset0:9 offset1:10
	ds_load_2addr_b64 v[50:53], v58 offset0:11 offset1:12
	s_wait_dscnt 0x1
	v_fmac_f64_e32 v[2:3], v[46:47], v[62:63]
	ds_load_b128 v[54:57], v43 offset:240
	ds_load_b128 v[60:63], v43 offset:256
	s_wait_dscnt 0x1
	v_fmac_f64_e32 v[2:3], v[48:49], v[54:55]
	s_delay_alu instid0(VALU_DEP_1) | instskip(SKIP_1) | instid1(VALU_DEP_1)
	v_fmac_f64_e32 v[2:3], v[50:51], v[56:57]
	s_wait_dscnt 0x0
	v_fmac_f64_e32 v[2:3], v[52:53], v[60:61]
	ds_load_2addr_b64 v[46:49], v58 offset0:13 offset1:14
	ds_load_2addr_b64 v[50:53], v58 offset0:15 offset1:16
	s_wait_dscnt 0x1
	v_fmac_f64_e32 v[2:3], v[46:47], v[62:63]
	ds_load_b128 v[54:57], v43 offset:272
	ds_load_b128 v[60:63], v43 offset:288
	s_wait_dscnt 0x1
	v_fmac_f64_e32 v[2:3], v[48:49], v[54:55]
	ds_load_2addr_b64 v[46:49], v58 offset0:17 offset1:18
	v_fmac_f64_e32 v[2:3], v[50:51], v[56:57]
	s_wait_dscnt 0x1
	s_delay_alu instid0(VALU_DEP_1) | instskip(SKIP_1) | instid1(VALU_DEP_1)
	v_fmac_f64_e32 v[2:3], v[52:53], v[60:61]
	s_wait_dscnt 0x0
	v_fmac_f64_e32 v[2:3], v[46:47], v[62:63]
	ds_load_b64 v[46:47], v43 offset:304
	s_wait_dscnt 0x0
	v_fmac_f64_e32 v[2:3], v[48:49], v[46:47]
	s_delay_alu instid0(VALU_DEP_1)
	v_add_f64_e64 v[2:3], v[44:45], -v[2:3]
	ds_store_b64 v58, v[2:3] offset:8
	v_cmpx_ne_u32_e32 0, v42
	s_cbranch_execz .LBB82_123
; %bb.122:
	ds_load_b64 v[2:3], v58
	v_mov_b64_e32 v[44:45], 0
	s_wait_dscnt 0x0
	ds_store_b64 v0, v[2:3]
	ds_store_b64 v58, v[44:45]
.LBB82_123:
	s_or_b32 exec_lo, exec_lo, s0
	s_wait_dscnt 0x0
	s_barrier_signal -1
	s_barrier_wait -1
	ds_load_2addr_b64 v[0:3], v43 offset0:21 offset1:22
	ds_load_b128 v[44:47], v58
	ds_load_b128 v[48:51], v58 offset:16
	ds_load_2addr_b64 v[52:55], v43 offset0:23 offset1:24
	s_and_b32 vcc_lo, exec_lo, s14
	s_wait_dscnt 0x2
	v_fma_f64 v[60:61], v[46:47], v[0:1], 0
	s_wait_dscnt 0x1
	s_delay_alu instid0(VALU_DEP_1)
	v_fmac_f64_e32 v[60:61], v[48:49], v[2:3]
	ds_load_b128 v[0:3], v58 offset:32
	ds_load_b128 v[46:49], v58 offset:48
	s_wait_dscnt 0x2
	v_fmac_f64_e32 v[60:61], v[50:51], v[52:53]
	s_wait_dscnt 0x1
	s_delay_alu instid0(VALU_DEP_1) | instskip(SKIP_4) | instid1(VALU_DEP_1)
	v_fmac_f64_e32 v[60:61], v[0:1], v[54:55]
	ds_load_2addr_b64 v[50:53], v43 offset0:25 offset1:26
	ds_load_2addr_b64 v[54:57], v43 offset0:27 offset1:28
	s_wait_dscnt 0x1
	v_fmac_f64_e32 v[60:61], v[2:3], v[50:51]
	v_fmac_f64_e32 v[60:61], v[46:47], v[52:53]
	s_wait_dscnt 0x0
	s_delay_alu instid0(VALU_DEP_1)
	v_fmac_f64_e32 v[60:61], v[48:49], v[54:55]
	ds_load_b128 v[0:3], v58 offset:64
	ds_load_b128 v[46:49], v58 offset:80
	s_wait_dscnt 0x1
	v_fmac_f64_e32 v[60:61], v[0:1], v[56:57]
	ds_load_2addr_b64 v[50:53], v43 offset0:29 offset1:30
	ds_load_2addr_b64 v[54:57], v43 offset0:31 offset1:32
	s_wait_dscnt 0x1
	v_fmac_f64_e32 v[60:61], v[2:3], v[50:51]
	s_delay_alu instid0(VALU_DEP_1) | instskip(SKIP_1) | instid1(VALU_DEP_1)
	v_fmac_f64_e32 v[60:61], v[46:47], v[52:53]
	s_wait_dscnt 0x0
	v_fmac_f64_e32 v[60:61], v[48:49], v[54:55]
	ds_load_b128 v[0:3], v58 offset:96
	ds_load_b128 v[46:49], v58 offset:112
	s_wait_dscnt 0x1
	v_fmac_f64_e32 v[60:61], v[0:1], v[56:57]
	ds_load_2addr_b64 v[50:53], v43 offset0:33 offset1:34
	ds_load_2addr_b64 v[54:57], v43 offset0:35 offset1:36
	s_wait_dscnt 0x1
	v_fmac_f64_e32 v[60:61], v[2:3], v[50:51]
	ds_load_b128 v[0:3], v58 offset:128
	ds_load_b64 v[50:51], v58 offset:144
	v_fmac_f64_e32 v[60:61], v[46:47], v[52:53]
	s_wait_dscnt 0x2
	s_delay_alu instid0(VALU_DEP_1) | instskip(SKIP_4) | instid1(VALU_DEP_1)
	v_fmac_f64_e32 v[60:61], v[48:49], v[54:55]
	ds_load_2addr_b64 v[46:49], v43 offset0:37 offset1:38
	s_wait_dscnt 0x2
	v_fmac_f64_e32 v[60:61], v[0:1], v[56:57]
	s_wait_dscnt 0x0
	v_fmac_f64_e32 v[60:61], v[2:3], v[46:47]
	s_delay_alu instid0(VALU_DEP_1) | instskip(NEXT) | instid1(VALU_DEP_1)
	v_fmac_f64_e32 v[60:61], v[50:51], v[48:49]
	v_add_f64_e64 v[0:1], v[44:45], -v[60:61]
	ds_store_b64 v58, v[0:1]
	s_cbranch_vccz .LBB82_160
; %bb.124:
	v_mov_b32_e32 v0, 0
	global_load_b32 v1, v0, s[8:9] offset:68
	s_wait_loadcnt 0x0
	v_add_nc_u32_e32 v1, -1, v1
	s_delay_alu instid0(VALU_DEP_1)
	v_cmp_ne_u32_e32 vcc_lo, 17, v1
	s_cbranch_vccz .LBB82_126
; %bb.125:
	v_lshl_add_u32 v1, v1, 3, v58
	ds_load_b64 v[42:43], v1
	s_wait_dscnt 0x0
	ds_store_b64 v58, v[42:43] offset:136
	ds_store_b64 v1, v[2:3]
.LBB82_126:
	global_load_b32 v0, v0, s[8:9] offset:64
	s_wait_loadcnt 0x0
	v_add_nc_u32_e32 v0, -1, v0
	s_delay_alu instid0(VALU_DEP_1)
	v_cmp_eq_u32_e32 vcc_lo, 16, v0
	s_cbranch_vccnz .LBB82_128
; %bb.127:
	v_lshl_add_u32 v42, v0, 3, v58
	ds_load_b64 v[0:1], v42
	ds_load_b64 v[2:3], v58 offset:128
	s_wait_dscnt 0x1
	ds_store_b64 v58, v[0:1] offset:128
	s_wait_dscnt 0x1
	ds_store_b64 v42, v[2:3]
.LBB82_128:
	v_mov_b32_e32 v0, 0
	global_load_b32 v1, v0, s[8:9] offset:60
	s_wait_loadcnt 0x0
	v_add_nc_u32_e32 v1, -1, v1
	s_delay_alu instid0(VALU_DEP_1)
	v_cmp_eq_u32_e32 vcc_lo, 15, v1
	s_cbranch_vccnz .LBB82_130
; %bb.129:
	v_lshl_add_u32 v1, v1, 3, v58
	ds_load_b64 v[2:3], v1
	ds_load_b64 v[42:43], v58 offset:120
	s_wait_dscnt 0x1
	ds_store_b64 v58, v[2:3] offset:120
	s_wait_dscnt 0x1
	ds_store_b64 v1, v[42:43]
.LBB82_130:
	global_load_b32 v0, v0, s[8:9] offset:56
	s_wait_loadcnt 0x0
	v_add_nc_u32_e32 v0, -1, v0
	s_delay_alu instid0(VALU_DEP_1)
	v_cmp_eq_u32_e32 vcc_lo, 14, v0
	s_cbranch_vccnz .LBB82_132
; %bb.131:
	v_lshl_add_u32 v42, v0, 3, v58
	ds_load_b64 v[0:1], v42
	ds_load_b64 v[2:3], v58 offset:112
	s_wait_dscnt 0x1
	ds_store_b64 v58, v[0:1] offset:112
	s_wait_dscnt 0x1
	ds_store_b64 v42, v[2:3]
.LBB82_132:
	v_mov_b32_e32 v0, 0
	global_load_b32 v1, v0, s[8:9] offset:52
	s_wait_loadcnt 0x0
	v_add_nc_u32_e32 v1, -1, v1
	s_delay_alu instid0(VALU_DEP_1)
	v_cmp_eq_u32_e32 vcc_lo, 13, v1
	s_cbranch_vccnz .LBB82_134
; %bb.133:
	v_lshl_add_u32 v1, v1, 3, v58
	ds_load_b64 v[2:3], v1
	ds_load_b64 v[42:43], v58 offset:104
	s_wait_dscnt 0x1
	ds_store_b64 v58, v[2:3] offset:104
	s_wait_dscnt 0x1
	ds_store_b64 v1, v[42:43]
.LBB82_134:
	;; [unrolled: 31-line block ×8, first 2 shown]
	global_load_b32 v2, v0, s[8:9]
	s_wait_xcnt 0x0
	ds_load_b64 v[0:1], v58
	s_wait_loadcnt 0x0
	v_add_nc_u32_e32 v2, -1, v2
	s_delay_alu instid0(VALU_DEP_1)
	v_cmp_eq_u32_e32 vcc_lo, 0, v2
	s_cbranch_vccnz .LBB82_160
; %bb.159:
	v_lshl_add_u32 v42, v2, 3, v58
	ds_load_b64 v[2:3], v42
	s_wait_dscnt 0x0
	ds_store_b64 v58, v[2:3]
	ds_store_b64 v42, v[0:1]
	ds_load_b64 v[0:1], v58
.LBB82_160:
	s_wait_dscnt 0x0
	flat_store_b64 v[4:5], v[0:1]
	s_wait_xcnt 0x0
	ds_load_b64 v[0:1], v58 offset:8
	v_lshl_add_u64 v[56:57], v[8:9], 3, s[2:3]
	v_lshl_add_u64 v[54:55], v[10:11], 3, s[2:3]
	;; [unrolled: 1-line block ×17, first 2 shown]
	s_wait_dscnt 0x0
	flat_store_b64 v[6:7], v[0:1]
	s_wait_xcnt 0x0
	ds_load_b64 v[0:1], v58 offset:16
	s_wait_dscnt 0x0
	flat_store_b64 v[56:57], v[0:1]
	s_wait_xcnt 0x0
	ds_load_b64 v[0:1], v58 offset:24
	;; [unrolled: 4-line block ×17, first 2 shown]
	s_wait_dscnt 0x0
	flat_store_b64 v[2:3], v[0:1]
	s_endpgm
	.section	.rodata,"a",@progbits
	.p2align	6, 0x0
	.amdhsa_kernel _ZN9rocsolver6v33100L18getri_kernel_smallILi19EdPKPdEEvT1_iilPiilS6_bb
		.amdhsa_group_segment_fixed_size 10048
		.amdhsa_private_segment_fixed_size 0
		.amdhsa_kernarg_size 60
		.amdhsa_user_sgpr_count 4
		.amdhsa_user_sgpr_dispatch_ptr 1
		.amdhsa_user_sgpr_queue_ptr 0
		.amdhsa_user_sgpr_kernarg_segment_ptr 1
		.amdhsa_user_sgpr_dispatch_id 0
		.amdhsa_user_sgpr_kernarg_preload_length 0
		.amdhsa_user_sgpr_kernarg_preload_offset 0
		.amdhsa_user_sgpr_private_segment_size 0
		.amdhsa_wavefront_size32 1
		.amdhsa_uses_dynamic_stack 0
		.amdhsa_enable_private_segment 0
		.amdhsa_system_sgpr_workgroup_id_x 1
		.amdhsa_system_sgpr_workgroup_id_y 0
		.amdhsa_system_sgpr_workgroup_id_z 0
		.amdhsa_system_sgpr_workgroup_info 0
		.amdhsa_system_vgpr_workitem_id 2
		.amdhsa_next_free_vgpr 64
		.amdhsa_next_free_sgpr 19
		.amdhsa_named_barrier_count 0
		.amdhsa_reserve_vcc 1
		.amdhsa_float_round_mode_32 0
		.amdhsa_float_round_mode_16_64 0
		.amdhsa_float_denorm_mode_32 3
		.amdhsa_float_denorm_mode_16_64 3
		.amdhsa_fp16_overflow 0
		.amdhsa_memory_ordered 1
		.amdhsa_forward_progress 1
		.amdhsa_inst_pref_size 89
		.amdhsa_round_robin_scheduling 0
		.amdhsa_exception_fp_ieee_invalid_op 0
		.amdhsa_exception_fp_denorm_src 0
		.amdhsa_exception_fp_ieee_div_zero 0
		.amdhsa_exception_fp_ieee_overflow 0
		.amdhsa_exception_fp_ieee_underflow 0
		.amdhsa_exception_fp_ieee_inexact 0
		.amdhsa_exception_int_div_zero 0
	.end_amdhsa_kernel
	.section	.text._ZN9rocsolver6v33100L18getri_kernel_smallILi19EdPKPdEEvT1_iilPiilS6_bb,"axG",@progbits,_ZN9rocsolver6v33100L18getri_kernel_smallILi19EdPKPdEEvT1_iilPiilS6_bb,comdat
.Lfunc_end82:
	.size	_ZN9rocsolver6v33100L18getri_kernel_smallILi19EdPKPdEEvT1_iilPiilS6_bb, .Lfunc_end82-_ZN9rocsolver6v33100L18getri_kernel_smallILi19EdPKPdEEvT1_iilPiilS6_bb
                                        ; -- End function
	.set _ZN9rocsolver6v33100L18getri_kernel_smallILi19EdPKPdEEvT1_iilPiilS6_bb.num_vgpr, 64
	.set _ZN9rocsolver6v33100L18getri_kernel_smallILi19EdPKPdEEvT1_iilPiilS6_bb.num_agpr, 0
	.set _ZN9rocsolver6v33100L18getri_kernel_smallILi19EdPKPdEEvT1_iilPiilS6_bb.numbered_sgpr, 19
	.set _ZN9rocsolver6v33100L18getri_kernel_smallILi19EdPKPdEEvT1_iilPiilS6_bb.num_named_barrier, 0
	.set _ZN9rocsolver6v33100L18getri_kernel_smallILi19EdPKPdEEvT1_iilPiilS6_bb.private_seg_size, 0
	.set _ZN9rocsolver6v33100L18getri_kernel_smallILi19EdPKPdEEvT1_iilPiilS6_bb.uses_vcc, 1
	.set _ZN9rocsolver6v33100L18getri_kernel_smallILi19EdPKPdEEvT1_iilPiilS6_bb.uses_flat_scratch, 0
	.set _ZN9rocsolver6v33100L18getri_kernel_smallILi19EdPKPdEEvT1_iilPiilS6_bb.has_dyn_sized_stack, 0
	.set _ZN9rocsolver6v33100L18getri_kernel_smallILi19EdPKPdEEvT1_iilPiilS6_bb.has_recursion, 0
	.set _ZN9rocsolver6v33100L18getri_kernel_smallILi19EdPKPdEEvT1_iilPiilS6_bb.has_indirect_call, 0
	.section	.AMDGPU.csdata,"",@progbits
; Kernel info:
; codeLenInByte = 11312
; TotalNumSgprs: 21
; NumVgprs: 64
; ScratchSize: 0
; MemoryBound: 0
; FloatMode: 240
; IeeeMode: 1
; LDSByteSize: 10048 bytes/workgroup (compile time only)
; SGPRBlocks: 0
; VGPRBlocks: 3
; NumSGPRsForWavesPerEU: 21
; NumVGPRsForWavesPerEU: 64
; NamedBarCnt: 0
; Occupancy: 8
; WaveLimiterHint : 1
; COMPUTE_PGM_RSRC2:SCRATCH_EN: 0
; COMPUTE_PGM_RSRC2:USER_SGPR: 4
; COMPUTE_PGM_RSRC2:TRAP_HANDLER: 0
; COMPUTE_PGM_RSRC2:TGID_X_EN: 1
; COMPUTE_PGM_RSRC2:TGID_Y_EN: 0
; COMPUTE_PGM_RSRC2:TGID_Z_EN: 0
; COMPUTE_PGM_RSRC2:TIDIG_COMP_CNT: 2
	.section	.text._ZN9rocsolver6v33100L18getri_kernel_smallILi20EdPKPdEEvT1_iilPiilS6_bb,"axG",@progbits,_ZN9rocsolver6v33100L18getri_kernel_smallILi20EdPKPdEEvT1_iilPiilS6_bb,comdat
	.globl	_ZN9rocsolver6v33100L18getri_kernel_smallILi20EdPKPdEEvT1_iilPiilS6_bb ; -- Begin function _ZN9rocsolver6v33100L18getri_kernel_smallILi20EdPKPdEEvT1_iilPiilS6_bb
	.p2align	8
	.type	_ZN9rocsolver6v33100L18getri_kernel_smallILi20EdPKPdEEvT1_iilPiilS6_bb,@function
_ZN9rocsolver6v33100L18getri_kernel_smallILi20EdPKPdEEvT1_iilPiilS6_bb: ; @_ZN9rocsolver6v33100L18getri_kernel_smallILi20EdPKPdEEvT1_iilPiilS6_bb
; %bb.0:
	s_mov_b32 s2, exec_lo
	v_cmpx_gt_u32_e32 20, v0
	s_cbranch_execz .LBB83_90
; %bb.1:
	s_clause 0x1
	s_load_b32 s13, s[0:1], 0x38
	s_load_b64 s[2:3], s[0:1], 0x0
	s_getreg_b32 s6, hwreg(HW_REG_IB_STS2, 6, 4)
	s_wait_kmcnt 0x0
	s_bitcmp1_b32 s13, 8
	s_cselect_b32 s12, -1, 0
	s_bfe_u32 s4, ttmp6, 0x4000c
	s_and_b32 s5, ttmp6, 15
	s_add_co_i32 s4, s4, 1
	s_delay_alu instid0(SALU_CYCLE_1) | instskip(NEXT) | instid1(SALU_CYCLE_1)
	s_mul_i32 s4, ttmp9, s4
	s_add_co_i32 s5, s5, s4
	s_cmp_eq_u32 s6, 0
	s_cselect_b32 s10, ttmp9, s5
	s_load_b128 s[4:7], s[0:1], 0x28
	s_ashr_i32 s11, s10, 31
	s_delay_alu instid0(SALU_CYCLE_1) | instskip(NEXT) | instid1(SALU_CYCLE_1)
	s_lshl_b64 s[8:9], s[10:11], 3
	s_add_nc_u64 s[2:3], s[2:3], s[8:9]
	s_bfe_u32 s8, s13, 0x10008
	s_load_b64 s[2:3], s[2:3], 0x0
	s_cmp_eq_u32 s8, 0
                                        ; implicit-def: $sgpr8_sgpr9
	s_cbranch_scc1 .LBB83_3
; %bb.2:
	s_load_b96 s[16:18], s[0:1], 0x18
	s_wait_kmcnt 0x0
	s_mul_u64 s[4:5], s[4:5], s[10:11]
	s_delay_alu instid0(SALU_CYCLE_1) | instskip(SKIP_4) | instid1(SALU_CYCLE_1)
	s_lshl_b64 s[4:5], s[4:5], 2
	s_ashr_i32 s9, s18, 31
	s_mov_b32 s8, s18
	s_add_nc_u64 s[4:5], s[16:17], s[4:5]
	s_lshl_b64 s[8:9], s[8:9], 2
	s_add_nc_u64 s[8:9], s[4:5], s[8:9]
.LBB83_3:
	s_wait_kmcnt 0x0
	s_clause 0x1
	s_load_b64 s[4:5], s[0:1], 0x8
	s_load_b32 s13, s[0:1], 0x38
	v_dual_mov_b32 v3, 0 :: v_dual_lshlrev_b32 v2, 3, v0
	s_wait_kmcnt 0x0
	s_ashr_i32 s1, s4, 31
	s_mov_b32 s0, s4
	s_delay_alu instid0(SALU_CYCLE_1) | instskip(NEXT) | instid1(SALU_CYCLE_1)
	s_lshl_b64 s[0:1], s[0:1], 3
	s_add_nc_u64 s[2:3], s[2:3], s[0:1]
	s_ashr_i32 s1, s5, 31
	flat_load_b64 v[8:9], v0, s[2:3] scale_offset
	v_add_nc_u64_e32 v[4:5], s[2:3], v[2:3]
	s_mov_b32 s0, s5
	s_bitcmp0_b32 s13, 0
	s_delay_alu instid0(VALU_DEP_1)
	v_lshl_add_u64 v[6:7], s[0:1], 3, v[4:5]
	s_mov_b32 s1, -1
	s_wait_loadcnt_dscnt 0x0
	scratch_store_b64 off, v[8:9], off
	flat_load_b64 v[10:11], v[6:7]
	s_wait_xcnt 0x1
	v_add3_u32 v8, s5, s5, v0
	s_wait_loadcnt_dscnt 0x0
	scratch_store_b64 off, v[10:11], off offset:8
	flat_load_b64 v[12:13], v8, s[2:3] scale_offset
	s_wait_xcnt 0x1
	v_add_nc_u32_e32 v10, s5, v8
	s_wait_loadcnt_dscnt 0x0
	scratch_store_b64 off, v[12:13], off offset:16
	flat_load_b64 v[14:15], v10, s[2:3] scale_offset
	s_wait_xcnt 0x1
	v_add_nc_u32_e32 v12, s5, v10
	;; [unrolled: 5-line block ×17, first 2 shown]
	s_wait_loadcnt_dscnt 0x0
	scratch_store_b64 off, v[44:45], off offset:144
	flat_load_b64 v[44:45], v42, s[2:3] scale_offset
	s_wait_loadcnt_dscnt 0x0
	scratch_store_b64 off, v[44:45], off offset:152
	s_cbranch_scc1 .LBB83_88
; %bb.4:
	v_cmp_eq_u32_e64 s0, 0, v0
	s_wait_xcnt 0x0
	s_and_saveexec_b32 s1, s0
; %bb.5:
	v_mov_b32_e32 v1, 0
	ds_store_b32 v1, v1 offset:320
; %bb.6:
	s_or_b32 exec_lo, exec_lo, s1
	s_wait_storecnt_dscnt 0x0
	s_barrier_signal -1
	s_barrier_wait -1
	scratch_load_b64 v[44:45], v0, off scale_offset
	s_mov_b32 s4, exec_lo
	s_wait_loadcnt 0x0
	v_cmpx_eq_f64_e32 0, v[44:45]
	s_cbranch_execz .LBB83_10
; %bb.7:
	v_mov_b32_e32 v1, 0
	s_mov_b32 s5, 0
	ds_load_b32 v3, v1 offset:320
	s_wait_dscnt 0x0
	v_readfirstlane_b32 s1, v3
	v_add_nc_u32_e32 v3, 1, v0
	s_cmp_eq_u32 s1, 0
	s_delay_alu instid0(VALU_DEP_1) | instskip(SKIP_1) | instid1(SALU_CYCLE_1)
	v_cmp_gt_i32_e32 vcc_lo, s1, v3
	s_cselect_b32 s13, -1, 0
	s_or_b32 s13, s13, vcc_lo
	s_delay_alu instid0(SALU_CYCLE_1)
	s_and_b32 exec_lo, exec_lo, s13
	s_cbranch_execz .LBB83_10
; %bb.8:
	v_mov_b32_e32 v9, s1
.LBB83_9:                               ; =>This Inner Loop Header: Depth=1
	ds_cmpstore_rtn_b32 v9, v1, v3, v9 offset:320
	s_wait_dscnt 0x0
	v_cmp_ne_u32_e32 vcc_lo, 0, v9
	v_cmp_le_i32_e64 s1, v9, v3
	s_and_b32 s1, vcc_lo, s1
	s_delay_alu instid0(SALU_CYCLE_1) | instskip(NEXT) | instid1(SALU_CYCLE_1)
	s_and_b32 s1, exec_lo, s1
	s_or_b32 s5, s1, s5
	s_delay_alu instid0(SALU_CYCLE_1)
	s_and_not1_b32 exec_lo, exec_lo, s5
	s_cbranch_execnz .LBB83_9
.LBB83_10:
	s_or_b32 exec_lo, exec_lo, s4
	v_mov_b32_e32 v1, 0
	s_barrier_signal -1
	s_barrier_wait -1
	ds_load_b32 v3, v1 offset:320
	s_and_saveexec_b32 s1, s0
	s_cbranch_execz .LBB83_12
; %bb.11:
	s_lshl_b64 s[4:5], s[10:11], 2
	s_delay_alu instid0(SALU_CYCLE_1)
	s_add_nc_u64 s[4:5], s[6:7], s[4:5]
	s_wait_dscnt 0x0
	global_store_b32 v1, v3, s[4:5]
.LBB83_12:
	s_wait_xcnt 0x0
	s_or_b32 exec_lo, exec_lo, s1
	s_wait_dscnt 0x0
	v_cmp_ne_u32_e32 vcc_lo, 0, v3
	s_mov_b32 s1, 0
	s_cbranch_vccnz .LBB83_88
; %bb.13:
	v_lshl_add_u32 v3, v0, 3, 0
	v_add_nc_u32_e32 v1, 0xa0, v2
	scratch_load_b64 v[44:45], v3, off
	s_wait_loadcnt 0x0
	v_div_scale_f64 v[46:47], null, v[44:45], v[44:45], 1.0
	v_div_scale_f64 v[52:53], vcc_lo, 1.0, v[44:45], 1.0
	s_delay_alu instid0(VALU_DEP_2) | instskip(SKIP_1) | instid1(TRANS32_DEP_1)
	v_rcp_f64_e32 v[48:49], v[46:47]
	v_nop
	v_fma_f64 v[50:51], -v[46:47], v[48:49], 1.0
	s_delay_alu instid0(VALU_DEP_1) | instskip(NEXT) | instid1(VALU_DEP_1)
	v_fmac_f64_e32 v[48:49], v[48:49], v[50:51]
	v_fma_f64 v[50:51], -v[46:47], v[48:49], 1.0
	s_delay_alu instid0(VALU_DEP_1) | instskip(NEXT) | instid1(VALU_DEP_1)
	v_fmac_f64_e32 v[48:49], v[48:49], v[50:51]
	v_mul_f64_e32 v[50:51], v[52:53], v[48:49]
	s_delay_alu instid0(VALU_DEP_1) | instskip(NEXT) | instid1(VALU_DEP_1)
	v_fma_f64 v[46:47], -v[46:47], v[50:51], v[52:53]
	v_div_fmas_f64 v[46:47], v[46:47], v[48:49], v[50:51]
	s_delay_alu instid0(VALU_DEP_1)
	v_div_fixup_f64 v[44:45], v[46:47], v[44:45], 1.0
	scratch_store_b64 v3, v[44:45], off
	scratch_load_b64 v[46:47], off, off offset:8
	s_wait_xcnt 0x1
	v_xor_b32_e32 v45, 0x80000000, v45
	s_wait_loadcnt 0x0
	ds_store_2addr_b64 v2, v[44:45], v[46:47] offset1:20
	s_wait_storecnt_dscnt 0x0
	s_barrier_signal -1
	s_barrier_wait -1
	s_wait_xcnt 0x0
	s_and_saveexec_b32 s1, s0
	s_cbranch_execz .LBB83_15
; %bb.14:
	scratch_load_b64 v[44:45], v3, off
	ds_load_b64 v[46:47], v1
	s_wait_loadcnt_dscnt 0x0
	v_fma_f64 v[44:45], v[44:45], v[46:47], 0
	v_mov_b32_e32 v9, 0
	ds_load_b64 v[48:49], v9 offset:8
	s_wait_dscnt 0x0
	v_mul_f64_e32 v[44:45], v[44:45], v[48:49]
	scratch_store_b64 off, v[44:45], off offset:8
.LBB83_15:
	s_wait_xcnt 0x0
	s_or_b32 exec_lo, exec_lo, s1
	s_wait_storecnt 0x0
	s_barrier_signal -1
	s_barrier_wait -1
	scratch_load_b64 v[44:45], off, off offset:16
	s_mov_b32 s1, exec_lo
	s_wait_loadcnt 0x0
	ds_store_b64 v1, v[44:45]
	s_wait_dscnt 0x0
	s_barrier_signal -1
	s_barrier_wait -1
	v_cmpx_gt_u32_e32 2, v0
	s_cbranch_execz .LBB83_19
; %bb.16:
	scratch_load_b64 v[44:45], v3, off
	ds_load_b64 v[46:47], v1
	s_wait_loadcnt_dscnt 0x0
	v_fma_f64 v[44:45], v[44:45], v[46:47], 0
	s_and_saveexec_b32 s4, s0
	s_cbranch_execz .LBB83_18
; %bb.17:
	scratch_load_b64 v[46:47], off, off offset:8
	v_mov_b32_e32 v3, 0
	ds_load_b64 v[48:49], v3 offset:168
	s_wait_loadcnt_dscnt 0x0
	v_fmac_f64_e32 v[44:45], v[46:47], v[48:49]
.LBB83_18:
	s_or_b32 exec_lo, exec_lo, s4
	v_mov_b32_e32 v3, 0
	ds_load_b64 v[46:47], v3 offset:16
	s_wait_dscnt 0x0
	v_mul_f64_e32 v[44:45], v[44:45], v[46:47]
	scratch_store_b64 off, v[44:45], off offset:16
.LBB83_19:
	s_wait_xcnt 0x0
	s_or_b32 exec_lo, exec_lo, s1
	s_wait_storecnt 0x0
	s_barrier_signal -1
	s_barrier_wait -1
	scratch_load_b64 v[44:45], off, off offset:24
	v_add_nc_u32_e32 v3, -1, v0
	s_mov_b32 s0, exec_lo
	s_wait_loadcnt 0x0
	ds_store_b64 v1, v[44:45]
	s_wait_dscnt 0x0
	s_barrier_signal -1
	s_barrier_wait -1
	v_cmpx_gt_u32_e32 3, v0
	s_cbranch_execz .LBB83_23
; %bb.20:
	v_mov_b64_e32 v[44:45], 0
	v_dual_add_nc_u32 v9, -1, v0 :: v_dual_mov_b32 v13, v2
	v_add_nc_u32_e32 v11, 0xa0, v2
	s_mov_b32 s1, 0
.LBB83_21:                              ; =>This Inner Loop Header: Depth=1
	scratch_load_b64 v[46:47], v13, off
	ds_load_b64 v[48:49], v11
	v_dual_add_nc_u32 v9, 1, v9 :: v_dual_add_nc_u32 v11, 8, v11
	s_wait_xcnt 0x0
	v_add_nc_u32_e32 v13, 8, v13
	s_delay_alu instid0(VALU_DEP_2)
	v_cmp_lt_u32_e32 vcc_lo, 1, v9
	s_or_b32 s1, vcc_lo, s1
	s_wait_loadcnt_dscnt 0x0
	v_fmac_f64_e32 v[44:45], v[46:47], v[48:49]
	s_and_not1_b32 exec_lo, exec_lo, s1
	s_cbranch_execnz .LBB83_21
; %bb.22:
	s_or_b32 exec_lo, exec_lo, s1
	v_mov_b32_e32 v9, 0
	ds_load_b64 v[46:47], v9 offset:24
	s_wait_dscnt 0x0
	v_mul_f64_e32 v[44:45], v[44:45], v[46:47]
	scratch_store_b64 off, v[44:45], off offset:24
.LBB83_23:
	s_wait_xcnt 0x0
	s_or_b32 exec_lo, exec_lo, s0
	s_wait_storecnt 0x0
	s_barrier_signal -1
	s_barrier_wait -1
	scratch_load_b64 v[44:45], off, off offset:32
	s_mov_b32 s0, exec_lo
	s_wait_loadcnt 0x0
	ds_store_b64 v1, v[44:45]
	s_wait_dscnt 0x0
	s_barrier_signal -1
	s_barrier_wait -1
	v_cmpx_gt_u32_e32 4, v0
	s_cbranch_execz .LBB83_27
; %bb.24:
	v_mov_b64_e32 v[44:45], 0
	v_dual_add_nc_u32 v9, -1, v0 :: v_dual_mov_b32 v13, v2
	v_add_nc_u32_e32 v11, 0xa0, v2
	s_mov_b32 s1, 0
.LBB83_25:                              ; =>This Inner Loop Header: Depth=1
	scratch_load_b64 v[46:47], v13, off
	ds_load_b64 v[48:49], v11
	v_dual_add_nc_u32 v9, 1, v9 :: v_dual_add_nc_u32 v11, 8, v11
	s_wait_xcnt 0x0
	v_add_nc_u32_e32 v13, 8, v13
	s_delay_alu instid0(VALU_DEP_2)
	v_cmp_lt_u32_e32 vcc_lo, 2, v9
	s_or_b32 s1, vcc_lo, s1
	s_wait_loadcnt_dscnt 0x0
	v_fmac_f64_e32 v[44:45], v[46:47], v[48:49]
	s_and_not1_b32 exec_lo, exec_lo, s1
	s_cbranch_execnz .LBB83_25
; %bb.26:
	s_or_b32 exec_lo, exec_lo, s1
	v_mov_b32_e32 v9, 0
	ds_load_b64 v[46:47], v9 offset:32
	s_wait_dscnt 0x0
	v_mul_f64_e32 v[44:45], v[44:45], v[46:47]
	scratch_store_b64 off, v[44:45], off offset:32
.LBB83_27:
	s_wait_xcnt 0x0
	s_or_b32 exec_lo, exec_lo, s0
	s_wait_storecnt 0x0
	s_barrier_signal -1
	s_barrier_wait -1
	scratch_load_b64 v[44:45], off, off offset:40
	s_mov_b32 s0, exec_lo
	s_wait_loadcnt 0x0
	ds_store_b64 v1, v[44:45]
	s_wait_dscnt 0x0
	s_barrier_signal -1
	s_barrier_wait -1
	v_cmpx_gt_u32_e32 5, v0
	s_cbranch_execz .LBB83_31
; %bb.28:
	v_mov_b64_e32 v[44:45], 0
	v_dual_add_nc_u32 v9, -1, v0 :: v_dual_mov_b32 v13, v2
	v_add_nc_u32_e32 v11, 0xa0, v2
	s_mov_b32 s1, 0
.LBB83_29:                              ; =>This Inner Loop Header: Depth=1
	scratch_load_b64 v[46:47], v13, off
	ds_load_b64 v[48:49], v11
	v_dual_add_nc_u32 v9, 1, v9 :: v_dual_add_nc_u32 v11, 8, v11
	s_wait_xcnt 0x0
	v_add_nc_u32_e32 v13, 8, v13
	s_delay_alu instid0(VALU_DEP_2)
	v_cmp_lt_u32_e32 vcc_lo, 3, v9
	s_or_b32 s1, vcc_lo, s1
	s_wait_loadcnt_dscnt 0x0
	v_fmac_f64_e32 v[44:45], v[46:47], v[48:49]
	s_and_not1_b32 exec_lo, exec_lo, s1
	s_cbranch_execnz .LBB83_29
; %bb.30:
	s_or_b32 exec_lo, exec_lo, s1
	v_mov_b32_e32 v9, 0
	ds_load_b64 v[46:47], v9 offset:40
	s_wait_dscnt 0x0
	v_mul_f64_e32 v[44:45], v[44:45], v[46:47]
	scratch_store_b64 off, v[44:45], off offset:40
.LBB83_31:
	s_wait_xcnt 0x0
	s_or_b32 exec_lo, exec_lo, s0
	s_wait_storecnt 0x0
	s_barrier_signal -1
	s_barrier_wait -1
	scratch_load_b64 v[44:45], off, off offset:48
	s_mov_b32 s0, exec_lo
	s_wait_loadcnt 0x0
	ds_store_b64 v1, v[44:45]
	s_wait_dscnt 0x0
	s_barrier_signal -1
	s_barrier_wait -1
	v_cmpx_gt_u32_e32 6, v0
	s_cbranch_execz .LBB83_35
; %bb.32:
	v_mov_b64_e32 v[44:45], 0
	v_dual_add_nc_u32 v9, -1, v0 :: v_dual_mov_b32 v13, v2
	v_add_nc_u32_e32 v11, 0xa0, v2
	s_mov_b32 s1, 0
.LBB83_33:                              ; =>This Inner Loop Header: Depth=1
	scratch_load_b64 v[46:47], v13, off
	ds_load_b64 v[48:49], v11
	v_dual_add_nc_u32 v9, 1, v9 :: v_dual_add_nc_u32 v11, 8, v11
	s_wait_xcnt 0x0
	v_add_nc_u32_e32 v13, 8, v13
	s_delay_alu instid0(VALU_DEP_2)
	v_cmp_lt_u32_e32 vcc_lo, 4, v9
	s_or_b32 s1, vcc_lo, s1
	s_wait_loadcnt_dscnt 0x0
	v_fmac_f64_e32 v[44:45], v[46:47], v[48:49]
	s_and_not1_b32 exec_lo, exec_lo, s1
	s_cbranch_execnz .LBB83_33
; %bb.34:
	s_or_b32 exec_lo, exec_lo, s1
	v_mov_b32_e32 v9, 0
	ds_load_b64 v[46:47], v9 offset:48
	s_wait_dscnt 0x0
	v_mul_f64_e32 v[44:45], v[44:45], v[46:47]
	scratch_store_b64 off, v[44:45], off offset:48
.LBB83_35:
	s_wait_xcnt 0x0
	s_or_b32 exec_lo, exec_lo, s0
	s_wait_storecnt 0x0
	s_barrier_signal -1
	s_barrier_wait -1
	scratch_load_b64 v[44:45], off, off offset:56
	s_mov_b32 s0, exec_lo
	s_wait_loadcnt 0x0
	ds_store_b64 v1, v[44:45]
	s_wait_dscnt 0x0
	s_barrier_signal -1
	s_barrier_wait -1
	v_cmpx_gt_u32_e32 7, v0
	s_cbranch_execz .LBB83_39
; %bb.36:
	v_mov_b64_e32 v[44:45], 0
	v_dual_add_nc_u32 v9, -1, v0 :: v_dual_mov_b32 v13, v2
	v_add_nc_u32_e32 v11, 0xa0, v2
	s_mov_b32 s1, 0
.LBB83_37:                              ; =>This Inner Loop Header: Depth=1
	scratch_load_b64 v[46:47], v13, off
	ds_load_b64 v[48:49], v11
	v_dual_add_nc_u32 v9, 1, v9 :: v_dual_add_nc_u32 v11, 8, v11
	s_wait_xcnt 0x0
	v_add_nc_u32_e32 v13, 8, v13
	s_delay_alu instid0(VALU_DEP_2)
	v_cmp_lt_u32_e32 vcc_lo, 5, v9
	s_or_b32 s1, vcc_lo, s1
	s_wait_loadcnt_dscnt 0x0
	v_fmac_f64_e32 v[44:45], v[46:47], v[48:49]
	s_and_not1_b32 exec_lo, exec_lo, s1
	s_cbranch_execnz .LBB83_37
; %bb.38:
	s_or_b32 exec_lo, exec_lo, s1
	v_mov_b32_e32 v9, 0
	ds_load_b64 v[46:47], v9 offset:56
	s_wait_dscnt 0x0
	v_mul_f64_e32 v[44:45], v[44:45], v[46:47]
	scratch_store_b64 off, v[44:45], off offset:56
.LBB83_39:
	s_wait_xcnt 0x0
	s_or_b32 exec_lo, exec_lo, s0
	s_wait_storecnt 0x0
	s_barrier_signal -1
	s_barrier_wait -1
	scratch_load_b64 v[44:45], off, off offset:64
	s_mov_b32 s0, exec_lo
	s_wait_loadcnt 0x0
	ds_store_b64 v1, v[44:45]
	s_wait_dscnt 0x0
	s_barrier_signal -1
	s_barrier_wait -1
	v_cmpx_gt_u32_e32 8, v0
	s_cbranch_execz .LBB83_43
; %bb.40:
	v_mov_b64_e32 v[44:45], 0
	v_dual_add_nc_u32 v9, -1, v0 :: v_dual_mov_b32 v13, v2
	v_add_nc_u32_e32 v11, 0xa0, v2
	s_mov_b32 s1, 0
.LBB83_41:                              ; =>This Inner Loop Header: Depth=1
	scratch_load_b64 v[46:47], v13, off
	ds_load_b64 v[48:49], v11
	v_dual_add_nc_u32 v9, 1, v9 :: v_dual_add_nc_u32 v11, 8, v11
	s_wait_xcnt 0x0
	v_add_nc_u32_e32 v13, 8, v13
	s_delay_alu instid0(VALU_DEP_2)
	v_cmp_lt_u32_e32 vcc_lo, 6, v9
	s_or_b32 s1, vcc_lo, s1
	s_wait_loadcnt_dscnt 0x0
	v_fmac_f64_e32 v[44:45], v[46:47], v[48:49]
	s_and_not1_b32 exec_lo, exec_lo, s1
	s_cbranch_execnz .LBB83_41
; %bb.42:
	s_or_b32 exec_lo, exec_lo, s1
	v_mov_b32_e32 v9, 0
	ds_load_b64 v[46:47], v9 offset:64
	s_wait_dscnt 0x0
	v_mul_f64_e32 v[44:45], v[44:45], v[46:47]
	scratch_store_b64 off, v[44:45], off offset:64
.LBB83_43:
	s_wait_xcnt 0x0
	s_or_b32 exec_lo, exec_lo, s0
	s_wait_storecnt 0x0
	s_barrier_signal -1
	s_barrier_wait -1
	scratch_load_b64 v[44:45], off, off offset:72
	s_mov_b32 s0, exec_lo
	s_wait_loadcnt 0x0
	ds_store_b64 v1, v[44:45]
	s_wait_dscnt 0x0
	s_barrier_signal -1
	s_barrier_wait -1
	v_cmpx_gt_u32_e32 9, v0
	s_cbranch_execz .LBB83_47
; %bb.44:
	v_mov_b64_e32 v[44:45], 0
	v_dual_add_nc_u32 v9, -1, v0 :: v_dual_mov_b32 v13, v2
	v_add_nc_u32_e32 v11, 0xa0, v2
	s_mov_b32 s1, 0
.LBB83_45:                              ; =>This Inner Loop Header: Depth=1
	scratch_load_b64 v[46:47], v13, off
	ds_load_b64 v[48:49], v11
	v_dual_add_nc_u32 v9, 1, v9 :: v_dual_add_nc_u32 v11, 8, v11
	s_wait_xcnt 0x0
	v_add_nc_u32_e32 v13, 8, v13
	s_delay_alu instid0(VALU_DEP_2)
	v_cmp_lt_u32_e32 vcc_lo, 7, v9
	s_or_b32 s1, vcc_lo, s1
	s_wait_loadcnt_dscnt 0x0
	v_fmac_f64_e32 v[44:45], v[46:47], v[48:49]
	s_and_not1_b32 exec_lo, exec_lo, s1
	s_cbranch_execnz .LBB83_45
; %bb.46:
	s_or_b32 exec_lo, exec_lo, s1
	v_mov_b32_e32 v9, 0
	ds_load_b64 v[46:47], v9 offset:72
	s_wait_dscnt 0x0
	v_mul_f64_e32 v[44:45], v[44:45], v[46:47]
	scratch_store_b64 off, v[44:45], off offset:72
.LBB83_47:
	s_wait_xcnt 0x0
	s_or_b32 exec_lo, exec_lo, s0
	s_wait_storecnt 0x0
	s_barrier_signal -1
	s_barrier_wait -1
	scratch_load_b64 v[44:45], off, off offset:80
	s_mov_b32 s0, exec_lo
	s_wait_loadcnt 0x0
	ds_store_b64 v1, v[44:45]
	s_wait_dscnt 0x0
	s_barrier_signal -1
	s_barrier_wait -1
	v_cmpx_gt_u32_e32 10, v0
	s_cbranch_execz .LBB83_51
; %bb.48:
	v_mov_b64_e32 v[44:45], 0
	v_dual_add_nc_u32 v9, -1, v0 :: v_dual_mov_b32 v13, v2
	v_add_nc_u32_e32 v11, 0xa0, v2
	s_mov_b32 s1, 0
.LBB83_49:                              ; =>This Inner Loop Header: Depth=1
	scratch_load_b64 v[46:47], v13, off
	ds_load_b64 v[48:49], v11
	v_dual_add_nc_u32 v9, 1, v9 :: v_dual_add_nc_u32 v11, 8, v11
	s_wait_xcnt 0x0
	v_add_nc_u32_e32 v13, 8, v13
	s_delay_alu instid0(VALU_DEP_2)
	v_cmp_lt_u32_e32 vcc_lo, 8, v9
	s_or_b32 s1, vcc_lo, s1
	s_wait_loadcnt_dscnt 0x0
	v_fmac_f64_e32 v[44:45], v[46:47], v[48:49]
	s_and_not1_b32 exec_lo, exec_lo, s1
	s_cbranch_execnz .LBB83_49
; %bb.50:
	s_or_b32 exec_lo, exec_lo, s1
	v_mov_b32_e32 v9, 0
	ds_load_b64 v[46:47], v9 offset:80
	s_wait_dscnt 0x0
	v_mul_f64_e32 v[44:45], v[44:45], v[46:47]
	scratch_store_b64 off, v[44:45], off offset:80
.LBB83_51:
	s_wait_xcnt 0x0
	s_or_b32 exec_lo, exec_lo, s0
	s_wait_storecnt 0x0
	s_barrier_signal -1
	s_barrier_wait -1
	scratch_load_b64 v[44:45], off, off offset:88
	s_mov_b32 s0, exec_lo
	s_wait_loadcnt 0x0
	ds_store_b64 v1, v[44:45]
	s_wait_dscnt 0x0
	s_barrier_signal -1
	s_barrier_wait -1
	v_cmpx_gt_u32_e32 11, v0
	s_cbranch_execz .LBB83_55
; %bb.52:
	v_mov_b64_e32 v[44:45], 0
	v_dual_add_nc_u32 v9, -1, v0 :: v_dual_mov_b32 v13, v2
	v_add_nc_u32_e32 v11, 0xa0, v2
	s_mov_b32 s1, 0
.LBB83_53:                              ; =>This Inner Loop Header: Depth=1
	scratch_load_b64 v[46:47], v13, off
	ds_load_b64 v[48:49], v11
	v_dual_add_nc_u32 v9, 1, v9 :: v_dual_add_nc_u32 v11, 8, v11
	s_wait_xcnt 0x0
	v_add_nc_u32_e32 v13, 8, v13
	s_delay_alu instid0(VALU_DEP_2)
	v_cmp_lt_u32_e32 vcc_lo, 9, v9
	s_or_b32 s1, vcc_lo, s1
	s_wait_loadcnt_dscnt 0x0
	v_fmac_f64_e32 v[44:45], v[46:47], v[48:49]
	s_and_not1_b32 exec_lo, exec_lo, s1
	s_cbranch_execnz .LBB83_53
; %bb.54:
	s_or_b32 exec_lo, exec_lo, s1
	v_mov_b32_e32 v9, 0
	ds_load_b64 v[46:47], v9 offset:88
	s_wait_dscnt 0x0
	v_mul_f64_e32 v[44:45], v[44:45], v[46:47]
	scratch_store_b64 off, v[44:45], off offset:88
.LBB83_55:
	s_wait_xcnt 0x0
	s_or_b32 exec_lo, exec_lo, s0
	s_wait_storecnt 0x0
	s_barrier_signal -1
	s_barrier_wait -1
	scratch_load_b64 v[44:45], off, off offset:96
	s_mov_b32 s0, exec_lo
	s_wait_loadcnt 0x0
	ds_store_b64 v1, v[44:45]
	s_wait_dscnt 0x0
	s_barrier_signal -1
	s_barrier_wait -1
	v_cmpx_gt_u32_e32 12, v0
	s_cbranch_execz .LBB83_59
; %bb.56:
	v_mov_b64_e32 v[44:45], 0
	v_dual_add_nc_u32 v9, -1, v0 :: v_dual_mov_b32 v13, v2
	v_add_nc_u32_e32 v11, 0xa0, v2
	s_mov_b32 s1, 0
.LBB83_57:                              ; =>This Inner Loop Header: Depth=1
	scratch_load_b64 v[46:47], v13, off
	ds_load_b64 v[48:49], v11
	v_dual_add_nc_u32 v9, 1, v9 :: v_dual_add_nc_u32 v11, 8, v11
	s_wait_xcnt 0x0
	v_add_nc_u32_e32 v13, 8, v13
	s_delay_alu instid0(VALU_DEP_2)
	v_cmp_lt_u32_e32 vcc_lo, 10, v9
	s_or_b32 s1, vcc_lo, s1
	s_wait_loadcnt_dscnt 0x0
	v_fmac_f64_e32 v[44:45], v[46:47], v[48:49]
	s_and_not1_b32 exec_lo, exec_lo, s1
	s_cbranch_execnz .LBB83_57
; %bb.58:
	s_or_b32 exec_lo, exec_lo, s1
	v_mov_b32_e32 v9, 0
	ds_load_b64 v[46:47], v9 offset:96
	s_wait_dscnt 0x0
	v_mul_f64_e32 v[44:45], v[44:45], v[46:47]
	scratch_store_b64 off, v[44:45], off offset:96
.LBB83_59:
	s_wait_xcnt 0x0
	s_or_b32 exec_lo, exec_lo, s0
	s_wait_storecnt 0x0
	s_barrier_signal -1
	s_barrier_wait -1
	scratch_load_b64 v[44:45], off, off offset:104
	s_mov_b32 s0, exec_lo
	s_wait_loadcnt 0x0
	ds_store_b64 v1, v[44:45]
	s_wait_dscnt 0x0
	s_barrier_signal -1
	s_barrier_wait -1
	v_cmpx_gt_u32_e32 13, v0
	s_cbranch_execz .LBB83_63
; %bb.60:
	v_mov_b64_e32 v[44:45], 0
	v_dual_add_nc_u32 v9, -1, v0 :: v_dual_mov_b32 v13, v2
	v_add_nc_u32_e32 v11, 0xa0, v2
	s_mov_b32 s1, 0
.LBB83_61:                              ; =>This Inner Loop Header: Depth=1
	scratch_load_b64 v[46:47], v13, off
	ds_load_b64 v[48:49], v11
	v_dual_add_nc_u32 v9, 1, v9 :: v_dual_add_nc_u32 v11, 8, v11
	s_wait_xcnt 0x0
	v_add_nc_u32_e32 v13, 8, v13
	s_delay_alu instid0(VALU_DEP_2)
	v_cmp_lt_u32_e32 vcc_lo, 11, v9
	s_or_b32 s1, vcc_lo, s1
	s_wait_loadcnt_dscnt 0x0
	v_fmac_f64_e32 v[44:45], v[46:47], v[48:49]
	s_and_not1_b32 exec_lo, exec_lo, s1
	s_cbranch_execnz .LBB83_61
; %bb.62:
	s_or_b32 exec_lo, exec_lo, s1
	v_mov_b32_e32 v9, 0
	ds_load_b64 v[46:47], v9 offset:104
	s_wait_dscnt 0x0
	v_mul_f64_e32 v[44:45], v[44:45], v[46:47]
	scratch_store_b64 off, v[44:45], off offset:104
.LBB83_63:
	s_wait_xcnt 0x0
	s_or_b32 exec_lo, exec_lo, s0
	s_wait_storecnt 0x0
	s_barrier_signal -1
	s_barrier_wait -1
	scratch_load_b64 v[44:45], off, off offset:112
	s_mov_b32 s0, exec_lo
	s_wait_loadcnt 0x0
	ds_store_b64 v1, v[44:45]
	s_wait_dscnt 0x0
	s_barrier_signal -1
	s_barrier_wait -1
	v_cmpx_gt_u32_e32 14, v0
	s_cbranch_execz .LBB83_67
; %bb.64:
	v_mov_b64_e32 v[44:45], 0
	v_dual_add_nc_u32 v9, -1, v0 :: v_dual_mov_b32 v13, v2
	v_add_nc_u32_e32 v11, 0xa0, v2
	s_mov_b32 s1, 0
.LBB83_65:                              ; =>This Inner Loop Header: Depth=1
	scratch_load_b64 v[46:47], v13, off
	ds_load_b64 v[48:49], v11
	v_dual_add_nc_u32 v9, 1, v9 :: v_dual_add_nc_u32 v11, 8, v11
	s_wait_xcnt 0x0
	v_add_nc_u32_e32 v13, 8, v13
	s_delay_alu instid0(VALU_DEP_2)
	v_cmp_lt_u32_e32 vcc_lo, 12, v9
	s_or_b32 s1, vcc_lo, s1
	s_wait_loadcnt_dscnt 0x0
	v_fmac_f64_e32 v[44:45], v[46:47], v[48:49]
	s_and_not1_b32 exec_lo, exec_lo, s1
	s_cbranch_execnz .LBB83_65
; %bb.66:
	s_or_b32 exec_lo, exec_lo, s1
	v_mov_b32_e32 v9, 0
	ds_load_b64 v[46:47], v9 offset:112
	s_wait_dscnt 0x0
	v_mul_f64_e32 v[44:45], v[44:45], v[46:47]
	scratch_store_b64 off, v[44:45], off offset:112
.LBB83_67:
	s_wait_xcnt 0x0
	s_or_b32 exec_lo, exec_lo, s0
	s_wait_storecnt 0x0
	s_barrier_signal -1
	s_barrier_wait -1
	scratch_load_b64 v[44:45], off, off offset:120
	s_mov_b32 s0, exec_lo
	s_wait_loadcnt 0x0
	ds_store_b64 v1, v[44:45]
	s_wait_dscnt 0x0
	s_barrier_signal -1
	s_barrier_wait -1
	v_cmpx_gt_u32_e32 15, v0
	s_cbranch_execz .LBB83_71
; %bb.68:
	v_mov_b64_e32 v[44:45], 0
	v_dual_add_nc_u32 v9, -1, v0 :: v_dual_mov_b32 v13, v2
	v_add_nc_u32_e32 v11, 0xa0, v2
	s_mov_b32 s1, 0
.LBB83_69:                              ; =>This Inner Loop Header: Depth=1
	scratch_load_b64 v[46:47], v13, off
	ds_load_b64 v[48:49], v11
	v_dual_add_nc_u32 v9, 1, v9 :: v_dual_add_nc_u32 v11, 8, v11
	s_wait_xcnt 0x0
	v_add_nc_u32_e32 v13, 8, v13
	s_delay_alu instid0(VALU_DEP_2)
	v_cmp_lt_u32_e32 vcc_lo, 13, v9
	s_or_b32 s1, vcc_lo, s1
	s_wait_loadcnt_dscnt 0x0
	v_fmac_f64_e32 v[44:45], v[46:47], v[48:49]
	s_and_not1_b32 exec_lo, exec_lo, s1
	s_cbranch_execnz .LBB83_69
; %bb.70:
	s_or_b32 exec_lo, exec_lo, s1
	v_mov_b32_e32 v9, 0
	ds_load_b64 v[46:47], v9 offset:120
	s_wait_dscnt 0x0
	v_mul_f64_e32 v[44:45], v[44:45], v[46:47]
	scratch_store_b64 off, v[44:45], off offset:120
.LBB83_71:
	s_wait_xcnt 0x0
	s_or_b32 exec_lo, exec_lo, s0
	s_wait_storecnt 0x0
	s_barrier_signal -1
	s_barrier_wait -1
	scratch_load_b64 v[44:45], off, off offset:128
	s_mov_b32 s0, exec_lo
	s_wait_loadcnt 0x0
	ds_store_b64 v1, v[44:45]
	s_wait_dscnt 0x0
	s_barrier_signal -1
	s_barrier_wait -1
	v_cmpx_gt_u32_e32 16, v0
	s_cbranch_execz .LBB83_75
; %bb.72:
	v_mov_b64_e32 v[44:45], 0
	v_dual_add_nc_u32 v9, -1, v0 :: v_dual_mov_b32 v13, v2
	v_add_nc_u32_e32 v11, 0xa0, v2
	s_mov_b32 s1, 0
.LBB83_73:                              ; =>This Inner Loop Header: Depth=1
	scratch_load_b64 v[46:47], v13, off
	ds_load_b64 v[48:49], v11
	v_dual_add_nc_u32 v9, 1, v9 :: v_dual_add_nc_u32 v11, 8, v11
	s_wait_xcnt 0x0
	v_add_nc_u32_e32 v13, 8, v13
	s_delay_alu instid0(VALU_DEP_2)
	v_cmp_lt_u32_e32 vcc_lo, 14, v9
	s_or_b32 s1, vcc_lo, s1
	s_wait_loadcnt_dscnt 0x0
	v_fmac_f64_e32 v[44:45], v[46:47], v[48:49]
	s_and_not1_b32 exec_lo, exec_lo, s1
	s_cbranch_execnz .LBB83_73
; %bb.74:
	s_or_b32 exec_lo, exec_lo, s1
	v_mov_b32_e32 v9, 0
	ds_load_b64 v[46:47], v9 offset:128
	s_wait_dscnt 0x0
	v_mul_f64_e32 v[44:45], v[44:45], v[46:47]
	scratch_store_b64 off, v[44:45], off offset:128
.LBB83_75:
	s_wait_xcnt 0x0
	s_or_b32 exec_lo, exec_lo, s0
	s_wait_storecnt 0x0
	s_barrier_signal -1
	s_barrier_wait -1
	scratch_load_b64 v[44:45], off, off offset:136
	s_mov_b32 s0, exec_lo
	s_wait_loadcnt 0x0
	ds_store_b64 v1, v[44:45]
	s_wait_dscnt 0x0
	s_barrier_signal -1
	s_barrier_wait -1
	v_cmpx_gt_u32_e32 17, v0
	s_cbranch_execz .LBB83_79
; %bb.76:
	v_mov_b64_e32 v[44:45], 0
	v_dual_add_nc_u32 v9, -1, v0 :: v_dual_mov_b32 v13, v2
	v_add_nc_u32_e32 v11, 0xa0, v2
	s_mov_b32 s1, 0
.LBB83_77:                              ; =>This Inner Loop Header: Depth=1
	scratch_load_b64 v[46:47], v13, off
	ds_load_b64 v[48:49], v11
	v_dual_add_nc_u32 v9, 1, v9 :: v_dual_add_nc_u32 v11, 8, v11
	s_wait_xcnt 0x0
	v_add_nc_u32_e32 v13, 8, v13
	s_delay_alu instid0(VALU_DEP_2)
	v_cmp_lt_u32_e32 vcc_lo, 15, v9
	s_or_b32 s1, vcc_lo, s1
	s_wait_loadcnt_dscnt 0x0
	v_fmac_f64_e32 v[44:45], v[46:47], v[48:49]
	s_and_not1_b32 exec_lo, exec_lo, s1
	s_cbranch_execnz .LBB83_77
; %bb.78:
	s_or_b32 exec_lo, exec_lo, s1
	v_mov_b32_e32 v9, 0
	ds_load_b64 v[46:47], v9 offset:136
	s_wait_dscnt 0x0
	v_mul_f64_e32 v[44:45], v[44:45], v[46:47]
	scratch_store_b64 off, v[44:45], off offset:136
.LBB83_79:
	s_wait_xcnt 0x0
	s_or_b32 exec_lo, exec_lo, s0
	s_wait_storecnt 0x0
	s_barrier_signal -1
	s_barrier_wait -1
	scratch_load_b64 v[44:45], off, off offset:144
	s_mov_b32 s0, exec_lo
	s_wait_loadcnt 0x0
	ds_store_b64 v1, v[44:45]
	s_wait_dscnt 0x0
	s_barrier_signal -1
	s_barrier_wait -1
	v_cmpx_gt_u32_e32 18, v0
	s_cbranch_execz .LBB83_83
; %bb.80:
	v_mov_b64_e32 v[44:45], 0
	v_dual_add_nc_u32 v9, -1, v0 :: v_dual_mov_b32 v13, v2
	v_add_nc_u32_e32 v11, 0xa0, v2
	s_mov_b32 s1, 0
.LBB83_81:                              ; =>This Inner Loop Header: Depth=1
	scratch_load_b64 v[46:47], v13, off
	ds_load_b64 v[48:49], v11
	v_dual_add_nc_u32 v9, 1, v9 :: v_dual_add_nc_u32 v11, 8, v11
	s_wait_xcnt 0x0
	v_add_nc_u32_e32 v13, 8, v13
	s_delay_alu instid0(VALU_DEP_2)
	v_cmp_lt_u32_e32 vcc_lo, 16, v9
	s_or_b32 s1, vcc_lo, s1
	s_wait_loadcnt_dscnt 0x0
	v_fmac_f64_e32 v[44:45], v[46:47], v[48:49]
	s_and_not1_b32 exec_lo, exec_lo, s1
	s_cbranch_execnz .LBB83_81
; %bb.82:
	s_or_b32 exec_lo, exec_lo, s1
	v_mov_b32_e32 v9, 0
	ds_load_b64 v[46:47], v9 offset:144
	s_wait_dscnt 0x0
	v_mul_f64_e32 v[44:45], v[44:45], v[46:47]
	scratch_store_b64 off, v[44:45], off offset:144
.LBB83_83:
	s_wait_xcnt 0x0
	s_or_b32 exec_lo, exec_lo, s0
	s_wait_storecnt 0x0
	s_barrier_signal -1
	s_barrier_wait -1
	scratch_load_b64 v[44:45], off, off offset:152
	s_mov_b32 s0, exec_lo
	s_wait_loadcnt 0x0
	ds_store_b64 v1, v[44:45]
	s_wait_dscnt 0x0
	s_barrier_signal -1
	s_barrier_wait -1
	v_cmpx_ne_u32_e32 19, v0
	s_cbranch_execz .LBB83_87
; %bb.84:
	v_mov_b64_e32 v[44:45], 0
	s_mov_b32 s1, 0
.LBB83_85:                              ; =>This Inner Loop Header: Depth=1
	scratch_load_b64 v[46:47], v2, off
	ds_load_b64 v[48:49], v1
	v_dual_add_nc_u32 v3, 1, v3 :: v_dual_add_nc_u32 v1, 8, v1
	s_wait_xcnt 0x0
	v_add_nc_u32_e32 v2, 8, v2
	s_delay_alu instid0(VALU_DEP_2)
	v_cmp_lt_u32_e32 vcc_lo, 17, v3
	s_or_b32 s1, vcc_lo, s1
	s_wait_loadcnt_dscnt 0x0
	v_fmac_f64_e32 v[44:45], v[46:47], v[48:49]
	s_and_not1_b32 exec_lo, exec_lo, s1
	s_cbranch_execnz .LBB83_85
; %bb.86:
	s_or_b32 exec_lo, exec_lo, s1
	v_mov_b32_e32 v1, 0
	ds_load_b64 v[2:3], v1 offset:152
	s_wait_dscnt 0x0
	v_mul_f64_e32 v[2:3], v[44:45], v[2:3]
	scratch_store_b64 off, v[2:3], off offset:152
.LBB83_87:
	s_wait_xcnt 0x0
	s_or_b32 exec_lo, exec_lo, s0
	s_mov_b32 s1, -1
	s_wait_storecnt 0x0
	s_barrier_signal -1
	s_barrier_wait -1
.LBB83_88:
	s_and_b32 vcc_lo, exec_lo, s1
	s_cbranch_vccz .LBB83_90
; %bb.89:
	v_mov_b32_e32 v1, 0
	s_lshl_b64 s[0:1], s[10:11], 2
	s_delay_alu instid0(SALU_CYCLE_1)
	s_add_nc_u64 s[0:1], s[6:7], s[0:1]
	global_load_b32 v1, v1, s[0:1]
	s_wait_loadcnt 0x0
	v_cmp_ne_u32_e32 vcc_lo, 0, v1
	s_cbranch_vccz .LBB83_91
.LBB83_90:
	s_sendmsg sendmsg(MSG_DEALLOC_VGPRS)
	s_endpgm
.LBB83_91:
	s_wait_xcnt 0x0
	v_lshl_add_u32 v1, v0, 3, 0xa0
	s_mov_b32 s0, exec_lo
	v_cmpx_eq_u32_e32 19, v0
	s_cbranch_execz .LBB83_93
; %bb.92:
	scratch_load_b64 v[2:3], off, off offset:144
	v_mov_b64_e32 v[44:45], 0
	scratch_store_b64 off, v[44:45], off offset:144
	s_wait_loadcnt 0x0
	ds_store_b64 v1, v[2:3]
.LBB83_93:
	s_wait_xcnt 0x0
	s_or_b32 exec_lo, exec_lo, s0
	s_wait_storecnt_dscnt 0x0
	s_barrier_signal -1
	s_barrier_wait -1
	scratch_load_b128 v[44:47], off, off offset:144
	v_mov_b32_e32 v2, 0
	s_mov_b32 s0, exec_lo
	ds_load_b64 v[48:49], v2 offset:312
	s_wait_loadcnt_dscnt 0x0
	v_fma_f64 v[46:47], v[46:47], v[48:49], 0
	s_delay_alu instid0(VALU_DEP_1)
	v_add_f64_e64 v[44:45], v[44:45], -v[46:47]
	scratch_store_b64 off, v[44:45], off offset:144
	s_wait_xcnt 0x0
	v_cmpx_lt_u32_e32 17, v0
	s_cbranch_execz .LBB83_95
; %bb.94:
	scratch_load_b64 v[44:45], off, off offset:136
	v_mov_b64_e32 v[46:47], 0
	scratch_store_b64 off, v[46:47], off offset:136
	s_wait_loadcnt 0x0
	ds_store_b64 v1, v[44:45]
.LBB83_95:
	s_wait_xcnt 0x0
	s_or_b32 exec_lo, exec_lo, s0
	s_wait_storecnt_dscnt 0x0
	s_barrier_signal -1
	s_barrier_wait -1
	s_clause 0x1
	scratch_load_b128 v[44:47], off, off offset:136
	scratch_load_b64 v[52:53], off, off offset:152
	ds_load_b128 v[48:51], v2 offset:304
	s_mov_b32 s0, exec_lo
	s_wait_loadcnt_dscnt 0x100
	v_fma_f64 v[2:3], v[46:47], v[48:49], 0
	s_wait_loadcnt 0x0
	s_delay_alu instid0(VALU_DEP_1) | instskip(NEXT) | instid1(VALU_DEP_1)
	v_fmac_f64_e32 v[2:3], v[52:53], v[50:51]
	v_add_f64_e64 v[2:3], v[44:45], -v[2:3]
	scratch_store_b64 off, v[2:3], off offset:136
	s_wait_xcnt 0x0
	v_cmpx_lt_u32_e32 16, v0
	s_cbranch_execz .LBB83_97
; %bb.96:
	scratch_load_b64 v[2:3], off, off offset:128
	v_mov_b64_e32 v[44:45], 0
	scratch_store_b64 off, v[44:45], off offset:128
	s_wait_loadcnt 0x0
	ds_store_b64 v1, v[2:3]
.LBB83_97:
	s_wait_xcnt 0x0
	s_or_b32 exec_lo, exec_lo, s0
	s_wait_storecnt_dscnt 0x0
	s_barrier_signal -1
	s_barrier_wait -1
	s_clause 0x1
	scratch_load_b128 v[44:47], off, off offset:128
	scratch_load_b128 v[48:51], off, off offset:144
	v_mov_b32_e32 v2, 0
	ds_load_2addr_b64 v[52:55], v2 offset0:37 offset1:38
	ds_load_b64 v[56:57], v2 offset:312
	s_mov_b32 s0, exec_lo
	s_wait_loadcnt_dscnt 0x101
	v_fma_f64 v[46:47], v[46:47], v[52:53], 0
	s_wait_loadcnt 0x0
	s_delay_alu instid0(VALU_DEP_1) | instskip(SKIP_1) | instid1(VALU_DEP_1)
	v_fmac_f64_e32 v[46:47], v[48:49], v[54:55]
	s_wait_dscnt 0x0
	v_fmac_f64_e32 v[46:47], v[50:51], v[56:57]
	s_delay_alu instid0(VALU_DEP_1)
	v_add_f64_e64 v[44:45], v[44:45], -v[46:47]
	scratch_store_b64 off, v[44:45], off offset:128
	s_wait_xcnt 0x0
	v_cmpx_lt_u32_e32 15, v0
	s_cbranch_execz .LBB83_99
; %bb.98:
	scratch_load_b64 v[44:45], off, off offset:120
	v_mov_b64_e32 v[46:47], 0
	scratch_store_b64 off, v[46:47], off offset:120
	s_wait_loadcnt 0x0
	ds_store_b64 v1, v[44:45]
.LBB83_99:
	s_wait_xcnt 0x0
	s_or_b32 exec_lo, exec_lo, s0
	s_wait_storecnt_dscnt 0x0
	s_barrier_signal -1
	s_barrier_wait -1
	s_clause 0x2
	scratch_load_b128 v[44:47], off, off offset:120
	scratch_load_b128 v[48:51], off, off offset:136
	scratch_load_b64 v[60:61], off, off offset:152
	ds_load_b128 v[52:55], v2 offset:288
	ds_load_b128 v[56:59], v2 offset:304
	s_mov_b32 s0, exec_lo
	s_wait_loadcnt_dscnt 0x201
	v_fma_f64 v[2:3], v[46:47], v[52:53], 0
	s_wait_loadcnt 0x1
	s_delay_alu instid0(VALU_DEP_1) | instskip(SKIP_1) | instid1(VALU_DEP_1)
	v_fmac_f64_e32 v[2:3], v[48:49], v[54:55]
	s_wait_dscnt 0x0
	v_fmac_f64_e32 v[2:3], v[50:51], v[56:57]
	s_wait_loadcnt 0x0
	s_delay_alu instid0(VALU_DEP_1) | instskip(NEXT) | instid1(VALU_DEP_1)
	v_fmac_f64_e32 v[2:3], v[60:61], v[58:59]
	v_add_f64_e64 v[2:3], v[44:45], -v[2:3]
	scratch_store_b64 off, v[2:3], off offset:120
	s_wait_xcnt 0x0
	v_cmpx_lt_u32_e32 14, v0
	s_cbranch_execz .LBB83_101
; %bb.100:
	scratch_load_b64 v[2:3], off, off offset:112
	v_mov_b64_e32 v[44:45], 0
	scratch_store_b64 off, v[44:45], off offset:112
	s_wait_loadcnt 0x0
	ds_store_b64 v1, v[2:3]
.LBB83_101:
	s_wait_xcnt 0x0
	s_or_b32 exec_lo, exec_lo, s0
	s_wait_storecnt_dscnt 0x0
	s_barrier_signal -1
	s_barrier_wait -1
	s_clause 0x2
	scratch_load_b128 v[44:47], off, off offset:112
	scratch_load_b128 v[48:51], off, off offset:128
	;; [unrolled: 1-line block ×3, first 2 shown]
	v_mov_b32_e32 v2, 0
	ds_load_2addr_b64 v[56:59], v2 offset0:35 offset1:36
	ds_load_2addr_b64 v[60:63], v2 offset0:37 offset1:38
	s_mov_b32 s0, exec_lo
	s_wait_loadcnt_dscnt 0x201
	v_fma_f64 v[46:47], v[46:47], v[56:57], 0
	s_wait_loadcnt 0x1
	s_delay_alu instid0(VALU_DEP_1) | instskip(SKIP_4) | instid1(VALU_DEP_1)
	v_fmac_f64_e32 v[46:47], v[48:49], v[58:59]
	ds_load_b64 v[48:49], v2 offset:312
	s_wait_dscnt 0x1
	v_fmac_f64_e32 v[46:47], v[50:51], v[60:61]
	s_wait_loadcnt 0x0
	v_fmac_f64_e32 v[46:47], v[52:53], v[62:63]
	s_wait_dscnt 0x0
	s_delay_alu instid0(VALU_DEP_1) | instskip(NEXT) | instid1(VALU_DEP_1)
	v_fmac_f64_e32 v[46:47], v[54:55], v[48:49]
	v_add_f64_e64 v[44:45], v[44:45], -v[46:47]
	scratch_store_b64 off, v[44:45], off offset:112
	s_wait_xcnt 0x0
	v_cmpx_lt_u32_e32 13, v0
	s_cbranch_execz .LBB83_103
; %bb.102:
	scratch_load_b64 v[44:45], off, off offset:104
	v_mov_b64_e32 v[46:47], 0
	scratch_store_b64 off, v[46:47], off offset:104
	s_wait_loadcnt 0x0
	ds_store_b64 v1, v[44:45]
.LBB83_103:
	s_wait_xcnt 0x0
	s_or_b32 exec_lo, exec_lo, s0
	s_wait_storecnt_dscnt 0x0
	s_barrier_signal -1
	s_barrier_wait -1
	s_clause 0x3
	scratch_load_b128 v[44:47], off, off offset:104
	scratch_load_b128 v[48:51], off, off offset:120
	;; [unrolled: 1-line block ×3, first 2 shown]
	scratch_load_b64 v[64:65], off, off offset:152
	ds_load_b128 v[56:59], v2 offset:272
	ds_load_b128 v[60:63], v2 offset:288
	s_mov_b32 s0, exec_lo
	s_wait_loadcnt_dscnt 0x301
	v_fma_f64 v[56:57], v[46:47], v[56:57], 0
	s_wait_loadcnt 0x2
	s_delay_alu instid0(VALU_DEP_1) | instskip(SKIP_4) | instid1(VALU_DEP_1)
	v_fmac_f64_e32 v[56:57], v[48:49], v[58:59]
	ds_load_b128 v[46:49], v2 offset:304
	s_wait_dscnt 0x1
	v_fmac_f64_e32 v[56:57], v[50:51], v[60:61]
	s_wait_loadcnt 0x1
	v_fmac_f64_e32 v[56:57], v[52:53], v[62:63]
	s_wait_dscnt 0x0
	s_delay_alu instid0(VALU_DEP_1) | instskip(SKIP_1) | instid1(VALU_DEP_1)
	v_fmac_f64_e32 v[56:57], v[54:55], v[46:47]
	s_wait_loadcnt 0x0
	v_fmac_f64_e32 v[56:57], v[64:65], v[48:49]
	s_delay_alu instid0(VALU_DEP_1)
	v_add_f64_e64 v[2:3], v[44:45], -v[56:57]
	scratch_store_b64 off, v[2:3], off offset:104
	s_wait_xcnt 0x0
	v_cmpx_lt_u32_e32 12, v0
	s_cbranch_execz .LBB83_105
; %bb.104:
	scratch_load_b64 v[2:3], off, off offset:96
	v_mov_b64_e32 v[44:45], 0
	scratch_store_b64 off, v[44:45], off offset:96
	s_wait_loadcnt 0x0
	ds_store_b64 v1, v[2:3]
.LBB83_105:
	s_wait_xcnt 0x0
	s_or_b32 exec_lo, exec_lo, s0
	s_wait_storecnt_dscnt 0x0
	s_barrier_signal -1
	s_barrier_wait -1
	s_clause 0x3
	scratch_load_b128 v[44:47], off, off offset:96
	scratch_load_b128 v[48:51], off, off offset:112
	;; [unrolled: 1-line block ×4, first 2 shown]
	v_mov_b32_e32 v2, 0
	ds_load_2addr_b64 v[60:63], v2 offset0:33 offset1:34
	ds_load_2addr_b64 v[64:67], v2 offset0:35 offset1:36
	s_mov_b32 s0, exec_lo
	s_wait_loadcnt_dscnt 0x301
	v_fma_f64 v[60:61], v[46:47], v[60:61], 0
	s_wait_loadcnt 0x2
	s_delay_alu instid0(VALU_DEP_1) | instskip(SKIP_1) | instid1(VALU_DEP_1)
	v_fmac_f64_e32 v[60:61], v[48:49], v[62:63]
	s_wait_dscnt 0x0
	v_fmac_f64_e32 v[60:61], v[50:51], v[64:65]
	ds_load_2addr_b64 v[46:49], v2 offset0:37 offset1:38
	ds_load_b64 v[50:51], v2 offset:312
	s_wait_loadcnt 0x1
	v_fmac_f64_e32 v[60:61], v[52:53], v[66:67]
	s_wait_dscnt 0x1
	s_delay_alu instid0(VALU_DEP_1) | instskip(SKIP_1) | instid1(VALU_DEP_1)
	v_fmac_f64_e32 v[60:61], v[54:55], v[46:47]
	s_wait_loadcnt 0x0
	v_fmac_f64_e32 v[60:61], v[56:57], v[48:49]
	s_wait_dscnt 0x0
	s_delay_alu instid0(VALU_DEP_1) | instskip(NEXT) | instid1(VALU_DEP_1)
	v_fmac_f64_e32 v[60:61], v[58:59], v[50:51]
	v_add_f64_e64 v[44:45], v[44:45], -v[60:61]
	scratch_store_b64 off, v[44:45], off offset:96
	s_wait_xcnt 0x0
	v_cmpx_lt_u32_e32 11, v0
	s_cbranch_execz .LBB83_107
; %bb.106:
	scratch_load_b64 v[44:45], off, off offset:88
	v_mov_b64_e32 v[46:47], 0
	scratch_store_b64 off, v[46:47], off offset:88
	s_wait_loadcnt 0x0
	ds_store_b64 v1, v[44:45]
.LBB83_107:
	s_wait_xcnt 0x0
	s_or_b32 exec_lo, exec_lo, s0
	s_wait_storecnt_dscnt 0x0
	s_barrier_signal -1
	s_barrier_wait -1
	s_clause 0x4
	scratch_load_b128 v[44:47], off, off offset:88
	scratch_load_b128 v[48:51], off, off offset:104
	;; [unrolled: 1-line block ×4, first 2 shown]
	scratch_load_b64 v[68:69], off, off offset:152
	ds_load_b128 v[60:63], v2 offset:256
	ds_load_b128 v[64:67], v2 offset:272
	s_mov_b32 s0, exec_lo
	s_wait_loadcnt_dscnt 0x401
	v_fma_f64 v[60:61], v[46:47], v[60:61], 0
	s_wait_loadcnt 0x3
	s_delay_alu instid0(VALU_DEP_1) | instskip(SKIP_1) | instid1(VALU_DEP_1)
	v_fmac_f64_e32 v[60:61], v[48:49], v[62:63]
	s_wait_dscnt 0x0
	v_fmac_f64_e32 v[60:61], v[50:51], v[64:65]
	s_wait_loadcnt 0x2
	s_delay_alu instid0(VALU_DEP_1)
	v_fmac_f64_e32 v[60:61], v[52:53], v[66:67]
	ds_load_b128 v[46:49], v2 offset:288
	ds_load_b128 v[50:53], v2 offset:304
	s_wait_dscnt 0x1
	v_fmac_f64_e32 v[60:61], v[54:55], v[46:47]
	s_wait_loadcnt 0x1
	s_delay_alu instid0(VALU_DEP_1) | instskip(SKIP_1) | instid1(VALU_DEP_1)
	v_fmac_f64_e32 v[60:61], v[56:57], v[48:49]
	s_wait_dscnt 0x0
	v_fmac_f64_e32 v[60:61], v[58:59], v[50:51]
	s_wait_loadcnt 0x0
	s_delay_alu instid0(VALU_DEP_1) | instskip(NEXT) | instid1(VALU_DEP_1)
	v_fmac_f64_e32 v[60:61], v[68:69], v[52:53]
	v_add_f64_e64 v[2:3], v[44:45], -v[60:61]
	scratch_store_b64 off, v[2:3], off offset:88
	s_wait_xcnt 0x0
	v_cmpx_lt_u32_e32 10, v0
	s_cbranch_execz .LBB83_109
; %bb.108:
	scratch_load_b64 v[2:3], off, off offset:80
	v_mov_b64_e32 v[44:45], 0
	scratch_store_b64 off, v[44:45], off offset:80
	s_wait_loadcnt 0x0
	ds_store_b64 v1, v[2:3]
.LBB83_109:
	s_wait_xcnt 0x0
	s_or_b32 exec_lo, exec_lo, s0
	s_wait_storecnt_dscnt 0x0
	s_barrier_signal -1
	s_barrier_wait -1
	s_clause 0x4
	scratch_load_b128 v[44:47], off, off offset:80
	scratch_load_b128 v[48:51], off, off offset:96
	;; [unrolled: 1-line block ×5, first 2 shown]
	v_mov_b32_e32 v2, 0
	ds_load_2addr_b64 v[64:67], v2 offset0:31 offset1:32
	ds_load_2addr_b64 v[68:71], v2 offset0:33 offset1:34
	s_mov_b32 s0, exec_lo
	s_wait_loadcnt_dscnt 0x401
	v_fma_f64 v[64:65], v[46:47], v[64:65], 0
	s_wait_loadcnt 0x3
	s_delay_alu instid0(VALU_DEP_1) | instskip(SKIP_1) | instid1(VALU_DEP_1)
	v_fmac_f64_e32 v[64:65], v[48:49], v[66:67]
	s_wait_dscnt 0x0
	v_fmac_f64_e32 v[64:65], v[50:51], v[68:69]
	s_wait_loadcnt 0x2
	s_delay_alu instid0(VALU_DEP_1)
	v_fmac_f64_e32 v[64:65], v[52:53], v[70:71]
	ds_load_2addr_b64 v[46:49], v2 offset0:35 offset1:36
	ds_load_2addr_b64 v[50:53], v2 offset0:37 offset1:38
	s_wait_dscnt 0x1
	v_fmac_f64_e32 v[64:65], v[54:55], v[46:47]
	ds_load_b64 v[46:47], v2 offset:312
	s_wait_loadcnt 0x1
	v_fmac_f64_e32 v[64:65], v[56:57], v[48:49]
	s_wait_dscnt 0x1
	s_delay_alu instid0(VALU_DEP_1) | instskip(SKIP_1) | instid1(VALU_DEP_1)
	v_fmac_f64_e32 v[64:65], v[58:59], v[50:51]
	s_wait_loadcnt 0x0
	v_fmac_f64_e32 v[64:65], v[60:61], v[52:53]
	s_wait_dscnt 0x0
	s_delay_alu instid0(VALU_DEP_1) | instskip(NEXT) | instid1(VALU_DEP_1)
	v_fmac_f64_e32 v[64:65], v[62:63], v[46:47]
	v_add_f64_e64 v[44:45], v[44:45], -v[64:65]
	scratch_store_b64 off, v[44:45], off offset:80
	s_wait_xcnt 0x0
	v_cmpx_lt_u32_e32 9, v0
	s_cbranch_execz .LBB83_111
; %bb.110:
	scratch_load_b64 v[44:45], off, off offset:72
	v_mov_b64_e32 v[46:47], 0
	scratch_store_b64 off, v[46:47], off offset:72
	s_wait_loadcnt 0x0
	ds_store_b64 v1, v[44:45]
.LBB83_111:
	s_wait_xcnt 0x0
	s_or_b32 exec_lo, exec_lo, s0
	s_wait_storecnt_dscnt 0x0
	s_barrier_signal -1
	s_barrier_wait -1
	s_clause 0x5
	scratch_load_b128 v[44:47], off, off offset:72
	scratch_load_b128 v[48:51], off, off offset:88
	scratch_load_b128 v[52:55], off, off offset:104
	scratch_load_b128 v[56:59], off, off offset:120
	scratch_load_b128 v[60:63], off, off offset:136
	scratch_load_b64 v[72:73], off, off offset:152
	ds_load_b128 v[64:67], v2 offset:240
	ds_load_b128 v[68:71], v2 offset:256
	s_mov_b32 s0, exec_lo
	s_wait_loadcnt_dscnt 0x501
	v_fma_f64 v[64:65], v[46:47], v[64:65], 0
	s_wait_loadcnt 0x4
	s_delay_alu instid0(VALU_DEP_1) | instskip(SKIP_1) | instid1(VALU_DEP_1)
	v_fmac_f64_e32 v[64:65], v[48:49], v[66:67]
	s_wait_dscnt 0x0
	v_fmac_f64_e32 v[64:65], v[50:51], v[68:69]
	s_wait_loadcnt 0x3
	s_delay_alu instid0(VALU_DEP_1)
	v_fmac_f64_e32 v[64:65], v[52:53], v[70:71]
	ds_load_b128 v[46:49], v2 offset:272
	ds_load_b128 v[50:53], v2 offset:288
	s_wait_dscnt 0x1
	v_fmac_f64_e32 v[64:65], v[54:55], v[46:47]
	s_wait_loadcnt 0x2
	s_delay_alu instid0(VALU_DEP_1) | instskip(SKIP_4) | instid1(VALU_DEP_1)
	v_fmac_f64_e32 v[64:65], v[56:57], v[48:49]
	ds_load_b128 v[46:49], v2 offset:304
	s_wait_dscnt 0x1
	v_fmac_f64_e32 v[64:65], v[58:59], v[50:51]
	s_wait_loadcnt 0x1
	v_fmac_f64_e32 v[64:65], v[60:61], v[52:53]
	s_wait_dscnt 0x0
	s_delay_alu instid0(VALU_DEP_1) | instskip(SKIP_1) | instid1(VALU_DEP_1)
	v_fmac_f64_e32 v[64:65], v[62:63], v[46:47]
	s_wait_loadcnt 0x0
	v_fmac_f64_e32 v[64:65], v[72:73], v[48:49]
	s_delay_alu instid0(VALU_DEP_1)
	v_add_f64_e64 v[2:3], v[44:45], -v[64:65]
	scratch_store_b64 off, v[2:3], off offset:72
	s_wait_xcnt 0x0
	v_cmpx_lt_u32_e32 8, v0
	s_cbranch_execz .LBB83_113
; %bb.112:
	scratch_load_b64 v[2:3], off, off offset:64
	v_mov_b64_e32 v[44:45], 0
	scratch_store_b64 off, v[44:45], off offset:64
	s_wait_loadcnt 0x0
	ds_store_b64 v1, v[2:3]
.LBB83_113:
	s_wait_xcnt 0x0
	s_or_b32 exec_lo, exec_lo, s0
	s_wait_storecnt_dscnt 0x0
	s_barrier_signal -1
	s_barrier_wait -1
	s_clause 0x5
	scratch_load_b128 v[44:47], off, off offset:64
	scratch_load_b128 v[48:51], off, off offset:80
	;; [unrolled: 1-line block ×6, first 2 shown]
	v_mov_b32_e32 v2, 0
	ds_load_2addr_b64 v[68:71], v2 offset0:29 offset1:30
	ds_load_2addr_b64 v[72:75], v2 offset0:31 offset1:32
	s_mov_b32 s0, exec_lo
	s_wait_loadcnt_dscnt 0x501
	v_fma_f64 v[68:69], v[46:47], v[68:69], 0
	s_wait_loadcnt 0x4
	s_delay_alu instid0(VALU_DEP_1) | instskip(SKIP_1) | instid1(VALU_DEP_1)
	v_fmac_f64_e32 v[68:69], v[48:49], v[70:71]
	s_wait_dscnt 0x0
	v_fmac_f64_e32 v[68:69], v[50:51], v[72:73]
	s_wait_loadcnt 0x3
	s_delay_alu instid0(VALU_DEP_1)
	v_fmac_f64_e32 v[68:69], v[52:53], v[74:75]
	ds_load_2addr_b64 v[46:49], v2 offset0:33 offset1:34
	ds_load_2addr_b64 v[50:53], v2 offset0:35 offset1:36
	s_wait_dscnt 0x1
	v_fmac_f64_e32 v[68:69], v[54:55], v[46:47]
	s_wait_loadcnt 0x2
	s_delay_alu instid0(VALU_DEP_1) | instskip(SKIP_1) | instid1(VALU_DEP_1)
	v_fmac_f64_e32 v[68:69], v[56:57], v[48:49]
	s_wait_dscnt 0x0
	v_fmac_f64_e32 v[68:69], v[58:59], v[50:51]
	ds_load_2addr_b64 v[46:49], v2 offset0:37 offset1:38
	ds_load_b64 v[50:51], v2 offset:312
	s_wait_loadcnt 0x1
	v_fmac_f64_e32 v[68:69], v[60:61], v[52:53]
	s_wait_dscnt 0x1
	s_delay_alu instid0(VALU_DEP_1) | instskip(SKIP_1) | instid1(VALU_DEP_1)
	v_fmac_f64_e32 v[68:69], v[62:63], v[46:47]
	s_wait_loadcnt 0x0
	v_fmac_f64_e32 v[68:69], v[64:65], v[48:49]
	s_wait_dscnt 0x0
	s_delay_alu instid0(VALU_DEP_1) | instskip(NEXT) | instid1(VALU_DEP_1)
	v_fmac_f64_e32 v[68:69], v[66:67], v[50:51]
	v_add_f64_e64 v[44:45], v[44:45], -v[68:69]
	scratch_store_b64 off, v[44:45], off offset:64
	s_wait_xcnt 0x0
	v_cmpx_lt_u32_e32 7, v0
	s_cbranch_execz .LBB83_115
; %bb.114:
	scratch_load_b64 v[44:45], off, off offset:56
	v_mov_b64_e32 v[46:47], 0
	scratch_store_b64 off, v[46:47], off offset:56
	s_wait_loadcnt 0x0
	ds_store_b64 v1, v[44:45]
.LBB83_115:
	s_wait_xcnt 0x0
	s_or_b32 exec_lo, exec_lo, s0
	s_wait_storecnt_dscnt 0x0
	s_barrier_signal -1
	s_barrier_wait -1
	s_clause 0x5
	scratch_load_b128 v[44:47], off, off offset:56
	scratch_load_b128 v[48:51], off, off offset:72
	;; [unrolled: 1-line block ×6, first 2 shown]
	ds_load_b128 v[68:71], v2 offset:224
	ds_load_b128 v[72:75], v2 offset:240
	s_mov_b32 s0, exec_lo
	s_wait_loadcnt_dscnt 0x501
	v_fma_f64 v[68:69], v[46:47], v[68:69], 0
	s_wait_loadcnt 0x4
	s_delay_alu instid0(VALU_DEP_1) | instskip(SKIP_4) | instid1(VALU_DEP_1)
	v_fmac_f64_e32 v[68:69], v[48:49], v[70:71]
	scratch_load_b64 v[70:71], off, off offset:152
	s_wait_dscnt 0x0
	v_fmac_f64_e32 v[68:69], v[50:51], v[72:73]
	s_wait_loadcnt 0x4
	v_fmac_f64_e32 v[68:69], v[52:53], v[74:75]
	ds_load_b128 v[46:49], v2 offset:256
	ds_load_b128 v[50:53], v2 offset:272
	s_wait_dscnt 0x1
	v_fmac_f64_e32 v[68:69], v[54:55], v[46:47]
	s_wait_loadcnt 0x3
	s_delay_alu instid0(VALU_DEP_1) | instskip(SKIP_1) | instid1(VALU_DEP_1)
	v_fmac_f64_e32 v[68:69], v[56:57], v[48:49]
	s_wait_dscnt 0x0
	v_fmac_f64_e32 v[68:69], v[58:59], v[50:51]
	s_wait_loadcnt 0x2
	s_delay_alu instid0(VALU_DEP_1)
	v_fmac_f64_e32 v[68:69], v[60:61], v[52:53]
	ds_load_b128 v[46:49], v2 offset:288
	ds_load_b128 v[50:53], v2 offset:304
	s_wait_dscnt 0x1
	v_fmac_f64_e32 v[68:69], v[62:63], v[46:47]
	s_wait_loadcnt 0x1
	s_delay_alu instid0(VALU_DEP_1) | instskip(SKIP_1) | instid1(VALU_DEP_1)
	v_fmac_f64_e32 v[68:69], v[64:65], v[48:49]
	s_wait_dscnt 0x0
	v_fmac_f64_e32 v[68:69], v[66:67], v[50:51]
	s_wait_loadcnt 0x0
	s_delay_alu instid0(VALU_DEP_1) | instskip(NEXT) | instid1(VALU_DEP_1)
	v_fmac_f64_e32 v[68:69], v[70:71], v[52:53]
	v_add_f64_e64 v[2:3], v[44:45], -v[68:69]
	scratch_store_b64 off, v[2:3], off offset:56
	s_wait_xcnt 0x0
	v_cmpx_lt_u32_e32 6, v0
	s_cbranch_execz .LBB83_117
; %bb.116:
	scratch_load_b64 v[2:3], off, off offset:48
	v_mov_b64_e32 v[44:45], 0
	scratch_store_b64 off, v[44:45], off offset:48
	s_wait_loadcnt 0x0
	ds_store_b64 v1, v[2:3]
.LBB83_117:
	s_wait_xcnt 0x0
	s_or_b32 exec_lo, exec_lo, s0
	s_wait_storecnt_dscnt 0x0
	s_barrier_signal -1
	s_barrier_wait -1
	s_clause 0x5
	scratch_load_b128 v[44:47], off, off offset:48
	scratch_load_b128 v[48:51], off, off offset:64
	;; [unrolled: 1-line block ×6, first 2 shown]
	v_mov_b32_e32 v2, 0
	ds_load_2addr_b64 v[68:71], v2 offset0:27 offset1:28
	ds_load_2addr_b64 v[72:75], v2 offset0:29 offset1:30
	s_mov_b32 s0, exec_lo
	s_wait_loadcnt_dscnt 0x501
	v_fma_f64 v[76:77], v[46:47], v[68:69], 0
	s_wait_loadcnt 0x4
	s_delay_alu instid0(VALU_DEP_1) | instskip(SKIP_4) | instid1(VALU_DEP_1)
	v_fmac_f64_e32 v[76:77], v[48:49], v[70:71]
	scratch_load_b128 v[46:49], off, off offset:144
	s_wait_dscnt 0x0
	v_fmac_f64_e32 v[76:77], v[50:51], v[72:73]
	s_wait_loadcnt 0x4
	v_fmac_f64_e32 v[76:77], v[52:53], v[74:75]
	ds_load_2addr_b64 v[50:53], v2 offset0:31 offset1:32
	ds_load_2addr_b64 v[68:71], v2 offset0:33 offset1:34
	s_wait_dscnt 0x1
	v_fmac_f64_e32 v[76:77], v[54:55], v[50:51]
	s_wait_loadcnt 0x3
	s_delay_alu instid0(VALU_DEP_1)
	v_fmac_f64_e32 v[76:77], v[56:57], v[52:53]
	ds_load_2addr_b64 v[50:53], v2 offset0:35 offset1:36
	ds_load_2addr_b64 v[54:57], v2 offset0:37 offset1:38
	s_wait_dscnt 0x2
	v_fmac_f64_e32 v[76:77], v[58:59], v[68:69]
	s_wait_loadcnt 0x2
	s_delay_alu instid0(VALU_DEP_1) | instskip(SKIP_1) | instid1(VALU_DEP_1)
	v_fmac_f64_e32 v[76:77], v[60:61], v[70:71]
	s_wait_dscnt 0x1
	v_fmac_f64_e32 v[76:77], v[62:63], v[50:51]
	s_wait_loadcnt 0x1
	s_delay_alu instid0(VALU_DEP_1) | instskip(SKIP_1) | instid1(VALU_DEP_1)
	v_fmac_f64_e32 v[76:77], v[64:65], v[52:53]
	s_wait_dscnt 0x0
	v_fmac_f64_e32 v[76:77], v[66:67], v[54:55]
	s_wait_loadcnt 0x0
	s_delay_alu instid0(VALU_DEP_1) | instskip(SKIP_3) | instid1(VALU_DEP_1)
	v_fmac_f64_e32 v[76:77], v[46:47], v[56:57]
	ds_load_b64 v[46:47], v2 offset:312
	s_wait_dscnt 0x0
	v_fmac_f64_e32 v[76:77], v[48:49], v[46:47]
	v_add_f64_e64 v[44:45], v[44:45], -v[76:77]
	scratch_store_b64 off, v[44:45], off offset:48
	s_wait_xcnt 0x0
	v_cmpx_lt_u32_e32 5, v0
	s_cbranch_execz .LBB83_119
; %bb.118:
	scratch_load_b64 v[44:45], off, off offset:40
	v_mov_b64_e32 v[46:47], 0
	scratch_store_b64 off, v[46:47], off offset:40
	s_wait_loadcnt 0x0
	ds_store_b64 v1, v[44:45]
.LBB83_119:
	s_wait_xcnt 0x0
	s_or_b32 exec_lo, exec_lo, s0
	s_wait_storecnt_dscnt 0x0
	s_barrier_signal -1
	s_barrier_wait -1
	s_clause 0x5
	scratch_load_b128 v[44:47], off, off offset:40
	scratch_load_b128 v[48:51], off, off offset:56
	;; [unrolled: 1-line block ×6, first 2 shown]
	ds_load_b128 v[68:71], v2 offset:208
	ds_load_b128 v[72:75], v2 offset:224
	s_mov_b32 s0, exec_lo
	s_wait_loadcnt_dscnt 0x501
	v_fma_f64 v[76:77], v[46:47], v[68:69], 0
	s_wait_loadcnt 0x4
	s_delay_alu instid0(VALU_DEP_1)
	v_fmac_f64_e32 v[76:77], v[48:49], v[70:71]
	scratch_load_b128 v[46:49], off, off offset:136
	s_wait_dscnt 0x0
	v_fmac_f64_e32 v[76:77], v[50:51], v[72:73]
	scratch_load_b64 v[72:73], off, off offset:152
	s_wait_loadcnt 0x5
	v_fmac_f64_e32 v[76:77], v[52:53], v[74:75]
	ds_load_b128 v[50:53], v2 offset:240
	ds_load_b128 v[68:71], v2 offset:256
	s_wait_dscnt 0x1
	v_fmac_f64_e32 v[76:77], v[54:55], v[50:51]
	s_wait_loadcnt 0x4
	s_delay_alu instid0(VALU_DEP_1)
	v_fmac_f64_e32 v[76:77], v[56:57], v[52:53]
	ds_load_b128 v[50:53], v2 offset:272
	ds_load_b128 v[54:57], v2 offset:288
	s_wait_dscnt 0x2
	v_fmac_f64_e32 v[76:77], v[58:59], v[68:69]
	s_wait_loadcnt 0x3
	s_delay_alu instid0(VALU_DEP_1) | instskip(SKIP_1) | instid1(VALU_DEP_1)
	v_fmac_f64_e32 v[76:77], v[60:61], v[70:71]
	s_wait_dscnt 0x1
	v_fmac_f64_e32 v[76:77], v[62:63], v[50:51]
	s_wait_loadcnt 0x2
	s_delay_alu instid0(VALU_DEP_1) | instskip(SKIP_4) | instid1(VALU_DEP_1)
	v_fmac_f64_e32 v[76:77], v[64:65], v[52:53]
	ds_load_b128 v[50:53], v2 offset:304
	s_wait_dscnt 0x1
	v_fmac_f64_e32 v[76:77], v[66:67], v[54:55]
	s_wait_loadcnt 0x1
	v_fmac_f64_e32 v[76:77], v[46:47], v[56:57]
	s_wait_dscnt 0x0
	s_delay_alu instid0(VALU_DEP_1) | instskip(SKIP_1) | instid1(VALU_DEP_1)
	v_fmac_f64_e32 v[76:77], v[48:49], v[50:51]
	s_wait_loadcnt 0x0
	v_fmac_f64_e32 v[76:77], v[72:73], v[52:53]
	s_delay_alu instid0(VALU_DEP_1)
	v_add_f64_e64 v[2:3], v[44:45], -v[76:77]
	scratch_store_b64 off, v[2:3], off offset:40
	s_wait_xcnt 0x0
	v_cmpx_lt_u32_e32 4, v0
	s_cbranch_execz .LBB83_121
; %bb.120:
	scratch_load_b64 v[2:3], off, off offset:32
	v_mov_b64_e32 v[44:45], 0
	scratch_store_b64 off, v[44:45], off offset:32
	s_wait_loadcnt 0x0
	ds_store_b64 v1, v[2:3]
.LBB83_121:
	s_wait_xcnt 0x0
	s_or_b32 exec_lo, exec_lo, s0
	s_wait_storecnt_dscnt 0x0
	s_barrier_signal -1
	s_barrier_wait -1
	s_clause 0x5
	scratch_load_b128 v[44:47], off, off offset:32
	scratch_load_b128 v[48:51], off, off offset:48
	;; [unrolled: 1-line block ×6, first 2 shown]
	v_mov_b32_e32 v2, 0
	ds_load_2addr_b64 v[68:71], v2 offset0:25 offset1:26
	ds_load_2addr_b64 v[72:75], v2 offset0:27 offset1:28
	s_mov_b32 s0, exec_lo
	s_wait_loadcnt_dscnt 0x501
	v_fma_f64 v[76:77], v[46:47], v[68:69], 0
	s_wait_loadcnt 0x4
	s_delay_alu instid0(VALU_DEP_1) | instskip(SKIP_4) | instid1(VALU_DEP_1)
	v_fmac_f64_e32 v[76:77], v[48:49], v[70:71]
	scratch_load_b128 v[46:49], off, off offset:128
	s_wait_dscnt 0x0
	v_fmac_f64_e32 v[76:77], v[50:51], v[72:73]
	s_wait_loadcnt 0x4
	v_fmac_f64_e32 v[76:77], v[52:53], v[74:75]
	scratch_load_b128 v[50:53], off, off offset:144
	ds_load_2addr_b64 v[68:71], v2 offset0:29 offset1:30
	ds_load_2addr_b64 v[72:75], v2 offset0:31 offset1:32
	s_wait_dscnt 0x1
	v_fmac_f64_e32 v[76:77], v[54:55], v[68:69]
	s_wait_loadcnt 0x4
	s_delay_alu instid0(VALU_DEP_1) | instskip(SKIP_1) | instid1(VALU_DEP_1)
	v_fmac_f64_e32 v[76:77], v[56:57], v[70:71]
	s_wait_dscnt 0x0
	v_fmac_f64_e32 v[76:77], v[58:59], v[72:73]
	s_wait_loadcnt 0x3
	s_delay_alu instid0(VALU_DEP_1)
	v_fmac_f64_e32 v[76:77], v[60:61], v[74:75]
	ds_load_2addr_b64 v[54:57], v2 offset0:33 offset1:34
	ds_load_2addr_b64 v[58:61], v2 offset0:35 offset1:36
	s_wait_dscnt 0x1
	v_fmac_f64_e32 v[76:77], v[62:63], v[54:55]
	s_wait_loadcnt 0x2
	s_delay_alu instid0(VALU_DEP_1) | instskip(SKIP_1) | instid1(VALU_DEP_1)
	v_fmac_f64_e32 v[76:77], v[64:65], v[56:57]
	s_wait_dscnt 0x0
	v_fmac_f64_e32 v[76:77], v[66:67], v[58:59]
	s_wait_loadcnt 0x1
	s_delay_alu instid0(VALU_DEP_1)
	v_fmac_f64_e32 v[76:77], v[46:47], v[60:61]
	ds_load_2addr_b64 v[54:57], v2 offset0:37 offset1:38
	ds_load_b64 v[46:47], v2 offset:312
	s_wait_dscnt 0x1
	v_fmac_f64_e32 v[76:77], v[48:49], v[54:55]
	s_wait_loadcnt 0x0
	s_delay_alu instid0(VALU_DEP_1) | instskip(SKIP_1) | instid1(VALU_DEP_1)
	v_fmac_f64_e32 v[76:77], v[50:51], v[56:57]
	s_wait_dscnt 0x0
	v_fmac_f64_e32 v[76:77], v[52:53], v[46:47]
	s_delay_alu instid0(VALU_DEP_1)
	v_add_f64_e64 v[44:45], v[44:45], -v[76:77]
	scratch_store_b64 off, v[44:45], off offset:32
	s_wait_xcnt 0x0
	v_cmpx_lt_u32_e32 3, v0
	s_cbranch_execz .LBB83_123
; %bb.122:
	scratch_load_b64 v[44:45], off, off offset:24
	v_mov_b64_e32 v[46:47], 0
	scratch_store_b64 off, v[46:47], off offset:24
	s_wait_loadcnt 0x0
	ds_store_b64 v1, v[44:45]
.LBB83_123:
	s_wait_xcnt 0x0
	s_or_b32 exec_lo, exec_lo, s0
	s_wait_storecnt_dscnt 0x0
	s_barrier_signal -1
	s_barrier_wait -1
	s_clause 0x5
	scratch_load_b128 v[44:47], off, off offset:24
	scratch_load_b128 v[48:51], off, off offset:40
	;; [unrolled: 1-line block ×6, first 2 shown]
	ds_load_b128 v[68:71], v2 offset:192
	ds_load_b128 v[72:75], v2 offset:208
	s_mov_b32 s0, exec_lo
	s_wait_loadcnt_dscnt 0x501
	v_fma_f64 v[76:77], v[46:47], v[68:69], 0
	s_wait_loadcnt 0x4
	s_delay_alu instid0(VALU_DEP_1) | instskip(SKIP_4) | instid1(VALU_DEP_1)
	v_fmac_f64_e32 v[76:77], v[48:49], v[70:71]
	scratch_load_b128 v[46:49], off, off offset:120
	s_wait_dscnt 0x0
	v_fmac_f64_e32 v[76:77], v[50:51], v[72:73]
	s_wait_loadcnt 0x4
	v_fmac_f64_e32 v[76:77], v[52:53], v[74:75]
	scratch_load_b128 v[50:53], off, off offset:136
	ds_load_b128 v[68:71], v2 offset:224
	ds_load_b128 v[72:75], v2 offset:240
	s_wait_dscnt 0x1
	v_fmac_f64_e32 v[76:77], v[54:55], v[68:69]
	scratch_load_b64 v[68:69], off, off offset:152
	s_wait_loadcnt 0x5
	v_fmac_f64_e32 v[76:77], v[56:57], v[70:71]
	s_wait_dscnt 0x0
	s_delay_alu instid0(VALU_DEP_1) | instskip(SKIP_1) | instid1(VALU_DEP_1)
	v_fmac_f64_e32 v[76:77], v[58:59], v[72:73]
	s_wait_loadcnt 0x4
	v_fmac_f64_e32 v[76:77], v[60:61], v[74:75]
	ds_load_b128 v[54:57], v2 offset:256
	ds_load_b128 v[58:61], v2 offset:272
	s_wait_dscnt 0x1
	v_fmac_f64_e32 v[76:77], v[62:63], v[54:55]
	s_wait_loadcnt 0x3
	s_delay_alu instid0(VALU_DEP_1) | instskip(SKIP_1) | instid1(VALU_DEP_1)
	v_fmac_f64_e32 v[76:77], v[64:65], v[56:57]
	s_wait_dscnt 0x0
	v_fmac_f64_e32 v[76:77], v[66:67], v[58:59]
	s_wait_loadcnt 0x2
	s_delay_alu instid0(VALU_DEP_1)
	v_fmac_f64_e32 v[76:77], v[46:47], v[60:61]
	ds_load_b128 v[54:57], v2 offset:288
	ds_load_b128 v[58:61], v2 offset:304
	s_wait_dscnt 0x1
	v_fmac_f64_e32 v[76:77], v[48:49], v[54:55]
	s_wait_loadcnt 0x1
	s_delay_alu instid0(VALU_DEP_1) | instskip(SKIP_1) | instid1(VALU_DEP_1)
	v_fmac_f64_e32 v[76:77], v[50:51], v[56:57]
	s_wait_dscnt 0x0
	v_fmac_f64_e32 v[76:77], v[52:53], v[58:59]
	s_wait_loadcnt 0x0
	s_delay_alu instid0(VALU_DEP_1) | instskip(NEXT) | instid1(VALU_DEP_1)
	v_fmac_f64_e32 v[76:77], v[68:69], v[60:61]
	v_add_f64_e64 v[2:3], v[44:45], -v[76:77]
	scratch_store_b64 off, v[2:3], off offset:24
	s_wait_xcnt 0x0
	v_cmpx_lt_u32_e32 2, v0
	s_cbranch_execz .LBB83_125
; %bb.124:
	scratch_load_b64 v[2:3], off, off offset:16
	v_mov_b64_e32 v[44:45], 0
	scratch_store_b64 off, v[44:45], off offset:16
	s_wait_loadcnt 0x0
	ds_store_b64 v1, v[2:3]
.LBB83_125:
	s_wait_xcnt 0x0
	s_or_b32 exec_lo, exec_lo, s0
	s_wait_storecnt_dscnt 0x0
	s_barrier_signal -1
	s_barrier_wait -1
	s_clause 0x5
	scratch_load_b128 v[44:47], off, off offset:16
	scratch_load_b128 v[48:51], off, off offset:32
	;; [unrolled: 1-line block ×6, first 2 shown]
	v_mov_b32_e32 v2, 0
	ds_load_2addr_b64 v[68:71], v2 offset0:23 offset1:24
	ds_load_2addr_b64 v[72:75], v2 offset0:25 offset1:26
	s_mov_b32 s0, exec_lo
	s_wait_loadcnt_dscnt 0x501
	v_fma_f64 v[76:77], v[46:47], v[68:69], 0
	s_wait_loadcnt 0x4
	s_delay_alu instid0(VALU_DEP_1) | instskip(SKIP_4) | instid1(VALU_DEP_1)
	v_fmac_f64_e32 v[76:77], v[48:49], v[70:71]
	scratch_load_b128 v[46:49], off, off offset:112
	s_wait_dscnt 0x0
	v_fmac_f64_e32 v[76:77], v[50:51], v[72:73]
	s_wait_loadcnt 0x4
	v_fmac_f64_e32 v[76:77], v[52:53], v[74:75]
	scratch_load_b128 v[50:53], off, off offset:128
	ds_load_2addr_b64 v[68:71], v2 offset0:27 offset1:28
	ds_load_2addr_b64 v[72:75], v2 offset0:29 offset1:30
	s_wait_dscnt 0x1
	v_fmac_f64_e32 v[76:77], v[54:55], v[68:69]
	s_wait_loadcnt 0x4
	s_delay_alu instid0(VALU_DEP_1) | instskip(SKIP_4) | instid1(VALU_DEP_1)
	v_fmac_f64_e32 v[76:77], v[56:57], v[70:71]
	scratch_load_b128 v[54:57], off, off offset:144
	s_wait_dscnt 0x0
	v_fmac_f64_e32 v[76:77], v[58:59], v[72:73]
	s_wait_loadcnt 0x4
	v_fmac_f64_e32 v[76:77], v[60:61], v[74:75]
	ds_load_2addr_b64 v[58:61], v2 offset0:31 offset1:32
	ds_load_2addr_b64 v[68:71], v2 offset0:33 offset1:34
	s_wait_dscnt 0x1
	v_fmac_f64_e32 v[76:77], v[62:63], v[58:59]
	s_wait_loadcnt 0x3
	s_delay_alu instid0(VALU_DEP_1)
	v_fmac_f64_e32 v[76:77], v[64:65], v[60:61]
	ds_load_2addr_b64 v[58:61], v2 offset0:35 offset1:36
	ds_load_2addr_b64 v[62:65], v2 offset0:37 offset1:38
	s_wait_dscnt 0x2
	v_fmac_f64_e32 v[76:77], v[66:67], v[68:69]
	s_wait_loadcnt 0x2
	s_delay_alu instid0(VALU_DEP_1) | instskip(SKIP_4) | instid1(VALU_DEP_1)
	v_fmac_f64_e32 v[76:77], v[46:47], v[70:71]
	ds_load_b64 v[46:47], v2 offset:312
	s_wait_dscnt 0x2
	v_fmac_f64_e32 v[76:77], v[48:49], v[58:59]
	s_wait_loadcnt 0x1
	v_fmac_f64_e32 v[76:77], v[50:51], v[60:61]
	s_wait_dscnt 0x1
	s_delay_alu instid0(VALU_DEP_1) | instskip(SKIP_1) | instid1(VALU_DEP_1)
	v_fmac_f64_e32 v[76:77], v[52:53], v[62:63]
	s_wait_loadcnt 0x0
	v_fmac_f64_e32 v[76:77], v[54:55], v[64:65]
	s_wait_dscnt 0x0
	s_delay_alu instid0(VALU_DEP_1) | instskip(NEXT) | instid1(VALU_DEP_1)
	v_fmac_f64_e32 v[76:77], v[56:57], v[46:47]
	v_add_f64_e64 v[44:45], v[44:45], -v[76:77]
	scratch_store_b64 off, v[44:45], off offset:16
	s_wait_xcnt 0x0
	v_cmpx_lt_u32_e32 1, v0
	s_cbranch_execz .LBB83_127
; %bb.126:
	scratch_load_b64 v[44:45], off, off offset:8
	v_mov_b64_e32 v[46:47], 0
	scratch_store_b64 off, v[46:47], off offset:8
	s_wait_loadcnt 0x0
	ds_store_b64 v1, v[44:45]
.LBB83_127:
	s_wait_xcnt 0x0
	s_or_b32 exec_lo, exec_lo, s0
	s_wait_storecnt_dscnt 0x0
	s_barrier_signal -1
	s_barrier_wait -1
	s_clause 0x5
	scratch_load_b128 v[44:47], off, off offset:8
	scratch_load_b128 v[48:51], off, off offset:24
	;; [unrolled: 1-line block ×6, first 2 shown]
	ds_load_b128 v[68:71], v2 offset:176
	ds_load_b128 v[72:75], v2 offset:192
	v_dual_ashrrev_i32 v9, 31, v8 :: v_dual_ashrrev_i32 v15, 31, v14
	v_dual_ashrrev_i32 v13, 31, v12 :: v_dual_ashrrev_i32 v19, 31, v18
	;; [unrolled: 1-line block ×8, first 2 shown]
	v_ashrrev_i32_e32 v41, 31, v40
	s_mov_b32 s0, exec_lo
	v_ashrrev_i32_e32 v11, 31, v10
	s_wait_loadcnt_dscnt 0x501
	v_fma_f64 v[76:77], v[46:47], v[68:69], 0
	s_wait_loadcnt 0x4
	s_delay_alu instid0(VALU_DEP_1) | instskip(SKIP_4) | instid1(VALU_DEP_1)
	v_fmac_f64_e32 v[76:77], v[48:49], v[70:71]
	scratch_load_b128 v[46:49], off, off offset:104
	s_wait_dscnt 0x0
	v_fmac_f64_e32 v[76:77], v[50:51], v[72:73]
	s_wait_loadcnt 0x4
	v_fmac_f64_e32 v[76:77], v[52:53], v[74:75]
	scratch_load_b128 v[50:53], off, off offset:120
	ds_load_b128 v[68:71], v2 offset:208
	ds_load_b128 v[72:75], v2 offset:224
	s_wait_dscnt 0x1
	v_fmac_f64_e32 v[76:77], v[54:55], v[68:69]
	s_wait_loadcnt 0x4
	s_delay_alu instid0(VALU_DEP_1)
	v_fmac_f64_e32 v[76:77], v[56:57], v[70:71]
	scratch_load_b128 v[54:57], off, off offset:136
	s_wait_dscnt 0x0
	v_fmac_f64_e32 v[76:77], v[58:59], v[72:73]
	scratch_load_b64 v[72:73], off, off offset:152
	s_wait_loadcnt 0x5
	v_fmac_f64_e32 v[76:77], v[60:61], v[74:75]
	ds_load_b128 v[58:61], v2 offset:240
	ds_load_b128 v[68:71], v2 offset:256
	s_wait_dscnt 0x1
	v_fmac_f64_e32 v[76:77], v[62:63], v[58:59]
	s_wait_loadcnt 0x4
	s_delay_alu instid0(VALU_DEP_1)
	v_fmac_f64_e32 v[76:77], v[64:65], v[60:61]
	ds_load_b128 v[58:61], v2 offset:272
	ds_load_b128 v[62:65], v2 offset:288
	s_wait_dscnt 0x2
	v_fmac_f64_e32 v[76:77], v[66:67], v[68:69]
	s_wait_loadcnt 0x3
	s_delay_alu instid0(VALU_DEP_1) | instskip(SKIP_1) | instid1(VALU_DEP_1)
	v_fmac_f64_e32 v[76:77], v[46:47], v[70:71]
	s_wait_dscnt 0x1
	v_fmac_f64_e32 v[76:77], v[48:49], v[58:59]
	ds_load_b128 v[46:49], v2 offset:304
	s_wait_loadcnt 0x2
	v_fmac_f64_e32 v[76:77], v[50:51], v[60:61]
	s_wait_dscnt 0x1
	s_delay_alu instid0(VALU_DEP_1) | instskip(SKIP_1) | instid1(VALU_DEP_1)
	v_fmac_f64_e32 v[76:77], v[52:53], v[62:63]
	s_wait_loadcnt 0x1
	v_fmac_f64_e32 v[76:77], v[54:55], v[64:65]
	s_wait_dscnt 0x0
	s_delay_alu instid0(VALU_DEP_1) | instskip(SKIP_1) | instid1(VALU_DEP_1)
	v_fmac_f64_e32 v[76:77], v[56:57], v[46:47]
	s_wait_loadcnt 0x0
	v_fmac_f64_e32 v[76:77], v[72:73], v[48:49]
	s_delay_alu instid0(VALU_DEP_1)
	v_add_f64_e64 v[2:3], v[44:45], -v[76:77]
	scratch_store_b64 off, v[2:3], off offset:8
	s_wait_xcnt 0x0
	v_cmpx_ne_u32_e32 0, v0
	s_cbranch_execz .LBB83_129
; %bb.128:
	scratch_load_b64 v[2:3], off, off
	v_mov_b64_e32 v[44:45], 0
	scratch_store_b64 off, v[44:45], off
	s_wait_loadcnt 0x0
	ds_store_b64 v1, v[2:3]
.LBB83_129:
	s_wait_xcnt 0x0
	s_or_b32 exec_lo, exec_lo, s0
	s_wait_storecnt_dscnt 0x0
	s_barrier_signal -1
	s_barrier_wait -1
	s_clause 0x5
	scratch_load_b128 v[46:49], off, off
	scratch_load_b128 v[0:3], off, off offset:16
	scratch_load_b128 v[50:53], off, off offset:32
	;; [unrolled: 1-line block ×5, first 2 shown]
	v_mov_b32_e32 v44, 0
	s_clause 0x1
	scratch_load_b128 v[70:73], off, off offset:96
	scratch_load_b128 v[74:77], off, off offset:112
	s_and_b32 vcc_lo, exec_lo, s12
	ds_load_2addr_b64 v[66:69], v44 offset0:21 offset1:22
	s_wait_loadcnt_dscnt 0x700
	v_fma_f64 v[78:79], v[48:49], v[66:67], 0
	s_wait_loadcnt 0x6
	s_delay_alu instid0(VALU_DEP_1)
	v_fmac_f64_e32 v[78:79], v[0:1], v[68:69]
	ds_load_2addr_b64 v[66:69], v44 offset0:23 offset1:24
	s_wait_dscnt 0x0
	v_fmac_f64_e32 v[78:79], v[2:3], v[66:67]
	ds_load_2addr_b64 v[0:3], v44 offset0:25 offset1:26
	s_wait_loadcnt 0x5
	v_fmac_f64_e32 v[78:79], v[50:51], v[68:69]
	scratch_load_b128 v[48:51], off, off offset:128
	s_wait_dscnt 0x0
	v_fmac_f64_e32 v[78:79], v[52:53], v[0:1]
	s_wait_loadcnt 0x5
	s_delay_alu instid0(VALU_DEP_1)
	v_fmac_f64_e32 v[78:79], v[54:55], v[2:3]
	ds_load_2addr_b64 v[52:55], v44 offset0:27 offset1:28
	scratch_load_b128 v[0:3], off, off offset:144
	s_wait_dscnt 0x0
	v_fmac_f64_e32 v[78:79], v[56:57], v[52:53]
	s_wait_loadcnt 0x5
	s_delay_alu instid0(VALU_DEP_1) | instskip(SKIP_4) | instid1(VALU_DEP_1)
	v_fmac_f64_e32 v[78:79], v[58:59], v[54:55]
	ds_load_2addr_b64 v[52:55], v44 offset0:29 offset1:30
	s_wait_dscnt 0x0
	v_fmac_f64_e32 v[78:79], v[60:61], v[52:53]
	s_wait_loadcnt 0x4
	v_fmac_f64_e32 v[78:79], v[62:63], v[54:55]
	ds_load_2addr_b64 v[52:55], v44 offset0:31 offset1:32
	s_wait_dscnt 0x0
	v_fmac_f64_e32 v[78:79], v[64:65], v[52:53]
	s_wait_loadcnt 0x3
	s_delay_alu instid0(VALU_DEP_1) | instskip(SKIP_4) | instid1(VALU_DEP_1)
	v_fmac_f64_e32 v[78:79], v[70:71], v[54:55]
	ds_load_2addr_b64 v[52:55], v44 offset0:33 offset1:34
	s_wait_dscnt 0x0
	v_fmac_f64_e32 v[78:79], v[72:73], v[52:53]
	s_wait_loadcnt 0x2
	v_fmac_f64_e32 v[78:79], v[74:75], v[54:55]
	ds_load_2addr_b64 v[52:55], v44 offset0:35 offset1:36
	s_wait_dscnt 0x0
	v_fmac_f64_e32 v[78:79], v[76:77], v[52:53]
	s_wait_loadcnt 0x1
	s_delay_alu instid0(VALU_DEP_1)
	v_fmac_f64_e32 v[78:79], v[48:49], v[54:55]
	ds_load_2addr_b64 v[52:55], v44 offset0:37 offset1:38
	ds_load_b64 v[48:49], v44 offset:312
	s_wait_dscnt 0x1
	v_fmac_f64_e32 v[78:79], v[50:51], v[52:53]
	s_wait_loadcnt 0x0
	s_delay_alu instid0(VALU_DEP_1) | instskip(SKIP_1) | instid1(VALU_DEP_1)
	v_fmac_f64_e32 v[78:79], v[0:1], v[54:55]
	s_wait_dscnt 0x0
	v_fmac_f64_e32 v[78:79], v[2:3], v[48:49]
	s_delay_alu instid0(VALU_DEP_1)
	v_add_f64_e64 v[2:3], v[46:47], -v[78:79]
	scratch_store_b64 off, v[2:3], off
	s_cbranch_vccz .LBB83_168
; %bb.130:
	global_load_b32 v2, v44, s[8:9] offset:72
	s_wait_loadcnt 0x0
	v_cmp_ne_u32_e32 vcc_lo, 19, v2
	s_cbranch_vccz .LBB83_132
; %bb.131:
	v_lshlrev_b32_e32 v2, 3, v2
	s_wait_xcnt 0x0
	s_delay_alu instid0(VALU_DEP_1)
	v_mov_b32_e32 v44, v2
	scratch_load_b64 v[2:3], v44, off offset:-8
	s_wait_loadcnt 0x0
	scratch_store_b64 off, v[2:3], off offset:144
	scratch_store_b64 v44, v[0:1], off offset:-8
.LBB83_132:
	s_wait_xcnt 0x0
	v_mov_b32_e32 v0, 0
	global_load_b32 v1, v0, s[8:9] offset:68
	s_wait_loadcnt 0x0
	v_cmp_eq_u32_e32 vcc_lo, 18, v1
	s_cbranch_vccnz .LBB83_134
; %bb.133:
	v_lshlrev_b32_e32 v1, 3, v1
	scratch_load_b64 v[2:3], v1, off offset:-8
	scratch_load_b64 v[44:45], off, off offset:136
	s_wait_loadcnt 0x1
	scratch_store_b64 off, v[2:3], off offset:136
	s_wait_loadcnt 0x0
	scratch_store_b64 v1, v[44:45], off offset:-8
.LBB83_134:
	global_load_b32 v0, v0, s[8:9] offset:64
	s_wait_loadcnt 0x0
	v_cmp_eq_u32_e32 vcc_lo, 17, v0
	s_cbranch_vccnz .LBB83_136
; %bb.135:
	s_wait_xcnt 0x0
	v_lshlrev_b32_e32 v0, 3, v0
	s_delay_alu instid0(VALU_DEP_1)
	v_mov_b32_e32 v44, v0
	scratch_load_b64 v[0:1], v44, off offset:-8
	scratch_load_b64 v[2:3], off, off offset:128
	s_wait_loadcnt 0x1
	scratch_store_b64 off, v[0:1], off offset:128
	s_wait_loadcnt 0x0
	scratch_store_b64 v44, v[2:3], off offset:-8
.LBB83_136:
	s_wait_xcnt 0x0
	v_mov_b32_e32 v0, 0
	global_load_b32 v1, v0, s[8:9] offset:60
	s_wait_loadcnt 0x0
	v_cmp_eq_u32_e32 vcc_lo, 16, v1
	s_cbranch_vccnz .LBB83_138
; %bb.137:
	v_lshlrev_b32_e32 v1, 3, v1
	scratch_load_b64 v[2:3], v1, off offset:-8
	scratch_load_b64 v[44:45], off, off offset:120
	s_wait_loadcnt 0x1
	scratch_store_b64 off, v[2:3], off offset:120
	s_wait_loadcnt 0x0
	scratch_store_b64 v1, v[44:45], off offset:-8
.LBB83_138:
	global_load_b32 v0, v0, s[8:9] offset:56
	s_wait_loadcnt 0x0
	v_cmp_eq_u32_e32 vcc_lo, 15, v0
	s_cbranch_vccnz .LBB83_140
; %bb.139:
	s_wait_xcnt 0x0
	v_lshlrev_b32_e32 v0, 3, v0
	s_delay_alu instid0(VALU_DEP_1)
	v_mov_b32_e32 v44, v0
	scratch_load_b64 v[0:1], v44, off offset:-8
	scratch_load_b64 v[2:3], off, off offset:112
	s_wait_loadcnt 0x1
	scratch_store_b64 off, v[0:1], off offset:112
	s_wait_loadcnt 0x0
	scratch_store_b64 v44, v[2:3], off offset:-8
.LBB83_140:
	;; [unrolled: 31-line block ×8, first 2 shown]
	s_wait_xcnt 0x0
	v_mov_b32_e32 v0, 0
	global_load_b32 v1, v0, s[8:9] offset:4
	s_wait_loadcnt 0x0
	v_cmp_eq_u32_e32 vcc_lo, 2, v1
	s_cbranch_vccnz .LBB83_166
; %bb.165:
	v_lshlrev_b32_e32 v1, 3, v1
	scratch_load_b64 v[2:3], v1, off offset:-8
	scratch_load_b64 v[44:45], off, off offset:8
	s_wait_loadcnt 0x1
	scratch_store_b64 off, v[2:3], off offset:8
	s_wait_loadcnt 0x0
	scratch_store_b64 v1, v[44:45], off offset:-8
.LBB83_166:
	global_load_b32 v0, v0, s[8:9]
	scratch_load_b64 v[2:3], off, off
	s_wait_loadcnt 0x1
	v_cmp_eq_u32_e32 vcc_lo, 1, v0
	s_cbranch_vccnz .LBB83_168
; %bb.167:
	s_wait_xcnt 0x1
	v_lshlrev_b32_e32 v0, 3, v0
	s_delay_alu instid0(VALU_DEP_1)
	v_mov_b32_e32 v44, v0
	scratch_load_b64 v[0:1], v44, off offset:-8
	s_wait_loadcnt 0x0
	scratch_store_b64 off, v[0:1], off
	scratch_store_b64 v44, v[2:3], off offset:-8
	scratch_load_b64 v[2:3], off, off
.LBB83_168:
	s_wait_loadcnt 0x0
	flat_store_b64 v[4:5], v[2:3]
	scratch_load_b64 v[2:3], off, off offset:8
	v_lshl_add_u64 v[58:59], v[8:9], 3, s[2:3]
	v_lshl_add_u64 v[56:57], v[10:11], 3, s[2:3]
	;; [unrolled: 1-line block ×18, first 2 shown]
	s_wait_loadcnt 0x0
	flat_store_b64 v[6:7], v[2:3]
	scratch_load_b64 v[2:3], off, off offset:16
	s_wait_loadcnt 0x0
	flat_store_b64 v[58:59], v[2:3]
	scratch_load_b64 v[2:3], off, off offset:24
	;; [unrolled: 3-line block ×18, first 2 shown]
	s_wait_loadcnt 0x0
	flat_store_b64 v[0:1], v[2:3]
	s_sendmsg sendmsg(MSG_DEALLOC_VGPRS)
	s_endpgm
	.section	.rodata,"a",@progbits
	.p2align	6, 0x0
	.amdhsa_kernel _ZN9rocsolver6v33100L18getri_kernel_smallILi20EdPKPdEEvT1_iilPiilS6_bb
		.amdhsa_group_segment_fixed_size 328
		.amdhsa_private_segment_fixed_size 176
		.amdhsa_kernarg_size 60
		.amdhsa_user_sgpr_count 2
		.amdhsa_user_sgpr_dispatch_ptr 0
		.amdhsa_user_sgpr_queue_ptr 0
		.amdhsa_user_sgpr_kernarg_segment_ptr 1
		.amdhsa_user_sgpr_dispatch_id 0
		.amdhsa_user_sgpr_kernarg_preload_length 0
		.amdhsa_user_sgpr_kernarg_preload_offset 0
		.amdhsa_user_sgpr_private_segment_size 0
		.amdhsa_wavefront_size32 1
		.amdhsa_uses_dynamic_stack 0
		.amdhsa_enable_private_segment 1
		.amdhsa_system_sgpr_workgroup_id_x 1
		.amdhsa_system_sgpr_workgroup_id_y 0
		.amdhsa_system_sgpr_workgroup_id_z 0
		.amdhsa_system_sgpr_workgroup_info 0
		.amdhsa_system_vgpr_workitem_id 0
		.amdhsa_next_free_vgpr 80
		.amdhsa_next_free_sgpr 19
		.amdhsa_named_barrier_count 0
		.amdhsa_reserve_vcc 1
		.amdhsa_float_round_mode_32 0
		.amdhsa_float_round_mode_16_64 0
		.amdhsa_float_denorm_mode_32 3
		.amdhsa_float_denorm_mode_16_64 3
		.amdhsa_fp16_overflow 0
		.amdhsa_memory_ordered 1
		.amdhsa_forward_progress 1
		.amdhsa_inst_pref_size 108
		.amdhsa_round_robin_scheduling 0
		.amdhsa_exception_fp_ieee_invalid_op 0
		.amdhsa_exception_fp_denorm_src 0
		.amdhsa_exception_fp_ieee_div_zero 0
		.amdhsa_exception_fp_ieee_overflow 0
		.amdhsa_exception_fp_ieee_underflow 0
		.amdhsa_exception_fp_ieee_inexact 0
		.amdhsa_exception_int_div_zero 0
	.end_amdhsa_kernel
	.section	.text._ZN9rocsolver6v33100L18getri_kernel_smallILi20EdPKPdEEvT1_iilPiilS6_bb,"axG",@progbits,_ZN9rocsolver6v33100L18getri_kernel_smallILi20EdPKPdEEvT1_iilPiilS6_bb,comdat
.Lfunc_end83:
	.size	_ZN9rocsolver6v33100L18getri_kernel_smallILi20EdPKPdEEvT1_iilPiilS6_bb, .Lfunc_end83-_ZN9rocsolver6v33100L18getri_kernel_smallILi20EdPKPdEEvT1_iilPiilS6_bb
                                        ; -- End function
	.set _ZN9rocsolver6v33100L18getri_kernel_smallILi20EdPKPdEEvT1_iilPiilS6_bb.num_vgpr, 80
	.set _ZN9rocsolver6v33100L18getri_kernel_smallILi20EdPKPdEEvT1_iilPiilS6_bb.num_agpr, 0
	.set _ZN9rocsolver6v33100L18getri_kernel_smallILi20EdPKPdEEvT1_iilPiilS6_bb.numbered_sgpr, 19
	.set _ZN9rocsolver6v33100L18getri_kernel_smallILi20EdPKPdEEvT1_iilPiilS6_bb.num_named_barrier, 0
	.set _ZN9rocsolver6v33100L18getri_kernel_smallILi20EdPKPdEEvT1_iilPiilS6_bb.private_seg_size, 176
	.set _ZN9rocsolver6v33100L18getri_kernel_smallILi20EdPKPdEEvT1_iilPiilS6_bb.uses_vcc, 1
	.set _ZN9rocsolver6v33100L18getri_kernel_smallILi20EdPKPdEEvT1_iilPiilS6_bb.uses_flat_scratch, 1
	.set _ZN9rocsolver6v33100L18getri_kernel_smallILi20EdPKPdEEvT1_iilPiilS6_bb.has_dyn_sized_stack, 0
	.set _ZN9rocsolver6v33100L18getri_kernel_smallILi20EdPKPdEEvT1_iilPiilS6_bb.has_recursion, 0
	.set _ZN9rocsolver6v33100L18getri_kernel_smallILi20EdPKPdEEvT1_iilPiilS6_bb.has_indirect_call, 0
	.section	.AMDGPU.csdata,"",@progbits
; Kernel info:
; codeLenInByte = 13724
; TotalNumSgprs: 21
; NumVgprs: 80
; ScratchSize: 176
; MemoryBound: 0
; FloatMode: 240
; IeeeMode: 1
; LDSByteSize: 328 bytes/workgroup (compile time only)
; SGPRBlocks: 0
; VGPRBlocks: 4
; NumSGPRsForWavesPerEU: 21
; NumVGPRsForWavesPerEU: 80
; NamedBarCnt: 0
; Occupancy: 12
; WaveLimiterHint : 1
; COMPUTE_PGM_RSRC2:SCRATCH_EN: 1
; COMPUTE_PGM_RSRC2:USER_SGPR: 2
; COMPUTE_PGM_RSRC2:TRAP_HANDLER: 0
; COMPUTE_PGM_RSRC2:TGID_X_EN: 1
; COMPUTE_PGM_RSRC2:TGID_Y_EN: 0
; COMPUTE_PGM_RSRC2:TGID_Z_EN: 0
; COMPUTE_PGM_RSRC2:TIDIG_COMP_CNT: 0
	.section	.text._ZN9rocsolver6v33100L18getri_kernel_smallILi21EdPKPdEEvT1_iilPiilS6_bb,"axG",@progbits,_ZN9rocsolver6v33100L18getri_kernel_smallILi21EdPKPdEEvT1_iilPiilS6_bb,comdat
	.globl	_ZN9rocsolver6v33100L18getri_kernel_smallILi21EdPKPdEEvT1_iilPiilS6_bb ; -- Begin function _ZN9rocsolver6v33100L18getri_kernel_smallILi21EdPKPdEEvT1_iilPiilS6_bb
	.p2align	8
	.type	_ZN9rocsolver6v33100L18getri_kernel_smallILi21EdPKPdEEvT1_iilPiilS6_bb,@function
_ZN9rocsolver6v33100L18getri_kernel_smallILi21EdPKPdEEvT1_iilPiilS6_bb: ; @_ZN9rocsolver6v33100L18getri_kernel_smallILi21EdPKPdEEvT1_iilPiilS6_bb
; %bb.0:
	s_mov_b32 s2, exec_lo
	v_cmpx_gt_u32_e32 21, v0
	s_cbranch_execz .LBB84_94
; %bb.1:
	s_clause 0x1
	s_load_b32 s13, s[0:1], 0x38
	s_load_b64 s[2:3], s[0:1], 0x0
	s_getreg_b32 s6, hwreg(HW_REG_IB_STS2, 6, 4)
	s_wait_kmcnt 0x0
	s_bitcmp1_b32 s13, 8
	s_cselect_b32 s12, -1, 0
	s_bfe_u32 s4, ttmp6, 0x4000c
	s_and_b32 s5, ttmp6, 15
	s_add_co_i32 s4, s4, 1
	s_delay_alu instid0(SALU_CYCLE_1) | instskip(NEXT) | instid1(SALU_CYCLE_1)
	s_mul_i32 s4, ttmp9, s4
	s_add_co_i32 s5, s5, s4
	s_cmp_eq_u32 s6, 0
	s_cselect_b32 s10, ttmp9, s5
	s_load_b128 s[4:7], s[0:1], 0x28
	s_ashr_i32 s11, s10, 31
	s_delay_alu instid0(SALU_CYCLE_1) | instskip(NEXT) | instid1(SALU_CYCLE_1)
	s_lshl_b64 s[8:9], s[10:11], 3
	s_add_nc_u64 s[2:3], s[2:3], s[8:9]
	s_bfe_u32 s8, s13, 0x10008
	s_load_b64 s[2:3], s[2:3], 0x0
	s_cmp_eq_u32 s8, 0
                                        ; implicit-def: $sgpr8_sgpr9
	s_cbranch_scc1 .LBB84_3
; %bb.2:
	s_load_b96 s[16:18], s[0:1], 0x18
	s_wait_kmcnt 0x0
	s_mul_u64 s[4:5], s[4:5], s[10:11]
	s_delay_alu instid0(SALU_CYCLE_1) | instskip(SKIP_4) | instid1(SALU_CYCLE_1)
	s_lshl_b64 s[4:5], s[4:5], 2
	s_ashr_i32 s9, s18, 31
	s_mov_b32 s8, s18
	s_add_nc_u64 s[4:5], s[16:17], s[4:5]
	s_lshl_b64 s[8:9], s[8:9], 2
	s_add_nc_u64 s[8:9], s[4:5], s[8:9]
.LBB84_3:
	s_wait_kmcnt 0x0
	s_clause 0x1
	s_load_b64 s[4:5], s[0:1], 0x8
	s_load_b32 s13, s[0:1], 0x38
	v_dual_mov_b32 v3, 0 :: v_dual_lshlrev_b32 v2, 3, v0
	s_wait_kmcnt 0x0
	s_ashr_i32 s1, s4, 31
	s_mov_b32 s0, s4
	s_delay_alu instid0(SALU_CYCLE_1) | instskip(NEXT) | instid1(SALU_CYCLE_1)
	s_lshl_b64 s[0:1], s[0:1], 3
	s_add_nc_u64 s[2:3], s[2:3], s[0:1]
	s_ashr_i32 s1, s5, 31
	flat_load_b64 v[8:9], v0, s[2:3] scale_offset
	v_add_nc_u64_e32 v[4:5], s[2:3], v[2:3]
	s_mov_b32 s0, s5
	s_bitcmp0_b32 s13, 0
	s_delay_alu instid0(VALU_DEP_1)
	v_lshl_add_u64 v[6:7], s[0:1], 3, v[4:5]
	s_mov_b32 s1, -1
	s_wait_loadcnt_dscnt 0x0
	scratch_store_b64 off, v[8:9], off
	flat_load_b64 v[10:11], v[6:7]
	s_wait_xcnt 0x1
	v_add3_u32 v8, s5, s5, v0
	s_wait_loadcnt_dscnt 0x0
	scratch_store_b64 off, v[10:11], off offset:8
	flat_load_b64 v[12:13], v8, s[2:3] scale_offset
	s_wait_xcnt 0x1
	v_add_nc_u32_e32 v10, s5, v8
	s_wait_loadcnt_dscnt 0x0
	scratch_store_b64 off, v[12:13], off offset:16
	flat_load_b64 v[14:15], v10, s[2:3] scale_offset
	s_wait_xcnt 0x1
	v_add_nc_u32_e32 v12, s5, v10
	;; [unrolled: 5-line block ×18, first 2 shown]
	s_wait_loadcnt_dscnt 0x0
	scratch_store_b64 off, v[46:47], off offset:152
	flat_load_b64 v[46:47], v44, s[2:3] scale_offset
	s_wait_loadcnt_dscnt 0x0
	scratch_store_b64 off, v[46:47], off offset:160
	s_cbranch_scc1 .LBB84_92
; %bb.4:
	v_cmp_eq_u32_e64 s0, 0, v0
	s_wait_xcnt 0x0
	s_and_saveexec_b32 s1, s0
; %bb.5:
	v_mov_b32_e32 v1, 0
	ds_store_b32 v1, v1 offset:168
; %bb.6:
	s_or_b32 exec_lo, exec_lo, s1
	s_wait_storecnt_dscnt 0x0
	s_barrier_signal -1
	s_barrier_wait -1
	scratch_load_b64 v[46:47], v0, off scale_offset
	s_mov_b32 s4, exec_lo
	s_wait_loadcnt 0x0
	v_cmpx_eq_f64_e32 0, v[46:47]
	s_cbranch_execz .LBB84_10
; %bb.7:
	v_mov_b32_e32 v1, 0
	s_mov_b32 s5, 0
	ds_load_b32 v3, v1 offset:168
	s_wait_dscnt 0x0
	v_readfirstlane_b32 s1, v3
	v_add_nc_u32_e32 v3, 1, v0
	s_cmp_eq_u32 s1, 0
	s_delay_alu instid0(VALU_DEP_1) | instskip(SKIP_1) | instid1(SALU_CYCLE_1)
	v_cmp_gt_i32_e32 vcc_lo, s1, v3
	s_cselect_b32 s13, -1, 0
	s_or_b32 s13, s13, vcc_lo
	s_delay_alu instid0(SALU_CYCLE_1)
	s_and_b32 exec_lo, exec_lo, s13
	s_cbranch_execz .LBB84_10
; %bb.8:
	v_mov_b32_e32 v9, s1
.LBB84_9:                               ; =>This Inner Loop Header: Depth=1
	ds_cmpstore_rtn_b32 v9, v1, v3, v9 offset:168
	s_wait_dscnt 0x0
	v_cmp_ne_u32_e32 vcc_lo, 0, v9
	v_cmp_le_i32_e64 s1, v9, v3
	s_and_b32 s1, vcc_lo, s1
	s_delay_alu instid0(SALU_CYCLE_1) | instskip(NEXT) | instid1(SALU_CYCLE_1)
	s_and_b32 s1, exec_lo, s1
	s_or_b32 s5, s1, s5
	s_delay_alu instid0(SALU_CYCLE_1)
	s_and_not1_b32 exec_lo, exec_lo, s5
	s_cbranch_execnz .LBB84_9
.LBB84_10:
	s_or_b32 exec_lo, exec_lo, s4
	v_mov_b32_e32 v1, 0
	s_barrier_signal -1
	s_barrier_wait -1
	ds_load_b32 v3, v1 offset:168
	s_and_saveexec_b32 s1, s0
	s_cbranch_execz .LBB84_12
; %bb.11:
	s_lshl_b64 s[4:5], s[10:11], 2
	s_delay_alu instid0(SALU_CYCLE_1)
	s_add_nc_u64 s[4:5], s[6:7], s[4:5]
	s_wait_dscnt 0x0
	global_store_b32 v1, v3, s[4:5]
.LBB84_12:
	s_wait_xcnt 0x0
	s_or_b32 exec_lo, exec_lo, s1
	s_wait_dscnt 0x0
	v_cmp_ne_u32_e32 vcc_lo, 0, v3
	s_mov_b32 s1, 0
	s_cbranch_vccnz .LBB84_92
; %bb.13:
	v_lshl_add_u32 v3, v0, 3, 0
	v_add_nc_u32_e32 v1, 0xb0, v2
	scratch_load_b64 v[46:47], v3, off
	s_wait_loadcnt 0x0
	v_div_scale_f64 v[48:49], null, v[46:47], v[46:47], 1.0
	v_div_scale_f64 v[54:55], vcc_lo, 1.0, v[46:47], 1.0
	s_delay_alu instid0(VALU_DEP_2) | instskip(SKIP_1) | instid1(TRANS32_DEP_1)
	v_rcp_f64_e32 v[50:51], v[48:49]
	v_nop
	v_fma_f64 v[52:53], -v[48:49], v[50:51], 1.0
	s_delay_alu instid0(VALU_DEP_1) | instskip(NEXT) | instid1(VALU_DEP_1)
	v_fmac_f64_e32 v[50:51], v[50:51], v[52:53]
	v_fma_f64 v[52:53], -v[48:49], v[50:51], 1.0
	s_delay_alu instid0(VALU_DEP_1) | instskip(NEXT) | instid1(VALU_DEP_1)
	v_fmac_f64_e32 v[50:51], v[50:51], v[52:53]
	v_mul_f64_e32 v[52:53], v[54:55], v[50:51]
	s_delay_alu instid0(VALU_DEP_1) | instskip(NEXT) | instid1(VALU_DEP_1)
	v_fma_f64 v[48:49], -v[48:49], v[52:53], v[54:55]
	v_div_fmas_f64 v[48:49], v[48:49], v[50:51], v[52:53]
	s_delay_alu instid0(VALU_DEP_1)
	v_div_fixup_f64 v[46:47], v[48:49], v[46:47], 1.0
	scratch_store_b64 v3, v[46:47], off
	scratch_load_b64 v[48:49], off, off offset:8
	s_wait_xcnt 0x1
	v_xor_b32_e32 v47, 0x80000000, v47
	s_wait_loadcnt 0x0
	ds_store_2addr_b64 v2, v[46:47], v[48:49] offset1:22
	s_wait_storecnt_dscnt 0x0
	s_barrier_signal -1
	s_barrier_wait -1
	s_wait_xcnt 0x0
	s_and_saveexec_b32 s1, s0
	s_cbranch_execz .LBB84_15
; %bb.14:
	scratch_load_b64 v[46:47], v3, off
	ds_load_b64 v[48:49], v1
	s_wait_loadcnt_dscnt 0x0
	v_fma_f64 v[46:47], v[46:47], v[48:49], 0
	v_mov_b32_e32 v9, 0
	ds_load_b64 v[50:51], v9 offset:8
	s_wait_dscnt 0x0
	v_mul_f64_e32 v[46:47], v[46:47], v[50:51]
	scratch_store_b64 off, v[46:47], off offset:8
.LBB84_15:
	s_wait_xcnt 0x0
	s_or_b32 exec_lo, exec_lo, s1
	s_wait_storecnt 0x0
	s_barrier_signal -1
	s_barrier_wait -1
	scratch_load_b64 v[46:47], off, off offset:16
	s_mov_b32 s1, exec_lo
	s_wait_loadcnt 0x0
	ds_store_b64 v1, v[46:47]
	s_wait_dscnt 0x0
	s_barrier_signal -1
	s_barrier_wait -1
	v_cmpx_gt_u32_e32 2, v0
	s_cbranch_execz .LBB84_19
; %bb.16:
	scratch_load_b64 v[46:47], v3, off
	ds_load_b64 v[48:49], v1
	s_wait_loadcnt_dscnt 0x0
	v_fma_f64 v[46:47], v[46:47], v[48:49], 0
	s_and_saveexec_b32 s4, s0
	s_cbranch_execz .LBB84_18
; %bb.17:
	scratch_load_b64 v[48:49], off, off offset:8
	v_mov_b32_e32 v3, 0
	ds_load_b64 v[50:51], v3 offset:184
	s_wait_loadcnt_dscnt 0x0
	v_fmac_f64_e32 v[46:47], v[48:49], v[50:51]
.LBB84_18:
	s_or_b32 exec_lo, exec_lo, s4
	v_mov_b32_e32 v3, 0
	ds_load_b64 v[48:49], v3 offset:16
	s_wait_dscnt 0x0
	v_mul_f64_e32 v[46:47], v[46:47], v[48:49]
	scratch_store_b64 off, v[46:47], off offset:16
.LBB84_19:
	s_wait_xcnt 0x0
	s_or_b32 exec_lo, exec_lo, s1
	s_wait_storecnt 0x0
	s_barrier_signal -1
	s_barrier_wait -1
	scratch_load_b64 v[46:47], off, off offset:24
	v_add_nc_u32_e32 v3, -1, v0
	s_mov_b32 s0, exec_lo
	s_wait_loadcnt 0x0
	ds_store_b64 v1, v[46:47]
	s_wait_dscnt 0x0
	s_barrier_signal -1
	s_barrier_wait -1
	v_cmpx_gt_u32_e32 3, v0
	s_cbranch_execz .LBB84_23
; %bb.20:
	v_mov_b64_e32 v[46:47], 0
	v_dual_add_nc_u32 v9, -1, v0 :: v_dual_mov_b32 v13, v2
	v_add_nc_u32_e32 v11, 0xb0, v2
	s_mov_b32 s1, 0
.LBB84_21:                              ; =>This Inner Loop Header: Depth=1
	scratch_load_b64 v[48:49], v13, off
	ds_load_b64 v[50:51], v11
	v_dual_add_nc_u32 v9, 1, v9 :: v_dual_add_nc_u32 v11, 8, v11
	s_wait_xcnt 0x0
	v_add_nc_u32_e32 v13, 8, v13
	s_delay_alu instid0(VALU_DEP_2)
	v_cmp_lt_u32_e32 vcc_lo, 1, v9
	s_or_b32 s1, vcc_lo, s1
	s_wait_loadcnt_dscnt 0x0
	v_fmac_f64_e32 v[46:47], v[48:49], v[50:51]
	s_and_not1_b32 exec_lo, exec_lo, s1
	s_cbranch_execnz .LBB84_21
; %bb.22:
	s_or_b32 exec_lo, exec_lo, s1
	v_mov_b32_e32 v9, 0
	ds_load_b64 v[48:49], v9 offset:24
	s_wait_dscnt 0x0
	v_mul_f64_e32 v[46:47], v[46:47], v[48:49]
	scratch_store_b64 off, v[46:47], off offset:24
.LBB84_23:
	s_wait_xcnt 0x0
	s_or_b32 exec_lo, exec_lo, s0
	s_wait_storecnt 0x0
	s_barrier_signal -1
	s_barrier_wait -1
	scratch_load_b64 v[46:47], off, off offset:32
	s_mov_b32 s0, exec_lo
	s_wait_loadcnt 0x0
	ds_store_b64 v1, v[46:47]
	s_wait_dscnt 0x0
	s_barrier_signal -1
	s_barrier_wait -1
	v_cmpx_gt_u32_e32 4, v0
	s_cbranch_execz .LBB84_27
; %bb.24:
	v_mov_b64_e32 v[46:47], 0
	v_dual_add_nc_u32 v9, -1, v0 :: v_dual_mov_b32 v13, v2
	v_add_nc_u32_e32 v11, 0xb0, v2
	s_mov_b32 s1, 0
.LBB84_25:                              ; =>This Inner Loop Header: Depth=1
	scratch_load_b64 v[48:49], v13, off
	ds_load_b64 v[50:51], v11
	v_dual_add_nc_u32 v9, 1, v9 :: v_dual_add_nc_u32 v11, 8, v11
	s_wait_xcnt 0x0
	v_add_nc_u32_e32 v13, 8, v13
	s_delay_alu instid0(VALU_DEP_2)
	v_cmp_lt_u32_e32 vcc_lo, 2, v9
	s_or_b32 s1, vcc_lo, s1
	s_wait_loadcnt_dscnt 0x0
	v_fmac_f64_e32 v[46:47], v[48:49], v[50:51]
	s_and_not1_b32 exec_lo, exec_lo, s1
	s_cbranch_execnz .LBB84_25
; %bb.26:
	s_or_b32 exec_lo, exec_lo, s1
	v_mov_b32_e32 v9, 0
	ds_load_b64 v[48:49], v9 offset:32
	s_wait_dscnt 0x0
	v_mul_f64_e32 v[46:47], v[46:47], v[48:49]
	scratch_store_b64 off, v[46:47], off offset:32
.LBB84_27:
	s_wait_xcnt 0x0
	s_or_b32 exec_lo, exec_lo, s0
	s_wait_storecnt 0x0
	s_barrier_signal -1
	s_barrier_wait -1
	scratch_load_b64 v[46:47], off, off offset:40
	;; [unrolled: 40-line block ×17, first 2 shown]
	s_mov_b32 s0, exec_lo
	s_wait_loadcnt 0x0
	ds_store_b64 v1, v[46:47]
	s_wait_dscnt 0x0
	s_barrier_signal -1
	s_barrier_wait -1
	v_cmpx_ne_u32_e32 20, v0
	s_cbranch_execz .LBB84_91
; %bb.88:
	v_mov_b64_e32 v[46:47], 0
	s_mov_b32 s1, 0
.LBB84_89:                              ; =>This Inner Loop Header: Depth=1
	scratch_load_b64 v[48:49], v2, off
	ds_load_b64 v[50:51], v1
	v_dual_add_nc_u32 v3, 1, v3 :: v_dual_add_nc_u32 v1, 8, v1
	s_wait_xcnt 0x0
	v_add_nc_u32_e32 v2, 8, v2
	s_delay_alu instid0(VALU_DEP_2)
	v_cmp_lt_u32_e32 vcc_lo, 18, v3
	s_or_b32 s1, vcc_lo, s1
	s_wait_loadcnt_dscnt 0x0
	v_fmac_f64_e32 v[46:47], v[48:49], v[50:51]
	s_and_not1_b32 exec_lo, exec_lo, s1
	s_cbranch_execnz .LBB84_89
; %bb.90:
	s_or_b32 exec_lo, exec_lo, s1
	v_mov_b32_e32 v1, 0
	ds_load_b64 v[2:3], v1 offset:160
	s_wait_dscnt 0x0
	v_mul_f64_e32 v[2:3], v[46:47], v[2:3]
	scratch_store_b64 off, v[2:3], off offset:160
.LBB84_91:
	s_wait_xcnt 0x0
	s_or_b32 exec_lo, exec_lo, s0
	s_mov_b32 s1, -1
	s_wait_storecnt 0x0
	s_barrier_signal -1
	s_barrier_wait -1
.LBB84_92:
	s_and_b32 vcc_lo, exec_lo, s1
	s_cbranch_vccz .LBB84_94
; %bb.93:
	v_mov_b32_e32 v1, 0
	s_lshl_b64 s[0:1], s[10:11], 2
	s_delay_alu instid0(SALU_CYCLE_1)
	s_add_nc_u64 s[0:1], s[6:7], s[0:1]
	global_load_b32 v1, v1, s[0:1]
	s_wait_loadcnt 0x0
	v_cmp_ne_u32_e32 vcc_lo, 0, v1
	s_cbranch_vccz .LBB84_95
.LBB84_94:
	s_sendmsg sendmsg(MSG_DEALLOC_VGPRS)
	s_endpgm
.LBB84_95:
	s_wait_xcnt 0x0
	v_lshl_add_u32 v1, v0, 3, 0xb0
	s_mov_b32 s0, exec_lo
	v_cmpx_eq_u32_e32 20, v0
	s_cbranch_execz .LBB84_97
; %bb.96:
	scratch_load_b64 v[2:3], off, off offset:152
	v_mov_b64_e32 v[46:47], 0
	scratch_store_b64 off, v[46:47], off offset:152
	s_wait_loadcnt 0x0
	ds_store_b64 v1, v[2:3]
.LBB84_97:
	s_wait_xcnt 0x0
	s_or_b32 exec_lo, exec_lo, s0
	s_wait_storecnt_dscnt 0x0
	s_barrier_signal -1
	s_barrier_wait -1
	scratch_load_b128 v[46:49], off, off offset:152
	v_mov_b32_e32 v2, 0
	s_mov_b32 s0, exec_lo
	ds_load_b64 v[50:51], v2 offset:336
	s_wait_loadcnt_dscnt 0x0
	v_fma_f64 v[48:49], v[48:49], v[50:51], 0
	s_delay_alu instid0(VALU_DEP_1)
	v_add_f64_e64 v[46:47], v[46:47], -v[48:49]
	scratch_store_b64 off, v[46:47], off offset:152
	s_wait_xcnt 0x0
	v_cmpx_lt_u32_e32 18, v0
	s_cbranch_execz .LBB84_99
; %bb.98:
	scratch_load_b64 v[46:47], off, off offset:144
	v_mov_b64_e32 v[48:49], 0
	scratch_store_b64 off, v[48:49], off offset:144
	s_wait_loadcnt 0x0
	ds_store_b64 v1, v[46:47]
.LBB84_99:
	s_wait_xcnt 0x0
	s_or_b32 exec_lo, exec_lo, s0
	s_wait_storecnt_dscnt 0x0
	s_barrier_signal -1
	s_barrier_wait -1
	s_clause 0x1
	scratch_load_b128 v[46:49], off, off offset:144
	scratch_load_b64 v[54:55], off, off offset:160
	ds_load_2addr_b64 v[50:53], v2 offset0:41 offset1:42
	s_mov_b32 s0, exec_lo
	s_wait_loadcnt_dscnt 0x100
	v_fma_f64 v[2:3], v[48:49], v[50:51], 0
	s_wait_loadcnt 0x0
	s_delay_alu instid0(VALU_DEP_1) | instskip(NEXT) | instid1(VALU_DEP_1)
	v_fmac_f64_e32 v[2:3], v[54:55], v[52:53]
	v_add_f64_e64 v[2:3], v[46:47], -v[2:3]
	scratch_store_b64 off, v[2:3], off offset:144
	s_wait_xcnt 0x0
	v_cmpx_lt_u32_e32 17, v0
	s_cbranch_execz .LBB84_101
; %bb.100:
	scratch_load_b64 v[2:3], off, off offset:136
	v_mov_b64_e32 v[46:47], 0
	scratch_store_b64 off, v[46:47], off offset:136
	s_wait_loadcnt 0x0
	ds_store_b64 v1, v[2:3]
.LBB84_101:
	s_wait_xcnt 0x0
	s_or_b32 exec_lo, exec_lo, s0
	s_wait_storecnt_dscnt 0x0
	s_barrier_signal -1
	s_barrier_wait -1
	s_clause 0x1
	scratch_load_b128 v[46:49], off, off offset:136
	scratch_load_b128 v[50:53], off, off offset:152
	v_mov_b32_e32 v2, 0
	ds_load_b128 v[54:57], v2 offset:320
	ds_load_b64 v[58:59], v2 offset:336
	s_mov_b32 s0, exec_lo
	s_wait_loadcnt_dscnt 0x101
	v_fma_f64 v[48:49], v[48:49], v[54:55], 0
	s_wait_loadcnt 0x0
	s_delay_alu instid0(VALU_DEP_1) | instskip(SKIP_1) | instid1(VALU_DEP_1)
	v_fmac_f64_e32 v[48:49], v[50:51], v[56:57]
	s_wait_dscnt 0x0
	v_fmac_f64_e32 v[48:49], v[52:53], v[58:59]
	s_delay_alu instid0(VALU_DEP_1)
	v_add_f64_e64 v[46:47], v[46:47], -v[48:49]
	scratch_store_b64 off, v[46:47], off offset:136
	s_wait_xcnt 0x0
	v_cmpx_lt_u32_e32 16, v0
	s_cbranch_execz .LBB84_103
; %bb.102:
	scratch_load_b64 v[46:47], off, off offset:128
	v_mov_b64_e32 v[48:49], 0
	scratch_store_b64 off, v[48:49], off offset:128
	s_wait_loadcnt 0x0
	ds_store_b64 v1, v[46:47]
.LBB84_103:
	s_wait_xcnt 0x0
	s_or_b32 exec_lo, exec_lo, s0
	s_wait_storecnt_dscnt 0x0
	s_barrier_signal -1
	s_barrier_wait -1
	s_clause 0x2
	scratch_load_b128 v[46:49], off, off offset:128
	scratch_load_b128 v[50:53], off, off offset:144
	scratch_load_b64 v[62:63], off, off offset:160
	ds_load_2addr_b64 v[54:57], v2 offset0:39 offset1:40
	ds_load_2addr_b64 v[58:61], v2 offset0:41 offset1:42
	s_mov_b32 s0, exec_lo
	s_wait_loadcnt_dscnt 0x201
	v_fma_f64 v[2:3], v[48:49], v[54:55], 0
	s_wait_loadcnt 0x1
	s_delay_alu instid0(VALU_DEP_1) | instskip(SKIP_1) | instid1(VALU_DEP_1)
	v_fmac_f64_e32 v[2:3], v[50:51], v[56:57]
	s_wait_dscnt 0x0
	v_fmac_f64_e32 v[2:3], v[52:53], v[58:59]
	s_wait_loadcnt 0x0
	s_delay_alu instid0(VALU_DEP_1) | instskip(NEXT) | instid1(VALU_DEP_1)
	v_fmac_f64_e32 v[2:3], v[62:63], v[60:61]
	v_add_f64_e64 v[2:3], v[46:47], -v[2:3]
	scratch_store_b64 off, v[2:3], off offset:128
	s_wait_xcnt 0x0
	v_cmpx_lt_u32_e32 15, v0
	s_cbranch_execz .LBB84_105
; %bb.104:
	scratch_load_b64 v[2:3], off, off offset:120
	v_mov_b64_e32 v[46:47], 0
	scratch_store_b64 off, v[46:47], off offset:120
	s_wait_loadcnt 0x0
	ds_store_b64 v1, v[2:3]
.LBB84_105:
	s_wait_xcnt 0x0
	s_or_b32 exec_lo, exec_lo, s0
	s_wait_storecnt_dscnt 0x0
	s_barrier_signal -1
	s_barrier_wait -1
	s_clause 0x2
	scratch_load_b128 v[46:49], off, off offset:120
	scratch_load_b128 v[50:53], off, off offset:136
	;; [unrolled: 1-line block ×3, first 2 shown]
	v_mov_b32_e32 v2, 0
	ds_load_b128 v[58:61], v2 offset:304
	ds_load_b128 v[62:65], v2 offset:320
	s_mov_b32 s0, exec_lo
	s_wait_loadcnt_dscnt 0x201
	v_fma_f64 v[48:49], v[48:49], v[58:59], 0
	s_wait_loadcnt 0x1
	s_delay_alu instid0(VALU_DEP_1) | instskip(SKIP_4) | instid1(VALU_DEP_1)
	v_fmac_f64_e32 v[48:49], v[50:51], v[60:61]
	ds_load_b64 v[50:51], v2 offset:336
	s_wait_dscnt 0x1
	v_fmac_f64_e32 v[48:49], v[52:53], v[62:63]
	s_wait_loadcnt 0x0
	v_fmac_f64_e32 v[48:49], v[54:55], v[64:65]
	s_wait_dscnt 0x0
	s_delay_alu instid0(VALU_DEP_1) | instskip(NEXT) | instid1(VALU_DEP_1)
	v_fmac_f64_e32 v[48:49], v[56:57], v[50:51]
	v_add_f64_e64 v[46:47], v[46:47], -v[48:49]
	scratch_store_b64 off, v[46:47], off offset:120
	s_wait_xcnt 0x0
	v_cmpx_lt_u32_e32 14, v0
	s_cbranch_execz .LBB84_107
; %bb.106:
	scratch_load_b64 v[46:47], off, off offset:112
	v_mov_b64_e32 v[48:49], 0
	scratch_store_b64 off, v[48:49], off offset:112
	s_wait_loadcnt 0x0
	ds_store_b64 v1, v[46:47]
.LBB84_107:
	s_wait_xcnt 0x0
	s_or_b32 exec_lo, exec_lo, s0
	s_wait_storecnt_dscnt 0x0
	s_barrier_signal -1
	s_barrier_wait -1
	s_clause 0x3
	scratch_load_b128 v[46:49], off, off offset:112
	scratch_load_b128 v[50:53], off, off offset:128
	;; [unrolled: 1-line block ×3, first 2 shown]
	scratch_load_b64 v[66:67], off, off offset:160
	ds_load_2addr_b64 v[58:61], v2 offset0:37 offset1:38
	ds_load_2addr_b64 v[62:65], v2 offset0:39 offset1:40
	s_mov_b32 s0, exec_lo
	s_wait_loadcnt_dscnt 0x301
	v_fma_f64 v[58:59], v[48:49], v[58:59], 0
	s_wait_loadcnt 0x2
	s_delay_alu instid0(VALU_DEP_1) | instskip(SKIP_4) | instid1(VALU_DEP_1)
	v_fmac_f64_e32 v[58:59], v[50:51], v[60:61]
	ds_load_2addr_b64 v[48:51], v2 offset0:41 offset1:42
	s_wait_dscnt 0x1
	v_fmac_f64_e32 v[58:59], v[52:53], v[62:63]
	s_wait_loadcnt 0x1
	v_fmac_f64_e32 v[58:59], v[54:55], v[64:65]
	s_wait_dscnt 0x0
	s_delay_alu instid0(VALU_DEP_1) | instskip(SKIP_1) | instid1(VALU_DEP_1)
	v_fmac_f64_e32 v[58:59], v[56:57], v[48:49]
	s_wait_loadcnt 0x0
	v_fmac_f64_e32 v[58:59], v[66:67], v[50:51]
	s_delay_alu instid0(VALU_DEP_1)
	v_add_f64_e64 v[2:3], v[46:47], -v[58:59]
	scratch_store_b64 off, v[2:3], off offset:112
	s_wait_xcnt 0x0
	v_cmpx_lt_u32_e32 13, v0
	s_cbranch_execz .LBB84_109
; %bb.108:
	scratch_load_b64 v[2:3], off, off offset:104
	v_mov_b64_e32 v[46:47], 0
	scratch_store_b64 off, v[46:47], off offset:104
	s_wait_loadcnt 0x0
	ds_store_b64 v1, v[2:3]
.LBB84_109:
	s_wait_xcnt 0x0
	s_or_b32 exec_lo, exec_lo, s0
	s_wait_storecnt_dscnt 0x0
	s_barrier_signal -1
	s_barrier_wait -1
	s_clause 0x3
	scratch_load_b128 v[46:49], off, off offset:104
	scratch_load_b128 v[50:53], off, off offset:120
	;; [unrolled: 1-line block ×4, first 2 shown]
	v_mov_b32_e32 v2, 0
	ds_load_b128 v[62:65], v2 offset:288
	ds_load_b128 v[66:69], v2 offset:304
	s_mov_b32 s0, exec_lo
	s_wait_loadcnt_dscnt 0x301
	v_fma_f64 v[62:63], v[48:49], v[62:63], 0
	s_wait_loadcnt 0x2
	s_delay_alu instid0(VALU_DEP_1) | instskip(SKIP_1) | instid1(VALU_DEP_1)
	v_fmac_f64_e32 v[62:63], v[50:51], v[64:65]
	s_wait_dscnt 0x0
	v_fmac_f64_e32 v[62:63], v[52:53], v[66:67]
	ds_load_b128 v[48:51], v2 offset:320
	ds_load_b64 v[52:53], v2 offset:336
	s_wait_loadcnt 0x1
	v_fmac_f64_e32 v[62:63], v[54:55], v[68:69]
	s_wait_dscnt 0x1
	s_delay_alu instid0(VALU_DEP_1) | instskip(SKIP_1) | instid1(VALU_DEP_1)
	v_fmac_f64_e32 v[62:63], v[56:57], v[48:49]
	s_wait_loadcnt 0x0
	v_fmac_f64_e32 v[62:63], v[58:59], v[50:51]
	s_wait_dscnt 0x0
	s_delay_alu instid0(VALU_DEP_1) | instskip(NEXT) | instid1(VALU_DEP_1)
	v_fmac_f64_e32 v[62:63], v[60:61], v[52:53]
	v_add_f64_e64 v[46:47], v[46:47], -v[62:63]
	scratch_store_b64 off, v[46:47], off offset:104
	s_wait_xcnt 0x0
	v_cmpx_lt_u32_e32 12, v0
	s_cbranch_execz .LBB84_111
; %bb.110:
	scratch_load_b64 v[46:47], off, off offset:96
	v_mov_b64_e32 v[48:49], 0
	scratch_store_b64 off, v[48:49], off offset:96
	s_wait_loadcnt 0x0
	ds_store_b64 v1, v[46:47]
.LBB84_111:
	s_wait_xcnt 0x0
	s_or_b32 exec_lo, exec_lo, s0
	s_wait_storecnt_dscnt 0x0
	s_barrier_signal -1
	s_barrier_wait -1
	s_clause 0x4
	scratch_load_b128 v[46:49], off, off offset:96
	scratch_load_b128 v[50:53], off, off offset:112
	;; [unrolled: 1-line block ×4, first 2 shown]
	scratch_load_b64 v[70:71], off, off offset:160
	ds_load_2addr_b64 v[62:65], v2 offset0:35 offset1:36
	ds_load_2addr_b64 v[66:69], v2 offset0:37 offset1:38
	s_mov_b32 s0, exec_lo
	s_wait_loadcnt_dscnt 0x401
	v_fma_f64 v[62:63], v[48:49], v[62:63], 0
	s_wait_loadcnt 0x3
	s_delay_alu instid0(VALU_DEP_1) | instskip(SKIP_1) | instid1(VALU_DEP_1)
	v_fmac_f64_e32 v[62:63], v[50:51], v[64:65]
	s_wait_dscnt 0x0
	v_fmac_f64_e32 v[62:63], v[52:53], v[66:67]
	s_wait_loadcnt 0x2
	s_delay_alu instid0(VALU_DEP_1)
	v_fmac_f64_e32 v[62:63], v[54:55], v[68:69]
	ds_load_2addr_b64 v[48:51], v2 offset0:39 offset1:40
	ds_load_2addr_b64 v[52:55], v2 offset0:41 offset1:42
	s_wait_dscnt 0x1
	v_fmac_f64_e32 v[62:63], v[56:57], v[48:49]
	s_wait_loadcnt 0x1
	s_delay_alu instid0(VALU_DEP_1) | instskip(SKIP_1) | instid1(VALU_DEP_1)
	v_fmac_f64_e32 v[62:63], v[58:59], v[50:51]
	s_wait_dscnt 0x0
	v_fmac_f64_e32 v[62:63], v[60:61], v[52:53]
	s_wait_loadcnt 0x0
	s_delay_alu instid0(VALU_DEP_1) | instskip(NEXT) | instid1(VALU_DEP_1)
	v_fmac_f64_e32 v[62:63], v[70:71], v[54:55]
	v_add_f64_e64 v[2:3], v[46:47], -v[62:63]
	scratch_store_b64 off, v[2:3], off offset:96
	s_wait_xcnt 0x0
	v_cmpx_lt_u32_e32 11, v0
	s_cbranch_execz .LBB84_113
; %bb.112:
	scratch_load_b64 v[2:3], off, off offset:88
	v_mov_b64_e32 v[46:47], 0
	scratch_store_b64 off, v[46:47], off offset:88
	s_wait_loadcnt 0x0
	ds_store_b64 v1, v[2:3]
.LBB84_113:
	s_wait_xcnt 0x0
	s_or_b32 exec_lo, exec_lo, s0
	s_wait_storecnt_dscnt 0x0
	s_barrier_signal -1
	s_barrier_wait -1
	s_clause 0x4
	scratch_load_b128 v[46:49], off, off offset:88
	scratch_load_b128 v[50:53], off, off offset:104
	;; [unrolled: 1-line block ×5, first 2 shown]
	v_mov_b32_e32 v2, 0
	ds_load_b128 v[66:69], v2 offset:272
	ds_load_b128 v[70:73], v2 offset:288
	s_mov_b32 s0, exec_lo
	s_wait_loadcnt_dscnt 0x401
	v_fma_f64 v[66:67], v[48:49], v[66:67], 0
	s_wait_loadcnt 0x3
	s_delay_alu instid0(VALU_DEP_1) | instskip(SKIP_1) | instid1(VALU_DEP_1)
	v_fmac_f64_e32 v[66:67], v[50:51], v[68:69]
	s_wait_dscnt 0x0
	v_fmac_f64_e32 v[66:67], v[52:53], v[70:71]
	s_wait_loadcnt 0x2
	s_delay_alu instid0(VALU_DEP_1)
	v_fmac_f64_e32 v[66:67], v[54:55], v[72:73]
	ds_load_b128 v[48:51], v2 offset:304
	ds_load_b128 v[52:55], v2 offset:320
	s_wait_dscnt 0x1
	v_fmac_f64_e32 v[66:67], v[56:57], v[48:49]
	ds_load_b64 v[48:49], v2 offset:336
	s_wait_loadcnt 0x1
	v_fmac_f64_e32 v[66:67], v[58:59], v[50:51]
	s_wait_dscnt 0x1
	s_delay_alu instid0(VALU_DEP_1) | instskip(SKIP_1) | instid1(VALU_DEP_1)
	v_fmac_f64_e32 v[66:67], v[60:61], v[52:53]
	s_wait_loadcnt 0x0
	v_fmac_f64_e32 v[66:67], v[62:63], v[54:55]
	s_wait_dscnt 0x0
	s_delay_alu instid0(VALU_DEP_1) | instskip(NEXT) | instid1(VALU_DEP_1)
	v_fmac_f64_e32 v[66:67], v[64:65], v[48:49]
	v_add_f64_e64 v[46:47], v[46:47], -v[66:67]
	scratch_store_b64 off, v[46:47], off offset:88
	s_wait_xcnt 0x0
	v_cmpx_lt_u32_e32 10, v0
	s_cbranch_execz .LBB84_115
; %bb.114:
	scratch_load_b64 v[46:47], off, off offset:80
	v_mov_b64_e32 v[48:49], 0
	scratch_store_b64 off, v[48:49], off offset:80
	s_wait_loadcnt 0x0
	ds_store_b64 v1, v[46:47]
.LBB84_115:
	s_wait_xcnt 0x0
	s_or_b32 exec_lo, exec_lo, s0
	s_wait_storecnt_dscnt 0x0
	s_barrier_signal -1
	s_barrier_wait -1
	s_clause 0x5
	scratch_load_b128 v[46:49], off, off offset:80
	scratch_load_b128 v[50:53], off, off offset:96
	;; [unrolled: 1-line block ×5, first 2 shown]
	scratch_load_b64 v[74:75], off, off offset:160
	ds_load_2addr_b64 v[66:69], v2 offset0:33 offset1:34
	ds_load_2addr_b64 v[70:73], v2 offset0:35 offset1:36
	s_mov_b32 s0, exec_lo
	s_wait_loadcnt_dscnt 0x501
	v_fma_f64 v[66:67], v[48:49], v[66:67], 0
	s_wait_loadcnt 0x4
	s_delay_alu instid0(VALU_DEP_1) | instskip(SKIP_1) | instid1(VALU_DEP_1)
	v_fmac_f64_e32 v[66:67], v[50:51], v[68:69]
	s_wait_dscnt 0x0
	v_fmac_f64_e32 v[66:67], v[52:53], v[70:71]
	s_wait_loadcnt 0x3
	s_delay_alu instid0(VALU_DEP_1)
	v_fmac_f64_e32 v[66:67], v[54:55], v[72:73]
	ds_load_2addr_b64 v[48:51], v2 offset0:37 offset1:38
	ds_load_2addr_b64 v[52:55], v2 offset0:39 offset1:40
	s_wait_dscnt 0x1
	v_fmac_f64_e32 v[66:67], v[56:57], v[48:49]
	s_wait_loadcnt 0x2
	s_delay_alu instid0(VALU_DEP_1) | instskip(SKIP_4) | instid1(VALU_DEP_1)
	v_fmac_f64_e32 v[66:67], v[58:59], v[50:51]
	ds_load_2addr_b64 v[48:51], v2 offset0:41 offset1:42
	s_wait_dscnt 0x1
	v_fmac_f64_e32 v[66:67], v[60:61], v[52:53]
	s_wait_loadcnt 0x1
	v_fmac_f64_e32 v[66:67], v[62:63], v[54:55]
	s_wait_dscnt 0x0
	s_delay_alu instid0(VALU_DEP_1) | instskip(SKIP_1) | instid1(VALU_DEP_1)
	v_fmac_f64_e32 v[66:67], v[64:65], v[48:49]
	s_wait_loadcnt 0x0
	v_fmac_f64_e32 v[66:67], v[74:75], v[50:51]
	s_delay_alu instid0(VALU_DEP_1)
	v_add_f64_e64 v[2:3], v[46:47], -v[66:67]
	scratch_store_b64 off, v[2:3], off offset:80
	s_wait_xcnt 0x0
	v_cmpx_lt_u32_e32 9, v0
	s_cbranch_execz .LBB84_117
; %bb.116:
	scratch_load_b64 v[2:3], off, off offset:72
	v_mov_b64_e32 v[46:47], 0
	scratch_store_b64 off, v[46:47], off offset:72
	s_wait_loadcnt 0x0
	ds_store_b64 v1, v[2:3]
.LBB84_117:
	s_wait_xcnt 0x0
	s_or_b32 exec_lo, exec_lo, s0
	s_wait_storecnt_dscnt 0x0
	s_barrier_signal -1
	s_barrier_wait -1
	s_clause 0x5
	scratch_load_b128 v[46:49], off, off offset:72
	scratch_load_b128 v[50:53], off, off offset:88
	;; [unrolled: 1-line block ×6, first 2 shown]
	v_mov_b32_e32 v2, 0
	ds_load_b128 v[70:73], v2 offset:256
	ds_load_b128 v[74:77], v2 offset:272
	s_mov_b32 s0, exec_lo
	s_wait_loadcnt_dscnt 0x501
	v_fma_f64 v[70:71], v[48:49], v[70:71], 0
	s_wait_loadcnt 0x4
	s_delay_alu instid0(VALU_DEP_1) | instskip(SKIP_1) | instid1(VALU_DEP_1)
	v_fmac_f64_e32 v[70:71], v[50:51], v[72:73]
	s_wait_dscnt 0x0
	v_fmac_f64_e32 v[70:71], v[52:53], v[74:75]
	s_wait_loadcnt 0x3
	s_delay_alu instid0(VALU_DEP_1)
	v_fmac_f64_e32 v[70:71], v[54:55], v[76:77]
	ds_load_b128 v[48:51], v2 offset:288
	ds_load_b128 v[52:55], v2 offset:304
	s_wait_dscnt 0x1
	v_fmac_f64_e32 v[70:71], v[56:57], v[48:49]
	s_wait_loadcnt 0x2
	s_delay_alu instid0(VALU_DEP_1) | instskip(SKIP_1) | instid1(VALU_DEP_1)
	v_fmac_f64_e32 v[70:71], v[58:59], v[50:51]
	s_wait_dscnt 0x0
	v_fmac_f64_e32 v[70:71], v[60:61], v[52:53]
	ds_load_b128 v[48:51], v2 offset:320
	ds_load_b64 v[52:53], v2 offset:336
	s_wait_loadcnt 0x1
	v_fmac_f64_e32 v[70:71], v[62:63], v[54:55]
	s_wait_dscnt 0x1
	s_delay_alu instid0(VALU_DEP_1) | instskip(SKIP_1) | instid1(VALU_DEP_1)
	v_fmac_f64_e32 v[70:71], v[64:65], v[48:49]
	s_wait_loadcnt 0x0
	v_fmac_f64_e32 v[70:71], v[66:67], v[50:51]
	s_wait_dscnt 0x0
	s_delay_alu instid0(VALU_DEP_1) | instskip(NEXT) | instid1(VALU_DEP_1)
	v_fmac_f64_e32 v[70:71], v[68:69], v[52:53]
	v_add_f64_e64 v[46:47], v[46:47], -v[70:71]
	scratch_store_b64 off, v[46:47], off offset:72
	s_wait_xcnt 0x0
	v_cmpx_lt_u32_e32 8, v0
	s_cbranch_execz .LBB84_119
; %bb.118:
	scratch_load_b64 v[46:47], off, off offset:64
	v_mov_b64_e32 v[48:49], 0
	scratch_store_b64 off, v[48:49], off offset:64
	s_wait_loadcnt 0x0
	ds_store_b64 v1, v[46:47]
.LBB84_119:
	s_wait_xcnt 0x0
	s_or_b32 exec_lo, exec_lo, s0
	s_wait_storecnt_dscnt 0x0
	s_barrier_signal -1
	s_barrier_wait -1
	s_clause 0x5
	scratch_load_b128 v[46:49], off, off offset:64
	scratch_load_b128 v[50:53], off, off offset:80
	;; [unrolled: 1-line block ×6, first 2 shown]
	ds_load_2addr_b64 v[70:73], v2 offset0:31 offset1:32
	ds_load_2addr_b64 v[74:77], v2 offset0:33 offset1:34
	s_mov_b32 s0, exec_lo
	s_wait_loadcnt_dscnt 0x501
	v_fma_f64 v[70:71], v[48:49], v[70:71], 0
	s_wait_loadcnt 0x4
	s_delay_alu instid0(VALU_DEP_1) | instskip(SKIP_4) | instid1(VALU_DEP_1)
	v_fmac_f64_e32 v[70:71], v[50:51], v[72:73]
	scratch_load_b64 v[72:73], off, off offset:160
	s_wait_dscnt 0x0
	v_fmac_f64_e32 v[70:71], v[52:53], v[74:75]
	s_wait_loadcnt 0x4
	v_fmac_f64_e32 v[70:71], v[54:55], v[76:77]
	ds_load_2addr_b64 v[48:51], v2 offset0:35 offset1:36
	ds_load_2addr_b64 v[52:55], v2 offset0:37 offset1:38
	s_wait_dscnt 0x1
	v_fmac_f64_e32 v[70:71], v[56:57], v[48:49]
	s_wait_loadcnt 0x3
	s_delay_alu instid0(VALU_DEP_1) | instskip(SKIP_1) | instid1(VALU_DEP_1)
	v_fmac_f64_e32 v[70:71], v[58:59], v[50:51]
	s_wait_dscnt 0x0
	v_fmac_f64_e32 v[70:71], v[60:61], v[52:53]
	s_wait_loadcnt 0x2
	s_delay_alu instid0(VALU_DEP_1)
	v_fmac_f64_e32 v[70:71], v[62:63], v[54:55]
	ds_load_2addr_b64 v[48:51], v2 offset0:39 offset1:40
	ds_load_2addr_b64 v[52:55], v2 offset0:41 offset1:42
	s_wait_dscnt 0x1
	v_fmac_f64_e32 v[70:71], v[64:65], v[48:49]
	s_wait_loadcnt 0x1
	s_delay_alu instid0(VALU_DEP_1) | instskip(SKIP_1) | instid1(VALU_DEP_1)
	v_fmac_f64_e32 v[70:71], v[66:67], v[50:51]
	s_wait_dscnt 0x0
	v_fmac_f64_e32 v[70:71], v[68:69], v[52:53]
	s_wait_loadcnt 0x0
	s_delay_alu instid0(VALU_DEP_1) | instskip(NEXT) | instid1(VALU_DEP_1)
	v_fmac_f64_e32 v[70:71], v[72:73], v[54:55]
	v_add_f64_e64 v[2:3], v[46:47], -v[70:71]
	scratch_store_b64 off, v[2:3], off offset:64
	s_wait_xcnt 0x0
	v_cmpx_lt_u32_e32 7, v0
	s_cbranch_execz .LBB84_121
; %bb.120:
	scratch_load_b64 v[2:3], off, off offset:56
	v_mov_b64_e32 v[46:47], 0
	scratch_store_b64 off, v[46:47], off offset:56
	s_wait_loadcnt 0x0
	ds_store_b64 v1, v[2:3]
.LBB84_121:
	s_wait_xcnt 0x0
	s_or_b32 exec_lo, exec_lo, s0
	s_wait_storecnt_dscnt 0x0
	s_barrier_signal -1
	s_barrier_wait -1
	s_clause 0x5
	scratch_load_b128 v[46:49], off, off offset:56
	scratch_load_b128 v[50:53], off, off offset:72
	;; [unrolled: 1-line block ×6, first 2 shown]
	v_mov_b32_e32 v2, 0
	ds_load_b128 v[70:73], v2 offset:240
	ds_load_b128 v[74:77], v2 offset:256
	s_mov_b32 s0, exec_lo
	s_wait_loadcnt_dscnt 0x501
	v_fma_f64 v[78:79], v[48:49], v[70:71], 0
	s_wait_loadcnt 0x4
	s_delay_alu instid0(VALU_DEP_1) | instskip(SKIP_4) | instid1(VALU_DEP_1)
	v_fmac_f64_e32 v[78:79], v[50:51], v[72:73]
	scratch_load_b128 v[48:51], off, off offset:152
	s_wait_dscnt 0x0
	v_fmac_f64_e32 v[78:79], v[52:53], v[74:75]
	s_wait_loadcnt 0x4
	v_fmac_f64_e32 v[78:79], v[54:55], v[76:77]
	ds_load_b128 v[52:55], v2 offset:272
	ds_load_b128 v[70:73], v2 offset:288
	s_wait_dscnt 0x1
	v_fmac_f64_e32 v[78:79], v[56:57], v[52:53]
	s_wait_loadcnt 0x3
	s_delay_alu instid0(VALU_DEP_1)
	v_fmac_f64_e32 v[78:79], v[58:59], v[54:55]
	ds_load_b128 v[52:55], v2 offset:304
	ds_load_b128 v[56:59], v2 offset:320
	s_wait_dscnt 0x2
	v_fmac_f64_e32 v[78:79], v[60:61], v[70:71]
	s_wait_loadcnt 0x2
	s_delay_alu instid0(VALU_DEP_1) | instskip(SKIP_1) | instid1(VALU_DEP_1)
	v_fmac_f64_e32 v[78:79], v[62:63], v[72:73]
	s_wait_dscnt 0x1
	v_fmac_f64_e32 v[78:79], v[64:65], v[52:53]
	s_wait_loadcnt 0x1
	s_delay_alu instid0(VALU_DEP_1) | instskip(SKIP_1) | instid1(VALU_DEP_1)
	v_fmac_f64_e32 v[78:79], v[66:67], v[54:55]
	s_wait_dscnt 0x0
	v_fmac_f64_e32 v[78:79], v[68:69], v[56:57]
	s_wait_loadcnt 0x0
	s_delay_alu instid0(VALU_DEP_1) | instskip(SKIP_3) | instid1(VALU_DEP_1)
	v_fmac_f64_e32 v[78:79], v[48:49], v[58:59]
	ds_load_b64 v[48:49], v2 offset:336
	s_wait_dscnt 0x0
	v_fmac_f64_e32 v[78:79], v[50:51], v[48:49]
	v_add_f64_e64 v[46:47], v[46:47], -v[78:79]
	scratch_store_b64 off, v[46:47], off offset:56
	s_wait_xcnt 0x0
	v_cmpx_lt_u32_e32 6, v0
	s_cbranch_execz .LBB84_123
; %bb.122:
	scratch_load_b64 v[46:47], off, off offset:48
	v_mov_b64_e32 v[48:49], 0
	scratch_store_b64 off, v[48:49], off offset:48
	s_wait_loadcnt 0x0
	ds_store_b64 v1, v[46:47]
.LBB84_123:
	s_wait_xcnt 0x0
	s_or_b32 exec_lo, exec_lo, s0
	s_wait_storecnt_dscnt 0x0
	s_barrier_signal -1
	s_barrier_wait -1
	s_clause 0x5
	scratch_load_b128 v[46:49], off, off offset:48
	scratch_load_b128 v[50:53], off, off offset:64
	;; [unrolled: 1-line block ×6, first 2 shown]
	ds_load_2addr_b64 v[70:73], v2 offset0:29 offset1:30
	ds_load_2addr_b64 v[74:77], v2 offset0:31 offset1:32
	s_mov_b32 s0, exec_lo
	s_wait_loadcnt_dscnt 0x501
	v_fma_f64 v[78:79], v[48:49], v[70:71], 0
	s_wait_loadcnt 0x4
	s_delay_alu instid0(VALU_DEP_1)
	v_fmac_f64_e32 v[78:79], v[50:51], v[72:73]
	scratch_load_b128 v[48:51], off, off offset:144
	s_wait_dscnt 0x0
	v_fmac_f64_e32 v[78:79], v[52:53], v[74:75]
	scratch_load_b64 v[74:75], off, off offset:160
	s_wait_loadcnt 0x5
	v_fmac_f64_e32 v[78:79], v[54:55], v[76:77]
	ds_load_2addr_b64 v[52:55], v2 offset0:33 offset1:34
	ds_load_2addr_b64 v[70:73], v2 offset0:35 offset1:36
	s_wait_dscnt 0x1
	v_fmac_f64_e32 v[78:79], v[56:57], v[52:53]
	s_wait_loadcnt 0x4
	s_delay_alu instid0(VALU_DEP_1)
	v_fmac_f64_e32 v[78:79], v[58:59], v[54:55]
	ds_load_2addr_b64 v[52:55], v2 offset0:37 offset1:38
	ds_load_2addr_b64 v[56:59], v2 offset0:39 offset1:40
	s_wait_dscnt 0x2
	v_fmac_f64_e32 v[78:79], v[60:61], v[70:71]
	s_wait_loadcnt 0x3
	s_delay_alu instid0(VALU_DEP_1) | instskip(SKIP_1) | instid1(VALU_DEP_1)
	v_fmac_f64_e32 v[78:79], v[62:63], v[72:73]
	s_wait_dscnt 0x1
	v_fmac_f64_e32 v[78:79], v[64:65], v[52:53]
	s_wait_loadcnt 0x2
	s_delay_alu instid0(VALU_DEP_1) | instskip(SKIP_4) | instid1(VALU_DEP_1)
	v_fmac_f64_e32 v[78:79], v[66:67], v[54:55]
	ds_load_2addr_b64 v[52:55], v2 offset0:41 offset1:42
	s_wait_dscnt 0x1
	v_fmac_f64_e32 v[78:79], v[68:69], v[56:57]
	s_wait_loadcnt 0x1
	v_fmac_f64_e32 v[78:79], v[48:49], v[58:59]
	s_wait_dscnt 0x0
	s_delay_alu instid0(VALU_DEP_1) | instskip(SKIP_1) | instid1(VALU_DEP_1)
	v_fmac_f64_e32 v[78:79], v[50:51], v[52:53]
	s_wait_loadcnt 0x0
	v_fmac_f64_e32 v[78:79], v[74:75], v[54:55]
	s_delay_alu instid0(VALU_DEP_1)
	v_add_f64_e64 v[2:3], v[46:47], -v[78:79]
	scratch_store_b64 off, v[2:3], off offset:48
	s_wait_xcnt 0x0
	v_cmpx_lt_u32_e32 5, v0
	s_cbranch_execz .LBB84_125
; %bb.124:
	scratch_load_b64 v[2:3], off, off offset:40
	v_mov_b64_e32 v[46:47], 0
	scratch_store_b64 off, v[46:47], off offset:40
	s_wait_loadcnt 0x0
	ds_store_b64 v1, v[2:3]
.LBB84_125:
	s_wait_xcnt 0x0
	s_or_b32 exec_lo, exec_lo, s0
	s_wait_storecnt_dscnt 0x0
	s_barrier_signal -1
	s_barrier_wait -1
	s_clause 0x5
	scratch_load_b128 v[46:49], off, off offset:40
	scratch_load_b128 v[50:53], off, off offset:56
	;; [unrolled: 1-line block ×6, first 2 shown]
	v_mov_b32_e32 v2, 0
	ds_load_b128 v[70:73], v2 offset:224
	ds_load_b128 v[74:77], v2 offset:240
	s_mov_b32 s0, exec_lo
	s_wait_loadcnt_dscnt 0x501
	v_fma_f64 v[78:79], v[48:49], v[70:71], 0
	s_wait_loadcnt 0x4
	s_delay_alu instid0(VALU_DEP_1) | instskip(SKIP_4) | instid1(VALU_DEP_1)
	v_fmac_f64_e32 v[78:79], v[50:51], v[72:73]
	scratch_load_b128 v[48:51], off, off offset:136
	s_wait_dscnt 0x0
	v_fmac_f64_e32 v[78:79], v[52:53], v[74:75]
	s_wait_loadcnt 0x4
	v_fmac_f64_e32 v[78:79], v[54:55], v[76:77]
	scratch_load_b128 v[52:55], off, off offset:152
	ds_load_b128 v[70:73], v2 offset:256
	ds_load_b128 v[74:77], v2 offset:272
	s_wait_dscnt 0x1
	v_fmac_f64_e32 v[78:79], v[56:57], v[70:71]
	s_wait_loadcnt 0x4
	s_delay_alu instid0(VALU_DEP_1) | instskip(SKIP_1) | instid1(VALU_DEP_1)
	v_fmac_f64_e32 v[78:79], v[58:59], v[72:73]
	s_wait_dscnt 0x0
	v_fmac_f64_e32 v[78:79], v[60:61], v[74:75]
	s_wait_loadcnt 0x3
	s_delay_alu instid0(VALU_DEP_1)
	v_fmac_f64_e32 v[78:79], v[62:63], v[76:77]
	ds_load_b128 v[56:59], v2 offset:288
	ds_load_b128 v[60:63], v2 offset:304
	s_wait_dscnt 0x1
	v_fmac_f64_e32 v[78:79], v[64:65], v[56:57]
	s_wait_loadcnt 0x2
	s_delay_alu instid0(VALU_DEP_1) | instskip(SKIP_1) | instid1(VALU_DEP_1)
	v_fmac_f64_e32 v[78:79], v[66:67], v[58:59]
	s_wait_dscnt 0x0
	v_fmac_f64_e32 v[78:79], v[68:69], v[60:61]
	s_wait_loadcnt 0x1
	s_delay_alu instid0(VALU_DEP_1)
	v_fmac_f64_e32 v[78:79], v[48:49], v[62:63]
	ds_load_b128 v[56:59], v2 offset:320
	ds_load_b64 v[48:49], v2 offset:336
	s_wait_dscnt 0x1
	v_fmac_f64_e32 v[78:79], v[50:51], v[56:57]
	s_wait_loadcnt 0x0
	s_delay_alu instid0(VALU_DEP_1) | instskip(SKIP_1) | instid1(VALU_DEP_1)
	v_fmac_f64_e32 v[78:79], v[52:53], v[58:59]
	s_wait_dscnt 0x0
	v_fmac_f64_e32 v[78:79], v[54:55], v[48:49]
	s_delay_alu instid0(VALU_DEP_1)
	v_add_f64_e64 v[46:47], v[46:47], -v[78:79]
	scratch_store_b64 off, v[46:47], off offset:40
	s_wait_xcnt 0x0
	v_cmpx_lt_u32_e32 4, v0
	s_cbranch_execz .LBB84_127
; %bb.126:
	scratch_load_b64 v[46:47], off, off offset:32
	v_mov_b64_e32 v[48:49], 0
	scratch_store_b64 off, v[48:49], off offset:32
	s_wait_loadcnt 0x0
	ds_store_b64 v1, v[46:47]
.LBB84_127:
	s_wait_xcnt 0x0
	s_or_b32 exec_lo, exec_lo, s0
	s_wait_storecnt_dscnt 0x0
	s_barrier_signal -1
	s_barrier_wait -1
	s_clause 0x5
	scratch_load_b128 v[46:49], off, off offset:32
	scratch_load_b128 v[50:53], off, off offset:48
	;; [unrolled: 1-line block ×6, first 2 shown]
	ds_load_2addr_b64 v[70:73], v2 offset0:27 offset1:28
	ds_load_2addr_b64 v[74:77], v2 offset0:29 offset1:30
	s_mov_b32 s0, exec_lo
	s_wait_loadcnt_dscnt 0x501
	v_fma_f64 v[78:79], v[48:49], v[70:71], 0
	s_wait_loadcnt 0x4
	s_delay_alu instid0(VALU_DEP_1) | instskip(SKIP_4) | instid1(VALU_DEP_1)
	v_fmac_f64_e32 v[78:79], v[50:51], v[72:73]
	scratch_load_b128 v[48:51], off, off offset:128
	s_wait_dscnt 0x0
	v_fmac_f64_e32 v[78:79], v[52:53], v[74:75]
	s_wait_loadcnt 0x4
	v_fmac_f64_e32 v[78:79], v[54:55], v[76:77]
	scratch_load_b128 v[52:55], off, off offset:144
	ds_load_2addr_b64 v[70:73], v2 offset0:31 offset1:32
	ds_load_2addr_b64 v[74:77], v2 offset0:33 offset1:34
	s_wait_dscnt 0x1
	v_fmac_f64_e32 v[78:79], v[56:57], v[70:71]
	scratch_load_b64 v[70:71], off, off offset:160
	s_wait_loadcnt 0x5
	v_fmac_f64_e32 v[78:79], v[58:59], v[72:73]
	s_wait_dscnt 0x0
	s_delay_alu instid0(VALU_DEP_1) | instskip(SKIP_1) | instid1(VALU_DEP_1)
	v_fmac_f64_e32 v[78:79], v[60:61], v[74:75]
	s_wait_loadcnt 0x4
	v_fmac_f64_e32 v[78:79], v[62:63], v[76:77]
	ds_load_2addr_b64 v[56:59], v2 offset0:35 offset1:36
	ds_load_2addr_b64 v[60:63], v2 offset0:37 offset1:38
	s_wait_dscnt 0x1
	v_fmac_f64_e32 v[78:79], v[64:65], v[56:57]
	s_wait_loadcnt 0x3
	s_delay_alu instid0(VALU_DEP_1) | instskip(SKIP_1) | instid1(VALU_DEP_1)
	v_fmac_f64_e32 v[78:79], v[66:67], v[58:59]
	s_wait_dscnt 0x0
	v_fmac_f64_e32 v[78:79], v[68:69], v[60:61]
	s_wait_loadcnt 0x2
	s_delay_alu instid0(VALU_DEP_1)
	v_fmac_f64_e32 v[78:79], v[48:49], v[62:63]
	ds_load_2addr_b64 v[56:59], v2 offset0:39 offset1:40
	ds_load_2addr_b64 v[60:63], v2 offset0:41 offset1:42
	s_wait_dscnt 0x1
	v_fmac_f64_e32 v[78:79], v[50:51], v[56:57]
	s_wait_loadcnt 0x1
	s_delay_alu instid0(VALU_DEP_1) | instskip(SKIP_1) | instid1(VALU_DEP_1)
	v_fmac_f64_e32 v[78:79], v[52:53], v[58:59]
	s_wait_dscnt 0x0
	v_fmac_f64_e32 v[78:79], v[54:55], v[60:61]
	s_wait_loadcnt 0x0
	s_delay_alu instid0(VALU_DEP_1) | instskip(NEXT) | instid1(VALU_DEP_1)
	v_fmac_f64_e32 v[78:79], v[70:71], v[62:63]
	v_add_f64_e64 v[2:3], v[46:47], -v[78:79]
	scratch_store_b64 off, v[2:3], off offset:32
	s_wait_xcnt 0x0
	v_cmpx_lt_u32_e32 3, v0
	s_cbranch_execz .LBB84_129
; %bb.128:
	scratch_load_b64 v[2:3], off, off offset:24
	v_mov_b64_e32 v[46:47], 0
	scratch_store_b64 off, v[46:47], off offset:24
	s_wait_loadcnt 0x0
	ds_store_b64 v1, v[2:3]
.LBB84_129:
	s_wait_xcnt 0x0
	s_or_b32 exec_lo, exec_lo, s0
	s_wait_storecnt_dscnt 0x0
	s_barrier_signal -1
	s_barrier_wait -1
	s_clause 0x5
	scratch_load_b128 v[46:49], off, off offset:24
	scratch_load_b128 v[50:53], off, off offset:40
	;; [unrolled: 1-line block ×6, first 2 shown]
	v_mov_b32_e32 v2, 0
	ds_load_b128 v[70:73], v2 offset:208
	ds_load_b128 v[74:77], v2 offset:224
	s_mov_b32 s0, exec_lo
	s_wait_loadcnt_dscnt 0x501
	v_fma_f64 v[78:79], v[48:49], v[70:71], 0
	s_wait_loadcnt 0x4
	s_delay_alu instid0(VALU_DEP_1) | instskip(SKIP_4) | instid1(VALU_DEP_1)
	v_fmac_f64_e32 v[78:79], v[50:51], v[72:73]
	scratch_load_b128 v[48:51], off, off offset:120
	s_wait_dscnt 0x0
	v_fmac_f64_e32 v[78:79], v[52:53], v[74:75]
	s_wait_loadcnt 0x4
	v_fmac_f64_e32 v[78:79], v[54:55], v[76:77]
	scratch_load_b128 v[52:55], off, off offset:136
	ds_load_b128 v[70:73], v2 offset:240
	ds_load_b128 v[74:77], v2 offset:256
	s_wait_dscnt 0x1
	v_fmac_f64_e32 v[78:79], v[56:57], v[70:71]
	s_wait_loadcnt 0x4
	s_delay_alu instid0(VALU_DEP_1) | instskip(SKIP_4) | instid1(VALU_DEP_1)
	v_fmac_f64_e32 v[78:79], v[58:59], v[72:73]
	scratch_load_b128 v[56:59], off, off offset:152
	s_wait_dscnt 0x0
	v_fmac_f64_e32 v[78:79], v[60:61], v[74:75]
	s_wait_loadcnt 0x4
	v_fmac_f64_e32 v[78:79], v[62:63], v[76:77]
	ds_load_b128 v[60:63], v2 offset:272
	ds_load_b128 v[70:73], v2 offset:288
	s_wait_dscnt 0x1
	v_fmac_f64_e32 v[78:79], v[64:65], v[60:61]
	s_wait_loadcnt 0x3
	s_delay_alu instid0(VALU_DEP_1)
	v_fmac_f64_e32 v[78:79], v[66:67], v[62:63]
	ds_load_b128 v[60:63], v2 offset:304
	ds_load_b128 v[64:67], v2 offset:320
	s_wait_dscnt 0x2
	v_fmac_f64_e32 v[78:79], v[68:69], v[70:71]
	s_wait_loadcnt 0x2
	s_delay_alu instid0(VALU_DEP_1) | instskip(SKIP_4) | instid1(VALU_DEP_1)
	v_fmac_f64_e32 v[78:79], v[48:49], v[72:73]
	ds_load_b64 v[48:49], v2 offset:336
	s_wait_dscnt 0x2
	v_fmac_f64_e32 v[78:79], v[50:51], v[60:61]
	s_wait_loadcnt 0x1
	v_fmac_f64_e32 v[78:79], v[52:53], v[62:63]
	s_wait_dscnt 0x1
	s_delay_alu instid0(VALU_DEP_1) | instskip(SKIP_1) | instid1(VALU_DEP_1)
	v_fmac_f64_e32 v[78:79], v[54:55], v[64:65]
	s_wait_loadcnt 0x0
	v_fmac_f64_e32 v[78:79], v[56:57], v[66:67]
	s_wait_dscnt 0x0
	s_delay_alu instid0(VALU_DEP_1) | instskip(NEXT) | instid1(VALU_DEP_1)
	v_fmac_f64_e32 v[78:79], v[58:59], v[48:49]
	v_add_f64_e64 v[46:47], v[46:47], -v[78:79]
	scratch_store_b64 off, v[46:47], off offset:24
	s_wait_xcnt 0x0
	v_cmpx_lt_u32_e32 2, v0
	s_cbranch_execz .LBB84_131
; %bb.130:
	scratch_load_b64 v[46:47], off, off offset:16
	v_mov_b64_e32 v[48:49], 0
	scratch_store_b64 off, v[48:49], off offset:16
	s_wait_loadcnt 0x0
	ds_store_b64 v1, v[46:47]
.LBB84_131:
	s_wait_xcnt 0x0
	s_or_b32 exec_lo, exec_lo, s0
	s_wait_storecnt_dscnt 0x0
	s_barrier_signal -1
	s_barrier_wait -1
	s_clause 0x5
	scratch_load_b128 v[46:49], off, off offset:16
	scratch_load_b128 v[50:53], off, off offset:32
	;; [unrolled: 1-line block ×6, first 2 shown]
	ds_load_2addr_b64 v[70:73], v2 offset0:25 offset1:26
	ds_load_2addr_b64 v[74:77], v2 offset0:27 offset1:28
	s_mov_b32 s0, exec_lo
	s_wait_loadcnt_dscnt 0x501
	v_fma_f64 v[78:79], v[48:49], v[70:71], 0
	s_wait_loadcnt 0x4
	s_delay_alu instid0(VALU_DEP_1) | instskip(SKIP_4) | instid1(VALU_DEP_1)
	v_fmac_f64_e32 v[78:79], v[50:51], v[72:73]
	scratch_load_b128 v[48:51], off, off offset:112
	s_wait_dscnt 0x0
	v_fmac_f64_e32 v[78:79], v[52:53], v[74:75]
	s_wait_loadcnt 0x4
	v_fmac_f64_e32 v[78:79], v[54:55], v[76:77]
	scratch_load_b128 v[52:55], off, off offset:128
	ds_load_2addr_b64 v[70:73], v2 offset0:29 offset1:30
	ds_load_2addr_b64 v[74:77], v2 offset0:31 offset1:32
	s_wait_dscnt 0x1
	v_fmac_f64_e32 v[78:79], v[56:57], v[70:71]
	s_wait_loadcnt 0x4
	s_delay_alu instid0(VALU_DEP_1)
	v_fmac_f64_e32 v[78:79], v[58:59], v[72:73]
	scratch_load_b128 v[56:59], off, off offset:144
	s_wait_dscnt 0x0
	v_fmac_f64_e32 v[78:79], v[60:61], v[74:75]
	scratch_load_b64 v[74:75], off, off offset:160
	s_wait_loadcnt 0x5
	v_fmac_f64_e32 v[78:79], v[62:63], v[76:77]
	ds_load_2addr_b64 v[60:63], v2 offset0:33 offset1:34
	ds_load_2addr_b64 v[70:73], v2 offset0:35 offset1:36
	s_wait_dscnt 0x1
	v_fmac_f64_e32 v[78:79], v[64:65], v[60:61]
	s_wait_loadcnt 0x4
	s_delay_alu instid0(VALU_DEP_1)
	v_fmac_f64_e32 v[78:79], v[66:67], v[62:63]
	ds_load_2addr_b64 v[60:63], v2 offset0:37 offset1:38
	ds_load_2addr_b64 v[64:67], v2 offset0:39 offset1:40
	s_wait_dscnt 0x2
	v_fmac_f64_e32 v[78:79], v[68:69], v[70:71]
	s_wait_loadcnt 0x3
	s_delay_alu instid0(VALU_DEP_1) | instskip(SKIP_1) | instid1(VALU_DEP_1)
	v_fmac_f64_e32 v[78:79], v[48:49], v[72:73]
	s_wait_dscnt 0x1
	v_fmac_f64_e32 v[78:79], v[50:51], v[60:61]
	ds_load_2addr_b64 v[48:51], v2 offset0:41 offset1:42
	s_wait_loadcnt 0x2
	v_fmac_f64_e32 v[78:79], v[52:53], v[62:63]
	s_wait_dscnt 0x1
	s_delay_alu instid0(VALU_DEP_1) | instskip(SKIP_1) | instid1(VALU_DEP_1)
	v_fmac_f64_e32 v[78:79], v[54:55], v[64:65]
	s_wait_loadcnt 0x1
	v_fmac_f64_e32 v[78:79], v[56:57], v[66:67]
	s_wait_dscnt 0x0
	s_delay_alu instid0(VALU_DEP_1) | instskip(SKIP_1) | instid1(VALU_DEP_1)
	v_fmac_f64_e32 v[78:79], v[58:59], v[48:49]
	s_wait_loadcnt 0x0
	v_fmac_f64_e32 v[78:79], v[74:75], v[50:51]
	s_delay_alu instid0(VALU_DEP_1)
	v_add_f64_e64 v[2:3], v[46:47], -v[78:79]
	scratch_store_b64 off, v[2:3], off offset:16
	s_wait_xcnt 0x0
	v_cmpx_lt_u32_e32 1, v0
	s_cbranch_execz .LBB84_133
; %bb.132:
	scratch_load_b64 v[2:3], off, off offset:8
	v_mov_b64_e32 v[46:47], 0
	scratch_store_b64 off, v[46:47], off offset:8
	s_wait_loadcnt 0x0
	ds_store_b64 v1, v[2:3]
.LBB84_133:
	s_wait_xcnt 0x0
	s_or_b32 exec_lo, exec_lo, s0
	s_wait_storecnt_dscnt 0x0
	s_barrier_signal -1
	s_barrier_wait -1
	s_clause 0x4
	scratch_load_b128 v[48:51], off, off offset:8
	scratch_load_b128 v[52:55], off, off offset:24
	;; [unrolled: 1-line block ×5, first 2 shown]
	v_mov_b32_e32 v46, 0
	ds_load_b128 v[68:71], v46 offset:192
	ds_load_b128 v[72:75], v46 offset:208
	scratch_load_b128 v[76:79], off, off offset:88
	v_dual_ashrrev_i32 v9, 31, v8 :: v_dual_ashrrev_i32 v11, 31, v10
	v_dual_ashrrev_i32 v13, 31, v12 :: v_dual_ashrrev_i32 v15, 31, v14
	;; [unrolled: 1-line block ×9, first 2 shown]
	v_ashrrev_i32_e32 v45, 31, v44
	s_mov_b32 s0, exec_lo
	s_wait_loadcnt_dscnt 0x501
	v_fma_f64 v[2:3], v[50:51], v[68:69], 0
	s_wait_loadcnt 0x4
	s_delay_alu instid0(VALU_DEP_1) | instskip(SKIP_4) | instid1(VALU_DEP_1)
	v_fmac_f64_e32 v[2:3], v[52:53], v[70:71]
	scratch_load_b128 v[50:53], off, off offset:104
	s_wait_dscnt 0x0
	v_fmac_f64_e32 v[2:3], v[54:55], v[72:73]
	s_wait_loadcnt 0x4
	v_fmac_f64_e32 v[2:3], v[56:57], v[74:75]
	ds_load_b128 v[54:57], v46 offset:224
	ds_load_b128 v[68:71], v46 offset:240
	scratch_load_b128 v[72:75], off, off offset:120
	s_wait_dscnt 0x1
	v_fmac_f64_e32 v[2:3], v[58:59], v[54:55]
	s_wait_loadcnt 0x4
	s_delay_alu instid0(VALU_DEP_1) | instskip(SKIP_4) | instid1(VALU_DEP_1)
	v_fmac_f64_e32 v[2:3], v[60:61], v[56:57]
	scratch_load_b128 v[54:57], off, off offset:136
	s_wait_dscnt 0x0
	v_fmac_f64_e32 v[2:3], v[62:63], v[68:69]
	s_wait_loadcnt 0x4
	v_fmac_f64_e32 v[2:3], v[64:65], v[70:71]
	ds_load_b128 v[58:61], v46 offset:256
	ds_load_b128 v[62:65], v46 offset:272
	s_wait_dscnt 0x1
	v_fmac_f64_e32 v[2:3], v[66:67], v[58:59]
	scratch_load_b128 v[66:69], off, off offset:152
	s_wait_loadcnt 0x4
	v_fmac_f64_e32 v[2:3], v[76:77], v[60:61]
	s_wait_dscnt 0x0
	s_delay_alu instid0(VALU_DEP_1) | instskip(SKIP_1) | instid1(VALU_DEP_1)
	v_fmac_f64_e32 v[2:3], v[78:79], v[62:63]
	s_wait_loadcnt 0x3
	v_fmac_f64_e32 v[2:3], v[50:51], v[64:65]
	ds_load_b128 v[58:61], v46 offset:288
	ds_load_b128 v[62:65], v46 offset:304
	s_wait_dscnt 0x1
	v_fmac_f64_e32 v[2:3], v[52:53], v[58:59]
	s_wait_loadcnt 0x2
	s_delay_alu instid0(VALU_DEP_1) | instskip(SKIP_1) | instid1(VALU_DEP_1)
	v_fmac_f64_e32 v[2:3], v[72:73], v[60:61]
	s_wait_dscnt 0x0
	v_fmac_f64_e32 v[2:3], v[74:75], v[62:63]
	s_wait_loadcnt 0x1
	s_delay_alu instid0(VALU_DEP_1)
	v_fmac_f64_e32 v[2:3], v[54:55], v[64:65]
	ds_load_b128 v[50:53], v46 offset:320
	ds_load_b64 v[54:55], v46 offset:336
	s_wait_dscnt 0x1
	v_fmac_f64_e32 v[2:3], v[56:57], v[50:51]
	s_wait_loadcnt 0x0
	s_delay_alu instid0(VALU_DEP_1) | instskip(SKIP_1) | instid1(VALU_DEP_1)
	v_fmac_f64_e32 v[2:3], v[66:67], v[52:53]
	s_wait_dscnt 0x0
	v_fmac_f64_e32 v[2:3], v[68:69], v[54:55]
	s_delay_alu instid0(VALU_DEP_1)
	v_add_f64_e64 v[2:3], v[48:49], -v[2:3]
	scratch_store_b64 off, v[2:3], off offset:8
	s_wait_xcnt 0x0
	v_cmpx_ne_u32_e32 0, v0
	s_cbranch_execz .LBB84_135
; %bb.134:
	scratch_load_b64 v[2:3], off, off
	v_mov_b64_e32 v[48:49], 0
	scratch_store_b64 off, v[48:49], off
	s_wait_loadcnt 0x0
	ds_store_b64 v1, v[2:3]
.LBB84_135:
	s_wait_xcnt 0x0
	s_or_b32 exec_lo, exec_lo, s0
	s_wait_storecnt_dscnt 0x0
	s_barrier_signal -1
	s_barrier_wait -1
	s_clause 0x5
	scratch_load_b128 v[48:51], off, off
	scratch_load_b128 v[0:3], off, off offset:16
	scratch_load_b128 v[52:55], off, off offset:32
	;; [unrolled: 1-line block ×5, first 2 shown]
	ds_load_2addr_b64 v[68:71], v46 offset0:23 offset1:24
	s_clause 0x1
	scratch_load_b128 v[72:75], off, off offset:96
	scratch_load_b128 v[76:79], off, off offset:112
	s_and_b32 vcc_lo, exec_lo, s12
	s_wait_loadcnt_dscnt 0x700
	v_fma_f64 v[80:81], v[50:51], v[68:69], 0
	s_wait_loadcnt 0x6
	s_delay_alu instid0(VALU_DEP_1)
	v_fmac_f64_e32 v[80:81], v[0:1], v[70:71]
	ds_load_2addr_b64 v[68:71], v46 offset0:25 offset1:26
	s_wait_dscnt 0x0
	v_fmac_f64_e32 v[80:81], v[2:3], v[68:69]
	ds_load_2addr_b64 v[0:3], v46 offset0:27 offset1:28
	s_wait_loadcnt 0x5
	v_fmac_f64_e32 v[80:81], v[52:53], v[70:71]
	scratch_load_b128 v[50:53], off, off offset:128
	s_wait_dscnt 0x0
	v_fmac_f64_e32 v[80:81], v[54:55], v[0:1]
	s_wait_loadcnt 0x5
	s_delay_alu instid0(VALU_DEP_1)
	v_fmac_f64_e32 v[80:81], v[56:57], v[2:3]
	ds_load_2addr_b64 v[54:57], v46 offset0:29 offset1:30
	scratch_load_b128 v[0:3], off, off offset:144
	s_wait_dscnt 0x0
	v_fmac_f64_e32 v[80:81], v[58:59], v[54:55]
	scratch_load_b64 v[58:59], off, off offset:160
	s_wait_loadcnt 0x6
	v_fmac_f64_e32 v[80:81], v[60:61], v[56:57]
	ds_load_2addr_b64 v[54:57], v46 offset0:31 offset1:32
	s_wait_dscnt 0x0
	v_fmac_f64_e32 v[80:81], v[62:63], v[54:55]
	s_wait_loadcnt 0x5
	s_delay_alu instid0(VALU_DEP_1) | instskip(SKIP_4) | instid1(VALU_DEP_1)
	v_fmac_f64_e32 v[80:81], v[64:65], v[56:57]
	ds_load_2addr_b64 v[54:57], v46 offset0:33 offset1:34
	s_wait_dscnt 0x0
	v_fmac_f64_e32 v[80:81], v[66:67], v[54:55]
	s_wait_loadcnt 0x4
	v_fmac_f64_e32 v[80:81], v[72:73], v[56:57]
	ds_load_2addr_b64 v[54:57], v46 offset0:35 offset1:36
	s_wait_dscnt 0x0
	v_fmac_f64_e32 v[80:81], v[74:75], v[54:55]
	s_wait_loadcnt 0x3
	s_delay_alu instid0(VALU_DEP_1) | instskip(SKIP_4) | instid1(VALU_DEP_1)
	v_fmac_f64_e32 v[80:81], v[76:77], v[56:57]
	ds_load_2addr_b64 v[54:57], v46 offset0:37 offset1:38
	s_wait_dscnt 0x0
	v_fmac_f64_e32 v[80:81], v[78:79], v[54:55]
	s_wait_loadcnt 0x2
	v_fmac_f64_e32 v[80:81], v[50:51], v[56:57]
	ds_load_2addr_b64 v[54:57], v46 offset0:39 offset1:40
	s_wait_dscnt 0x0
	v_fmac_f64_e32 v[80:81], v[52:53], v[54:55]
	ds_load_2addr_b64 v[50:53], v46 offset0:41 offset1:42
	s_wait_loadcnt 0x1
	v_fmac_f64_e32 v[80:81], v[0:1], v[56:57]
	s_wait_dscnt 0x0
	s_delay_alu instid0(VALU_DEP_1) | instskip(SKIP_1) | instid1(VALU_DEP_1)
	v_fmac_f64_e32 v[80:81], v[2:3], v[50:51]
	s_wait_loadcnt 0x0
	v_fmac_f64_e32 v[80:81], v[58:59], v[52:53]
	s_delay_alu instid0(VALU_DEP_1)
	v_add_f64_e64 v[0:1], v[48:49], -v[80:81]
	scratch_store_b64 off, v[0:1], off
	s_cbranch_vccz .LBB84_176
; %bb.136:
	s_wait_xcnt 0x0
	v_mov_b32_e32 v0, 0
	global_load_b32 v1, v0, s[8:9] offset:76
	s_wait_loadcnt 0x0
	v_cmp_ne_u32_e32 vcc_lo, 20, v1
	s_cbranch_vccz .LBB84_138
; %bb.137:
	v_lshlrev_b32_e32 v1, 3, v1
	scratch_load_b64 v[46:47], v1, off offset:-8
	s_wait_loadcnt 0x0
	scratch_store_b64 off, v[46:47], off offset:152
	scratch_store_b64 v1, v[2:3], off offset:-8
.LBB84_138:
	global_load_b32 v0, v0, s[8:9] offset:72
	s_wait_loadcnt 0x0
	v_cmp_eq_u32_e32 vcc_lo, 19, v0
	s_cbranch_vccnz .LBB84_140
; %bb.139:
	s_wait_xcnt 0x0
	v_lshlrev_b32_e32 v0, 3, v0
	s_delay_alu instid0(VALU_DEP_1)
	v_mov_b32_e32 v46, v0
	scratch_load_b64 v[0:1], v46, off offset:-8
	scratch_load_b64 v[2:3], off, off offset:144
	s_wait_loadcnt 0x1
	scratch_store_b64 off, v[0:1], off offset:144
	s_wait_loadcnt 0x0
	scratch_store_b64 v46, v[2:3], off offset:-8
.LBB84_140:
	s_wait_xcnt 0x0
	v_mov_b32_e32 v0, 0
	global_load_b32 v1, v0, s[8:9] offset:68
	s_wait_loadcnt 0x0
	v_cmp_eq_u32_e32 vcc_lo, 18, v1
	s_cbranch_vccnz .LBB84_142
; %bb.141:
	v_lshlrev_b32_e32 v1, 3, v1
	scratch_load_b64 v[2:3], v1, off offset:-8
	scratch_load_b64 v[46:47], off, off offset:136
	s_wait_loadcnt 0x1
	scratch_store_b64 off, v[2:3], off offset:136
	s_wait_loadcnt 0x0
	scratch_store_b64 v1, v[46:47], off offset:-8
.LBB84_142:
	global_load_b32 v0, v0, s[8:9] offset:64
	s_wait_loadcnt 0x0
	v_cmp_eq_u32_e32 vcc_lo, 17, v0
	s_cbranch_vccnz .LBB84_144
; %bb.143:
	s_wait_xcnt 0x0
	v_lshlrev_b32_e32 v0, 3, v0
	s_delay_alu instid0(VALU_DEP_1)
	v_mov_b32_e32 v46, v0
	scratch_load_b64 v[0:1], v46, off offset:-8
	scratch_load_b64 v[2:3], off, off offset:128
	s_wait_loadcnt 0x1
	scratch_store_b64 off, v[0:1], off offset:128
	s_wait_loadcnt 0x0
	scratch_store_b64 v46, v[2:3], off offset:-8
.LBB84_144:
	s_wait_xcnt 0x0
	v_mov_b32_e32 v0, 0
	global_load_b32 v1, v0, s[8:9] offset:60
	s_wait_loadcnt 0x0
	v_cmp_eq_u32_e32 vcc_lo, 16, v1
	s_cbranch_vccnz .LBB84_146
; %bb.145:
	v_lshlrev_b32_e32 v1, 3, v1
	scratch_load_b64 v[2:3], v1, off offset:-8
	scratch_load_b64 v[46:47], off, off offset:120
	s_wait_loadcnt 0x1
	scratch_store_b64 off, v[2:3], off offset:120
	s_wait_loadcnt 0x0
	scratch_store_b64 v1, v[46:47], off offset:-8
.LBB84_146:
	global_load_b32 v0, v0, s[8:9] offset:56
	s_wait_loadcnt 0x0
	v_cmp_eq_u32_e32 vcc_lo, 15, v0
	s_cbranch_vccnz .LBB84_148
; %bb.147:
	s_wait_xcnt 0x0
	v_lshlrev_b32_e32 v0, 3, v0
	s_delay_alu instid0(VALU_DEP_1)
	v_mov_b32_e32 v46, v0
	scratch_load_b64 v[0:1], v46, off offset:-8
	scratch_load_b64 v[2:3], off, off offset:112
	s_wait_loadcnt 0x1
	scratch_store_b64 off, v[0:1], off offset:112
	s_wait_loadcnt 0x0
	scratch_store_b64 v46, v[2:3], off offset:-8
.LBB84_148:
	s_wait_xcnt 0x0
	v_mov_b32_e32 v0, 0
	global_load_b32 v1, v0, s[8:9] offset:52
	s_wait_loadcnt 0x0
	v_cmp_eq_u32_e32 vcc_lo, 14, v1
	s_cbranch_vccnz .LBB84_150
; %bb.149:
	v_lshlrev_b32_e32 v1, 3, v1
	scratch_load_b64 v[2:3], v1, off offset:-8
	scratch_load_b64 v[46:47], off, off offset:104
	s_wait_loadcnt 0x1
	scratch_store_b64 off, v[2:3], off offset:104
	s_wait_loadcnt 0x0
	scratch_store_b64 v1, v[46:47], off offset:-8
.LBB84_150:
	global_load_b32 v0, v0, s[8:9] offset:48
	s_wait_loadcnt 0x0
	v_cmp_eq_u32_e32 vcc_lo, 13, v0
	s_cbranch_vccnz .LBB84_152
; %bb.151:
	s_wait_xcnt 0x0
	v_lshlrev_b32_e32 v0, 3, v0
	s_delay_alu instid0(VALU_DEP_1)
	v_mov_b32_e32 v46, v0
	scratch_load_b64 v[0:1], v46, off offset:-8
	scratch_load_b64 v[2:3], off, off offset:96
	s_wait_loadcnt 0x1
	scratch_store_b64 off, v[0:1], off offset:96
	s_wait_loadcnt 0x0
	scratch_store_b64 v46, v[2:3], off offset:-8
.LBB84_152:
	s_wait_xcnt 0x0
	v_mov_b32_e32 v0, 0
	global_load_b32 v1, v0, s[8:9] offset:44
	s_wait_loadcnt 0x0
	v_cmp_eq_u32_e32 vcc_lo, 12, v1
	s_cbranch_vccnz .LBB84_154
; %bb.153:
	v_lshlrev_b32_e32 v1, 3, v1
	scratch_load_b64 v[2:3], v1, off offset:-8
	scratch_load_b64 v[46:47], off, off offset:88
	s_wait_loadcnt 0x1
	scratch_store_b64 off, v[2:3], off offset:88
	s_wait_loadcnt 0x0
	scratch_store_b64 v1, v[46:47], off offset:-8
.LBB84_154:
	global_load_b32 v0, v0, s[8:9] offset:40
	s_wait_loadcnt 0x0
	v_cmp_eq_u32_e32 vcc_lo, 11, v0
	s_cbranch_vccnz .LBB84_156
; %bb.155:
	s_wait_xcnt 0x0
	v_lshlrev_b32_e32 v0, 3, v0
	s_delay_alu instid0(VALU_DEP_1)
	v_mov_b32_e32 v46, v0
	scratch_load_b64 v[0:1], v46, off offset:-8
	scratch_load_b64 v[2:3], off, off offset:80
	s_wait_loadcnt 0x1
	scratch_store_b64 off, v[0:1], off offset:80
	s_wait_loadcnt 0x0
	scratch_store_b64 v46, v[2:3], off offset:-8
.LBB84_156:
	s_wait_xcnt 0x0
	v_mov_b32_e32 v0, 0
	global_load_b32 v1, v0, s[8:9] offset:36
	s_wait_loadcnt 0x0
	v_cmp_eq_u32_e32 vcc_lo, 10, v1
	s_cbranch_vccnz .LBB84_158
; %bb.157:
	v_lshlrev_b32_e32 v1, 3, v1
	scratch_load_b64 v[2:3], v1, off offset:-8
	scratch_load_b64 v[46:47], off, off offset:72
	s_wait_loadcnt 0x1
	scratch_store_b64 off, v[2:3], off offset:72
	s_wait_loadcnt 0x0
	scratch_store_b64 v1, v[46:47], off offset:-8
.LBB84_158:
	global_load_b32 v0, v0, s[8:9] offset:32
	s_wait_loadcnt 0x0
	v_cmp_eq_u32_e32 vcc_lo, 9, v0
	s_cbranch_vccnz .LBB84_160
; %bb.159:
	s_wait_xcnt 0x0
	v_lshlrev_b32_e32 v0, 3, v0
	s_delay_alu instid0(VALU_DEP_1)
	v_mov_b32_e32 v46, v0
	scratch_load_b64 v[0:1], v46, off offset:-8
	scratch_load_b64 v[2:3], off, off offset:64
	s_wait_loadcnt 0x1
	scratch_store_b64 off, v[0:1], off offset:64
	s_wait_loadcnt 0x0
	scratch_store_b64 v46, v[2:3], off offset:-8
.LBB84_160:
	s_wait_xcnt 0x0
	v_mov_b32_e32 v0, 0
	global_load_b32 v1, v0, s[8:9] offset:28
	s_wait_loadcnt 0x0
	v_cmp_eq_u32_e32 vcc_lo, 8, v1
	s_cbranch_vccnz .LBB84_162
; %bb.161:
	v_lshlrev_b32_e32 v1, 3, v1
	scratch_load_b64 v[2:3], v1, off offset:-8
	scratch_load_b64 v[46:47], off, off offset:56
	s_wait_loadcnt 0x1
	scratch_store_b64 off, v[2:3], off offset:56
	s_wait_loadcnt 0x0
	scratch_store_b64 v1, v[46:47], off offset:-8
.LBB84_162:
	global_load_b32 v0, v0, s[8:9] offset:24
	s_wait_loadcnt 0x0
	v_cmp_eq_u32_e32 vcc_lo, 7, v0
	s_cbranch_vccnz .LBB84_164
; %bb.163:
	s_wait_xcnt 0x0
	v_lshlrev_b32_e32 v0, 3, v0
	s_delay_alu instid0(VALU_DEP_1)
	v_mov_b32_e32 v46, v0
	scratch_load_b64 v[0:1], v46, off offset:-8
	scratch_load_b64 v[2:3], off, off offset:48
	s_wait_loadcnt 0x1
	scratch_store_b64 off, v[0:1], off offset:48
	s_wait_loadcnt 0x0
	scratch_store_b64 v46, v[2:3], off offset:-8
.LBB84_164:
	s_wait_xcnt 0x0
	v_mov_b32_e32 v0, 0
	global_load_b32 v1, v0, s[8:9] offset:20
	s_wait_loadcnt 0x0
	v_cmp_eq_u32_e32 vcc_lo, 6, v1
	s_cbranch_vccnz .LBB84_166
; %bb.165:
	v_lshlrev_b32_e32 v1, 3, v1
	scratch_load_b64 v[2:3], v1, off offset:-8
	scratch_load_b64 v[46:47], off, off offset:40
	s_wait_loadcnt 0x1
	scratch_store_b64 off, v[2:3], off offset:40
	s_wait_loadcnt 0x0
	scratch_store_b64 v1, v[46:47], off offset:-8
.LBB84_166:
	global_load_b32 v0, v0, s[8:9] offset:16
	s_wait_loadcnt 0x0
	v_cmp_eq_u32_e32 vcc_lo, 5, v0
	s_cbranch_vccnz .LBB84_168
; %bb.167:
	s_wait_xcnt 0x0
	v_lshlrev_b32_e32 v0, 3, v0
	s_delay_alu instid0(VALU_DEP_1)
	v_mov_b32_e32 v46, v0
	scratch_load_b64 v[0:1], v46, off offset:-8
	scratch_load_b64 v[2:3], off, off offset:32
	s_wait_loadcnt 0x1
	scratch_store_b64 off, v[0:1], off offset:32
	s_wait_loadcnt 0x0
	scratch_store_b64 v46, v[2:3], off offset:-8
.LBB84_168:
	s_wait_xcnt 0x0
	v_mov_b32_e32 v0, 0
	global_load_b32 v1, v0, s[8:9] offset:12
	s_wait_loadcnt 0x0
	v_cmp_eq_u32_e32 vcc_lo, 4, v1
	s_cbranch_vccnz .LBB84_170
; %bb.169:
	v_lshlrev_b32_e32 v1, 3, v1
	scratch_load_b64 v[2:3], v1, off offset:-8
	scratch_load_b64 v[46:47], off, off offset:24
	s_wait_loadcnt 0x1
	scratch_store_b64 off, v[2:3], off offset:24
	s_wait_loadcnt 0x0
	scratch_store_b64 v1, v[46:47], off offset:-8
.LBB84_170:
	global_load_b32 v0, v0, s[8:9] offset:8
	s_wait_loadcnt 0x0
	v_cmp_eq_u32_e32 vcc_lo, 3, v0
	s_cbranch_vccnz .LBB84_172
; %bb.171:
	s_wait_xcnt 0x0
	v_lshlrev_b32_e32 v0, 3, v0
	s_delay_alu instid0(VALU_DEP_1)
	v_mov_b32_e32 v46, v0
	scratch_load_b64 v[0:1], v46, off offset:-8
	scratch_load_b64 v[2:3], off, off offset:16
	s_wait_loadcnt 0x1
	scratch_store_b64 off, v[0:1], off offset:16
	s_wait_loadcnt 0x0
	scratch_store_b64 v46, v[2:3], off offset:-8
.LBB84_172:
	s_wait_xcnt 0x0
	v_mov_b32_e32 v0, 0
	global_load_b32 v1, v0, s[8:9] offset:4
	s_wait_loadcnt 0x0
	v_cmp_eq_u32_e32 vcc_lo, 2, v1
	s_cbranch_vccnz .LBB84_174
; %bb.173:
	v_lshlrev_b32_e32 v1, 3, v1
	scratch_load_b64 v[2:3], v1, off offset:-8
	scratch_load_b64 v[46:47], off, off offset:8
	s_wait_loadcnt 0x1
	scratch_store_b64 off, v[2:3], off offset:8
	s_wait_loadcnt 0x0
	scratch_store_b64 v1, v[46:47], off offset:-8
.LBB84_174:
	global_load_b32 v2, v0, s[8:9]
	scratch_load_b64 v[0:1], off, off
	s_wait_loadcnt 0x1
	v_cmp_eq_u32_e32 vcc_lo, 1, v2
	s_cbranch_vccnz .LBB84_176
; %bb.175:
	v_lshlrev_b32_e32 v2, 3, v2
	s_delay_alu instid0(VALU_DEP_1)
	v_mov_b32_e32 v46, v2
	scratch_load_b64 v[2:3], v46, off offset:-8
	s_wait_loadcnt 0x0
	scratch_store_b64 off, v[2:3], off
	scratch_store_b64 v46, v[0:1], off offset:-8
	scratch_load_b64 v[0:1], off, off
.LBB84_176:
	s_wait_loadcnt 0x0
	flat_store_b64 v[4:5], v[0:1]
	scratch_load_b64 v[0:1], off, off offset:8
	v_lshl_add_u64 v[62:63], v[8:9], 3, s[2:3]
	v_lshl_add_u64 v[60:61], v[10:11], 3, s[2:3]
	;; [unrolled: 1-line block ×19, first 2 shown]
	s_wait_loadcnt 0x0
	flat_store_b64 v[6:7], v[0:1]
	scratch_load_b64 v[0:1], off, off offset:16
	s_wait_loadcnt 0x0
	flat_store_b64 v[62:63], v[0:1]
	scratch_load_b64 v[0:1], off, off offset:24
	;; [unrolled: 3-line block ×19, first 2 shown]
	s_wait_loadcnt 0x0
	flat_store_b64 v[2:3], v[0:1]
	s_sendmsg sendmsg(MSG_DEALLOC_VGPRS)
	s_endpgm
	.section	.rodata,"a",@progbits
	.p2align	6, 0x0
	.amdhsa_kernel _ZN9rocsolver6v33100L18getri_kernel_smallILi21EdPKPdEEvT1_iilPiilS6_bb
		.amdhsa_group_segment_fixed_size 344
		.amdhsa_private_segment_fixed_size 176
		.amdhsa_kernarg_size 60
		.amdhsa_user_sgpr_count 2
		.amdhsa_user_sgpr_dispatch_ptr 0
		.amdhsa_user_sgpr_queue_ptr 0
		.amdhsa_user_sgpr_kernarg_segment_ptr 1
		.amdhsa_user_sgpr_dispatch_id 0
		.amdhsa_user_sgpr_kernarg_preload_length 0
		.amdhsa_user_sgpr_kernarg_preload_offset 0
		.amdhsa_user_sgpr_private_segment_size 0
		.amdhsa_wavefront_size32 1
		.amdhsa_uses_dynamic_stack 0
		.amdhsa_enable_private_segment 1
		.amdhsa_system_sgpr_workgroup_id_x 1
		.amdhsa_system_sgpr_workgroup_id_y 0
		.amdhsa_system_sgpr_workgroup_id_z 0
		.amdhsa_system_sgpr_workgroup_info 0
		.amdhsa_system_vgpr_workitem_id 0
		.amdhsa_next_free_vgpr 82
		.amdhsa_next_free_sgpr 19
		.amdhsa_named_barrier_count 0
		.amdhsa_reserve_vcc 1
		.amdhsa_float_round_mode_32 0
		.amdhsa_float_round_mode_16_64 0
		.amdhsa_float_denorm_mode_32 3
		.amdhsa_float_denorm_mode_16_64 3
		.amdhsa_fp16_overflow 0
		.amdhsa_memory_ordered 1
		.amdhsa_forward_progress 1
		.amdhsa_inst_pref_size 114
		.amdhsa_round_robin_scheduling 0
		.amdhsa_exception_fp_ieee_invalid_op 0
		.amdhsa_exception_fp_denorm_src 0
		.amdhsa_exception_fp_ieee_div_zero 0
		.amdhsa_exception_fp_ieee_overflow 0
		.amdhsa_exception_fp_ieee_underflow 0
		.amdhsa_exception_fp_ieee_inexact 0
		.amdhsa_exception_int_div_zero 0
	.end_amdhsa_kernel
	.section	.text._ZN9rocsolver6v33100L18getri_kernel_smallILi21EdPKPdEEvT1_iilPiilS6_bb,"axG",@progbits,_ZN9rocsolver6v33100L18getri_kernel_smallILi21EdPKPdEEvT1_iilPiilS6_bb,comdat
.Lfunc_end84:
	.size	_ZN9rocsolver6v33100L18getri_kernel_smallILi21EdPKPdEEvT1_iilPiilS6_bb, .Lfunc_end84-_ZN9rocsolver6v33100L18getri_kernel_smallILi21EdPKPdEEvT1_iilPiilS6_bb
                                        ; -- End function
	.set _ZN9rocsolver6v33100L18getri_kernel_smallILi21EdPKPdEEvT1_iilPiilS6_bb.num_vgpr, 82
	.set _ZN9rocsolver6v33100L18getri_kernel_smallILi21EdPKPdEEvT1_iilPiilS6_bb.num_agpr, 0
	.set _ZN9rocsolver6v33100L18getri_kernel_smallILi21EdPKPdEEvT1_iilPiilS6_bb.numbered_sgpr, 19
	.set _ZN9rocsolver6v33100L18getri_kernel_smallILi21EdPKPdEEvT1_iilPiilS6_bb.num_named_barrier, 0
	.set _ZN9rocsolver6v33100L18getri_kernel_smallILi21EdPKPdEEvT1_iilPiilS6_bb.private_seg_size, 176
	.set _ZN9rocsolver6v33100L18getri_kernel_smallILi21EdPKPdEEvT1_iilPiilS6_bb.uses_vcc, 1
	.set _ZN9rocsolver6v33100L18getri_kernel_smallILi21EdPKPdEEvT1_iilPiilS6_bb.uses_flat_scratch, 1
	.set _ZN9rocsolver6v33100L18getri_kernel_smallILi21EdPKPdEEvT1_iilPiilS6_bb.has_dyn_sized_stack, 0
	.set _ZN9rocsolver6v33100L18getri_kernel_smallILi21EdPKPdEEvT1_iilPiilS6_bb.has_recursion, 0
	.set _ZN9rocsolver6v33100L18getri_kernel_smallILi21EdPKPdEEvT1_iilPiilS6_bb.has_indirect_call, 0
	.section	.AMDGPU.csdata,"",@progbits
; Kernel info:
; codeLenInByte = 14592
; TotalNumSgprs: 21
; NumVgprs: 82
; ScratchSize: 176
; MemoryBound: 0
; FloatMode: 240
; IeeeMode: 1
; LDSByteSize: 344 bytes/workgroup (compile time only)
; SGPRBlocks: 0
; VGPRBlocks: 5
; NumSGPRsForWavesPerEU: 21
; NumVGPRsForWavesPerEU: 82
; NamedBarCnt: 0
; Occupancy: 10
; WaveLimiterHint : 1
; COMPUTE_PGM_RSRC2:SCRATCH_EN: 1
; COMPUTE_PGM_RSRC2:USER_SGPR: 2
; COMPUTE_PGM_RSRC2:TRAP_HANDLER: 0
; COMPUTE_PGM_RSRC2:TGID_X_EN: 1
; COMPUTE_PGM_RSRC2:TGID_Y_EN: 0
; COMPUTE_PGM_RSRC2:TGID_Z_EN: 0
; COMPUTE_PGM_RSRC2:TIDIG_COMP_CNT: 0
	.section	.text._ZN9rocsolver6v33100L18getri_kernel_smallILi22EdPKPdEEvT1_iilPiilS6_bb,"axG",@progbits,_ZN9rocsolver6v33100L18getri_kernel_smallILi22EdPKPdEEvT1_iilPiilS6_bb,comdat
	.globl	_ZN9rocsolver6v33100L18getri_kernel_smallILi22EdPKPdEEvT1_iilPiilS6_bb ; -- Begin function _ZN9rocsolver6v33100L18getri_kernel_smallILi22EdPKPdEEvT1_iilPiilS6_bb
	.p2align	8
	.type	_ZN9rocsolver6v33100L18getri_kernel_smallILi22EdPKPdEEvT1_iilPiilS6_bb,@function
_ZN9rocsolver6v33100L18getri_kernel_smallILi22EdPKPdEEvT1_iilPiilS6_bb: ; @_ZN9rocsolver6v33100L18getri_kernel_smallILi22EdPKPdEEvT1_iilPiilS6_bb
; %bb.0:
	s_mov_b32 s2, exec_lo
	v_cmpx_gt_u32_e32 22, v0
	s_cbranch_execz .LBB85_98
; %bb.1:
	s_clause 0x1
	s_load_b32 s13, s[0:1], 0x38
	s_load_b64 s[2:3], s[0:1], 0x0
	s_getreg_b32 s6, hwreg(HW_REG_IB_STS2, 6, 4)
	s_wait_kmcnt 0x0
	s_bitcmp1_b32 s13, 8
	s_cselect_b32 s12, -1, 0
	s_bfe_u32 s4, ttmp6, 0x4000c
	s_and_b32 s5, ttmp6, 15
	s_add_co_i32 s4, s4, 1
	s_delay_alu instid0(SALU_CYCLE_1) | instskip(NEXT) | instid1(SALU_CYCLE_1)
	s_mul_i32 s4, ttmp9, s4
	s_add_co_i32 s5, s5, s4
	s_cmp_eq_u32 s6, 0
	s_cselect_b32 s10, ttmp9, s5
	s_load_b128 s[4:7], s[0:1], 0x28
	s_ashr_i32 s11, s10, 31
	s_delay_alu instid0(SALU_CYCLE_1) | instskip(NEXT) | instid1(SALU_CYCLE_1)
	s_lshl_b64 s[8:9], s[10:11], 3
	s_add_nc_u64 s[2:3], s[2:3], s[8:9]
	s_bfe_u32 s8, s13, 0x10008
	s_load_b64 s[2:3], s[2:3], 0x0
	s_cmp_eq_u32 s8, 0
                                        ; implicit-def: $sgpr8_sgpr9
	s_cbranch_scc1 .LBB85_3
; %bb.2:
	s_load_b96 s[16:18], s[0:1], 0x18
	s_wait_kmcnt 0x0
	s_mul_u64 s[4:5], s[4:5], s[10:11]
	s_delay_alu instid0(SALU_CYCLE_1) | instskip(SKIP_4) | instid1(SALU_CYCLE_1)
	s_lshl_b64 s[4:5], s[4:5], 2
	s_ashr_i32 s9, s18, 31
	s_mov_b32 s8, s18
	s_add_nc_u64 s[4:5], s[16:17], s[4:5]
	s_lshl_b64 s[8:9], s[8:9], 2
	s_add_nc_u64 s[8:9], s[4:5], s[8:9]
.LBB85_3:
	s_wait_kmcnt 0x0
	s_clause 0x1
	s_load_b64 s[4:5], s[0:1], 0x8
	s_load_b32 s13, s[0:1], 0x38
	v_dual_mov_b32 v3, 0 :: v_dual_lshlrev_b32 v2, 3, v0
	s_wait_kmcnt 0x0
	s_ashr_i32 s1, s4, 31
	s_mov_b32 s0, s4
	s_delay_alu instid0(SALU_CYCLE_1) | instskip(NEXT) | instid1(SALU_CYCLE_1)
	s_lshl_b64 s[0:1], s[0:1], 3
	s_add_nc_u64 s[2:3], s[2:3], s[0:1]
	s_ashr_i32 s1, s5, 31
	flat_load_b64 v[8:9], v0, s[2:3] scale_offset
	v_add_nc_u64_e32 v[4:5], s[2:3], v[2:3]
	s_mov_b32 s0, s5
	s_bitcmp0_b32 s13, 0
	s_delay_alu instid0(VALU_DEP_1)
	v_lshl_add_u64 v[6:7], s[0:1], 3, v[4:5]
	s_mov_b32 s1, -1
	s_wait_loadcnt_dscnt 0x0
	scratch_store_b64 off, v[8:9], off
	flat_load_b64 v[10:11], v[6:7]
	s_wait_xcnt 0x1
	v_add3_u32 v8, s5, s5, v0
	s_wait_loadcnt_dscnt 0x0
	scratch_store_b64 off, v[10:11], off offset:8
	flat_load_b64 v[12:13], v8, s[2:3] scale_offset
	s_wait_xcnt 0x1
	v_add_nc_u32_e32 v10, s5, v8
	s_wait_loadcnt_dscnt 0x0
	scratch_store_b64 off, v[12:13], off offset:16
	flat_load_b64 v[14:15], v10, s[2:3] scale_offset
	s_wait_xcnt 0x1
	v_add_nc_u32_e32 v12, s5, v10
	;; [unrolled: 5-line block ×19, first 2 shown]
	s_wait_loadcnt_dscnt 0x0
	scratch_store_b64 off, v[48:49], off offset:160
	flat_load_b64 v[48:49], v46, s[2:3] scale_offset
	s_wait_loadcnt_dscnt 0x0
	scratch_store_b64 off, v[48:49], off offset:168
	s_cbranch_scc1 .LBB85_96
; %bb.4:
	v_cmp_eq_u32_e64 s0, 0, v0
	s_wait_xcnt 0x0
	s_and_saveexec_b32 s1, s0
; %bb.5:
	v_mov_b32_e32 v1, 0
	ds_store_b32 v1, v1 offset:352
; %bb.6:
	s_or_b32 exec_lo, exec_lo, s1
	s_wait_storecnt_dscnt 0x0
	s_barrier_signal -1
	s_barrier_wait -1
	scratch_load_b64 v[48:49], v0, off scale_offset
	s_mov_b32 s4, exec_lo
	s_wait_loadcnt 0x0
	v_cmpx_eq_f64_e32 0, v[48:49]
	s_cbranch_execz .LBB85_10
; %bb.7:
	v_mov_b32_e32 v1, 0
	s_mov_b32 s5, 0
	ds_load_b32 v3, v1 offset:352
	s_wait_dscnt 0x0
	v_readfirstlane_b32 s1, v3
	v_add_nc_u32_e32 v3, 1, v0
	s_cmp_eq_u32 s1, 0
	s_delay_alu instid0(VALU_DEP_1) | instskip(SKIP_1) | instid1(SALU_CYCLE_1)
	v_cmp_gt_i32_e32 vcc_lo, s1, v3
	s_cselect_b32 s13, -1, 0
	s_or_b32 s13, s13, vcc_lo
	s_delay_alu instid0(SALU_CYCLE_1)
	s_and_b32 exec_lo, exec_lo, s13
	s_cbranch_execz .LBB85_10
; %bb.8:
	v_mov_b32_e32 v9, s1
.LBB85_9:                               ; =>This Inner Loop Header: Depth=1
	ds_cmpstore_rtn_b32 v9, v1, v3, v9 offset:352
	s_wait_dscnt 0x0
	v_cmp_ne_u32_e32 vcc_lo, 0, v9
	v_cmp_le_i32_e64 s1, v9, v3
	s_and_b32 s1, vcc_lo, s1
	s_delay_alu instid0(SALU_CYCLE_1) | instskip(NEXT) | instid1(SALU_CYCLE_1)
	s_and_b32 s1, exec_lo, s1
	s_or_b32 s5, s1, s5
	s_delay_alu instid0(SALU_CYCLE_1)
	s_and_not1_b32 exec_lo, exec_lo, s5
	s_cbranch_execnz .LBB85_9
.LBB85_10:
	s_or_b32 exec_lo, exec_lo, s4
	v_mov_b32_e32 v1, 0
	s_barrier_signal -1
	s_barrier_wait -1
	ds_load_b32 v3, v1 offset:352
	s_and_saveexec_b32 s1, s0
	s_cbranch_execz .LBB85_12
; %bb.11:
	s_lshl_b64 s[4:5], s[10:11], 2
	s_delay_alu instid0(SALU_CYCLE_1)
	s_add_nc_u64 s[4:5], s[6:7], s[4:5]
	s_wait_dscnt 0x0
	global_store_b32 v1, v3, s[4:5]
.LBB85_12:
	s_wait_xcnt 0x0
	s_or_b32 exec_lo, exec_lo, s1
	s_wait_dscnt 0x0
	v_cmp_ne_u32_e32 vcc_lo, 0, v3
	s_mov_b32 s1, 0
	s_cbranch_vccnz .LBB85_96
; %bb.13:
	v_lshl_add_u32 v3, v0, 3, 0
	v_add_nc_u32_e32 v1, 0xb0, v2
	scratch_load_b64 v[48:49], v3, off
	s_wait_loadcnt 0x0
	v_div_scale_f64 v[50:51], null, v[48:49], v[48:49], 1.0
	v_div_scale_f64 v[56:57], vcc_lo, 1.0, v[48:49], 1.0
	s_delay_alu instid0(VALU_DEP_2) | instskip(SKIP_1) | instid1(TRANS32_DEP_1)
	v_rcp_f64_e32 v[52:53], v[50:51]
	v_nop
	v_fma_f64 v[54:55], -v[50:51], v[52:53], 1.0
	s_delay_alu instid0(VALU_DEP_1) | instskip(NEXT) | instid1(VALU_DEP_1)
	v_fmac_f64_e32 v[52:53], v[52:53], v[54:55]
	v_fma_f64 v[54:55], -v[50:51], v[52:53], 1.0
	s_delay_alu instid0(VALU_DEP_1) | instskip(NEXT) | instid1(VALU_DEP_1)
	v_fmac_f64_e32 v[52:53], v[52:53], v[54:55]
	v_mul_f64_e32 v[54:55], v[56:57], v[52:53]
	s_delay_alu instid0(VALU_DEP_1) | instskip(NEXT) | instid1(VALU_DEP_1)
	v_fma_f64 v[50:51], -v[50:51], v[54:55], v[56:57]
	v_div_fmas_f64 v[50:51], v[50:51], v[52:53], v[54:55]
	s_delay_alu instid0(VALU_DEP_1)
	v_div_fixup_f64 v[48:49], v[50:51], v[48:49], 1.0
	scratch_store_b64 v3, v[48:49], off
	scratch_load_b64 v[50:51], off, off offset:8
	s_wait_xcnt 0x1
	v_xor_b32_e32 v49, 0x80000000, v49
	s_wait_loadcnt 0x0
	ds_store_2addr_b64 v2, v[48:49], v[50:51] offset1:22
	s_wait_storecnt_dscnt 0x0
	s_barrier_signal -1
	s_barrier_wait -1
	s_wait_xcnt 0x0
	s_and_saveexec_b32 s1, s0
	s_cbranch_execz .LBB85_15
; %bb.14:
	scratch_load_b64 v[48:49], v3, off
	ds_load_b64 v[50:51], v1
	s_wait_loadcnt_dscnt 0x0
	v_fma_f64 v[48:49], v[48:49], v[50:51], 0
	v_mov_b32_e32 v9, 0
	ds_load_b64 v[52:53], v9 offset:8
	s_wait_dscnt 0x0
	v_mul_f64_e32 v[48:49], v[48:49], v[52:53]
	scratch_store_b64 off, v[48:49], off offset:8
.LBB85_15:
	s_wait_xcnt 0x0
	s_or_b32 exec_lo, exec_lo, s1
	s_wait_storecnt 0x0
	s_barrier_signal -1
	s_barrier_wait -1
	scratch_load_b64 v[48:49], off, off offset:16
	s_mov_b32 s1, exec_lo
	s_wait_loadcnt 0x0
	ds_store_b64 v1, v[48:49]
	s_wait_dscnt 0x0
	s_barrier_signal -1
	s_barrier_wait -1
	v_cmpx_gt_u32_e32 2, v0
	s_cbranch_execz .LBB85_19
; %bb.16:
	scratch_load_b64 v[48:49], v3, off
	ds_load_b64 v[50:51], v1
	s_wait_loadcnt_dscnt 0x0
	v_fma_f64 v[48:49], v[48:49], v[50:51], 0
	s_and_saveexec_b32 s4, s0
	s_cbranch_execz .LBB85_18
; %bb.17:
	scratch_load_b64 v[50:51], off, off offset:8
	v_mov_b32_e32 v3, 0
	ds_load_b64 v[52:53], v3 offset:184
	s_wait_loadcnt_dscnt 0x0
	v_fmac_f64_e32 v[48:49], v[50:51], v[52:53]
.LBB85_18:
	s_or_b32 exec_lo, exec_lo, s4
	v_mov_b32_e32 v3, 0
	ds_load_b64 v[50:51], v3 offset:16
	s_wait_dscnt 0x0
	v_mul_f64_e32 v[48:49], v[48:49], v[50:51]
	scratch_store_b64 off, v[48:49], off offset:16
.LBB85_19:
	s_wait_xcnt 0x0
	s_or_b32 exec_lo, exec_lo, s1
	s_wait_storecnt 0x0
	s_barrier_signal -1
	s_barrier_wait -1
	scratch_load_b64 v[48:49], off, off offset:24
	v_add_nc_u32_e32 v3, -1, v0
	s_mov_b32 s0, exec_lo
	s_wait_loadcnt 0x0
	ds_store_b64 v1, v[48:49]
	s_wait_dscnt 0x0
	s_barrier_signal -1
	s_barrier_wait -1
	v_cmpx_gt_u32_e32 3, v0
	s_cbranch_execz .LBB85_23
; %bb.20:
	v_mov_b64_e32 v[48:49], 0
	v_dual_add_nc_u32 v9, -1, v0 :: v_dual_mov_b32 v13, v2
	v_add_nc_u32_e32 v11, 0xb0, v2
	s_mov_b32 s1, 0
.LBB85_21:                              ; =>This Inner Loop Header: Depth=1
	scratch_load_b64 v[50:51], v13, off
	ds_load_b64 v[52:53], v11
	v_dual_add_nc_u32 v9, 1, v9 :: v_dual_add_nc_u32 v11, 8, v11
	s_wait_xcnt 0x0
	v_add_nc_u32_e32 v13, 8, v13
	s_delay_alu instid0(VALU_DEP_2)
	v_cmp_lt_u32_e32 vcc_lo, 1, v9
	s_or_b32 s1, vcc_lo, s1
	s_wait_loadcnt_dscnt 0x0
	v_fmac_f64_e32 v[48:49], v[50:51], v[52:53]
	s_and_not1_b32 exec_lo, exec_lo, s1
	s_cbranch_execnz .LBB85_21
; %bb.22:
	s_or_b32 exec_lo, exec_lo, s1
	v_mov_b32_e32 v9, 0
	ds_load_b64 v[50:51], v9 offset:24
	s_wait_dscnt 0x0
	v_mul_f64_e32 v[48:49], v[48:49], v[50:51]
	scratch_store_b64 off, v[48:49], off offset:24
.LBB85_23:
	s_wait_xcnt 0x0
	s_or_b32 exec_lo, exec_lo, s0
	s_wait_storecnt 0x0
	s_barrier_signal -1
	s_barrier_wait -1
	scratch_load_b64 v[48:49], off, off offset:32
	s_mov_b32 s0, exec_lo
	s_wait_loadcnt 0x0
	ds_store_b64 v1, v[48:49]
	s_wait_dscnt 0x0
	s_barrier_signal -1
	s_barrier_wait -1
	v_cmpx_gt_u32_e32 4, v0
	s_cbranch_execz .LBB85_27
; %bb.24:
	v_mov_b64_e32 v[48:49], 0
	v_dual_add_nc_u32 v9, -1, v0 :: v_dual_mov_b32 v13, v2
	v_add_nc_u32_e32 v11, 0xb0, v2
	s_mov_b32 s1, 0
.LBB85_25:                              ; =>This Inner Loop Header: Depth=1
	scratch_load_b64 v[50:51], v13, off
	ds_load_b64 v[52:53], v11
	v_dual_add_nc_u32 v9, 1, v9 :: v_dual_add_nc_u32 v11, 8, v11
	s_wait_xcnt 0x0
	v_add_nc_u32_e32 v13, 8, v13
	s_delay_alu instid0(VALU_DEP_2)
	v_cmp_lt_u32_e32 vcc_lo, 2, v9
	s_or_b32 s1, vcc_lo, s1
	s_wait_loadcnt_dscnt 0x0
	v_fmac_f64_e32 v[48:49], v[50:51], v[52:53]
	s_and_not1_b32 exec_lo, exec_lo, s1
	s_cbranch_execnz .LBB85_25
; %bb.26:
	s_or_b32 exec_lo, exec_lo, s1
	v_mov_b32_e32 v9, 0
	ds_load_b64 v[50:51], v9 offset:32
	s_wait_dscnt 0x0
	v_mul_f64_e32 v[48:49], v[48:49], v[50:51]
	scratch_store_b64 off, v[48:49], off offset:32
.LBB85_27:
	s_wait_xcnt 0x0
	s_or_b32 exec_lo, exec_lo, s0
	s_wait_storecnt 0x0
	s_barrier_signal -1
	s_barrier_wait -1
	scratch_load_b64 v[48:49], off, off offset:40
	s_mov_b32 s0, exec_lo
	s_wait_loadcnt 0x0
	ds_store_b64 v1, v[48:49]
	s_wait_dscnt 0x0
	s_barrier_signal -1
	s_barrier_wait -1
	v_cmpx_gt_u32_e32 5, v0
	s_cbranch_execz .LBB85_31
; %bb.28:
	v_mov_b64_e32 v[48:49], 0
	v_dual_add_nc_u32 v9, -1, v0 :: v_dual_mov_b32 v13, v2
	v_add_nc_u32_e32 v11, 0xb0, v2
	s_mov_b32 s1, 0
.LBB85_29:                              ; =>This Inner Loop Header: Depth=1
	scratch_load_b64 v[50:51], v13, off
	ds_load_b64 v[52:53], v11
	v_dual_add_nc_u32 v9, 1, v9 :: v_dual_add_nc_u32 v11, 8, v11
	s_wait_xcnt 0x0
	v_add_nc_u32_e32 v13, 8, v13
	s_delay_alu instid0(VALU_DEP_2)
	v_cmp_lt_u32_e32 vcc_lo, 3, v9
	s_or_b32 s1, vcc_lo, s1
	s_wait_loadcnt_dscnt 0x0
	v_fmac_f64_e32 v[48:49], v[50:51], v[52:53]
	s_and_not1_b32 exec_lo, exec_lo, s1
	s_cbranch_execnz .LBB85_29
; %bb.30:
	s_or_b32 exec_lo, exec_lo, s1
	v_mov_b32_e32 v9, 0
	ds_load_b64 v[50:51], v9 offset:40
	s_wait_dscnt 0x0
	v_mul_f64_e32 v[48:49], v[48:49], v[50:51]
	scratch_store_b64 off, v[48:49], off offset:40
.LBB85_31:
	s_wait_xcnt 0x0
	s_or_b32 exec_lo, exec_lo, s0
	s_wait_storecnt 0x0
	s_barrier_signal -1
	s_barrier_wait -1
	scratch_load_b64 v[48:49], off, off offset:48
	s_mov_b32 s0, exec_lo
	s_wait_loadcnt 0x0
	ds_store_b64 v1, v[48:49]
	s_wait_dscnt 0x0
	s_barrier_signal -1
	s_barrier_wait -1
	v_cmpx_gt_u32_e32 6, v0
	s_cbranch_execz .LBB85_35
; %bb.32:
	v_mov_b64_e32 v[48:49], 0
	v_dual_add_nc_u32 v9, -1, v0 :: v_dual_mov_b32 v13, v2
	v_add_nc_u32_e32 v11, 0xb0, v2
	s_mov_b32 s1, 0
.LBB85_33:                              ; =>This Inner Loop Header: Depth=1
	scratch_load_b64 v[50:51], v13, off
	ds_load_b64 v[52:53], v11
	v_dual_add_nc_u32 v9, 1, v9 :: v_dual_add_nc_u32 v11, 8, v11
	s_wait_xcnt 0x0
	v_add_nc_u32_e32 v13, 8, v13
	s_delay_alu instid0(VALU_DEP_2)
	v_cmp_lt_u32_e32 vcc_lo, 4, v9
	s_or_b32 s1, vcc_lo, s1
	s_wait_loadcnt_dscnt 0x0
	v_fmac_f64_e32 v[48:49], v[50:51], v[52:53]
	s_and_not1_b32 exec_lo, exec_lo, s1
	s_cbranch_execnz .LBB85_33
; %bb.34:
	s_or_b32 exec_lo, exec_lo, s1
	v_mov_b32_e32 v9, 0
	ds_load_b64 v[50:51], v9 offset:48
	s_wait_dscnt 0x0
	v_mul_f64_e32 v[48:49], v[48:49], v[50:51]
	scratch_store_b64 off, v[48:49], off offset:48
.LBB85_35:
	s_wait_xcnt 0x0
	s_or_b32 exec_lo, exec_lo, s0
	s_wait_storecnt 0x0
	s_barrier_signal -1
	s_barrier_wait -1
	scratch_load_b64 v[48:49], off, off offset:56
	s_mov_b32 s0, exec_lo
	s_wait_loadcnt 0x0
	ds_store_b64 v1, v[48:49]
	s_wait_dscnt 0x0
	s_barrier_signal -1
	s_barrier_wait -1
	v_cmpx_gt_u32_e32 7, v0
	s_cbranch_execz .LBB85_39
; %bb.36:
	v_mov_b64_e32 v[48:49], 0
	v_dual_add_nc_u32 v9, -1, v0 :: v_dual_mov_b32 v13, v2
	v_add_nc_u32_e32 v11, 0xb0, v2
	s_mov_b32 s1, 0
.LBB85_37:                              ; =>This Inner Loop Header: Depth=1
	scratch_load_b64 v[50:51], v13, off
	ds_load_b64 v[52:53], v11
	v_dual_add_nc_u32 v9, 1, v9 :: v_dual_add_nc_u32 v11, 8, v11
	s_wait_xcnt 0x0
	v_add_nc_u32_e32 v13, 8, v13
	s_delay_alu instid0(VALU_DEP_2)
	v_cmp_lt_u32_e32 vcc_lo, 5, v9
	s_or_b32 s1, vcc_lo, s1
	s_wait_loadcnt_dscnt 0x0
	v_fmac_f64_e32 v[48:49], v[50:51], v[52:53]
	s_and_not1_b32 exec_lo, exec_lo, s1
	s_cbranch_execnz .LBB85_37
; %bb.38:
	s_or_b32 exec_lo, exec_lo, s1
	v_mov_b32_e32 v9, 0
	ds_load_b64 v[50:51], v9 offset:56
	s_wait_dscnt 0x0
	v_mul_f64_e32 v[48:49], v[48:49], v[50:51]
	scratch_store_b64 off, v[48:49], off offset:56
.LBB85_39:
	s_wait_xcnt 0x0
	s_or_b32 exec_lo, exec_lo, s0
	s_wait_storecnt 0x0
	s_barrier_signal -1
	s_barrier_wait -1
	scratch_load_b64 v[48:49], off, off offset:64
	s_mov_b32 s0, exec_lo
	s_wait_loadcnt 0x0
	ds_store_b64 v1, v[48:49]
	s_wait_dscnt 0x0
	s_barrier_signal -1
	s_barrier_wait -1
	v_cmpx_gt_u32_e32 8, v0
	s_cbranch_execz .LBB85_43
; %bb.40:
	v_mov_b64_e32 v[48:49], 0
	v_dual_add_nc_u32 v9, -1, v0 :: v_dual_mov_b32 v13, v2
	v_add_nc_u32_e32 v11, 0xb0, v2
	s_mov_b32 s1, 0
.LBB85_41:                              ; =>This Inner Loop Header: Depth=1
	scratch_load_b64 v[50:51], v13, off
	ds_load_b64 v[52:53], v11
	v_dual_add_nc_u32 v9, 1, v9 :: v_dual_add_nc_u32 v11, 8, v11
	s_wait_xcnt 0x0
	v_add_nc_u32_e32 v13, 8, v13
	s_delay_alu instid0(VALU_DEP_2)
	v_cmp_lt_u32_e32 vcc_lo, 6, v9
	s_or_b32 s1, vcc_lo, s1
	s_wait_loadcnt_dscnt 0x0
	v_fmac_f64_e32 v[48:49], v[50:51], v[52:53]
	s_and_not1_b32 exec_lo, exec_lo, s1
	s_cbranch_execnz .LBB85_41
; %bb.42:
	s_or_b32 exec_lo, exec_lo, s1
	v_mov_b32_e32 v9, 0
	ds_load_b64 v[50:51], v9 offset:64
	s_wait_dscnt 0x0
	v_mul_f64_e32 v[48:49], v[48:49], v[50:51]
	scratch_store_b64 off, v[48:49], off offset:64
.LBB85_43:
	s_wait_xcnt 0x0
	s_or_b32 exec_lo, exec_lo, s0
	s_wait_storecnt 0x0
	s_barrier_signal -1
	s_barrier_wait -1
	scratch_load_b64 v[48:49], off, off offset:72
	s_mov_b32 s0, exec_lo
	s_wait_loadcnt 0x0
	ds_store_b64 v1, v[48:49]
	s_wait_dscnt 0x0
	s_barrier_signal -1
	s_barrier_wait -1
	v_cmpx_gt_u32_e32 9, v0
	s_cbranch_execz .LBB85_47
; %bb.44:
	v_mov_b64_e32 v[48:49], 0
	v_dual_add_nc_u32 v9, -1, v0 :: v_dual_mov_b32 v13, v2
	v_add_nc_u32_e32 v11, 0xb0, v2
	s_mov_b32 s1, 0
.LBB85_45:                              ; =>This Inner Loop Header: Depth=1
	scratch_load_b64 v[50:51], v13, off
	ds_load_b64 v[52:53], v11
	v_dual_add_nc_u32 v9, 1, v9 :: v_dual_add_nc_u32 v11, 8, v11
	s_wait_xcnt 0x0
	v_add_nc_u32_e32 v13, 8, v13
	s_delay_alu instid0(VALU_DEP_2)
	v_cmp_lt_u32_e32 vcc_lo, 7, v9
	s_or_b32 s1, vcc_lo, s1
	s_wait_loadcnt_dscnt 0x0
	v_fmac_f64_e32 v[48:49], v[50:51], v[52:53]
	s_and_not1_b32 exec_lo, exec_lo, s1
	s_cbranch_execnz .LBB85_45
; %bb.46:
	s_or_b32 exec_lo, exec_lo, s1
	v_mov_b32_e32 v9, 0
	ds_load_b64 v[50:51], v9 offset:72
	s_wait_dscnt 0x0
	v_mul_f64_e32 v[48:49], v[48:49], v[50:51]
	scratch_store_b64 off, v[48:49], off offset:72
.LBB85_47:
	s_wait_xcnt 0x0
	s_or_b32 exec_lo, exec_lo, s0
	s_wait_storecnt 0x0
	s_barrier_signal -1
	s_barrier_wait -1
	scratch_load_b64 v[48:49], off, off offset:80
	s_mov_b32 s0, exec_lo
	s_wait_loadcnt 0x0
	ds_store_b64 v1, v[48:49]
	s_wait_dscnt 0x0
	s_barrier_signal -1
	s_barrier_wait -1
	v_cmpx_gt_u32_e32 10, v0
	s_cbranch_execz .LBB85_51
; %bb.48:
	v_mov_b64_e32 v[48:49], 0
	v_dual_add_nc_u32 v9, -1, v0 :: v_dual_mov_b32 v13, v2
	v_add_nc_u32_e32 v11, 0xb0, v2
	s_mov_b32 s1, 0
.LBB85_49:                              ; =>This Inner Loop Header: Depth=1
	scratch_load_b64 v[50:51], v13, off
	ds_load_b64 v[52:53], v11
	v_dual_add_nc_u32 v9, 1, v9 :: v_dual_add_nc_u32 v11, 8, v11
	s_wait_xcnt 0x0
	v_add_nc_u32_e32 v13, 8, v13
	s_delay_alu instid0(VALU_DEP_2)
	v_cmp_lt_u32_e32 vcc_lo, 8, v9
	s_or_b32 s1, vcc_lo, s1
	s_wait_loadcnt_dscnt 0x0
	v_fmac_f64_e32 v[48:49], v[50:51], v[52:53]
	s_and_not1_b32 exec_lo, exec_lo, s1
	s_cbranch_execnz .LBB85_49
; %bb.50:
	s_or_b32 exec_lo, exec_lo, s1
	v_mov_b32_e32 v9, 0
	ds_load_b64 v[50:51], v9 offset:80
	s_wait_dscnt 0x0
	v_mul_f64_e32 v[48:49], v[48:49], v[50:51]
	scratch_store_b64 off, v[48:49], off offset:80
.LBB85_51:
	s_wait_xcnt 0x0
	s_or_b32 exec_lo, exec_lo, s0
	s_wait_storecnt 0x0
	s_barrier_signal -1
	s_barrier_wait -1
	scratch_load_b64 v[48:49], off, off offset:88
	s_mov_b32 s0, exec_lo
	s_wait_loadcnt 0x0
	ds_store_b64 v1, v[48:49]
	s_wait_dscnt 0x0
	s_barrier_signal -1
	s_barrier_wait -1
	v_cmpx_gt_u32_e32 11, v0
	s_cbranch_execz .LBB85_55
; %bb.52:
	v_mov_b64_e32 v[48:49], 0
	v_dual_add_nc_u32 v9, -1, v0 :: v_dual_mov_b32 v13, v2
	v_add_nc_u32_e32 v11, 0xb0, v2
	s_mov_b32 s1, 0
.LBB85_53:                              ; =>This Inner Loop Header: Depth=1
	scratch_load_b64 v[50:51], v13, off
	ds_load_b64 v[52:53], v11
	v_dual_add_nc_u32 v9, 1, v9 :: v_dual_add_nc_u32 v11, 8, v11
	s_wait_xcnt 0x0
	v_add_nc_u32_e32 v13, 8, v13
	s_delay_alu instid0(VALU_DEP_2)
	v_cmp_lt_u32_e32 vcc_lo, 9, v9
	s_or_b32 s1, vcc_lo, s1
	s_wait_loadcnt_dscnt 0x0
	v_fmac_f64_e32 v[48:49], v[50:51], v[52:53]
	s_and_not1_b32 exec_lo, exec_lo, s1
	s_cbranch_execnz .LBB85_53
; %bb.54:
	s_or_b32 exec_lo, exec_lo, s1
	v_mov_b32_e32 v9, 0
	ds_load_b64 v[50:51], v9 offset:88
	s_wait_dscnt 0x0
	v_mul_f64_e32 v[48:49], v[48:49], v[50:51]
	scratch_store_b64 off, v[48:49], off offset:88
.LBB85_55:
	s_wait_xcnt 0x0
	s_or_b32 exec_lo, exec_lo, s0
	s_wait_storecnt 0x0
	s_barrier_signal -1
	s_barrier_wait -1
	scratch_load_b64 v[48:49], off, off offset:96
	s_mov_b32 s0, exec_lo
	s_wait_loadcnt 0x0
	ds_store_b64 v1, v[48:49]
	s_wait_dscnt 0x0
	s_barrier_signal -1
	s_barrier_wait -1
	v_cmpx_gt_u32_e32 12, v0
	s_cbranch_execz .LBB85_59
; %bb.56:
	v_mov_b64_e32 v[48:49], 0
	v_dual_add_nc_u32 v9, -1, v0 :: v_dual_mov_b32 v13, v2
	v_add_nc_u32_e32 v11, 0xb0, v2
	s_mov_b32 s1, 0
.LBB85_57:                              ; =>This Inner Loop Header: Depth=1
	scratch_load_b64 v[50:51], v13, off
	ds_load_b64 v[52:53], v11
	v_dual_add_nc_u32 v9, 1, v9 :: v_dual_add_nc_u32 v11, 8, v11
	s_wait_xcnt 0x0
	v_add_nc_u32_e32 v13, 8, v13
	s_delay_alu instid0(VALU_DEP_2)
	v_cmp_lt_u32_e32 vcc_lo, 10, v9
	s_or_b32 s1, vcc_lo, s1
	s_wait_loadcnt_dscnt 0x0
	v_fmac_f64_e32 v[48:49], v[50:51], v[52:53]
	s_and_not1_b32 exec_lo, exec_lo, s1
	s_cbranch_execnz .LBB85_57
; %bb.58:
	s_or_b32 exec_lo, exec_lo, s1
	v_mov_b32_e32 v9, 0
	ds_load_b64 v[50:51], v9 offset:96
	s_wait_dscnt 0x0
	v_mul_f64_e32 v[48:49], v[48:49], v[50:51]
	scratch_store_b64 off, v[48:49], off offset:96
.LBB85_59:
	s_wait_xcnt 0x0
	s_or_b32 exec_lo, exec_lo, s0
	s_wait_storecnt 0x0
	s_barrier_signal -1
	s_barrier_wait -1
	scratch_load_b64 v[48:49], off, off offset:104
	s_mov_b32 s0, exec_lo
	s_wait_loadcnt 0x0
	ds_store_b64 v1, v[48:49]
	s_wait_dscnt 0x0
	s_barrier_signal -1
	s_barrier_wait -1
	v_cmpx_gt_u32_e32 13, v0
	s_cbranch_execz .LBB85_63
; %bb.60:
	v_mov_b64_e32 v[48:49], 0
	v_dual_add_nc_u32 v9, -1, v0 :: v_dual_mov_b32 v13, v2
	v_add_nc_u32_e32 v11, 0xb0, v2
	s_mov_b32 s1, 0
.LBB85_61:                              ; =>This Inner Loop Header: Depth=1
	scratch_load_b64 v[50:51], v13, off
	ds_load_b64 v[52:53], v11
	v_dual_add_nc_u32 v9, 1, v9 :: v_dual_add_nc_u32 v11, 8, v11
	s_wait_xcnt 0x0
	v_add_nc_u32_e32 v13, 8, v13
	s_delay_alu instid0(VALU_DEP_2)
	v_cmp_lt_u32_e32 vcc_lo, 11, v9
	s_or_b32 s1, vcc_lo, s1
	s_wait_loadcnt_dscnt 0x0
	v_fmac_f64_e32 v[48:49], v[50:51], v[52:53]
	s_and_not1_b32 exec_lo, exec_lo, s1
	s_cbranch_execnz .LBB85_61
; %bb.62:
	s_or_b32 exec_lo, exec_lo, s1
	v_mov_b32_e32 v9, 0
	ds_load_b64 v[50:51], v9 offset:104
	s_wait_dscnt 0x0
	v_mul_f64_e32 v[48:49], v[48:49], v[50:51]
	scratch_store_b64 off, v[48:49], off offset:104
.LBB85_63:
	s_wait_xcnt 0x0
	s_or_b32 exec_lo, exec_lo, s0
	s_wait_storecnt 0x0
	s_barrier_signal -1
	s_barrier_wait -1
	scratch_load_b64 v[48:49], off, off offset:112
	s_mov_b32 s0, exec_lo
	s_wait_loadcnt 0x0
	ds_store_b64 v1, v[48:49]
	s_wait_dscnt 0x0
	s_barrier_signal -1
	s_barrier_wait -1
	v_cmpx_gt_u32_e32 14, v0
	s_cbranch_execz .LBB85_67
; %bb.64:
	v_mov_b64_e32 v[48:49], 0
	v_dual_add_nc_u32 v9, -1, v0 :: v_dual_mov_b32 v13, v2
	v_add_nc_u32_e32 v11, 0xb0, v2
	s_mov_b32 s1, 0
.LBB85_65:                              ; =>This Inner Loop Header: Depth=1
	scratch_load_b64 v[50:51], v13, off
	ds_load_b64 v[52:53], v11
	v_dual_add_nc_u32 v9, 1, v9 :: v_dual_add_nc_u32 v11, 8, v11
	s_wait_xcnt 0x0
	v_add_nc_u32_e32 v13, 8, v13
	s_delay_alu instid0(VALU_DEP_2)
	v_cmp_lt_u32_e32 vcc_lo, 12, v9
	s_or_b32 s1, vcc_lo, s1
	s_wait_loadcnt_dscnt 0x0
	v_fmac_f64_e32 v[48:49], v[50:51], v[52:53]
	s_and_not1_b32 exec_lo, exec_lo, s1
	s_cbranch_execnz .LBB85_65
; %bb.66:
	s_or_b32 exec_lo, exec_lo, s1
	v_mov_b32_e32 v9, 0
	ds_load_b64 v[50:51], v9 offset:112
	s_wait_dscnt 0x0
	v_mul_f64_e32 v[48:49], v[48:49], v[50:51]
	scratch_store_b64 off, v[48:49], off offset:112
.LBB85_67:
	s_wait_xcnt 0x0
	s_or_b32 exec_lo, exec_lo, s0
	s_wait_storecnt 0x0
	s_barrier_signal -1
	s_barrier_wait -1
	scratch_load_b64 v[48:49], off, off offset:120
	s_mov_b32 s0, exec_lo
	s_wait_loadcnt 0x0
	ds_store_b64 v1, v[48:49]
	s_wait_dscnt 0x0
	s_barrier_signal -1
	s_barrier_wait -1
	v_cmpx_gt_u32_e32 15, v0
	s_cbranch_execz .LBB85_71
; %bb.68:
	v_mov_b64_e32 v[48:49], 0
	v_dual_add_nc_u32 v9, -1, v0 :: v_dual_mov_b32 v13, v2
	v_add_nc_u32_e32 v11, 0xb0, v2
	s_mov_b32 s1, 0
.LBB85_69:                              ; =>This Inner Loop Header: Depth=1
	scratch_load_b64 v[50:51], v13, off
	ds_load_b64 v[52:53], v11
	v_dual_add_nc_u32 v9, 1, v9 :: v_dual_add_nc_u32 v11, 8, v11
	s_wait_xcnt 0x0
	v_add_nc_u32_e32 v13, 8, v13
	s_delay_alu instid0(VALU_DEP_2)
	v_cmp_lt_u32_e32 vcc_lo, 13, v9
	s_or_b32 s1, vcc_lo, s1
	s_wait_loadcnt_dscnt 0x0
	v_fmac_f64_e32 v[48:49], v[50:51], v[52:53]
	s_and_not1_b32 exec_lo, exec_lo, s1
	s_cbranch_execnz .LBB85_69
; %bb.70:
	s_or_b32 exec_lo, exec_lo, s1
	v_mov_b32_e32 v9, 0
	ds_load_b64 v[50:51], v9 offset:120
	s_wait_dscnt 0x0
	v_mul_f64_e32 v[48:49], v[48:49], v[50:51]
	scratch_store_b64 off, v[48:49], off offset:120
.LBB85_71:
	s_wait_xcnt 0x0
	s_or_b32 exec_lo, exec_lo, s0
	s_wait_storecnt 0x0
	s_barrier_signal -1
	s_barrier_wait -1
	scratch_load_b64 v[48:49], off, off offset:128
	s_mov_b32 s0, exec_lo
	s_wait_loadcnt 0x0
	ds_store_b64 v1, v[48:49]
	s_wait_dscnt 0x0
	s_barrier_signal -1
	s_barrier_wait -1
	v_cmpx_gt_u32_e32 16, v0
	s_cbranch_execz .LBB85_75
; %bb.72:
	v_mov_b64_e32 v[48:49], 0
	v_dual_add_nc_u32 v9, -1, v0 :: v_dual_mov_b32 v13, v2
	v_add_nc_u32_e32 v11, 0xb0, v2
	s_mov_b32 s1, 0
.LBB85_73:                              ; =>This Inner Loop Header: Depth=1
	scratch_load_b64 v[50:51], v13, off
	ds_load_b64 v[52:53], v11
	v_dual_add_nc_u32 v9, 1, v9 :: v_dual_add_nc_u32 v11, 8, v11
	s_wait_xcnt 0x0
	v_add_nc_u32_e32 v13, 8, v13
	s_delay_alu instid0(VALU_DEP_2)
	v_cmp_lt_u32_e32 vcc_lo, 14, v9
	s_or_b32 s1, vcc_lo, s1
	s_wait_loadcnt_dscnt 0x0
	v_fmac_f64_e32 v[48:49], v[50:51], v[52:53]
	s_and_not1_b32 exec_lo, exec_lo, s1
	s_cbranch_execnz .LBB85_73
; %bb.74:
	s_or_b32 exec_lo, exec_lo, s1
	v_mov_b32_e32 v9, 0
	ds_load_b64 v[50:51], v9 offset:128
	s_wait_dscnt 0x0
	v_mul_f64_e32 v[48:49], v[48:49], v[50:51]
	scratch_store_b64 off, v[48:49], off offset:128
.LBB85_75:
	s_wait_xcnt 0x0
	s_or_b32 exec_lo, exec_lo, s0
	s_wait_storecnt 0x0
	s_barrier_signal -1
	s_barrier_wait -1
	scratch_load_b64 v[48:49], off, off offset:136
	s_mov_b32 s0, exec_lo
	s_wait_loadcnt 0x0
	ds_store_b64 v1, v[48:49]
	s_wait_dscnt 0x0
	s_barrier_signal -1
	s_barrier_wait -1
	v_cmpx_gt_u32_e32 17, v0
	s_cbranch_execz .LBB85_79
; %bb.76:
	v_mov_b64_e32 v[48:49], 0
	v_dual_add_nc_u32 v9, -1, v0 :: v_dual_mov_b32 v13, v2
	v_add_nc_u32_e32 v11, 0xb0, v2
	s_mov_b32 s1, 0
.LBB85_77:                              ; =>This Inner Loop Header: Depth=1
	scratch_load_b64 v[50:51], v13, off
	ds_load_b64 v[52:53], v11
	v_dual_add_nc_u32 v9, 1, v9 :: v_dual_add_nc_u32 v11, 8, v11
	s_wait_xcnt 0x0
	v_add_nc_u32_e32 v13, 8, v13
	s_delay_alu instid0(VALU_DEP_2)
	v_cmp_lt_u32_e32 vcc_lo, 15, v9
	s_or_b32 s1, vcc_lo, s1
	s_wait_loadcnt_dscnt 0x0
	v_fmac_f64_e32 v[48:49], v[50:51], v[52:53]
	s_and_not1_b32 exec_lo, exec_lo, s1
	s_cbranch_execnz .LBB85_77
; %bb.78:
	s_or_b32 exec_lo, exec_lo, s1
	v_mov_b32_e32 v9, 0
	ds_load_b64 v[50:51], v9 offset:136
	s_wait_dscnt 0x0
	v_mul_f64_e32 v[48:49], v[48:49], v[50:51]
	scratch_store_b64 off, v[48:49], off offset:136
.LBB85_79:
	s_wait_xcnt 0x0
	s_or_b32 exec_lo, exec_lo, s0
	s_wait_storecnt 0x0
	s_barrier_signal -1
	s_barrier_wait -1
	scratch_load_b64 v[48:49], off, off offset:144
	s_mov_b32 s0, exec_lo
	s_wait_loadcnt 0x0
	ds_store_b64 v1, v[48:49]
	s_wait_dscnt 0x0
	s_barrier_signal -1
	s_barrier_wait -1
	v_cmpx_gt_u32_e32 18, v0
	s_cbranch_execz .LBB85_83
; %bb.80:
	v_mov_b64_e32 v[48:49], 0
	v_dual_add_nc_u32 v9, -1, v0 :: v_dual_mov_b32 v13, v2
	v_add_nc_u32_e32 v11, 0xb0, v2
	s_mov_b32 s1, 0
.LBB85_81:                              ; =>This Inner Loop Header: Depth=1
	scratch_load_b64 v[50:51], v13, off
	ds_load_b64 v[52:53], v11
	v_dual_add_nc_u32 v9, 1, v9 :: v_dual_add_nc_u32 v11, 8, v11
	s_wait_xcnt 0x0
	v_add_nc_u32_e32 v13, 8, v13
	s_delay_alu instid0(VALU_DEP_2)
	v_cmp_lt_u32_e32 vcc_lo, 16, v9
	s_or_b32 s1, vcc_lo, s1
	s_wait_loadcnt_dscnt 0x0
	v_fmac_f64_e32 v[48:49], v[50:51], v[52:53]
	s_and_not1_b32 exec_lo, exec_lo, s1
	s_cbranch_execnz .LBB85_81
; %bb.82:
	s_or_b32 exec_lo, exec_lo, s1
	v_mov_b32_e32 v9, 0
	ds_load_b64 v[50:51], v9 offset:144
	s_wait_dscnt 0x0
	v_mul_f64_e32 v[48:49], v[48:49], v[50:51]
	scratch_store_b64 off, v[48:49], off offset:144
.LBB85_83:
	s_wait_xcnt 0x0
	s_or_b32 exec_lo, exec_lo, s0
	s_wait_storecnt 0x0
	s_barrier_signal -1
	s_barrier_wait -1
	scratch_load_b64 v[48:49], off, off offset:152
	s_mov_b32 s0, exec_lo
	s_wait_loadcnt 0x0
	ds_store_b64 v1, v[48:49]
	s_wait_dscnt 0x0
	s_barrier_signal -1
	s_barrier_wait -1
	v_cmpx_gt_u32_e32 19, v0
	s_cbranch_execz .LBB85_87
; %bb.84:
	v_mov_b64_e32 v[48:49], 0
	v_dual_add_nc_u32 v9, -1, v0 :: v_dual_mov_b32 v13, v2
	v_add_nc_u32_e32 v11, 0xb0, v2
	s_mov_b32 s1, 0
.LBB85_85:                              ; =>This Inner Loop Header: Depth=1
	scratch_load_b64 v[50:51], v13, off
	ds_load_b64 v[52:53], v11
	v_dual_add_nc_u32 v9, 1, v9 :: v_dual_add_nc_u32 v11, 8, v11
	s_wait_xcnt 0x0
	v_add_nc_u32_e32 v13, 8, v13
	s_delay_alu instid0(VALU_DEP_2)
	v_cmp_lt_u32_e32 vcc_lo, 17, v9
	s_or_b32 s1, vcc_lo, s1
	s_wait_loadcnt_dscnt 0x0
	v_fmac_f64_e32 v[48:49], v[50:51], v[52:53]
	s_and_not1_b32 exec_lo, exec_lo, s1
	s_cbranch_execnz .LBB85_85
; %bb.86:
	s_or_b32 exec_lo, exec_lo, s1
	v_mov_b32_e32 v9, 0
	ds_load_b64 v[50:51], v9 offset:152
	s_wait_dscnt 0x0
	v_mul_f64_e32 v[48:49], v[48:49], v[50:51]
	scratch_store_b64 off, v[48:49], off offset:152
.LBB85_87:
	s_wait_xcnt 0x0
	s_or_b32 exec_lo, exec_lo, s0
	s_wait_storecnt 0x0
	s_barrier_signal -1
	s_barrier_wait -1
	scratch_load_b64 v[48:49], off, off offset:160
	s_mov_b32 s0, exec_lo
	s_wait_loadcnt 0x0
	ds_store_b64 v1, v[48:49]
	s_wait_dscnt 0x0
	s_barrier_signal -1
	s_barrier_wait -1
	v_cmpx_gt_u32_e32 20, v0
	s_cbranch_execz .LBB85_91
; %bb.88:
	v_mov_b64_e32 v[48:49], 0
	v_dual_add_nc_u32 v9, -1, v0 :: v_dual_mov_b32 v13, v2
	v_add_nc_u32_e32 v11, 0xb0, v2
	s_mov_b32 s1, 0
.LBB85_89:                              ; =>This Inner Loop Header: Depth=1
	scratch_load_b64 v[50:51], v13, off
	ds_load_b64 v[52:53], v11
	v_dual_add_nc_u32 v9, 1, v9 :: v_dual_add_nc_u32 v11, 8, v11
	s_wait_xcnt 0x0
	v_add_nc_u32_e32 v13, 8, v13
	s_delay_alu instid0(VALU_DEP_2)
	v_cmp_lt_u32_e32 vcc_lo, 18, v9
	s_or_b32 s1, vcc_lo, s1
	s_wait_loadcnt_dscnt 0x0
	v_fmac_f64_e32 v[48:49], v[50:51], v[52:53]
	s_and_not1_b32 exec_lo, exec_lo, s1
	s_cbranch_execnz .LBB85_89
; %bb.90:
	s_or_b32 exec_lo, exec_lo, s1
	v_mov_b32_e32 v9, 0
	ds_load_b64 v[50:51], v9 offset:160
	s_wait_dscnt 0x0
	v_mul_f64_e32 v[48:49], v[48:49], v[50:51]
	scratch_store_b64 off, v[48:49], off offset:160
.LBB85_91:
	s_wait_xcnt 0x0
	s_or_b32 exec_lo, exec_lo, s0
	s_wait_storecnt 0x0
	s_barrier_signal -1
	s_barrier_wait -1
	scratch_load_b64 v[48:49], off, off offset:168
	s_mov_b32 s0, exec_lo
	s_wait_loadcnt 0x0
	ds_store_b64 v1, v[48:49]
	s_wait_dscnt 0x0
	s_barrier_signal -1
	s_barrier_wait -1
	v_cmpx_ne_u32_e32 21, v0
	s_cbranch_execz .LBB85_95
; %bb.92:
	v_mov_b64_e32 v[48:49], 0
	s_mov_b32 s1, 0
.LBB85_93:                              ; =>This Inner Loop Header: Depth=1
	scratch_load_b64 v[50:51], v2, off
	ds_load_b64 v[52:53], v1
	v_dual_add_nc_u32 v3, 1, v3 :: v_dual_add_nc_u32 v1, 8, v1
	s_wait_xcnt 0x0
	v_add_nc_u32_e32 v2, 8, v2
	s_delay_alu instid0(VALU_DEP_2)
	v_cmp_lt_u32_e32 vcc_lo, 19, v3
	s_or_b32 s1, vcc_lo, s1
	s_wait_loadcnt_dscnt 0x0
	v_fmac_f64_e32 v[48:49], v[50:51], v[52:53]
	s_and_not1_b32 exec_lo, exec_lo, s1
	s_cbranch_execnz .LBB85_93
; %bb.94:
	s_or_b32 exec_lo, exec_lo, s1
	v_mov_b32_e32 v1, 0
	ds_load_b64 v[2:3], v1 offset:168
	s_wait_dscnt 0x0
	v_mul_f64_e32 v[2:3], v[48:49], v[2:3]
	scratch_store_b64 off, v[2:3], off offset:168
.LBB85_95:
	s_wait_xcnt 0x0
	s_or_b32 exec_lo, exec_lo, s0
	s_mov_b32 s1, -1
	s_wait_storecnt 0x0
	s_barrier_signal -1
	s_barrier_wait -1
.LBB85_96:
	s_and_b32 vcc_lo, exec_lo, s1
	s_cbranch_vccz .LBB85_98
; %bb.97:
	v_mov_b32_e32 v1, 0
	s_lshl_b64 s[0:1], s[10:11], 2
	s_delay_alu instid0(SALU_CYCLE_1)
	s_add_nc_u64 s[0:1], s[6:7], s[0:1]
	global_load_b32 v1, v1, s[0:1]
	s_wait_loadcnt 0x0
	v_cmp_ne_u32_e32 vcc_lo, 0, v1
	s_cbranch_vccz .LBB85_99
.LBB85_98:
	s_sendmsg sendmsg(MSG_DEALLOC_VGPRS)
	s_endpgm
.LBB85_99:
	s_wait_xcnt 0x0
	v_lshl_add_u32 v1, v0, 3, 0xb0
	s_mov_b32 s0, exec_lo
	v_cmpx_eq_u32_e32 21, v0
	s_cbranch_execz .LBB85_101
; %bb.100:
	scratch_load_b64 v[2:3], off, off offset:160
	v_mov_b64_e32 v[48:49], 0
	scratch_store_b64 off, v[48:49], off offset:160
	s_wait_loadcnt 0x0
	ds_store_b64 v1, v[2:3]
.LBB85_101:
	s_wait_xcnt 0x0
	s_or_b32 exec_lo, exec_lo, s0
	s_wait_storecnt_dscnt 0x0
	s_barrier_signal -1
	s_barrier_wait -1
	scratch_load_b128 v[48:51], off, off offset:160
	v_mov_b32_e32 v2, 0
	s_mov_b32 s0, exec_lo
	ds_load_b64 v[52:53], v2 offset:344
	s_wait_loadcnt_dscnt 0x0
	v_fma_f64 v[50:51], v[50:51], v[52:53], 0
	s_delay_alu instid0(VALU_DEP_1)
	v_add_f64_e64 v[48:49], v[48:49], -v[50:51]
	scratch_store_b64 off, v[48:49], off offset:160
	s_wait_xcnt 0x0
	v_cmpx_lt_u32_e32 19, v0
	s_cbranch_execz .LBB85_103
; %bb.102:
	scratch_load_b64 v[48:49], off, off offset:152
	v_mov_b64_e32 v[50:51], 0
	scratch_store_b64 off, v[50:51], off offset:152
	s_wait_loadcnt 0x0
	ds_store_b64 v1, v[48:49]
.LBB85_103:
	s_wait_xcnt 0x0
	s_or_b32 exec_lo, exec_lo, s0
	s_wait_storecnt_dscnt 0x0
	s_barrier_signal -1
	s_barrier_wait -1
	s_clause 0x1
	scratch_load_b128 v[48:51], off, off offset:152
	scratch_load_b64 v[56:57], off, off offset:168
	ds_load_b128 v[52:55], v2 offset:336
	s_mov_b32 s0, exec_lo
	s_wait_loadcnt_dscnt 0x100
	v_fma_f64 v[2:3], v[50:51], v[52:53], 0
	s_wait_loadcnt 0x0
	s_delay_alu instid0(VALU_DEP_1) | instskip(NEXT) | instid1(VALU_DEP_1)
	v_fmac_f64_e32 v[2:3], v[56:57], v[54:55]
	v_add_f64_e64 v[2:3], v[48:49], -v[2:3]
	scratch_store_b64 off, v[2:3], off offset:152
	s_wait_xcnt 0x0
	v_cmpx_lt_u32_e32 18, v0
	s_cbranch_execz .LBB85_105
; %bb.104:
	scratch_load_b64 v[2:3], off, off offset:144
	v_mov_b64_e32 v[48:49], 0
	scratch_store_b64 off, v[48:49], off offset:144
	s_wait_loadcnt 0x0
	ds_store_b64 v1, v[2:3]
.LBB85_105:
	s_wait_xcnt 0x0
	s_or_b32 exec_lo, exec_lo, s0
	s_wait_storecnt_dscnt 0x0
	s_barrier_signal -1
	s_barrier_wait -1
	s_clause 0x1
	scratch_load_b128 v[48:51], off, off offset:144
	scratch_load_b128 v[52:55], off, off offset:160
	v_mov_b32_e32 v2, 0
	ds_load_2addr_b64 v[56:59], v2 offset0:41 offset1:42
	ds_load_b64 v[60:61], v2 offset:344
	s_mov_b32 s0, exec_lo
	s_wait_loadcnt_dscnt 0x101
	v_fma_f64 v[50:51], v[50:51], v[56:57], 0
	s_wait_loadcnt 0x0
	s_delay_alu instid0(VALU_DEP_1) | instskip(SKIP_1) | instid1(VALU_DEP_1)
	v_fmac_f64_e32 v[50:51], v[52:53], v[58:59]
	s_wait_dscnt 0x0
	v_fmac_f64_e32 v[50:51], v[54:55], v[60:61]
	s_delay_alu instid0(VALU_DEP_1)
	v_add_f64_e64 v[48:49], v[48:49], -v[50:51]
	scratch_store_b64 off, v[48:49], off offset:144
	s_wait_xcnt 0x0
	v_cmpx_lt_u32_e32 17, v0
	s_cbranch_execz .LBB85_107
; %bb.106:
	scratch_load_b64 v[48:49], off, off offset:136
	v_mov_b64_e32 v[50:51], 0
	scratch_store_b64 off, v[50:51], off offset:136
	s_wait_loadcnt 0x0
	ds_store_b64 v1, v[48:49]
.LBB85_107:
	s_wait_xcnt 0x0
	s_or_b32 exec_lo, exec_lo, s0
	s_wait_storecnt_dscnt 0x0
	s_barrier_signal -1
	s_barrier_wait -1
	s_clause 0x2
	scratch_load_b128 v[48:51], off, off offset:136
	scratch_load_b128 v[52:55], off, off offset:152
	scratch_load_b64 v[64:65], off, off offset:168
	ds_load_b128 v[56:59], v2 offset:320
	ds_load_b128 v[60:63], v2 offset:336
	s_mov_b32 s0, exec_lo
	s_wait_loadcnt_dscnt 0x201
	v_fma_f64 v[2:3], v[50:51], v[56:57], 0
	s_wait_loadcnt 0x1
	s_delay_alu instid0(VALU_DEP_1) | instskip(SKIP_1) | instid1(VALU_DEP_1)
	v_fmac_f64_e32 v[2:3], v[52:53], v[58:59]
	s_wait_dscnt 0x0
	v_fmac_f64_e32 v[2:3], v[54:55], v[60:61]
	s_wait_loadcnt 0x0
	s_delay_alu instid0(VALU_DEP_1) | instskip(NEXT) | instid1(VALU_DEP_1)
	v_fmac_f64_e32 v[2:3], v[64:65], v[62:63]
	v_add_f64_e64 v[2:3], v[48:49], -v[2:3]
	scratch_store_b64 off, v[2:3], off offset:136
	s_wait_xcnt 0x0
	v_cmpx_lt_u32_e32 16, v0
	s_cbranch_execz .LBB85_109
; %bb.108:
	scratch_load_b64 v[2:3], off, off offset:128
	v_mov_b64_e32 v[48:49], 0
	scratch_store_b64 off, v[48:49], off offset:128
	s_wait_loadcnt 0x0
	ds_store_b64 v1, v[2:3]
.LBB85_109:
	s_wait_xcnt 0x0
	s_or_b32 exec_lo, exec_lo, s0
	s_wait_storecnt_dscnt 0x0
	s_barrier_signal -1
	s_barrier_wait -1
	s_clause 0x2
	scratch_load_b128 v[48:51], off, off offset:128
	scratch_load_b128 v[52:55], off, off offset:144
	scratch_load_b128 v[56:59], off, off offset:160
	v_mov_b32_e32 v2, 0
	ds_load_2addr_b64 v[60:63], v2 offset0:39 offset1:40
	ds_load_2addr_b64 v[64:67], v2 offset0:41 offset1:42
	s_mov_b32 s0, exec_lo
	s_wait_loadcnt_dscnt 0x201
	v_fma_f64 v[50:51], v[50:51], v[60:61], 0
	s_wait_loadcnt 0x1
	s_delay_alu instid0(VALU_DEP_1) | instskip(SKIP_4) | instid1(VALU_DEP_1)
	v_fmac_f64_e32 v[50:51], v[52:53], v[62:63]
	ds_load_b64 v[52:53], v2 offset:344
	s_wait_dscnt 0x1
	v_fmac_f64_e32 v[50:51], v[54:55], v[64:65]
	s_wait_loadcnt 0x0
	v_fmac_f64_e32 v[50:51], v[56:57], v[66:67]
	s_wait_dscnt 0x0
	s_delay_alu instid0(VALU_DEP_1) | instskip(NEXT) | instid1(VALU_DEP_1)
	v_fmac_f64_e32 v[50:51], v[58:59], v[52:53]
	v_add_f64_e64 v[48:49], v[48:49], -v[50:51]
	scratch_store_b64 off, v[48:49], off offset:128
	s_wait_xcnt 0x0
	v_cmpx_lt_u32_e32 15, v0
	s_cbranch_execz .LBB85_111
; %bb.110:
	scratch_load_b64 v[48:49], off, off offset:120
	v_mov_b64_e32 v[50:51], 0
	scratch_store_b64 off, v[50:51], off offset:120
	s_wait_loadcnt 0x0
	ds_store_b64 v1, v[48:49]
.LBB85_111:
	s_wait_xcnt 0x0
	s_or_b32 exec_lo, exec_lo, s0
	s_wait_storecnt_dscnt 0x0
	s_barrier_signal -1
	s_barrier_wait -1
	s_clause 0x3
	scratch_load_b128 v[48:51], off, off offset:120
	scratch_load_b128 v[52:55], off, off offset:136
	;; [unrolled: 1-line block ×3, first 2 shown]
	scratch_load_b64 v[68:69], off, off offset:168
	ds_load_b128 v[60:63], v2 offset:304
	ds_load_b128 v[64:67], v2 offset:320
	s_mov_b32 s0, exec_lo
	s_wait_loadcnt_dscnt 0x301
	v_fma_f64 v[60:61], v[50:51], v[60:61], 0
	s_wait_loadcnt 0x2
	s_delay_alu instid0(VALU_DEP_1) | instskip(SKIP_4) | instid1(VALU_DEP_1)
	v_fmac_f64_e32 v[60:61], v[52:53], v[62:63]
	ds_load_b128 v[50:53], v2 offset:336
	s_wait_dscnt 0x1
	v_fmac_f64_e32 v[60:61], v[54:55], v[64:65]
	s_wait_loadcnt 0x1
	v_fmac_f64_e32 v[60:61], v[56:57], v[66:67]
	s_wait_dscnt 0x0
	s_delay_alu instid0(VALU_DEP_1) | instskip(SKIP_1) | instid1(VALU_DEP_1)
	v_fmac_f64_e32 v[60:61], v[58:59], v[50:51]
	s_wait_loadcnt 0x0
	v_fmac_f64_e32 v[60:61], v[68:69], v[52:53]
	s_delay_alu instid0(VALU_DEP_1)
	v_add_f64_e64 v[2:3], v[48:49], -v[60:61]
	scratch_store_b64 off, v[2:3], off offset:120
	s_wait_xcnt 0x0
	v_cmpx_lt_u32_e32 14, v0
	s_cbranch_execz .LBB85_113
; %bb.112:
	scratch_load_b64 v[2:3], off, off offset:112
	v_mov_b64_e32 v[48:49], 0
	scratch_store_b64 off, v[48:49], off offset:112
	s_wait_loadcnt 0x0
	ds_store_b64 v1, v[2:3]
.LBB85_113:
	s_wait_xcnt 0x0
	s_or_b32 exec_lo, exec_lo, s0
	s_wait_storecnt_dscnt 0x0
	s_barrier_signal -1
	s_barrier_wait -1
	s_clause 0x3
	scratch_load_b128 v[48:51], off, off offset:112
	scratch_load_b128 v[52:55], off, off offset:128
	;; [unrolled: 1-line block ×4, first 2 shown]
	v_mov_b32_e32 v2, 0
	ds_load_2addr_b64 v[64:67], v2 offset0:37 offset1:38
	ds_load_2addr_b64 v[68:71], v2 offset0:39 offset1:40
	s_mov_b32 s0, exec_lo
	s_wait_loadcnt_dscnt 0x301
	v_fma_f64 v[64:65], v[50:51], v[64:65], 0
	s_wait_loadcnt 0x2
	s_delay_alu instid0(VALU_DEP_1) | instskip(SKIP_1) | instid1(VALU_DEP_1)
	v_fmac_f64_e32 v[64:65], v[52:53], v[66:67]
	s_wait_dscnt 0x0
	v_fmac_f64_e32 v[64:65], v[54:55], v[68:69]
	ds_load_2addr_b64 v[50:53], v2 offset0:41 offset1:42
	ds_load_b64 v[54:55], v2 offset:344
	s_wait_loadcnt 0x1
	v_fmac_f64_e32 v[64:65], v[56:57], v[70:71]
	s_wait_dscnt 0x1
	s_delay_alu instid0(VALU_DEP_1) | instskip(SKIP_1) | instid1(VALU_DEP_1)
	v_fmac_f64_e32 v[64:65], v[58:59], v[50:51]
	s_wait_loadcnt 0x0
	v_fmac_f64_e32 v[64:65], v[60:61], v[52:53]
	s_wait_dscnt 0x0
	s_delay_alu instid0(VALU_DEP_1) | instskip(NEXT) | instid1(VALU_DEP_1)
	v_fmac_f64_e32 v[64:65], v[62:63], v[54:55]
	v_add_f64_e64 v[48:49], v[48:49], -v[64:65]
	scratch_store_b64 off, v[48:49], off offset:112
	s_wait_xcnt 0x0
	v_cmpx_lt_u32_e32 13, v0
	s_cbranch_execz .LBB85_115
; %bb.114:
	scratch_load_b64 v[48:49], off, off offset:104
	v_mov_b64_e32 v[50:51], 0
	scratch_store_b64 off, v[50:51], off offset:104
	s_wait_loadcnt 0x0
	ds_store_b64 v1, v[48:49]
.LBB85_115:
	s_wait_xcnt 0x0
	s_or_b32 exec_lo, exec_lo, s0
	s_wait_storecnt_dscnt 0x0
	s_barrier_signal -1
	s_barrier_wait -1
	s_clause 0x4
	scratch_load_b128 v[48:51], off, off offset:104
	scratch_load_b128 v[52:55], off, off offset:120
	;; [unrolled: 1-line block ×4, first 2 shown]
	scratch_load_b64 v[72:73], off, off offset:168
	ds_load_b128 v[64:67], v2 offset:288
	ds_load_b128 v[68:71], v2 offset:304
	s_mov_b32 s0, exec_lo
	s_wait_loadcnt_dscnt 0x401
	v_fma_f64 v[64:65], v[50:51], v[64:65], 0
	s_wait_loadcnt 0x3
	s_delay_alu instid0(VALU_DEP_1) | instskip(SKIP_1) | instid1(VALU_DEP_1)
	v_fmac_f64_e32 v[64:65], v[52:53], v[66:67]
	s_wait_dscnt 0x0
	v_fmac_f64_e32 v[64:65], v[54:55], v[68:69]
	s_wait_loadcnt 0x2
	s_delay_alu instid0(VALU_DEP_1)
	v_fmac_f64_e32 v[64:65], v[56:57], v[70:71]
	ds_load_b128 v[50:53], v2 offset:320
	ds_load_b128 v[54:57], v2 offset:336
	s_wait_dscnt 0x1
	v_fmac_f64_e32 v[64:65], v[58:59], v[50:51]
	s_wait_loadcnt 0x1
	s_delay_alu instid0(VALU_DEP_1) | instskip(SKIP_1) | instid1(VALU_DEP_1)
	v_fmac_f64_e32 v[64:65], v[60:61], v[52:53]
	s_wait_dscnt 0x0
	v_fmac_f64_e32 v[64:65], v[62:63], v[54:55]
	s_wait_loadcnt 0x0
	s_delay_alu instid0(VALU_DEP_1) | instskip(NEXT) | instid1(VALU_DEP_1)
	v_fmac_f64_e32 v[64:65], v[72:73], v[56:57]
	v_add_f64_e64 v[2:3], v[48:49], -v[64:65]
	scratch_store_b64 off, v[2:3], off offset:104
	s_wait_xcnt 0x0
	v_cmpx_lt_u32_e32 12, v0
	s_cbranch_execz .LBB85_117
; %bb.116:
	scratch_load_b64 v[2:3], off, off offset:96
	v_mov_b64_e32 v[48:49], 0
	scratch_store_b64 off, v[48:49], off offset:96
	s_wait_loadcnt 0x0
	ds_store_b64 v1, v[2:3]
.LBB85_117:
	s_wait_xcnt 0x0
	s_or_b32 exec_lo, exec_lo, s0
	s_wait_storecnt_dscnt 0x0
	s_barrier_signal -1
	s_barrier_wait -1
	s_clause 0x4
	scratch_load_b128 v[48:51], off, off offset:96
	scratch_load_b128 v[52:55], off, off offset:112
	;; [unrolled: 1-line block ×5, first 2 shown]
	v_mov_b32_e32 v2, 0
	ds_load_2addr_b64 v[68:71], v2 offset0:35 offset1:36
	ds_load_2addr_b64 v[72:75], v2 offset0:37 offset1:38
	s_mov_b32 s0, exec_lo
	s_wait_loadcnt_dscnt 0x401
	v_fma_f64 v[68:69], v[50:51], v[68:69], 0
	s_wait_loadcnt 0x3
	s_delay_alu instid0(VALU_DEP_1) | instskip(SKIP_1) | instid1(VALU_DEP_1)
	v_fmac_f64_e32 v[68:69], v[52:53], v[70:71]
	s_wait_dscnt 0x0
	v_fmac_f64_e32 v[68:69], v[54:55], v[72:73]
	s_wait_loadcnt 0x2
	s_delay_alu instid0(VALU_DEP_1)
	v_fmac_f64_e32 v[68:69], v[56:57], v[74:75]
	ds_load_2addr_b64 v[50:53], v2 offset0:39 offset1:40
	ds_load_2addr_b64 v[54:57], v2 offset0:41 offset1:42
	s_wait_dscnt 0x1
	v_fmac_f64_e32 v[68:69], v[58:59], v[50:51]
	ds_load_b64 v[50:51], v2 offset:344
	s_wait_loadcnt 0x1
	v_fmac_f64_e32 v[68:69], v[60:61], v[52:53]
	s_wait_dscnt 0x1
	s_delay_alu instid0(VALU_DEP_1) | instskip(SKIP_1) | instid1(VALU_DEP_1)
	v_fmac_f64_e32 v[68:69], v[62:63], v[54:55]
	s_wait_loadcnt 0x0
	v_fmac_f64_e32 v[68:69], v[64:65], v[56:57]
	s_wait_dscnt 0x0
	s_delay_alu instid0(VALU_DEP_1) | instskip(NEXT) | instid1(VALU_DEP_1)
	v_fmac_f64_e32 v[68:69], v[66:67], v[50:51]
	v_add_f64_e64 v[48:49], v[48:49], -v[68:69]
	scratch_store_b64 off, v[48:49], off offset:96
	s_wait_xcnt 0x0
	v_cmpx_lt_u32_e32 11, v0
	s_cbranch_execz .LBB85_119
; %bb.118:
	scratch_load_b64 v[48:49], off, off offset:88
	v_mov_b64_e32 v[50:51], 0
	scratch_store_b64 off, v[50:51], off offset:88
	s_wait_loadcnt 0x0
	ds_store_b64 v1, v[48:49]
.LBB85_119:
	s_wait_xcnt 0x0
	s_or_b32 exec_lo, exec_lo, s0
	s_wait_storecnt_dscnt 0x0
	s_barrier_signal -1
	s_barrier_wait -1
	s_clause 0x5
	scratch_load_b128 v[48:51], off, off offset:88
	scratch_load_b128 v[52:55], off, off offset:104
	;; [unrolled: 1-line block ×5, first 2 shown]
	scratch_load_b64 v[76:77], off, off offset:168
	ds_load_b128 v[68:71], v2 offset:272
	ds_load_b128 v[72:75], v2 offset:288
	s_mov_b32 s0, exec_lo
	s_wait_loadcnt_dscnt 0x501
	v_fma_f64 v[68:69], v[50:51], v[68:69], 0
	s_wait_loadcnt 0x4
	s_delay_alu instid0(VALU_DEP_1) | instskip(SKIP_1) | instid1(VALU_DEP_1)
	v_fmac_f64_e32 v[68:69], v[52:53], v[70:71]
	s_wait_dscnt 0x0
	v_fmac_f64_e32 v[68:69], v[54:55], v[72:73]
	s_wait_loadcnt 0x3
	s_delay_alu instid0(VALU_DEP_1)
	v_fmac_f64_e32 v[68:69], v[56:57], v[74:75]
	ds_load_b128 v[50:53], v2 offset:304
	ds_load_b128 v[54:57], v2 offset:320
	s_wait_dscnt 0x1
	v_fmac_f64_e32 v[68:69], v[58:59], v[50:51]
	s_wait_loadcnt 0x2
	s_delay_alu instid0(VALU_DEP_1) | instskip(SKIP_4) | instid1(VALU_DEP_1)
	v_fmac_f64_e32 v[68:69], v[60:61], v[52:53]
	ds_load_b128 v[50:53], v2 offset:336
	s_wait_dscnt 0x1
	v_fmac_f64_e32 v[68:69], v[62:63], v[54:55]
	s_wait_loadcnt 0x1
	v_fmac_f64_e32 v[68:69], v[64:65], v[56:57]
	s_wait_dscnt 0x0
	s_delay_alu instid0(VALU_DEP_1) | instskip(SKIP_1) | instid1(VALU_DEP_1)
	v_fmac_f64_e32 v[68:69], v[66:67], v[50:51]
	s_wait_loadcnt 0x0
	v_fmac_f64_e32 v[68:69], v[76:77], v[52:53]
	s_delay_alu instid0(VALU_DEP_1)
	v_add_f64_e64 v[2:3], v[48:49], -v[68:69]
	scratch_store_b64 off, v[2:3], off offset:88
	s_wait_xcnt 0x0
	v_cmpx_lt_u32_e32 10, v0
	s_cbranch_execz .LBB85_121
; %bb.120:
	scratch_load_b64 v[2:3], off, off offset:80
	v_mov_b64_e32 v[48:49], 0
	scratch_store_b64 off, v[48:49], off offset:80
	s_wait_loadcnt 0x0
	ds_store_b64 v1, v[2:3]
.LBB85_121:
	s_wait_xcnt 0x0
	s_or_b32 exec_lo, exec_lo, s0
	s_wait_storecnt_dscnt 0x0
	s_barrier_signal -1
	s_barrier_wait -1
	s_clause 0x5
	scratch_load_b128 v[48:51], off, off offset:80
	scratch_load_b128 v[52:55], off, off offset:96
	;; [unrolled: 1-line block ×6, first 2 shown]
	v_mov_b32_e32 v2, 0
	ds_load_2addr_b64 v[72:75], v2 offset0:33 offset1:34
	ds_load_2addr_b64 v[76:79], v2 offset0:35 offset1:36
	s_mov_b32 s0, exec_lo
	s_wait_loadcnt_dscnt 0x501
	v_fma_f64 v[72:73], v[50:51], v[72:73], 0
	s_wait_loadcnt 0x4
	s_delay_alu instid0(VALU_DEP_1) | instskip(SKIP_1) | instid1(VALU_DEP_1)
	v_fmac_f64_e32 v[72:73], v[52:53], v[74:75]
	s_wait_dscnt 0x0
	v_fmac_f64_e32 v[72:73], v[54:55], v[76:77]
	s_wait_loadcnt 0x3
	s_delay_alu instid0(VALU_DEP_1)
	v_fmac_f64_e32 v[72:73], v[56:57], v[78:79]
	ds_load_2addr_b64 v[50:53], v2 offset0:37 offset1:38
	ds_load_2addr_b64 v[54:57], v2 offset0:39 offset1:40
	s_wait_dscnt 0x1
	v_fmac_f64_e32 v[72:73], v[58:59], v[50:51]
	s_wait_loadcnt 0x2
	s_delay_alu instid0(VALU_DEP_1) | instskip(SKIP_1) | instid1(VALU_DEP_1)
	v_fmac_f64_e32 v[72:73], v[60:61], v[52:53]
	s_wait_dscnt 0x0
	v_fmac_f64_e32 v[72:73], v[62:63], v[54:55]
	ds_load_2addr_b64 v[50:53], v2 offset0:41 offset1:42
	ds_load_b64 v[54:55], v2 offset:344
	s_wait_loadcnt 0x1
	v_fmac_f64_e32 v[72:73], v[64:65], v[56:57]
	s_wait_dscnt 0x1
	s_delay_alu instid0(VALU_DEP_1) | instskip(SKIP_1) | instid1(VALU_DEP_1)
	v_fmac_f64_e32 v[72:73], v[66:67], v[50:51]
	s_wait_loadcnt 0x0
	v_fmac_f64_e32 v[72:73], v[68:69], v[52:53]
	s_wait_dscnt 0x0
	s_delay_alu instid0(VALU_DEP_1) | instskip(NEXT) | instid1(VALU_DEP_1)
	v_fmac_f64_e32 v[72:73], v[70:71], v[54:55]
	v_add_f64_e64 v[48:49], v[48:49], -v[72:73]
	scratch_store_b64 off, v[48:49], off offset:80
	s_wait_xcnt 0x0
	v_cmpx_lt_u32_e32 9, v0
	s_cbranch_execz .LBB85_123
; %bb.122:
	scratch_load_b64 v[48:49], off, off offset:72
	v_mov_b64_e32 v[50:51], 0
	scratch_store_b64 off, v[50:51], off offset:72
	s_wait_loadcnt 0x0
	ds_store_b64 v1, v[48:49]
.LBB85_123:
	s_wait_xcnt 0x0
	s_or_b32 exec_lo, exec_lo, s0
	s_wait_storecnt_dscnt 0x0
	s_barrier_signal -1
	s_barrier_wait -1
	s_clause 0x5
	scratch_load_b128 v[48:51], off, off offset:72
	scratch_load_b128 v[52:55], off, off offset:88
	;; [unrolled: 1-line block ×6, first 2 shown]
	ds_load_b128 v[72:75], v2 offset:256
	ds_load_b128 v[76:79], v2 offset:272
	s_mov_b32 s0, exec_lo
	s_wait_loadcnt_dscnt 0x501
	v_fma_f64 v[72:73], v[50:51], v[72:73], 0
	s_wait_loadcnt 0x4
	s_delay_alu instid0(VALU_DEP_1) | instskip(SKIP_4) | instid1(VALU_DEP_1)
	v_fmac_f64_e32 v[72:73], v[52:53], v[74:75]
	scratch_load_b64 v[74:75], off, off offset:168
	s_wait_dscnt 0x0
	v_fmac_f64_e32 v[72:73], v[54:55], v[76:77]
	s_wait_loadcnt 0x4
	v_fmac_f64_e32 v[72:73], v[56:57], v[78:79]
	ds_load_b128 v[50:53], v2 offset:288
	ds_load_b128 v[54:57], v2 offset:304
	s_wait_dscnt 0x1
	v_fmac_f64_e32 v[72:73], v[58:59], v[50:51]
	s_wait_loadcnt 0x3
	s_delay_alu instid0(VALU_DEP_1) | instskip(SKIP_1) | instid1(VALU_DEP_1)
	v_fmac_f64_e32 v[72:73], v[60:61], v[52:53]
	s_wait_dscnt 0x0
	v_fmac_f64_e32 v[72:73], v[62:63], v[54:55]
	s_wait_loadcnt 0x2
	s_delay_alu instid0(VALU_DEP_1)
	v_fmac_f64_e32 v[72:73], v[64:65], v[56:57]
	ds_load_b128 v[50:53], v2 offset:320
	ds_load_b128 v[54:57], v2 offset:336
	s_wait_dscnt 0x1
	v_fmac_f64_e32 v[72:73], v[66:67], v[50:51]
	s_wait_loadcnt 0x1
	s_delay_alu instid0(VALU_DEP_1) | instskip(SKIP_1) | instid1(VALU_DEP_1)
	v_fmac_f64_e32 v[72:73], v[68:69], v[52:53]
	s_wait_dscnt 0x0
	v_fmac_f64_e32 v[72:73], v[70:71], v[54:55]
	s_wait_loadcnt 0x0
	s_delay_alu instid0(VALU_DEP_1) | instskip(NEXT) | instid1(VALU_DEP_1)
	v_fmac_f64_e32 v[72:73], v[74:75], v[56:57]
	v_add_f64_e64 v[2:3], v[48:49], -v[72:73]
	scratch_store_b64 off, v[2:3], off offset:72
	s_wait_xcnt 0x0
	v_cmpx_lt_u32_e32 8, v0
	s_cbranch_execz .LBB85_125
; %bb.124:
	scratch_load_b64 v[2:3], off, off offset:64
	v_mov_b64_e32 v[48:49], 0
	scratch_store_b64 off, v[48:49], off offset:64
	s_wait_loadcnt 0x0
	ds_store_b64 v1, v[2:3]
.LBB85_125:
	s_wait_xcnt 0x0
	s_or_b32 exec_lo, exec_lo, s0
	s_wait_storecnt_dscnt 0x0
	s_barrier_signal -1
	s_barrier_wait -1
	s_clause 0x5
	scratch_load_b128 v[48:51], off, off offset:64
	scratch_load_b128 v[52:55], off, off offset:80
	;; [unrolled: 1-line block ×6, first 2 shown]
	v_mov_b32_e32 v2, 0
	ds_load_2addr_b64 v[72:75], v2 offset0:31 offset1:32
	ds_load_2addr_b64 v[76:79], v2 offset0:33 offset1:34
	s_mov_b32 s0, exec_lo
	s_wait_loadcnt_dscnt 0x501
	v_fma_f64 v[80:81], v[50:51], v[72:73], 0
	s_wait_loadcnt 0x4
	s_delay_alu instid0(VALU_DEP_1) | instskip(SKIP_4) | instid1(VALU_DEP_1)
	v_fmac_f64_e32 v[80:81], v[52:53], v[74:75]
	scratch_load_b128 v[50:53], off, off offset:160
	s_wait_dscnt 0x0
	v_fmac_f64_e32 v[80:81], v[54:55], v[76:77]
	s_wait_loadcnt 0x4
	v_fmac_f64_e32 v[80:81], v[56:57], v[78:79]
	ds_load_2addr_b64 v[54:57], v2 offset0:35 offset1:36
	ds_load_2addr_b64 v[72:75], v2 offset0:37 offset1:38
	s_wait_dscnt 0x1
	v_fmac_f64_e32 v[80:81], v[58:59], v[54:55]
	s_wait_loadcnt 0x3
	s_delay_alu instid0(VALU_DEP_1)
	v_fmac_f64_e32 v[80:81], v[60:61], v[56:57]
	ds_load_2addr_b64 v[54:57], v2 offset0:39 offset1:40
	ds_load_2addr_b64 v[58:61], v2 offset0:41 offset1:42
	s_wait_dscnt 0x2
	v_fmac_f64_e32 v[80:81], v[62:63], v[72:73]
	s_wait_loadcnt 0x2
	s_delay_alu instid0(VALU_DEP_1) | instskip(SKIP_1) | instid1(VALU_DEP_1)
	v_fmac_f64_e32 v[80:81], v[64:65], v[74:75]
	s_wait_dscnt 0x1
	v_fmac_f64_e32 v[80:81], v[66:67], v[54:55]
	s_wait_loadcnt 0x1
	s_delay_alu instid0(VALU_DEP_1) | instskip(SKIP_1) | instid1(VALU_DEP_1)
	v_fmac_f64_e32 v[80:81], v[68:69], v[56:57]
	s_wait_dscnt 0x0
	v_fmac_f64_e32 v[80:81], v[70:71], v[58:59]
	s_wait_loadcnt 0x0
	s_delay_alu instid0(VALU_DEP_1) | instskip(SKIP_3) | instid1(VALU_DEP_1)
	v_fmac_f64_e32 v[80:81], v[50:51], v[60:61]
	ds_load_b64 v[50:51], v2 offset:344
	s_wait_dscnt 0x0
	v_fmac_f64_e32 v[80:81], v[52:53], v[50:51]
	v_add_f64_e64 v[48:49], v[48:49], -v[80:81]
	scratch_store_b64 off, v[48:49], off offset:64
	s_wait_xcnt 0x0
	v_cmpx_lt_u32_e32 7, v0
	s_cbranch_execz .LBB85_127
; %bb.126:
	scratch_load_b64 v[48:49], off, off offset:56
	v_mov_b64_e32 v[50:51], 0
	scratch_store_b64 off, v[50:51], off offset:56
	s_wait_loadcnt 0x0
	ds_store_b64 v1, v[48:49]
.LBB85_127:
	s_wait_xcnt 0x0
	s_or_b32 exec_lo, exec_lo, s0
	s_wait_storecnt_dscnt 0x0
	s_barrier_signal -1
	s_barrier_wait -1
	s_clause 0x5
	scratch_load_b128 v[48:51], off, off offset:56
	scratch_load_b128 v[52:55], off, off offset:72
	;; [unrolled: 1-line block ×6, first 2 shown]
	ds_load_b128 v[72:75], v2 offset:240
	ds_load_b128 v[76:79], v2 offset:256
	s_mov_b32 s0, exec_lo
	s_wait_loadcnt_dscnt 0x501
	v_fma_f64 v[80:81], v[50:51], v[72:73], 0
	s_wait_loadcnt 0x4
	s_delay_alu instid0(VALU_DEP_1)
	v_fmac_f64_e32 v[80:81], v[52:53], v[74:75]
	scratch_load_b128 v[50:53], off, off offset:152
	s_wait_dscnt 0x0
	v_fmac_f64_e32 v[80:81], v[54:55], v[76:77]
	scratch_load_b64 v[76:77], off, off offset:168
	s_wait_loadcnt 0x5
	v_fmac_f64_e32 v[80:81], v[56:57], v[78:79]
	ds_load_b128 v[54:57], v2 offset:272
	ds_load_b128 v[72:75], v2 offset:288
	s_wait_dscnt 0x1
	v_fmac_f64_e32 v[80:81], v[58:59], v[54:55]
	s_wait_loadcnt 0x4
	s_delay_alu instid0(VALU_DEP_1)
	v_fmac_f64_e32 v[80:81], v[60:61], v[56:57]
	ds_load_b128 v[54:57], v2 offset:304
	ds_load_b128 v[58:61], v2 offset:320
	s_wait_dscnt 0x2
	v_fmac_f64_e32 v[80:81], v[62:63], v[72:73]
	s_wait_loadcnt 0x3
	s_delay_alu instid0(VALU_DEP_1) | instskip(SKIP_1) | instid1(VALU_DEP_1)
	v_fmac_f64_e32 v[80:81], v[64:65], v[74:75]
	s_wait_dscnt 0x1
	v_fmac_f64_e32 v[80:81], v[66:67], v[54:55]
	s_wait_loadcnt 0x2
	s_delay_alu instid0(VALU_DEP_1) | instskip(SKIP_4) | instid1(VALU_DEP_1)
	v_fmac_f64_e32 v[80:81], v[68:69], v[56:57]
	ds_load_b128 v[54:57], v2 offset:336
	s_wait_dscnt 0x1
	v_fmac_f64_e32 v[80:81], v[70:71], v[58:59]
	s_wait_loadcnt 0x1
	v_fmac_f64_e32 v[80:81], v[50:51], v[60:61]
	s_wait_dscnt 0x0
	s_delay_alu instid0(VALU_DEP_1) | instskip(SKIP_1) | instid1(VALU_DEP_1)
	v_fmac_f64_e32 v[80:81], v[52:53], v[54:55]
	s_wait_loadcnt 0x0
	v_fmac_f64_e32 v[80:81], v[76:77], v[56:57]
	s_delay_alu instid0(VALU_DEP_1)
	v_add_f64_e64 v[2:3], v[48:49], -v[80:81]
	scratch_store_b64 off, v[2:3], off offset:56
	s_wait_xcnt 0x0
	v_cmpx_lt_u32_e32 6, v0
	s_cbranch_execz .LBB85_129
; %bb.128:
	scratch_load_b64 v[2:3], off, off offset:48
	v_mov_b64_e32 v[48:49], 0
	scratch_store_b64 off, v[48:49], off offset:48
	s_wait_loadcnt 0x0
	ds_store_b64 v1, v[2:3]
.LBB85_129:
	s_wait_xcnt 0x0
	s_or_b32 exec_lo, exec_lo, s0
	s_wait_storecnt_dscnt 0x0
	s_barrier_signal -1
	s_barrier_wait -1
	s_clause 0x5
	scratch_load_b128 v[48:51], off, off offset:48
	scratch_load_b128 v[52:55], off, off offset:64
	;; [unrolled: 1-line block ×6, first 2 shown]
	v_mov_b32_e32 v2, 0
	ds_load_2addr_b64 v[72:75], v2 offset0:29 offset1:30
	ds_load_2addr_b64 v[76:79], v2 offset0:31 offset1:32
	s_mov_b32 s0, exec_lo
	s_wait_loadcnt_dscnt 0x501
	v_fma_f64 v[80:81], v[50:51], v[72:73], 0
	s_wait_loadcnt 0x4
	s_delay_alu instid0(VALU_DEP_1) | instskip(SKIP_4) | instid1(VALU_DEP_1)
	v_fmac_f64_e32 v[80:81], v[52:53], v[74:75]
	scratch_load_b128 v[50:53], off, off offset:144
	s_wait_dscnt 0x0
	v_fmac_f64_e32 v[80:81], v[54:55], v[76:77]
	s_wait_loadcnt 0x4
	v_fmac_f64_e32 v[80:81], v[56:57], v[78:79]
	scratch_load_b128 v[54:57], off, off offset:160
	ds_load_2addr_b64 v[72:75], v2 offset0:33 offset1:34
	ds_load_2addr_b64 v[76:79], v2 offset0:35 offset1:36
	s_wait_dscnt 0x1
	v_fmac_f64_e32 v[80:81], v[58:59], v[72:73]
	s_wait_loadcnt 0x4
	s_delay_alu instid0(VALU_DEP_1) | instskip(SKIP_1) | instid1(VALU_DEP_1)
	v_fmac_f64_e32 v[80:81], v[60:61], v[74:75]
	s_wait_dscnt 0x0
	v_fmac_f64_e32 v[80:81], v[62:63], v[76:77]
	s_wait_loadcnt 0x3
	s_delay_alu instid0(VALU_DEP_1)
	v_fmac_f64_e32 v[80:81], v[64:65], v[78:79]
	ds_load_2addr_b64 v[58:61], v2 offset0:37 offset1:38
	ds_load_2addr_b64 v[62:65], v2 offset0:39 offset1:40
	s_wait_dscnt 0x1
	v_fmac_f64_e32 v[80:81], v[66:67], v[58:59]
	s_wait_loadcnt 0x2
	s_delay_alu instid0(VALU_DEP_1) | instskip(SKIP_1) | instid1(VALU_DEP_1)
	v_fmac_f64_e32 v[80:81], v[68:69], v[60:61]
	s_wait_dscnt 0x0
	v_fmac_f64_e32 v[80:81], v[70:71], v[62:63]
	s_wait_loadcnt 0x1
	s_delay_alu instid0(VALU_DEP_1)
	v_fmac_f64_e32 v[80:81], v[50:51], v[64:65]
	ds_load_2addr_b64 v[58:61], v2 offset0:41 offset1:42
	ds_load_b64 v[50:51], v2 offset:344
	s_wait_dscnt 0x1
	v_fmac_f64_e32 v[80:81], v[52:53], v[58:59]
	s_wait_loadcnt 0x0
	s_delay_alu instid0(VALU_DEP_1) | instskip(SKIP_1) | instid1(VALU_DEP_1)
	v_fmac_f64_e32 v[80:81], v[54:55], v[60:61]
	s_wait_dscnt 0x0
	v_fmac_f64_e32 v[80:81], v[56:57], v[50:51]
	s_delay_alu instid0(VALU_DEP_1)
	v_add_f64_e64 v[48:49], v[48:49], -v[80:81]
	scratch_store_b64 off, v[48:49], off offset:48
	s_wait_xcnt 0x0
	v_cmpx_lt_u32_e32 5, v0
	s_cbranch_execz .LBB85_131
; %bb.130:
	scratch_load_b64 v[48:49], off, off offset:40
	v_mov_b64_e32 v[50:51], 0
	scratch_store_b64 off, v[50:51], off offset:40
	s_wait_loadcnt 0x0
	ds_store_b64 v1, v[48:49]
.LBB85_131:
	s_wait_xcnt 0x0
	s_or_b32 exec_lo, exec_lo, s0
	s_wait_storecnt_dscnt 0x0
	s_barrier_signal -1
	s_barrier_wait -1
	s_clause 0x5
	scratch_load_b128 v[48:51], off, off offset:40
	scratch_load_b128 v[52:55], off, off offset:56
	;; [unrolled: 1-line block ×6, first 2 shown]
	ds_load_b128 v[72:75], v2 offset:224
	ds_load_b128 v[76:79], v2 offset:240
	s_mov_b32 s0, exec_lo
	s_wait_loadcnt_dscnt 0x501
	v_fma_f64 v[80:81], v[50:51], v[72:73], 0
	s_wait_loadcnt 0x4
	s_delay_alu instid0(VALU_DEP_1) | instskip(SKIP_4) | instid1(VALU_DEP_1)
	v_fmac_f64_e32 v[80:81], v[52:53], v[74:75]
	scratch_load_b128 v[50:53], off, off offset:136
	s_wait_dscnt 0x0
	v_fmac_f64_e32 v[80:81], v[54:55], v[76:77]
	s_wait_loadcnt 0x4
	v_fmac_f64_e32 v[80:81], v[56:57], v[78:79]
	scratch_load_b128 v[54:57], off, off offset:152
	ds_load_b128 v[72:75], v2 offset:256
	ds_load_b128 v[76:79], v2 offset:272
	s_wait_dscnt 0x1
	v_fmac_f64_e32 v[80:81], v[58:59], v[72:73]
	scratch_load_b64 v[72:73], off, off offset:168
	s_wait_loadcnt 0x5
	v_fmac_f64_e32 v[80:81], v[60:61], v[74:75]
	s_wait_dscnt 0x0
	s_delay_alu instid0(VALU_DEP_1) | instskip(SKIP_1) | instid1(VALU_DEP_1)
	v_fmac_f64_e32 v[80:81], v[62:63], v[76:77]
	s_wait_loadcnt 0x4
	v_fmac_f64_e32 v[80:81], v[64:65], v[78:79]
	ds_load_b128 v[58:61], v2 offset:288
	ds_load_b128 v[62:65], v2 offset:304
	s_wait_dscnt 0x1
	v_fmac_f64_e32 v[80:81], v[66:67], v[58:59]
	s_wait_loadcnt 0x3
	s_delay_alu instid0(VALU_DEP_1) | instskip(SKIP_1) | instid1(VALU_DEP_1)
	v_fmac_f64_e32 v[80:81], v[68:69], v[60:61]
	s_wait_dscnt 0x0
	v_fmac_f64_e32 v[80:81], v[70:71], v[62:63]
	s_wait_loadcnt 0x2
	s_delay_alu instid0(VALU_DEP_1)
	v_fmac_f64_e32 v[80:81], v[50:51], v[64:65]
	ds_load_b128 v[58:61], v2 offset:320
	ds_load_b128 v[62:65], v2 offset:336
	s_wait_dscnt 0x1
	v_fmac_f64_e32 v[80:81], v[52:53], v[58:59]
	s_wait_loadcnt 0x1
	s_delay_alu instid0(VALU_DEP_1) | instskip(SKIP_1) | instid1(VALU_DEP_1)
	v_fmac_f64_e32 v[80:81], v[54:55], v[60:61]
	s_wait_dscnt 0x0
	v_fmac_f64_e32 v[80:81], v[56:57], v[62:63]
	s_wait_loadcnt 0x0
	s_delay_alu instid0(VALU_DEP_1) | instskip(NEXT) | instid1(VALU_DEP_1)
	v_fmac_f64_e32 v[80:81], v[72:73], v[64:65]
	v_add_f64_e64 v[2:3], v[48:49], -v[80:81]
	scratch_store_b64 off, v[2:3], off offset:40
	s_wait_xcnt 0x0
	v_cmpx_lt_u32_e32 4, v0
	s_cbranch_execz .LBB85_133
; %bb.132:
	scratch_load_b64 v[2:3], off, off offset:32
	v_mov_b64_e32 v[48:49], 0
	scratch_store_b64 off, v[48:49], off offset:32
	s_wait_loadcnt 0x0
	ds_store_b64 v1, v[2:3]
.LBB85_133:
	s_wait_xcnt 0x0
	s_or_b32 exec_lo, exec_lo, s0
	s_wait_storecnt_dscnt 0x0
	s_barrier_signal -1
	s_barrier_wait -1
	s_clause 0x5
	scratch_load_b128 v[48:51], off, off offset:32
	scratch_load_b128 v[52:55], off, off offset:48
	;; [unrolled: 1-line block ×6, first 2 shown]
	v_mov_b32_e32 v2, 0
	ds_load_2addr_b64 v[72:75], v2 offset0:27 offset1:28
	ds_load_2addr_b64 v[76:79], v2 offset0:29 offset1:30
	s_mov_b32 s0, exec_lo
	s_wait_loadcnt_dscnt 0x501
	v_fma_f64 v[80:81], v[50:51], v[72:73], 0
	s_wait_loadcnt 0x4
	s_delay_alu instid0(VALU_DEP_1) | instskip(SKIP_4) | instid1(VALU_DEP_1)
	v_fmac_f64_e32 v[80:81], v[52:53], v[74:75]
	scratch_load_b128 v[50:53], off, off offset:128
	s_wait_dscnt 0x0
	v_fmac_f64_e32 v[80:81], v[54:55], v[76:77]
	s_wait_loadcnt 0x4
	v_fmac_f64_e32 v[80:81], v[56:57], v[78:79]
	scratch_load_b128 v[54:57], off, off offset:144
	ds_load_2addr_b64 v[72:75], v2 offset0:31 offset1:32
	ds_load_2addr_b64 v[76:79], v2 offset0:33 offset1:34
	s_wait_dscnt 0x1
	v_fmac_f64_e32 v[80:81], v[58:59], v[72:73]
	s_wait_loadcnt 0x4
	s_delay_alu instid0(VALU_DEP_1) | instskip(SKIP_4) | instid1(VALU_DEP_1)
	v_fmac_f64_e32 v[80:81], v[60:61], v[74:75]
	scratch_load_b128 v[58:61], off, off offset:160
	s_wait_dscnt 0x0
	v_fmac_f64_e32 v[80:81], v[62:63], v[76:77]
	s_wait_loadcnt 0x4
	v_fmac_f64_e32 v[80:81], v[64:65], v[78:79]
	ds_load_2addr_b64 v[62:65], v2 offset0:35 offset1:36
	ds_load_2addr_b64 v[72:75], v2 offset0:37 offset1:38
	s_wait_dscnt 0x1
	v_fmac_f64_e32 v[80:81], v[66:67], v[62:63]
	s_wait_loadcnt 0x3
	s_delay_alu instid0(VALU_DEP_1)
	v_fmac_f64_e32 v[80:81], v[68:69], v[64:65]
	ds_load_2addr_b64 v[62:65], v2 offset0:39 offset1:40
	ds_load_2addr_b64 v[66:69], v2 offset0:41 offset1:42
	s_wait_dscnt 0x2
	v_fmac_f64_e32 v[80:81], v[70:71], v[72:73]
	s_wait_loadcnt 0x2
	s_delay_alu instid0(VALU_DEP_1) | instskip(SKIP_4) | instid1(VALU_DEP_1)
	v_fmac_f64_e32 v[80:81], v[50:51], v[74:75]
	ds_load_b64 v[50:51], v2 offset:344
	s_wait_dscnt 0x2
	v_fmac_f64_e32 v[80:81], v[52:53], v[62:63]
	s_wait_loadcnt 0x1
	v_fmac_f64_e32 v[80:81], v[54:55], v[64:65]
	s_wait_dscnt 0x1
	s_delay_alu instid0(VALU_DEP_1) | instskip(SKIP_1) | instid1(VALU_DEP_1)
	v_fmac_f64_e32 v[80:81], v[56:57], v[66:67]
	s_wait_loadcnt 0x0
	v_fmac_f64_e32 v[80:81], v[58:59], v[68:69]
	s_wait_dscnt 0x0
	s_delay_alu instid0(VALU_DEP_1) | instskip(NEXT) | instid1(VALU_DEP_1)
	v_fmac_f64_e32 v[80:81], v[60:61], v[50:51]
	v_add_f64_e64 v[48:49], v[48:49], -v[80:81]
	scratch_store_b64 off, v[48:49], off offset:32
	s_wait_xcnt 0x0
	v_cmpx_lt_u32_e32 3, v0
	s_cbranch_execz .LBB85_135
; %bb.134:
	scratch_load_b64 v[48:49], off, off offset:24
	v_mov_b64_e32 v[50:51], 0
	scratch_store_b64 off, v[50:51], off offset:24
	s_wait_loadcnt 0x0
	ds_store_b64 v1, v[48:49]
.LBB85_135:
	s_wait_xcnt 0x0
	s_or_b32 exec_lo, exec_lo, s0
	s_wait_storecnt_dscnt 0x0
	s_barrier_signal -1
	s_barrier_wait -1
	s_clause 0x5
	scratch_load_b128 v[48:51], off, off offset:24
	scratch_load_b128 v[52:55], off, off offset:40
	;; [unrolled: 1-line block ×6, first 2 shown]
	ds_load_b128 v[72:75], v2 offset:208
	ds_load_b128 v[76:79], v2 offset:224
	s_mov_b32 s0, exec_lo
	s_wait_loadcnt_dscnt 0x501
	v_fma_f64 v[80:81], v[50:51], v[72:73], 0
	s_wait_loadcnt 0x4
	s_delay_alu instid0(VALU_DEP_1) | instskip(SKIP_4) | instid1(VALU_DEP_1)
	v_fmac_f64_e32 v[80:81], v[52:53], v[74:75]
	scratch_load_b128 v[50:53], off, off offset:120
	s_wait_dscnt 0x0
	v_fmac_f64_e32 v[80:81], v[54:55], v[76:77]
	s_wait_loadcnt 0x4
	v_fmac_f64_e32 v[80:81], v[56:57], v[78:79]
	scratch_load_b128 v[54:57], off, off offset:136
	ds_load_b128 v[72:75], v2 offset:240
	ds_load_b128 v[76:79], v2 offset:256
	s_wait_dscnt 0x1
	v_fmac_f64_e32 v[80:81], v[58:59], v[72:73]
	s_wait_loadcnt 0x4
	s_delay_alu instid0(VALU_DEP_1)
	v_fmac_f64_e32 v[80:81], v[60:61], v[74:75]
	scratch_load_b128 v[58:61], off, off offset:152
	s_wait_dscnt 0x0
	v_fmac_f64_e32 v[80:81], v[62:63], v[76:77]
	scratch_load_b64 v[76:77], off, off offset:168
	s_wait_loadcnt 0x5
	v_fmac_f64_e32 v[80:81], v[64:65], v[78:79]
	ds_load_b128 v[62:65], v2 offset:272
	ds_load_b128 v[72:75], v2 offset:288
	s_wait_dscnt 0x1
	v_fmac_f64_e32 v[80:81], v[66:67], v[62:63]
	s_wait_loadcnt 0x4
	s_delay_alu instid0(VALU_DEP_1)
	v_fmac_f64_e32 v[80:81], v[68:69], v[64:65]
	ds_load_b128 v[62:65], v2 offset:304
	ds_load_b128 v[66:69], v2 offset:320
	s_wait_dscnt 0x2
	v_fmac_f64_e32 v[80:81], v[70:71], v[72:73]
	s_wait_loadcnt 0x3
	s_delay_alu instid0(VALU_DEP_1) | instskip(SKIP_1) | instid1(VALU_DEP_1)
	v_fmac_f64_e32 v[80:81], v[50:51], v[74:75]
	s_wait_dscnt 0x1
	v_fmac_f64_e32 v[80:81], v[52:53], v[62:63]
	ds_load_b128 v[50:53], v2 offset:336
	s_wait_loadcnt 0x2
	v_fmac_f64_e32 v[80:81], v[54:55], v[64:65]
	s_wait_dscnt 0x1
	s_delay_alu instid0(VALU_DEP_1) | instskip(SKIP_1) | instid1(VALU_DEP_1)
	v_fmac_f64_e32 v[80:81], v[56:57], v[66:67]
	s_wait_loadcnt 0x1
	v_fmac_f64_e32 v[80:81], v[58:59], v[68:69]
	s_wait_dscnt 0x0
	s_delay_alu instid0(VALU_DEP_1) | instskip(SKIP_1) | instid1(VALU_DEP_1)
	v_fmac_f64_e32 v[80:81], v[60:61], v[50:51]
	s_wait_loadcnt 0x0
	v_fmac_f64_e32 v[80:81], v[76:77], v[52:53]
	s_delay_alu instid0(VALU_DEP_1)
	v_add_f64_e64 v[2:3], v[48:49], -v[80:81]
	scratch_store_b64 off, v[2:3], off offset:24
	s_wait_xcnt 0x0
	v_cmpx_lt_u32_e32 2, v0
	s_cbranch_execz .LBB85_137
; %bb.136:
	scratch_load_b64 v[2:3], off, off offset:16
	v_mov_b64_e32 v[48:49], 0
	scratch_store_b64 off, v[48:49], off offset:16
	s_wait_loadcnt 0x0
	ds_store_b64 v1, v[2:3]
.LBB85_137:
	s_wait_xcnt 0x0
	s_or_b32 exec_lo, exec_lo, s0
	s_wait_storecnt_dscnt 0x0
	s_barrier_signal -1
	s_barrier_wait -1
	s_clause 0x5
	scratch_load_b128 v[48:51], off, off offset:16
	scratch_load_b128 v[52:55], off, off offset:32
	;; [unrolled: 1-line block ×6, first 2 shown]
	v_mov_b32_e32 v2, 0
	ds_load_2addr_b64 v[72:75], v2 offset0:25 offset1:26
	ds_load_2addr_b64 v[76:79], v2 offset0:27 offset1:28
	s_mov_b32 s0, exec_lo
	s_wait_loadcnt_dscnt 0x501
	v_fma_f64 v[80:81], v[50:51], v[72:73], 0
	s_wait_loadcnt 0x4
	s_delay_alu instid0(VALU_DEP_1) | instskip(SKIP_4) | instid1(VALU_DEP_1)
	v_fmac_f64_e32 v[80:81], v[52:53], v[74:75]
	scratch_load_b128 v[50:53], off, off offset:112
	s_wait_dscnt 0x0
	v_fmac_f64_e32 v[80:81], v[54:55], v[76:77]
	s_wait_loadcnt 0x4
	v_fmac_f64_e32 v[80:81], v[56:57], v[78:79]
	scratch_load_b128 v[54:57], off, off offset:128
	ds_load_2addr_b64 v[72:75], v2 offset0:29 offset1:30
	ds_load_2addr_b64 v[76:79], v2 offset0:31 offset1:32
	s_wait_dscnt 0x1
	v_fmac_f64_e32 v[80:81], v[58:59], v[72:73]
	s_wait_loadcnt 0x4
	s_delay_alu instid0(VALU_DEP_1) | instskip(SKIP_4) | instid1(VALU_DEP_1)
	v_fmac_f64_e32 v[80:81], v[60:61], v[74:75]
	scratch_load_b128 v[58:61], off, off offset:144
	s_wait_dscnt 0x0
	v_fmac_f64_e32 v[80:81], v[62:63], v[76:77]
	s_wait_loadcnt 0x4
	v_fmac_f64_e32 v[80:81], v[64:65], v[78:79]
	scratch_load_b128 v[62:65], off, off offset:160
	ds_load_2addr_b64 v[72:75], v2 offset0:33 offset1:34
	ds_load_2addr_b64 v[76:79], v2 offset0:35 offset1:36
	s_wait_dscnt 0x1
	v_fmac_f64_e32 v[80:81], v[66:67], v[72:73]
	s_wait_loadcnt 0x4
	s_delay_alu instid0(VALU_DEP_1) | instskip(SKIP_1) | instid1(VALU_DEP_1)
	v_fmac_f64_e32 v[80:81], v[68:69], v[74:75]
	s_wait_dscnt 0x0
	v_fmac_f64_e32 v[80:81], v[70:71], v[76:77]
	ds_load_2addr_b64 v[66:69], v2 offset0:37 offset1:38
	ds_load_2addr_b64 v[70:73], v2 offset0:39 offset1:40
	s_wait_loadcnt 0x3
	v_fmac_f64_e32 v[80:81], v[50:51], v[78:79]
	s_wait_dscnt 0x1
	s_delay_alu instid0(VALU_DEP_1) | instskip(SKIP_1) | instid1(VALU_DEP_1)
	v_fmac_f64_e32 v[80:81], v[52:53], v[66:67]
	s_wait_loadcnt 0x2
	v_fmac_f64_e32 v[80:81], v[54:55], v[68:69]
	ds_load_2addr_b64 v[50:53], v2 offset0:41 offset1:42
	ds_load_b64 v[54:55], v2 offset:344
	s_wait_dscnt 0x2
	v_fmac_f64_e32 v[80:81], v[56:57], v[70:71]
	s_wait_loadcnt 0x1
	s_delay_alu instid0(VALU_DEP_1) | instskip(SKIP_1) | instid1(VALU_DEP_1)
	v_fmac_f64_e32 v[80:81], v[58:59], v[72:73]
	s_wait_dscnt 0x1
	v_fmac_f64_e32 v[80:81], v[60:61], v[50:51]
	s_wait_loadcnt 0x0
	s_delay_alu instid0(VALU_DEP_1) | instskip(SKIP_1) | instid1(VALU_DEP_1)
	v_fmac_f64_e32 v[80:81], v[62:63], v[52:53]
	s_wait_dscnt 0x0
	v_fmac_f64_e32 v[80:81], v[64:65], v[54:55]
	s_delay_alu instid0(VALU_DEP_1)
	v_add_f64_e64 v[48:49], v[48:49], -v[80:81]
	scratch_store_b64 off, v[48:49], off offset:16
	s_wait_xcnt 0x0
	v_cmpx_lt_u32_e32 1, v0
	s_cbranch_execz .LBB85_139
; %bb.138:
	scratch_load_b64 v[48:49], off, off offset:8
	v_mov_b64_e32 v[50:51], 0
	scratch_store_b64 off, v[50:51], off offset:8
	s_wait_loadcnt 0x0
	ds_store_b64 v1, v[48:49]
.LBB85_139:
	s_wait_xcnt 0x0
	s_or_b32 exec_lo, exec_lo, s0
	s_wait_storecnt_dscnt 0x0
	s_barrier_signal -1
	s_barrier_wait -1
	s_clause 0x4
	scratch_load_b128 v[48:51], off, off offset:8
	scratch_load_b128 v[52:55], off, off offset:24
	;; [unrolled: 1-line block ×5, first 2 shown]
	ds_load_b128 v[68:71], v2 offset:192
	ds_load_b128 v[72:75], v2 offset:208
	scratch_load_b128 v[76:79], off, off offset:88
	v_dual_ashrrev_i32 v9, 31, v8 :: v_dual_ashrrev_i32 v15, 31, v14
	v_dual_ashrrev_i32 v13, 31, v12 :: v_dual_ashrrev_i32 v19, 31, v18
	;; [unrolled: 1-line block ×9, first 2 shown]
	v_ashrrev_i32_e32 v45, 31, v44
	s_mov_b32 s0, exec_lo
	v_ashrrev_i32_e32 v11, 31, v10
	s_wait_loadcnt_dscnt 0x501
	v_fma_f64 v[80:81], v[50:51], v[68:69], 0
	s_wait_loadcnt 0x4
	s_delay_alu instid0(VALU_DEP_1) | instskip(SKIP_4) | instid1(VALU_DEP_1)
	v_fmac_f64_e32 v[80:81], v[52:53], v[70:71]
	scratch_load_b128 v[50:53], off, off offset:104
	s_wait_dscnt 0x0
	v_fmac_f64_e32 v[80:81], v[54:55], v[72:73]
	s_wait_loadcnt 0x4
	v_fmac_f64_e32 v[80:81], v[56:57], v[74:75]
	ds_load_b128 v[54:57], v2 offset:224
	ds_load_b128 v[68:71], v2 offset:240
	scratch_load_b128 v[72:75], off, off offset:120
	s_wait_dscnt 0x1
	v_fmac_f64_e32 v[80:81], v[58:59], v[54:55]
	s_wait_loadcnt 0x4
	s_delay_alu instid0(VALU_DEP_1) | instskip(SKIP_4) | instid1(VALU_DEP_1)
	v_fmac_f64_e32 v[80:81], v[60:61], v[56:57]
	scratch_load_b128 v[54:57], off, off offset:136
	s_wait_dscnt 0x0
	v_fmac_f64_e32 v[80:81], v[62:63], v[68:69]
	s_wait_loadcnt 0x4
	v_fmac_f64_e32 v[80:81], v[64:65], v[70:71]
	ds_load_b128 v[58:61], v2 offset:256
	ds_load_b128 v[62:65], v2 offset:272
	scratch_load_b64 v[70:71], off, off offset:168
	s_wait_dscnt 0x1
	v_fmac_f64_e32 v[80:81], v[66:67], v[58:59]
	scratch_load_b128 v[66:69], off, off offset:152
	s_wait_loadcnt 0x5
	v_fmac_f64_e32 v[80:81], v[76:77], v[60:61]
	s_wait_dscnt 0x0
	s_delay_alu instid0(VALU_DEP_1) | instskip(SKIP_1) | instid1(VALU_DEP_1)
	v_fmac_f64_e32 v[80:81], v[78:79], v[62:63]
	s_wait_loadcnt 0x4
	v_fmac_f64_e32 v[80:81], v[50:51], v[64:65]
	ds_load_b128 v[58:61], v2 offset:288
	ds_load_b128 v[62:65], v2 offset:304
	s_wait_dscnt 0x1
	v_fmac_f64_e32 v[80:81], v[52:53], v[58:59]
	s_wait_loadcnt 0x3
	s_delay_alu instid0(VALU_DEP_1)
	v_fmac_f64_e32 v[80:81], v[72:73], v[60:61]
	ds_load_b128 v[50:53], v2 offset:320
	ds_load_b128 v[58:61], v2 offset:336
	s_wait_dscnt 0x2
	v_fmac_f64_e32 v[80:81], v[74:75], v[62:63]
	s_wait_loadcnt 0x2
	s_delay_alu instid0(VALU_DEP_1) | instskip(SKIP_1) | instid1(VALU_DEP_1)
	v_fmac_f64_e32 v[80:81], v[54:55], v[64:65]
	s_wait_dscnt 0x1
	v_fmac_f64_e32 v[80:81], v[56:57], v[50:51]
	s_wait_loadcnt 0x0
	s_delay_alu instid0(VALU_DEP_1) | instskip(SKIP_1) | instid1(VALU_DEP_1)
	v_fmac_f64_e32 v[80:81], v[66:67], v[52:53]
	s_wait_dscnt 0x0
	v_fmac_f64_e32 v[80:81], v[68:69], v[58:59]
	s_delay_alu instid0(VALU_DEP_1) | instskip(NEXT) | instid1(VALU_DEP_1)
	v_fmac_f64_e32 v[80:81], v[70:71], v[60:61]
	v_add_f64_e64 v[2:3], v[48:49], -v[80:81]
	scratch_store_b64 off, v[2:3], off offset:8
	s_wait_xcnt 0x0
	v_cmpx_ne_u32_e32 0, v0
	s_cbranch_execz .LBB85_141
; %bb.140:
	scratch_load_b64 v[2:3], off, off
	v_mov_b64_e32 v[48:49], 0
	scratch_store_b64 off, v[48:49], off
	s_wait_loadcnt 0x0
	ds_store_b64 v1, v[2:3]
.LBB85_141:
	s_wait_xcnt 0x0
	s_or_b32 exec_lo, exec_lo, s0
	s_wait_storecnt_dscnt 0x0
	s_barrier_signal -1
	s_barrier_wait -1
	s_clause 0x5
	scratch_load_b128 v[50:53], off, off
	scratch_load_b128 v[0:3], off, off offset:16
	scratch_load_b128 v[54:57], off, off offset:32
	;; [unrolled: 1-line block ×5, first 2 shown]
	v_mov_b32_e32 v48, 0
	s_clause 0x1
	scratch_load_b128 v[74:77], off, off offset:96
	scratch_load_b128 v[78:81], off, off offset:112
	s_and_b32 vcc_lo, exec_lo, s12
	ds_load_2addr_b64 v[70:73], v48 offset0:23 offset1:24
	s_wait_loadcnt_dscnt 0x700
	v_fma_f64 v[82:83], v[52:53], v[70:71], 0
	s_wait_loadcnt 0x6
	s_delay_alu instid0(VALU_DEP_1)
	v_fmac_f64_e32 v[82:83], v[0:1], v[72:73]
	ds_load_2addr_b64 v[70:73], v48 offset0:25 offset1:26
	s_wait_dscnt 0x0
	v_fmac_f64_e32 v[82:83], v[2:3], v[70:71]
	ds_load_2addr_b64 v[0:3], v48 offset0:27 offset1:28
	s_wait_loadcnt 0x5
	v_fmac_f64_e32 v[82:83], v[54:55], v[72:73]
	scratch_load_b128 v[52:55], off, off offset:128
	s_wait_dscnt 0x0
	v_fmac_f64_e32 v[82:83], v[56:57], v[0:1]
	s_wait_loadcnt 0x5
	s_delay_alu instid0(VALU_DEP_1)
	v_fmac_f64_e32 v[82:83], v[58:59], v[2:3]
	ds_load_2addr_b64 v[0:3], v48 offset0:29 offset1:30
	scratch_load_b128 v[56:59], off, off offset:144
	s_wait_dscnt 0x0
	v_fmac_f64_e32 v[82:83], v[60:61], v[0:1]
	s_wait_loadcnt 0x5
	s_delay_alu instid0(VALU_DEP_1)
	v_fmac_f64_e32 v[82:83], v[62:63], v[2:3]
	ds_load_2addr_b64 v[60:63], v48 offset0:31 offset1:32
	scratch_load_b128 v[0:3], off, off offset:160
	s_wait_dscnt 0x0
	v_fmac_f64_e32 v[82:83], v[64:65], v[60:61]
	s_wait_loadcnt 0x5
	s_delay_alu instid0(VALU_DEP_1) | instskip(SKIP_4) | instid1(VALU_DEP_1)
	v_fmac_f64_e32 v[82:83], v[66:67], v[62:63]
	ds_load_2addr_b64 v[60:63], v48 offset0:33 offset1:34
	s_wait_dscnt 0x0
	v_fmac_f64_e32 v[82:83], v[68:69], v[60:61]
	s_wait_loadcnt 0x4
	v_fmac_f64_e32 v[82:83], v[74:75], v[62:63]
	ds_load_2addr_b64 v[60:63], v48 offset0:35 offset1:36
	s_wait_dscnt 0x0
	v_fmac_f64_e32 v[82:83], v[76:77], v[60:61]
	s_wait_loadcnt 0x3
	s_delay_alu instid0(VALU_DEP_1) | instskip(SKIP_4) | instid1(VALU_DEP_1)
	v_fmac_f64_e32 v[82:83], v[78:79], v[62:63]
	ds_load_2addr_b64 v[60:63], v48 offset0:37 offset1:38
	s_wait_dscnt 0x0
	v_fmac_f64_e32 v[82:83], v[80:81], v[60:61]
	s_wait_loadcnt 0x2
	v_fmac_f64_e32 v[82:83], v[52:53], v[62:63]
	ds_load_2addr_b64 v[60:63], v48 offset0:39 offset1:40
	s_wait_dscnt 0x0
	v_fmac_f64_e32 v[82:83], v[54:55], v[60:61]
	ds_load_2addr_b64 v[52:55], v48 offset0:41 offset1:42
	s_wait_loadcnt 0x1
	v_fmac_f64_e32 v[82:83], v[56:57], v[62:63]
	s_wait_dscnt 0x0
	s_delay_alu instid0(VALU_DEP_1) | instskip(SKIP_4) | instid1(VALU_DEP_1)
	v_fmac_f64_e32 v[82:83], v[58:59], v[52:53]
	ds_load_b64 v[52:53], v48 offset:344
	s_wait_loadcnt 0x0
	v_fmac_f64_e32 v[82:83], v[0:1], v[54:55]
	s_wait_dscnt 0x0
	v_fmac_f64_e32 v[82:83], v[2:3], v[52:53]
	s_delay_alu instid0(VALU_DEP_1)
	v_add_f64_e64 v[2:3], v[50:51], -v[82:83]
	scratch_store_b64 off, v[2:3], off
	s_cbranch_vccz .LBB85_184
; %bb.142:
	global_load_b32 v2, v48, s[8:9] offset:80
	s_wait_loadcnt 0x0
	v_cmp_ne_u32_e32 vcc_lo, 21, v2
	s_cbranch_vccz .LBB85_144
; %bb.143:
	v_lshlrev_b32_e32 v2, 3, v2
	s_wait_xcnt 0x0
	s_delay_alu instid0(VALU_DEP_1)
	v_mov_b32_e32 v48, v2
	scratch_load_b64 v[2:3], v48, off offset:-8
	s_wait_loadcnt 0x0
	scratch_store_b64 off, v[2:3], off offset:160
	scratch_store_b64 v48, v[0:1], off offset:-8
.LBB85_144:
	s_wait_xcnt 0x0
	v_mov_b32_e32 v0, 0
	global_load_b32 v1, v0, s[8:9] offset:76
	s_wait_loadcnt 0x0
	v_cmp_eq_u32_e32 vcc_lo, 20, v1
	s_cbranch_vccnz .LBB85_146
; %bb.145:
	v_lshlrev_b32_e32 v1, 3, v1
	scratch_load_b64 v[2:3], v1, off offset:-8
	scratch_load_b64 v[48:49], off, off offset:152
	s_wait_loadcnt 0x1
	scratch_store_b64 off, v[2:3], off offset:152
	s_wait_loadcnt 0x0
	scratch_store_b64 v1, v[48:49], off offset:-8
.LBB85_146:
	global_load_b32 v0, v0, s[8:9] offset:72
	s_wait_loadcnt 0x0
	v_cmp_eq_u32_e32 vcc_lo, 19, v0
	s_cbranch_vccnz .LBB85_148
; %bb.147:
	s_wait_xcnt 0x0
	v_lshlrev_b32_e32 v0, 3, v0
	s_delay_alu instid0(VALU_DEP_1)
	v_mov_b32_e32 v48, v0
	scratch_load_b64 v[0:1], v48, off offset:-8
	scratch_load_b64 v[2:3], off, off offset:144
	s_wait_loadcnt 0x1
	scratch_store_b64 off, v[0:1], off offset:144
	s_wait_loadcnt 0x0
	scratch_store_b64 v48, v[2:3], off offset:-8
.LBB85_148:
	s_wait_xcnt 0x0
	v_mov_b32_e32 v0, 0
	global_load_b32 v1, v0, s[8:9] offset:68
	s_wait_loadcnt 0x0
	v_cmp_eq_u32_e32 vcc_lo, 18, v1
	s_cbranch_vccnz .LBB85_150
; %bb.149:
	v_lshlrev_b32_e32 v1, 3, v1
	scratch_load_b64 v[2:3], v1, off offset:-8
	scratch_load_b64 v[48:49], off, off offset:136
	s_wait_loadcnt 0x1
	scratch_store_b64 off, v[2:3], off offset:136
	s_wait_loadcnt 0x0
	scratch_store_b64 v1, v[48:49], off offset:-8
.LBB85_150:
	global_load_b32 v0, v0, s[8:9] offset:64
	s_wait_loadcnt 0x0
	v_cmp_eq_u32_e32 vcc_lo, 17, v0
	s_cbranch_vccnz .LBB85_152
; %bb.151:
	s_wait_xcnt 0x0
	v_lshlrev_b32_e32 v0, 3, v0
	s_delay_alu instid0(VALU_DEP_1)
	v_mov_b32_e32 v48, v0
	scratch_load_b64 v[0:1], v48, off offset:-8
	scratch_load_b64 v[2:3], off, off offset:128
	s_wait_loadcnt 0x1
	scratch_store_b64 off, v[0:1], off offset:128
	s_wait_loadcnt 0x0
	scratch_store_b64 v48, v[2:3], off offset:-8
.LBB85_152:
	;; [unrolled: 31-line block ×9, first 2 shown]
	s_wait_xcnt 0x0
	v_mov_b32_e32 v0, 0
	global_load_b32 v1, v0, s[8:9] offset:4
	s_wait_loadcnt 0x0
	v_cmp_eq_u32_e32 vcc_lo, 2, v1
	s_cbranch_vccnz .LBB85_182
; %bb.181:
	v_lshlrev_b32_e32 v1, 3, v1
	scratch_load_b64 v[2:3], v1, off offset:-8
	scratch_load_b64 v[48:49], off, off offset:8
	s_wait_loadcnt 0x1
	scratch_store_b64 off, v[2:3], off offset:8
	s_wait_loadcnt 0x0
	scratch_store_b64 v1, v[48:49], off offset:-8
.LBB85_182:
	global_load_b32 v0, v0, s[8:9]
	scratch_load_b64 v[2:3], off, off
	s_wait_loadcnt 0x1
	v_cmp_eq_u32_e32 vcc_lo, 1, v0
	s_cbranch_vccnz .LBB85_184
; %bb.183:
	s_wait_xcnt 0x1
	v_lshlrev_b32_e32 v0, 3, v0
	s_delay_alu instid0(VALU_DEP_1)
	v_mov_b32_e32 v48, v0
	scratch_load_b64 v[0:1], v48, off offset:-8
	s_wait_loadcnt 0x0
	scratch_store_b64 off, v[0:1], off
	scratch_store_b64 v48, v[2:3], off offset:-8
	scratch_load_b64 v[2:3], off, off
.LBB85_184:
	s_wait_loadcnt 0x0
	flat_store_b64 v[4:5], v[2:3]
	scratch_load_b64 v[2:3], off, off offset:8
	v_lshl_add_u64 v[64:65], v[8:9], 3, s[2:3]
	v_lshl_add_u64 v[62:63], v[10:11], 3, s[2:3]
	;; [unrolled: 1-line block ×20, first 2 shown]
	s_wait_loadcnt 0x0
	flat_store_b64 v[6:7], v[2:3]
	scratch_load_b64 v[2:3], off, off offset:16
	s_wait_loadcnt 0x0
	flat_store_b64 v[64:65], v[2:3]
	scratch_load_b64 v[2:3], off, off offset:24
	;; [unrolled: 3-line block ×20, first 2 shown]
	s_wait_loadcnt 0x0
	flat_store_b64 v[0:1], v[2:3]
	s_sendmsg sendmsg(MSG_DEALLOC_VGPRS)
	s_endpgm
	.section	.rodata,"a",@progbits
	.p2align	6, 0x0
	.amdhsa_kernel _ZN9rocsolver6v33100L18getri_kernel_smallILi22EdPKPdEEvT1_iilPiilS6_bb
		.amdhsa_group_segment_fixed_size 360
		.amdhsa_private_segment_fixed_size 192
		.amdhsa_kernarg_size 60
		.amdhsa_user_sgpr_count 2
		.amdhsa_user_sgpr_dispatch_ptr 0
		.amdhsa_user_sgpr_queue_ptr 0
		.amdhsa_user_sgpr_kernarg_segment_ptr 1
		.amdhsa_user_sgpr_dispatch_id 0
		.amdhsa_user_sgpr_kernarg_preload_length 0
		.amdhsa_user_sgpr_kernarg_preload_offset 0
		.amdhsa_user_sgpr_private_segment_size 0
		.amdhsa_wavefront_size32 1
		.amdhsa_uses_dynamic_stack 0
		.amdhsa_enable_private_segment 1
		.amdhsa_system_sgpr_workgroup_id_x 1
		.amdhsa_system_sgpr_workgroup_id_y 0
		.amdhsa_system_sgpr_workgroup_id_z 0
		.amdhsa_system_sgpr_workgroup_info 0
		.amdhsa_system_vgpr_workitem_id 0
		.amdhsa_next_free_vgpr 84
		.amdhsa_next_free_sgpr 19
		.amdhsa_named_barrier_count 0
		.amdhsa_reserve_vcc 1
		.amdhsa_float_round_mode_32 0
		.amdhsa_float_round_mode_16_64 0
		.amdhsa_float_denorm_mode_32 3
		.amdhsa_float_denorm_mode_16_64 3
		.amdhsa_fp16_overflow 0
		.amdhsa_memory_ordered 1
		.amdhsa_forward_progress 1
		.amdhsa_inst_pref_size 122
		.amdhsa_round_robin_scheduling 0
		.amdhsa_exception_fp_ieee_invalid_op 0
		.amdhsa_exception_fp_denorm_src 0
		.amdhsa_exception_fp_ieee_div_zero 0
		.amdhsa_exception_fp_ieee_overflow 0
		.amdhsa_exception_fp_ieee_underflow 0
		.amdhsa_exception_fp_ieee_inexact 0
		.amdhsa_exception_int_div_zero 0
	.end_amdhsa_kernel
	.section	.text._ZN9rocsolver6v33100L18getri_kernel_smallILi22EdPKPdEEvT1_iilPiilS6_bb,"axG",@progbits,_ZN9rocsolver6v33100L18getri_kernel_smallILi22EdPKPdEEvT1_iilPiilS6_bb,comdat
.Lfunc_end85:
	.size	_ZN9rocsolver6v33100L18getri_kernel_smallILi22EdPKPdEEvT1_iilPiilS6_bb, .Lfunc_end85-_ZN9rocsolver6v33100L18getri_kernel_smallILi22EdPKPdEEvT1_iilPiilS6_bb
                                        ; -- End function
	.set _ZN9rocsolver6v33100L18getri_kernel_smallILi22EdPKPdEEvT1_iilPiilS6_bb.num_vgpr, 84
	.set _ZN9rocsolver6v33100L18getri_kernel_smallILi22EdPKPdEEvT1_iilPiilS6_bb.num_agpr, 0
	.set _ZN9rocsolver6v33100L18getri_kernel_smallILi22EdPKPdEEvT1_iilPiilS6_bb.numbered_sgpr, 19
	.set _ZN9rocsolver6v33100L18getri_kernel_smallILi22EdPKPdEEvT1_iilPiilS6_bb.num_named_barrier, 0
	.set _ZN9rocsolver6v33100L18getri_kernel_smallILi22EdPKPdEEvT1_iilPiilS6_bb.private_seg_size, 192
	.set _ZN9rocsolver6v33100L18getri_kernel_smallILi22EdPKPdEEvT1_iilPiilS6_bb.uses_vcc, 1
	.set _ZN9rocsolver6v33100L18getri_kernel_smallILi22EdPKPdEEvT1_iilPiilS6_bb.uses_flat_scratch, 1
	.set _ZN9rocsolver6v33100L18getri_kernel_smallILi22EdPKPdEEvT1_iilPiilS6_bb.has_dyn_sized_stack, 0
	.set _ZN9rocsolver6v33100L18getri_kernel_smallILi22EdPKPdEEvT1_iilPiilS6_bb.has_recursion, 0
	.set _ZN9rocsolver6v33100L18getri_kernel_smallILi22EdPKPdEEvT1_iilPiilS6_bb.has_indirect_call, 0
	.section	.AMDGPU.csdata,"",@progbits
; Kernel info:
; codeLenInByte = 15492
; TotalNumSgprs: 21
; NumVgprs: 84
; ScratchSize: 192
; MemoryBound: 0
; FloatMode: 240
; IeeeMode: 1
; LDSByteSize: 360 bytes/workgroup (compile time only)
; SGPRBlocks: 0
; VGPRBlocks: 5
; NumSGPRsForWavesPerEU: 21
; NumVGPRsForWavesPerEU: 84
; NamedBarCnt: 0
; Occupancy: 10
; WaveLimiterHint : 1
; COMPUTE_PGM_RSRC2:SCRATCH_EN: 1
; COMPUTE_PGM_RSRC2:USER_SGPR: 2
; COMPUTE_PGM_RSRC2:TRAP_HANDLER: 0
; COMPUTE_PGM_RSRC2:TGID_X_EN: 1
; COMPUTE_PGM_RSRC2:TGID_Y_EN: 0
; COMPUTE_PGM_RSRC2:TGID_Z_EN: 0
; COMPUTE_PGM_RSRC2:TIDIG_COMP_CNT: 0
	.section	.text._ZN9rocsolver6v33100L18getri_kernel_smallILi23EdPKPdEEvT1_iilPiilS6_bb,"axG",@progbits,_ZN9rocsolver6v33100L18getri_kernel_smallILi23EdPKPdEEvT1_iilPiilS6_bb,comdat
	.globl	_ZN9rocsolver6v33100L18getri_kernel_smallILi23EdPKPdEEvT1_iilPiilS6_bb ; -- Begin function _ZN9rocsolver6v33100L18getri_kernel_smallILi23EdPKPdEEvT1_iilPiilS6_bb
	.p2align	8
	.type	_ZN9rocsolver6v33100L18getri_kernel_smallILi23EdPKPdEEvT1_iilPiilS6_bb,@function
_ZN9rocsolver6v33100L18getri_kernel_smallILi23EdPKPdEEvT1_iilPiilS6_bb: ; @_ZN9rocsolver6v33100L18getri_kernel_smallILi23EdPKPdEEvT1_iilPiilS6_bb
; %bb.0:
	s_mov_b32 s2, exec_lo
	v_cmpx_gt_u32_e32 23, v0
	s_cbranch_execz .LBB86_102
; %bb.1:
	s_clause 0x1
	s_load_b32 s13, s[0:1], 0x38
	s_load_b64 s[2:3], s[0:1], 0x0
	s_getreg_b32 s6, hwreg(HW_REG_IB_STS2, 6, 4)
	s_wait_kmcnt 0x0
	s_bitcmp1_b32 s13, 8
	s_cselect_b32 s12, -1, 0
	s_bfe_u32 s4, ttmp6, 0x4000c
	s_and_b32 s5, ttmp6, 15
	s_add_co_i32 s4, s4, 1
	s_delay_alu instid0(SALU_CYCLE_1) | instskip(NEXT) | instid1(SALU_CYCLE_1)
	s_mul_i32 s4, ttmp9, s4
	s_add_co_i32 s5, s5, s4
	s_cmp_eq_u32 s6, 0
	s_cselect_b32 s10, ttmp9, s5
	s_load_b128 s[4:7], s[0:1], 0x28
	s_ashr_i32 s11, s10, 31
	s_delay_alu instid0(SALU_CYCLE_1) | instskip(NEXT) | instid1(SALU_CYCLE_1)
	s_lshl_b64 s[8:9], s[10:11], 3
	s_add_nc_u64 s[2:3], s[2:3], s[8:9]
	s_bfe_u32 s8, s13, 0x10008
	s_load_b64 s[2:3], s[2:3], 0x0
	s_cmp_eq_u32 s8, 0
                                        ; implicit-def: $sgpr8_sgpr9
	s_cbranch_scc1 .LBB86_3
; %bb.2:
	s_load_b96 s[16:18], s[0:1], 0x18
	s_wait_kmcnt 0x0
	s_mul_u64 s[4:5], s[4:5], s[10:11]
	s_delay_alu instid0(SALU_CYCLE_1) | instskip(SKIP_4) | instid1(SALU_CYCLE_1)
	s_lshl_b64 s[4:5], s[4:5], 2
	s_ashr_i32 s9, s18, 31
	s_mov_b32 s8, s18
	s_add_nc_u64 s[4:5], s[16:17], s[4:5]
	s_lshl_b64 s[8:9], s[8:9], 2
	s_add_nc_u64 s[8:9], s[4:5], s[8:9]
.LBB86_3:
	s_wait_kmcnt 0x0
	s_clause 0x1
	s_load_b64 s[4:5], s[0:1], 0x8
	s_load_b32 s13, s[0:1], 0x38
	v_dual_mov_b32 v3, 0 :: v_dual_lshlrev_b32 v2, 3, v0
	s_wait_kmcnt 0x0
	s_ashr_i32 s1, s4, 31
	s_mov_b32 s0, s4
	s_delay_alu instid0(SALU_CYCLE_1) | instskip(NEXT) | instid1(SALU_CYCLE_1)
	s_lshl_b64 s[0:1], s[0:1], 3
	s_add_nc_u64 s[2:3], s[2:3], s[0:1]
	s_ashr_i32 s1, s5, 31
	flat_load_b64 v[8:9], v0, s[2:3] scale_offset
	v_add_nc_u64_e32 v[4:5], s[2:3], v[2:3]
	s_mov_b32 s0, s5
	s_bitcmp0_b32 s13, 0
	s_delay_alu instid0(VALU_DEP_1)
	v_lshl_add_u64 v[6:7], s[0:1], 3, v[4:5]
	s_mov_b32 s1, -1
	s_wait_loadcnt_dscnt 0x0
	scratch_store_b64 off, v[8:9], off
	flat_load_b64 v[10:11], v[6:7]
	s_wait_xcnt 0x1
	v_add3_u32 v8, s5, s5, v0
	s_wait_loadcnt_dscnt 0x0
	scratch_store_b64 off, v[10:11], off offset:8
	flat_load_b64 v[12:13], v8, s[2:3] scale_offset
	s_wait_xcnt 0x1
	v_add_nc_u32_e32 v10, s5, v8
	s_wait_loadcnt_dscnt 0x0
	scratch_store_b64 off, v[12:13], off offset:16
	flat_load_b64 v[14:15], v10, s[2:3] scale_offset
	s_wait_xcnt 0x1
	v_add_nc_u32_e32 v12, s5, v10
	;; [unrolled: 5-line block ×20, first 2 shown]
	s_wait_loadcnt_dscnt 0x0
	scratch_store_b64 off, v[50:51], off offset:168
	flat_load_b64 v[50:51], v48, s[2:3] scale_offset
	s_wait_loadcnt_dscnt 0x0
	scratch_store_b64 off, v[50:51], off offset:176
	s_cbranch_scc1 .LBB86_100
; %bb.4:
	v_cmp_eq_u32_e64 s0, 0, v0
	s_wait_xcnt 0x0
	s_and_saveexec_b32 s1, s0
; %bb.5:
	v_mov_b32_e32 v1, 0
	ds_store_b32 v1, v1 offset:184
; %bb.6:
	s_or_b32 exec_lo, exec_lo, s1
	s_wait_storecnt_dscnt 0x0
	s_barrier_signal -1
	s_barrier_wait -1
	scratch_load_b64 v[50:51], v0, off scale_offset
	s_mov_b32 s4, exec_lo
	s_wait_loadcnt 0x0
	v_cmpx_eq_f64_e32 0, v[50:51]
	s_cbranch_execz .LBB86_10
; %bb.7:
	v_mov_b32_e32 v1, 0
	s_mov_b32 s5, 0
	ds_load_b32 v3, v1 offset:184
	s_wait_dscnt 0x0
	v_readfirstlane_b32 s1, v3
	v_add_nc_u32_e32 v3, 1, v0
	s_cmp_eq_u32 s1, 0
	s_delay_alu instid0(VALU_DEP_1) | instskip(SKIP_1) | instid1(SALU_CYCLE_1)
	v_cmp_gt_i32_e32 vcc_lo, s1, v3
	s_cselect_b32 s13, -1, 0
	s_or_b32 s13, s13, vcc_lo
	s_delay_alu instid0(SALU_CYCLE_1)
	s_and_b32 exec_lo, exec_lo, s13
	s_cbranch_execz .LBB86_10
; %bb.8:
	v_mov_b32_e32 v9, s1
.LBB86_9:                               ; =>This Inner Loop Header: Depth=1
	ds_cmpstore_rtn_b32 v9, v1, v3, v9 offset:184
	s_wait_dscnt 0x0
	v_cmp_ne_u32_e32 vcc_lo, 0, v9
	v_cmp_le_i32_e64 s1, v9, v3
	s_and_b32 s1, vcc_lo, s1
	s_delay_alu instid0(SALU_CYCLE_1) | instskip(NEXT) | instid1(SALU_CYCLE_1)
	s_and_b32 s1, exec_lo, s1
	s_or_b32 s5, s1, s5
	s_delay_alu instid0(SALU_CYCLE_1)
	s_and_not1_b32 exec_lo, exec_lo, s5
	s_cbranch_execnz .LBB86_9
.LBB86_10:
	s_or_b32 exec_lo, exec_lo, s4
	v_mov_b32_e32 v1, 0
	s_barrier_signal -1
	s_barrier_wait -1
	ds_load_b32 v3, v1 offset:184
	s_and_saveexec_b32 s1, s0
	s_cbranch_execz .LBB86_12
; %bb.11:
	s_lshl_b64 s[4:5], s[10:11], 2
	s_delay_alu instid0(SALU_CYCLE_1)
	s_add_nc_u64 s[4:5], s[6:7], s[4:5]
	s_wait_dscnt 0x0
	global_store_b32 v1, v3, s[4:5]
.LBB86_12:
	s_wait_xcnt 0x0
	s_or_b32 exec_lo, exec_lo, s1
	s_wait_dscnt 0x0
	v_cmp_ne_u32_e32 vcc_lo, 0, v3
	s_mov_b32 s1, 0
	s_cbranch_vccnz .LBB86_100
; %bb.13:
	v_lshl_add_u32 v3, v0, 3, 0
	v_add_nc_u32_e32 v1, 0xc0, v2
	scratch_load_b64 v[50:51], v3, off
	s_wait_loadcnt 0x0
	v_div_scale_f64 v[52:53], null, v[50:51], v[50:51], 1.0
	v_div_scale_f64 v[58:59], vcc_lo, 1.0, v[50:51], 1.0
	s_delay_alu instid0(VALU_DEP_2) | instskip(SKIP_1) | instid1(TRANS32_DEP_1)
	v_rcp_f64_e32 v[54:55], v[52:53]
	v_nop
	v_fma_f64 v[56:57], -v[52:53], v[54:55], 1.0
	s_delay_alu instid0(VALU_DEP_1) | instskip(NEXT) | instid1(VALU_DEP_1)
	v_fmac_f64_e32 v[54:55], v[54:55], v[56:57]
	v_fma_f64 v[56:57], -v[52:53], v[54:55], 1.0
	s_delay_alu instid0(VALU_DEP_1) | instskip(NEXT) | instid1(VALU_DEP_1)
	v_fmac_f64_e32 v[54:55], v[54:55], v[56:57]
	v_mul_f64_e32 v[56:57], v[58:59], v[54:55]
	s_delay_alu instid0(VALU_DEP_1) | instskip(NEXT) | instid1(VALU_DEP_1)
	v_fma_f64 v[52:53], -v[52:53], v[56:57], v[58:59]
	v_div_fmas_f64 v[52:53], v[52:53], v[54:55], v[56:57]
	s_delay_alu instid0(VALU_DEP_1)
	v_div_fixup_f64 v[50:51], v[52:53], v[50:51], 1.0
	scratch_store_b64 v3, v[50:51], off
	scratch_load_b64 v[52:53], off, off offset:8
	s_wait_xcnt 0x1
	v_xor_b32_e32 v51, 0x80000000, v51
	s_wait_loadcnt 0x0
	ds_store_2addr_b64 v2, v[50:51], v[52:53] offset1:24
	s_wait_storecnt_dscnt 0x0
	s_barrier_signal -1
	s_barrier_wait -1
	s_wait_xcnt 0x0
	s_and_saveexec_b32 s1, s0
	s_cbranch_execz .LBB86_15
; %bb.14:
	scratch_load_b64 v[50:51], v3, off
	ds_load_b64 v[52:53], v1
	s_wait_loadcnt_dscnt 0x0
	v_fma_f64 v[50:51], v[50:51], v[52:53], 0
	v_mov_b32_e32 v9, 0
	ds_load_b64 v[54:55], v9 offset:8
	s_wait_dscnt 0x0
	v_mul_f64_e32 v[50:51], v[50:51], v[54:55]
	scratch_store_b64 off, v[50:51], off offset:8
.LBB86_15:
	s_wait_xcnt 0x0
	s_or_b32 exec_lo, exec_lo, s1
	s_wait_storecnt 0x0
	s_barrier_signal -1
	s_barrier_wait -1
	scratch_load_b64 v[50:51], off, off offset:16
	s_mov_b32 s1, exec_lo
	s_wait_loadcnt 0x0
	ds_store_b64 v1, v[50:51]
	s_wait_dscnt 0x0
	s_barrier_signal -1
	s_barrier_wait -1
	v_cmpx_gt_u32_e32 2, v0
	s_cbranch_execz .LBB86_19
; %bb.16:
	scratch_load_b64 v[50:51], v3, off
	ds_load_b64 v[52:53], v1
	s_wait_loadcnt_dscnt 0x0
	v_fma_f64 v[50:51], v[50:51], v[52:53], 0
	s_and_saveexec_b32 s4, s0
	s_cbranch_execz .LBB86_18
; %bb.17:
	scratch_load_b64 v[52:53], off, off offset:8
	v_mov_b32_e32 v3, 0
	ds_load_b64 v[54:55], v3 offset:200
	s_wait_loadcnt_dscnt 0x0
	v_fmac_f64_e32 v[50:51], v[52:53], v[54:55]
.LBB86_18:
	s_or_b32 exec_lo, exec_lo, s4
	v_mov_b32_e32 v3, 0
	ds_load_b64 v[52:53], v3 offset:16
	s_wait_dscnt 0x0
	v_mul_f64_e32 v[50:51], v[50:51], v[52:53]
	scratch_store_b64 off, v[50:51], off offset:16
.LBB86_19:
	s_wait_xcnt 0x0
	s_or_b32 exec_lo, exec_lo, s1
	s_wait_storecnt 0x0
	s_barrier_signal -1
	s_barrier_wait -1
	scratch_load_b64 v[50:51], off, off offset:24
	v_add_nc_u32_e32 v3, -1, v0
	s_mov_b32 s0, exec_lo
	s_wait_loadcnt 0x0
	ds_store_b64 v1, v[50:51]
	s_wait_dscnt 0x0
	s_barrier_signal -1
	s_barrier_wait -1
	v_cmpx_gt_u32_e32 3, v0
	s_cbranch_execz .LBB86_23
; %bb.20:
	v_mov_b64_e32 v[50:51], 0
	v_dual_add_nc_u32 v9, -1, v0 :: v_dual_mov_b32 v13, v2
	v_add_nc_u32_e32 v11, 0xc0, v2
	s_mov_b32 s1, 0
.LBB86_21:                              ; =>This Inner Loop Header: Depth=1
	scratch_load_b64 v[52:53], v13, off
	ds_load_b64 v[54:55], v11
	v_dual_add_nc_u32 v9, 1, v9 :: v_dual_add_nc_u32 v11, 8, v11
	s_wait_xcnt 0x0
	v_add_nc_u32_e32 v13, 8, v13
	s_delay_alu instid0(VALU_DEP_2)
	v_cmp_lt_u32_e32 vcc_lo, 1, v9
	s_or_b32 s1, vcc_lo, s1
	s_wait_loadcnt_dscnt 0x0
	v_fmac_f64_e32 v[50:51], v[52:53], v[54:55]
	s_and_not1_b32 exec_lo, exec_lo, s1
	s_cbranch_execnz .LBB86_21
; %bb.22:
	s_or_b32 exec_lo, exec_lo, s1
	v_mov_b32_e32 v9, 0
	ds_load_b64 v[52:53], v9 offset:24
	s_wait_dscnt 0x0
	v_mul_f64_e32 v[50:51], v[50:51], v[52:53]
	scratch_store_b64 off, v[50:51], off offset:24
.LBB86_23:
	s_wait_xcnt 0x0
	s_or_b32 exec_lo, exec_lo, s0
	s_wait_storecnt 0x0
	s_barrier_signal -1
	s_barrier_wait -1
	scratch_load_b64 v[50:51], off, off offset:32
	s_mov_b32 s0, exec_lo
	s_wait_loadcnt 0x0
	ds_store_b64 v1, v[50:51]
	s_wait_dscnt 0x0
	s_barrier_signal -1
	s_barrier_wait -1
	v_cmpx_gt_u32_e32 4, v0
	s_cbranch_execz .LBB86_27
; %bb.24:
	v_mov_b64_e32 v[50:51], 0
	v_dual_add_nc_u32 v9, -1, v0 :: v_dual_mov_b32 v13, v2
	v_add_nc_u32_e32 v11, 0xc0, v2
	s_mov_b32 s1, 0
.LBB86_25:                              ; =>This Inner Loop Header: Depth=1
	scratch_load_b64 v[52:53], v13, off
	ds_load_b64 v[54:55], v11
	v_dual_add_nc_u32 v9, 1, v9 :: v_dual_add_nc_u32 v11, 8, v11
	s_wait_xcnt 0x0
	v_add_nc_u32_e32 v13, 8, v13
	s_delay_alu instid0(VALU_DEP_2)
	v_cmp_lt_u32_e32 vcc_lo, 2, v9
	s_or_b32 s1, vcc_lo, s1
	s_wait_loadcnt_dscnt 0x0
	v_fmac_f64_e32 v[50:51], v[52:53], v[54:55]
	s_and_not1_b32 exec_lo, exec_lo, s1
	s_cbranch_execnz .LBB86_25
; %bb.26:
	s_or_b32 exec_lo, exec_lo, s1
	v_mov_b32_e32 v9, 0
	ds_load_b64 v[52:53], v9 offset:32
	s_wait_dscnt 0x0
	v_mul_f64_e32 v[50:51], v[50:51], v[52:53]
	scratch_store_b64 off, v[50:51], off offset:32
.LBB86_27:
	s_wait_xcnt 0x0
	s_or_b32 exec_lo, exec_lo, s0
	s_wait_storecnt 0x0
	s_barrier_signal -1
	s_barrier_wait -1
	scratch_load_b64 v[50:51], off, off offset:40
	;; [unrolled: 40-line block ×19, first 2 shown]
	s_mov_b32 s0, exec_lo
	s_wait_loadcnt 0x0
	ds_store_b64 v1, v[50:51]
	s_wait_dscnt 0x0
	s_barrier_signal -1
	s_barrier_wait -1
	v_cmpx_ne_u32_e32 22, v0
	s_cbranch_execz .LBB86_99
; %bb.96:
	v_mov_b64_e32 v[50:51], 0
	s_mov_b32 s1, 0
.LBB86_97:                              ; =>This Inner Loop Header: Depth=1
	scratch_load_b64 v[52:53], v2, off
	ds_load_b64 v[54:55], v1
	v_dual_add_nc_u32 v3, 1, v3 :: v_dual_add_nc_u32 v1, 8, v1
	s_wait_xcnt 0x0
	v_add_nc_u32_e32 v2, 8, v2
	s_delay_alu instid0(VALU_DEP_2)
	v_cmp_lt_u32_e32 vcc_lo, 20, v3
	s_or_b32 s1, vcc_lo, s1
	s_wait_loadcnt_dscnt 0x0
	v_fmac_f64_e32 v[50:51], v[52:53], v[54:55]
	s_and_not1_b32 exec_lo, exec_lo, s1
	s_cbranch_execnz .LBB86_97
; %bb.98:
	s_or_b32 exec_lo, exec_lo, s1
	v_mov_b32_e32 v1, 0
	ds_load_b64 v[2:3], v1 offset:176
	s_wait_dscnt 0x0
	v_mul_f64_e32 v[2:3], v[50:51], v[2:3]
	scratch_store_b64 off, v[2:3], off offset:176
.LBB86_99:
	s_wait_xcnt 0x0
	s_or_b32 exec_lo, exec_lo, s0
	s_mov_b32 s1, -1
	s_wait_storecnt 0x0
	s_barrier_signal -1
	s_barrier_wait -1
.LBB86_100:
	s_and_b32 vcc_lo, exec_lo, s1
	s_cbranch_vccz .LBB86_102
; %bb.101:
	v_mov_b32_e32 v1, 0
	s_lshl_b64 s[0:1], s[10:11], 2
	s_delay_alu instid0(SALU_CYCLE_1)
	s_add_nc_u64 s[0:1], s[6:7], s[0:1]
	global_load_b32 v1, v1, s[0:1]
	s_wait_loadcnt 0x0
	v_cmp_ne_u32_e32 vcc_lo, 0, v1
	s_cbranch_vccz .LBB86_103
.LBB86_102:
	s_sendmsg sendmsg(MSG_DEALLOC_VGPRS)
	s_endpgm
.LBB86_103:
	s_wait_xcnt 0x0
	v_lshl_add_u32 v1, v0, 3, 0xc0
	s_mov_b32 s0, exec_lo
	v_cmpx_eq_u32_e32 22, v0
	s_cbranch_execz .LBB86_105
; %bb.104:
	scratch_load_b64 v[2:3], off, off offset:168
	v_mov_b64_e32 v[50:51], 0
	scratch_store_b64 off, v[50:51], off offset:168
	s_wait_loadcnt 0x0
	ds_store_b64 v1, v[2:3]
.LBB86_105:
	s_wait_xcnt 0x0
	s_or_b32 exec_lo, exec_lo, s0
	s_wait_storecnt_dscnt 0x0
	s_barrier_signal -1
	s_barrier_wait -1
	scratch_load_b128 v[50:53], off, off offset:168
	v_mov_b32_e32 v2, 0
	s_mov_b32 s0, exec_lo
	ds_load_b64 v[54:55], v2 offset:368
	s_wait_loadcnt_dscnt 0x0
	v_fma_f64 v[52:53], v[52:53], v[54:55], 0
	s_delay_alu instid0(VALU_DEP_1)
	v_add_f64_e64 v[50:51], v[50:51], -v[52:53]
	scratch_store_b64 off, v[50:51], off offset:168
	s_wait_xcnt 0x0
	v_cmpx_lt_u32_e32 20, v0
	s_cbranch_execz .LBB86_107
; %bb.106:
	scratch_load_b64 v[50:51], off, off offset:160
	v_mov_b64_e32 v[52:53], 0
	scratch_store_b64 off, v[52:53], off offset:160
	s_wait_loadcnt 0x0
	ds_store_b64 v1, v[50:51]
.LBB86_107:
	s_wait_xcnt 0x0
	s_or_b32 exec_lo, exec_lo, s0
	s_wait_storecnt_dscnt 0x0
	s_barrier_signal -1
	s_barrier_wait -1
	s_clause 0x1
	scratch_load_b128 v[50:53], off, off offset:160
	scratch_load_b64 v[58:59], off, off offset:176
	ds_load_2addr_b64 v[54:57], v2 offset0:45 offset1:46
	s_mov_b32 s0, exec_lo
	s_wait_loadcnt_dscnt 0x100
	v_fma_f64 v[2:3], v[52:53], v[54:55], 0
	s_wait_loadcnt 0x0
	s_delay_alu instid0(VALU_DEP_1) | instskip(NEXT) | instid1(VALU_DEP_1)
	v_fmac_f64_e32 v[2:3], v[58:59], v[56:57]
	v_add_f64_e64 v[2:3], v[50:51], -v[2:3]
	scratch_store_b64 off, v[2:3], off offset:160
	s_wait_xcnt 0x0
	v_cmpx_lt_u32_e32 19, v0
	s_cbranch_execz .LBB86_109
; %bb.108:
	scratch_load_b64 v[2:3], off, off offset:152
	v_mov_b64_e32 v[50:51], 0
	scratch_store_b64 off, v[50:51], off offset:152
	s_wait_loadcnt 0x0
	ds_store_b64 v1, v[2:3]
.LBB86_109:
	s_wait_xcnt 0x0
	s_or_b32 exec_lo, exec_lo, s0
	s_wait_storecnt_dscnt 0x0
	s_barrier_signal -1
	s_barrier_wait -1
	s_clause 0x1
	scratch_load_b128 v[50:53], off, off offset:152
	scratch_load_b128 v[54:57], off, off offset:168
	v_mov_b32_e32 v2, 0
	ds_load_b128 v[58:61], v2 offset:352
	ds_load_b64 v[62:63], v2 offset:368
	s_mov_b32 s0, exec_lo
	s_wait_loadcnt_dscnt 0x101
	v_fma_f64 v[52:53], v[52:53], v[58:59], 0
	s_wait_loadcnt 0x0
	s_delay_alu instid0(VALU_DEP_1) | instskip(SKIP_1) | instid1(VALU_DEP_1)
	v_fmac_f64_e32 v[52:53], v[54:55], v[60:61]
	s_wait_dscnt 0x0
	v_fmac_f64_e32 v[52:53], v[56:57], v[62:63]
	s_delay_alu instid0(VALU_DEP_1)
	v_add_f64_e64 v[50:51], v[50:51], -v[52:53]
	scratch_store_b64 off, v[50:51], off offset:152
	s_wait_xcnt 0x0
	v_cmpx_lt_u32_e32 18, v0
	s_cbranch_execz .LBB86_111
; %bb.110:
	scratch_load_b64 v[50:51], off, off offset:144
	v_mov_b64_e32 v[52:53], 0
	scratch_store_b64 off, v[52:53], off offset:144
	s_wait_loadcnt 0x0
	ds_store_b64 v1, v[50:51]
.LBB86_111:
	s_wait_xcnt 0x0
	s_or_b32 exec_lo, exec_lo, s0
	s_wait_storecnt_dscnt 0x0
	s_barrier_signal -1
	s_barrier_wait -1
	s_clause 0x2
	scratch_load_b128 v[50:53], off, off offset:144
	scratch_load_b128 v[54:57], off, off offset:160
	scratch_load_b64 v[66:67], off, off offset:176
	ds_load_2addr_b64 v[58:61], v2 offset0:43 offset1:44
	ds_load_2addr_b64 v[62:65], v2 offset0:45 offset1:46
	s_mov_b32 s0, exec_lo
	s_wait_loadcnt_dscnt 0x201
	v_fma_f64 v[2:3], v[52:53], v[58:59], 0
	s_wait_loadcnt 0x1
	s_delay_alu instid0(VALU_DEP_1) | instskip(SKIP_1) | instid1(VALU_DEP_1)
	v_fmac_f64_e32 v[2:3], v[54:55], v[60:61]
	s_wait_dscnt 0x0
	v_fmac_f64_e32 v[2:3], v[56:57], v[62:63]
	s_wait_loadcnt 0x0
	s_delay_alu instid0(VALU_DEP_1) | instskip(NEXT) | instid1(VALU_DEP_1)
	v_fmac_f64_e32 v[2:3], v[66:67], v[64:65]
	v_add_f64_e64 v[2:3], v[50:51], -v[2:3]
	scratch_store_b64 off, v[2:3], off offset:144
	s_wait_xcnt 0x0
	v_cmpx_lt_u32_e32 17, v0
	s_cbranch_execz .LBB86_113
; %bb.112:
	scratch_load_b64 v[2:3], off, off offset:136
	v_mov_b64_e32 v[50:51], 0
	scratch_store_b64 off, v[50:51], off offset:136
	s_wait_loadcnt 0x0
	ds_store_b64 v1, v[2:3]
.LBB86_113:
	s_wait_xcnt 0x0
	s_or_b32 exec_lo, exec_lo, s0
	s_wait_storecnt_dscnt 0x0
	s_barrier_signal -1
	s_barrier_wait -1
	s_clause 0x2
	scratch_load_b128 v[50:53], off, off offset:136
	scratch_load_b128 v[54:57], off, off offset:152
	;; [unrolled: 1-line block ×3, first 2 shown]
	v_mov_b32_e32 v2, 0
	ds_load_b128 v[62:65], v2 offset:336
	ds_load_b128 v[66:69], v2 offset:352
	s_mov_b32 s0, exec_lo
	s_wait_loadcnt_dscnt 0x201
	v_fma_f64 v[52:53], v[52:53], v[62:63], 0
	s_wait_loadcnt 0x1
	s_delay_alu instid0(VALU_DEP_1) | instskip(SKIP_4) | instid1(VALU_DEP_1)
	v_fmac_f64_e32 v[52:53], v[54:55], v[64:65]
	ds_load_b64 v[54:55], v2 offset:368
	s_wait_dscnt 0x1
	v_fmac_f64_e32 v[52:53], v[56:57], v[66:67]
	s_wait_loadcnt 0x0
	v_fmac_f64_e32 v[52:53], v[58:59], v[68:69]
	s_wait_dscnt 0x0
	s_delay_alu instid0(VALU_DEP_1) | instskip(NEXT) | instid1(VALU_DEP_1)
	v_fmac_f64_e32 v[52:53], v[60:61], v[54:55]
	v_add_f64_e64 v[50:51], v[50:51], -v[52:53]
	scratch_store_b64 off, v[50:51], off offset:136
	s_wait_xcnt 0x0
	v_cmpx_lt_u32_e32 16, v0
	s_cbranch_execz .LBB86_115
; %bb.114:
	scratch_load_b64 v[50:51], off, off offset:128
	v_mov_b64_e32 v[52:53], 0
	scratch_store_b64 off, v[52:53], off offset:128
	s_wait_loadcnt 0x0
	ds_store_b64 v1, v[50:51]
.LBB86_115:
	s_wait_xcnt 0x0
	s_or_b32 exec_lo, exec_lo, s0
	s_wait_storecnt_dscnt 0x0
	s_barrier_signal -1
	s_barrier_wait -1
	s_clause 0x3
	scratch_load_b128 v[50:53], off, off offset:128
	scratch_load_b128 v[54:57], off, off offset:144
	;; [unrolled: 1-line block ×3, first 2 shown]
	scratch_load_b64 v[70:71], off, off offset:176
	ds_load_2addr_b64 v[62:65], v2 offset0:41 offset1:42
	ds_load_2addr_b64 v[66:69], v2 offset0:43 offset1:44
	s_mov_b32 s0, exec_lo
	s_wait_loadcnt_dscnt 0x301
	v_fma_f64 v[62:63], v[52:53], v[62:63], 0
	s_wait_loadcnt 0x2
	s_delay_alu instid0(VALU_DEP_1) | instskip(SKIP_4) | instid1(VALU_DEP_1)
	v_fmac_f64_e32 v[62:63], v[54:55], v[64:65]
	ds_load_2addr_b64 v[52:55], v2 offset0:45 offset1:46
	s_wait_dscnt 0x1
	v_fmac_f64_e32 v[62:63], v[56:57], v[66:67]
	s_wait_loadcnt 0x1
	v_fmac_f64_e32 v[62:63], v[58:59], v[68:69]
	s_wait_dscnt 0x0
	s_delay_alu instid0(VALU_DEP_1) | instskip(SKIP_1) | instid1(VALU_DEP_1)
	v_fmac_f64_e32 v[62:63], v[60:61], v[52:53]
	s_wait_loadcnt 0x0
	v_fmac_f64_e32 v[62:63], v[70:71], v[54:55]
	s_delay_alu instid0(VALU_DEP_1)
	v_add_f64_e64 v[2:3], v[50:51], -v[62:63]
	scratch_store_b64 off, v[2:3], off offset:128
	s_wait_xcnt 0x0
	v_cmpx_lt_u32_e32 15, v0
	s_cbranch_execz .LBB86_117
; %bb.116:
	scratch_load_b64 v[2:3], off, off offset:120
	v_mov_b64_e32 v[50:51], 0
	scratch_store_b64 off, v[50:51], off offset:120
	s_wait_loadcnt 0x0
	ds_store_b64 v1, v[2:3]
.LBB86_117:
	s_wait_xcnt 0x0
	s_or_b32 exec_lo, exec_lo, s0
	s_wait_storecnt_dscnt 0x0
	s_barrier_signal -1
	s_barrier_wait -1
	s_clause 0x3
	scratch_load_b128 v[50:53], off, off offset:120
	scratch_load_b128 v[54:57], off, off offset:136
	;; [unrolled: 1-line block ×4, first 2 shown]
	v_mov_b32_e32 v2, 0
	ds_load_b128 v[66:69], v2 offset:320
	ds_load_b128 v[70:73], v2 offset:336
	s_mov_b32 s0, exec_lo
	s_wait_loadcnt_dscnt 0x301
	v_fma_f64 v[66:67], v[52:53], v[66:67], 0
	s_wait_loadcnt 0x2
	s_delay_alu instid0(VALU_DEP_1) | instskip(SKIP_1) | instid1(VALU_DEP_1)
	v_fmac_f64_e32 v[66:67], v[54:55], v[68:69]
	s_wait_dscnt 0x0
	v_fmac_f64_e32 v[66:67], v[56:57], v[70:71]
	ds_load_b128 v[52:55], v2 offset:352
	ds_load_b64 v[56:57], v2 offset:368
	s_wait_loadcnt 0x1
	v_fmac_f64_e32 v[66:67], v[58:59], v[72:73]
	s_wait_dscnt 0x1
	s_delay_alu instid0(VALU_DEP_1) | instskip(SKIP_1) | instid1(VALU_DEP_1)
	v_fmac_f64_e32 v[66:67], v[60:61], v[52:53]
	s_wait_loadcnt 0x0
	v_fmac_f64_e32 v[66:67], v[62:63], v[54:55]
	s_wait_dscnt 0x0
	s_delay_alu instid0(VALU_DEP_1) | instskip(NEXT) | instid1(VALU_DEP_1)
	v_fmac_f64_e32 v[66:67], v[64:65], v[56:57]
	v_add_f64_e64 v[50:51], v[50:51], -v[66:67]
	scratch_store_b64 off, v[50:51], off offset:120
	s_wait_xcnt 0x0
	v_cmpx_lt_u32_e32 14, v0
	s_cbranch_execz .LBB86_119
; %bb.118:
	scratch_load_b64 v[50:51], off, off offset:112
	v_mov_b64_e32 v[52:53], 0
	scratch_store_b64 off, v[52:53], off offset:112
	s_wait_loadcnt 0x0
	ds_store_b64 v1, v[50:51]
.LBB86_119:
	s_wait_xcnt 0x0
	s_or_b32 exec_lo, exec_lo, s0
	s_wait_storecnt_dscnt 0x0
	s_barrier_signal -1
	s_barrier_wait -1
	s_clause 0x4
	scratch_load_b128 v[50:53], off, off offset:112
	scratch_load_b128 v[54:57], off, off offset:128
	;; [unrolled: 1-line block ×4, first 2 shown]
	scratch_load_b64 v[74:75], off, off offset:176
	ds_load_2addr_b64 v[66:69], v2 offset0:39 offset1:40
	ds_load_2addr_b64 v[70:73], v2 offset0:41 offset1:42
	s_mov_b32 s0, exec_lo
	s_wait_loadcnt_dscnt 0x401
	v_fma_f64 v[66:67], v[52:53], v[66:67], 0
	s_wait_loadcnt 0x3
	s_delay_alu instid0(VALU_DEP_1) | instskip(SKIP_1) | instid1(VALU_DEP_1)
	v_fmac_f64_e32 v[66:67], v[54:55], v[68:69]
	s_wait_dscnt 0x0
	v_fmac_f64_e32 v[66:67], v[56:57], v[70:71]
	s_wait_loadcnt 0x2
	s_delay_alu instid0(VALU_DEP_1)
	v_fmac_f64_e32 v[66:67], v[58:59], v[72:73]
	ds_load_2addr_b64 v[52:55], v2 offset0:43 offset1:44
	ds_load_2addr_b64 v[56:59], v2 offset0:45 offset1:46
	s_wait_dscnt 0x1
	v_fmac_f64_e32 v[66:67], v[60:61], v[52:53]
	s_wait_loadcnt 0x1
	s_delay_alu instid0(VALU_DEP_1) | instskip(SKIP_1) | instid1(VALU_DEP_1)
	v_fmac_f64_e32 v[66:67], v[62:63], v[54:55]
	s_wait_dscnt 0x0
	v_fmac_f64_e32 v[66:67], v[64:65], v[56:57]
	s_wait_loadcnt 0x0
	s_delay_alu instid0(VALU_DEP_1) | instskip(NEXT) | instid1(VALU_DEP_1)
	v_fmac_f64_e32 v[66:67], v[74:75], v[58:59]
	v_add_f64_e64 v[2:3], v[50:51], -v[66:67]
	scratch_store_b64 off, v[2:3], off offset:112
	s_wait_xcnt 0x0
	v_cmpx_lt_u32_e32 13, v0
	s_cbranch_execz .LBB86_121
; %bb.120:
	scratch_load_b64 v[2:3], off, off offset:104
	v_mov_b64_e32 v[50:51], 0
	scratch_store_b64 off, v[50:51], off offset:104
	s_wait_loadcnt 0x0
	ds_store_b64 v1, v[2:3]
.LBB86_121:
	s_wait_xcnt 0x0
	s_or_b32 exec_lo, exec_lo, s0
	s_wait_storecnt_dscnt 0x0
	s_barrier_signal -1
	s_barrier_wait -1
	s_clause 0x4
	scratch_load_b128 v[50:53], off, off offset:104
	scratch_load_b128 v[54:57], off, off offset:120
	;; [unrolled: 1-line block ×5, first 2 shown]
	v_mov_b32_e32 v2, 0
	ds_load_b128 v[70:73], v2 offset:304
	ds_load_b128 v[74:77], v2 offset:320
	s_mov_b32 s0, exec_lo
	s_wait_loadcnt_dscnt 0x401
	v_fma_f64 v[70:71], v[52:53], v[70:71], 0
	s_wait_loadcnt 0x3
	s_delay_alu instid0(VALU_DEP_1) | instskip(SKIP_1) | instid1(VALU_DEP_1)
	v_fmac_f64_e32 v[70:71], v[54:55], v[72:73]
	s_wait_dscnt 0x0
	v_fmac_f64_e32 v[70:71], v[56:57], v[74:75]
	s_wait_loadcnt 0x2
	s_delay_alu instid0(VALU_DEP_1)
	v_fmac_f64_e32 v[70:71], v[58:59], v[76:77]
	ds_load_b128 v[52:55], v2 offset:336
	ds_load_b128 v[56:59], v2 offset:352
	s_wait_dscnt 0x1
	v_fmac_f64_e32 v[70:71], v[60:61], v[52:53]
	ds_load_b64 v[52:53], v2 offset:368
	s_wait_loadcnt 0x1
	v_fmac_f64_e32 v[70:71], v[62:63], v[54:55]
	s_wait_dscnt 0x1
	s_delay_alu instid0(VALU_DEP_1) | instskip(SKIP_1) | instid1(VALU_DEP_1)
	v_fmac_f64_e32 v[70:71], v[64:65], v[56:57]
	s_wait_loadcnt 0x0
	v_fmac_f64_e32 v[70:71], v[66:67], v[58:59]
	s_wait_dscnt 0x0
	s_delay_alu instid0(VALU_DEP_1) | instskip(NEXT) | instid1(VALU_DEP_1)
	v_fmac_f64_e32 v[70:71], v[68:69], v[52:53]
	v_add_f64_e64 v[50:51], v[50:51], -v[70:71]
	scratch_store_b64 off, v[50:51], off offset:104
	s_wait_xcnt 0x0
	v_cmpx_lt_u32_e32 12, v0
	s_cbranch_execz .LBB86_123
; %bb.122:
	scratch_load_b64 v[50:51], off, off offset:96
	v_mov_b64_e32 v[52:53], 0
	scratch_store_b64 off, v[52:53], off offset:96
	s_wait_loadcnt 0x0
	ds_store_b64 v1, v[50:51]
.LBB86_123:
	s_wait_xcnt 0x0
	s_or_b32 exec_lo, exec_lo, s0
	s_wait_storecnt_dscnt 0x0
	s_barrier_signal -1
	s_barrier_wait -1
	s_clause 0x5
	scratch_load_b128 v[50:53], off, off offset:96
	scratch_load_b128 v[54:57], off, off offset:112
	;; [unrolled: 1-line block ×5, first 2 shown]
	scratch_load_b64 v[78:79], off, off offset:176
	ds_load_2addr_b64 v[70:73], v2 offset0:37 offset1:38
	ds_load_2addr_b64 v[74:77], v2 offset0:39 offset1:40
	s_mov_b32 s0, exec_lo
	s_wait_loadcnt_dscnt 0x501
	v_fma_f64 v[70:71], v[52:53], v[70:71], 0
	s_wait_loadcnt 0x4
	s_delay_alu instid0(VALU_DEP_1) | instskip(SKIP_1) | instid1(VALU_DEP_1)
	v_fmac_f64_e32 v[70:71], v[54:55], v[72:73]
	s_wait_dscnt 0x0
	v_fmac_f64_e32 v[70:71], v[56:57], v[74:75]
	s_wait_loadcnt 0x3
	s_delay_alu instid0(VALU_DEP_1)
	v_fmac_f64_e32 v[70:71], v[58:59], v[76:77]
	ds_load_2addr_b64 v[52:55], v2 offset0:41 offset1:42
	ds_load_2addr_b64 v[56:59], v2 offset0:43 offset1:44
	s_wait_dscnt 0x1
	v_fmac_f64_e32 v[70:71], v[60:61], v[52:53]
	s_wait_loadcnt 0x2
	s_delay_alu instid0(VALU_DEP_1) | instskip(SKIP_4) | instid1(VALU_DEP_1)
	v_fmac_f64_e32 v[70:71], v[62:63], v[54:55]
	ds_load_2addr_b64 v[52:55], v2 offset0:45 offset1:46
	s_wait_dscnt 0x1
	v_fmac_f64_e32 v[70:71], v[64:65], v[56:57]
	s_wait_loadcnt 0x1
	v_fmac_f64_e32 v[70:71], v[66:67], v[58:59]
	s_wait_dscnt 0x0
	s_delay_alu instid0(VALU_DEP_1) | instskip(SKIP_1) | instid1(VALU_DEP_1)
	v_fmac_f64_e32 v[70:71], v[68:69], v[52:53]
	s_wait_loadcnt 0x0
	v_fmac_f64_e32 v[70:71], v[78:79], v[54:55]
	s_delay_alu instid0(VALU_DEP_1)
	v_add_f64_e64 v[2:3], v[50:51], -v[70:71]
	scratch_store_b64 off, v[2:3], off offset:96
	s_wait_xcnt 0x0
	v_cmpx_lt_u32_e32 11, v0
	s_cbranch_execz .LBB86_125
; %bb.124:
	scratch_load_b64 v[2:3], off, off offset:88
	v_mov_b64_e32 v[50:51], 0
	scratch_store_b64 off, v[50:51], off offset:88
	s_wait_loadcnt 0x0
	ds_store_b64 v1, v[2:3]
.LBB86_125:
	s_wait_xcnt 0x0
	s_or_b32 exec_lo, exec_lo, s0
	s_wait_storecnt_dscnt 0x0
	s_barrier_signal -1
	s_barrier_wait -1
	s_clause 0x5
	scratch_load_b128 v[50:53], off, off offset:88
	scratch_load_b128 v[54:57], off, off offset:104
	;; [unrolled: 1-line block ×6, first 2 shown]
	v_mov_b32_e32 v2, 0
	ds_load_b128 v[74:77], v2 offset:288
	ds_load_b128 v[78:81], v2 offset:304
	s_mov_b32 s0, exec_lo
	s_wait_loadcnt_dscnt 0x501
	v_fma_f64 v[74:75], v[52:53], v[74:75], 0
	s_wait_loadcnt 0x4
	s_delay_alu instid0(VALU_DEP_1) | instskip(SKIP_1) | instid1(VALU_DEP_1)
	v_fmac_f64_e32 v[74:75], v[54:55], v[76:77]
	s_wait_dscnt 0x0
	v_fmac_f64_e32 v[74:75], v[56:57], v[78:79]
	s_wait_loadcnt 0x3
	s_delay_alu instid0(VALU_DEP_1)
	v_fmac_f64_e32 v[74:75], v[58:59], v[80:81]
	ds_load_b128 v[52:55], v2 offset:320
	ds_load_b128 v[56:59], v2 offset:336
	s_wait_dscnt 0x1
	v_fmac_f64_e32 v[74:75], v[60:61], v[52:53]
	s_wait_loadcnt 0x2
	s_delay_alu instid0(VALU_DEP_1) | instskip(SKIP_1) | instid1(VALU_DEP_1)
	v_fmac_f64_e32 v[74:75], v[62:63], v[54:55]
	s_wait_dscnt 0x0
	v_fmac_f64_e32 v[74:75], v[64:65], v[56:57]
	ds_load_b128 v[52:55], v2 offset:352
	ds_load_b64 v[56:57], v2 offset:368
	s_wait_loadcnt 0x1
	v_fmac_f64_e32 v[74:75], v[66:67], v[58:59]
	s_wait_dscnt 0x1
	s_delay_alu instid0(VALU_DEP_1) | instskip(SKIP_1) | instid1(VALU_DEP_1)
	v_fmac_f64_e32 v[74:75], v[68:69], v[52:53]
	s_wait_loadcnt 0x0
	v_fmac_f64_e32 v[74:75], v[70:71], v[54:55]
	s_wait_dscnt 0x0
	s_delay_alu instid0(VALU_DEP_1) | instskip(NEXT) | instid1(VALU_DEP_1)
	v_fmac_f64_e32 v[74:75], v[72:73], v[56:57]
	v_add_f64_e64 v[50:51], v[50:51], -v[74:75]
	scratch_store_b64 off, v[50:51], off offset:88
	s_wait_xcnt 0x0
	v_cmpx_lt_u32_e32 10, v0
	s_cbranch_execz .LBB86_127
; %bb.126:
	scratch_load_b64 v[50:51], off, off offset:80
	v_mov_b64_e32 v[52:53], 0
	scratch_store_b64 off, v[52:53], off offset:80
	s_wait_loadcnt 0x0
	ds_store_b64 v1, v[50:51]
.LBB86_127:
	s_wait_xcnt 0x0
	s_or_b32 exec_lo, exec_lo, s0
	s_wait_storecnt_dscnt 0x0
	s_barrier_signal -1
	s_barrier_wait -1
	s_clause 0x5
	scratch_load_b128 v[50:53], off, off offset:80
	scratch_load_b128 v[54:57], off, off offset:96
	;; [unrolled: 1-line block ×6, first 2 shown]
	ds_load_2addr_b64 v[74:77], v2 offset0:35 offset1:36
	ds_load_2addr_b64 v[78:81], v2 offset0:37 offset1:38
	s_mov_b32 s0, exec_lo
	s_wait_loadcnt_dscnt 0x501
	v_fma_f64 v[74:75], v[52:53], v[74:75], 0
	s_wait_loadcnt 0x4
	s_delay_alu instid0(VALU_DEP_1) | instskip(SKIP_4) | instid1(VALU_DEP_1)
	v_fmac_f64_e32 v[74:75], v[54:55], v[76:77]
	scratch_load_b64 v[76:77], off, off offset:176
	s_wait_dscnt 0x0
	v_fmac_f64_e32 v[74:75], v[56:57], v[78:79]
	s_wait_loadcnt 0x4
	v_fmac_f64_e32 v[74:75], v[58:59], v[80:81]
	ds_load_2addr_b64 v[52:55], v2 offset0:39 offset1:40
	ds_load_2addr_b64 v[56:59], v2 offset0:41 offset1:42
	s_wait_dscnt 0x1
	v_fmac_f64_e32 v[74:75], v[60:61], v[52:53]
	s_wait_loadcnt 0x3
	s_delay_alu instid0(VALU_DEP_1) | instskip(SKIP_1) | instid1(VALU_DEP_1)
	v_fmac_f64_e32 v[74:75], v[62:63], v[54:55]
	s_wait_dscnt 0x0
	v_fmac_f64_e32 v[74:75], v[64:65], v[56:57]
	s_wait_loadcnt 0x2
	s_delay_alu instid0(VALU_DEP_1)
	v_fmac_f64_e32 v[74:75], v[66:67], v[58:59]
	ds_load_2addr_b64 v[52:55], v2 offset0:43 offset1:44
	ds_load_2addr_b64 v[56:59], v2 offset0:45 offset1:46
	s_wait_dscnt 0x1
	v_fmac_f64_e32 v[74:75], v[68:69], v[52:53]
	s_wait_loadcnt 0x1
	s_delay_alu instid0(VALU_DEP_1) | instskip(SKIP_1) | instid1(VALU_DEP_1)
	v_fmac_f64_e32 v[74:75], v[70:71], v[54:55]
	s_wait_dscnt 0x0
	v_fmac_f64_e32 v[74:75], v[72:73], v[56:57]
	s_wait_loadcnt 0x0
	s_delay_alu instid0(VALU_DEP_1) | instskip(NEXT) | instid1(VALU_DEP_1)
	v_fmac_f64_e32 v[74:75], v[76:77], v[58:59]
	v_add_f64_e64 v[2:3], v[50:51], -v[74:75]
	scratch_store_b64 off, v[2:3], off offset:80
	s_wait_xcnt 0x0
	v_cmpx_lt_u32_e32 9, v0
	s_cbranch_execz .LBB86_129
; %bb.128:
	scratch_load_b64 v[2:3], off, off offset:72
	v_mov_b64_e32 v[50:51], 0
	scratch_store_b64 off, v[50:51], off offset:72
	s_wait_loadcnt 0x0
	ds_store_b64 v1, v[2:3]
.LBB86_129:
	s_wait_xcnt 0x0
	s_or_b32 exec_lo, exec_lo, s0
	s_wait_storecnt_dscnt 0x0
	s_barrier_signal -1
	s_barrier_wait -1
	s_clause 0x5
	scratch_load_b128 v[50:53], off, off offset:72
	scratch_load_b128 v[54:57], off, off offset:88
	;; [unrolled: 1-line block ×6, first 2 shown]
	v_mov_b32_e32 v2, 0
	ds_load_b128 v[74:77], v2 offset:272
	ds_load_b128 v[78:81], v2 offset:288
	s_mov_b32 s0, exec_lo
	s_wait_loadcnt_dscnt 0x501
	v_fma_f64 v[82:83], v[52:53], v[74:75], 0
	s_wait_loadcnt 0x4
	s_delay_alu instid0(VALU_DEP_1) | instskip(SKIP_4) | instid1(VALU_DEP_1)
	v_fmac_f64_e32 v[82:83], v[54:55], v[76:77]
	scratch_load_b128 v[52:55], off, off offset:168
	s_wait_dscnt 0x0
	v_fmac_f64_e32 v[82:83], v[56:57], v[78:79]
	s_wait_loadcnt 0x4
	v_fmac_f64_e32 v[82:83], v[58:59], v[80:81]
	ds_load_b128 v[56:59], v2 offset:304
	ds_load_b128 v[74:77], v2 offset:320
	s_wait_dscnt 0x1
	v_fmac_f64_e32 v[82:83], v[60:61], v[56:57]
	s_wait_loadcnt 0x3
	s_delay_alu instid0(VALU_DEP_1)
	v_fmac_f64_e32 v[82:83], v[62:63], v[58:59]
	ds_load_b128 v[56:59], v2 offset:336
	ds_load_b128 v[60:63], v2 offset:352
	s_wait_dscnt 0x2
	v_fmac_f64_e32 v[82:83], v[64:65], v[74:75]
	s_wait_loadcnt 0x2
	s_delay_alu instid0(VALU_DEP_1) | instskip(SKIP_1) | instid1(VALU_DEP_1)
	v_fmac_f64_e32 v[82:83], v[66:67], v[76:77]
	s_wait_dscnt 0x1
	v_fmac_f64_e32 v[82:83], v[68:69], v[56:57]
	s_wait_loadcnt 0x1
	s_delay_alu instid0(VALU_DEP_1) | instskip(SKIP_1) | instid1(VALU_DEP_1)
	v_fmac_f64_e32 v[82:83], v[70:71], v[58:59]
	s_wait_dscnt 0x0
	v_fmac_f64_e32 v[82:83], v[72:73], v[60:61]
	s_wait_loadcnt 0x0
	s_delay_alu instid0(VALU_DEP_1) | instskip(SKIP_3) | instid1(VALU_DEP_1)
	v_fmac_f64_e32 v[82:83], v[52:53], v[62:63]
	ds_load_b64 v[52:53], v2 offset:368
	s_wait_dscnt 0x0
	v_fmac_f64_e32 v[82:83], v[54:55], v[52:53]
	v_add_f64_e64 v[50:51], v[50:51], -v[82:83]
	scratch_store_b64 off, v[50:51], off offset:72
	s_wait_xcnt 0x0
	v_cmpx_lt_u32_e32 8, v0
	s_cbranch_execz .LBB86_131
; %bb.130:
	scratch_load_b64 v[50:51], off, off offset:64
	v_mov_b64_e32 v[52:53], 0
	scratch_store_b64 off, v[52:53], off offset:64
	s_wait_loadcnt 0x0
	ds_store_b64 v1, v[50:51]
.LBB86_131:
	s_wait_xcnt 0x0
	s_or_b32 exec_lo, exec_lo, s0
	s_wait_storecnt_dscnt 0x0
	s_barrier_signal -1
	s_barrier_wait -1
	s_clause 0x5
	scratch_load_b128 v[50:53], off, off offset:64
	scratch_load_b128 v[54:57], off, off offset:80
	;; [unrolled: 1-line block ×6, first 2 shown]
	ds_load_2addr_b64 v[74:77], v2 offset0:33 offset1:34
	ds_load_2addr_b64 v[78:81], v2 offset0:35 offset1:36
	s_mov_b32 s0, exec_lo
	s_wait_loadcnt_dscnt 0x501
	v_fma_f64 v[82:83], v[52:53], v[74:75], 0
	s_wait_loadcnt 0x4
	s_delay_alu instid0(VALU_DEP_1)
	v_fmac_f64_e32 v[82:83], v[54:55], v[76:77]
	scratch_load_b128 v[52:55], off, off offset:160
	s_wait_dscnt 0x0
	v_fmac_f64_e32 v[82:83], v[56:57], v[78:79]
	scratch_load_b64 v[78:79], off, off offset:176
	s_wait_loadcnt 0x5
	v_fmac_f64_e32 v[82:83], v[58:59], v[80:81]
	ds_load_2addr_b64 v[56:59], v2 offset0:37 offset1:38
	ds_load_2addr_b64 v[74:77], v2 offset0:39 offset1:40
	s_wait_dscnt 0x1
	v_fmac_f64_e32 v[82:83], v[60:61], v[56:57]
	s_wait_loadcnt 0x4
	s_delay_alu instid0(VALU_DEP_1)
	v_fmac_f64_e32 v[82:83], v[62:63], v[58:59]
	ds_load_2addr_b64 v[56:59], v2 offset0:41 offset1:42
	ds_load_2addr_b64 v[60:63], v2 offset0:43 offset1:44
	s_wait_dscnt 0x2
	v_fmac_f64_e32 v[82:83], v[64:65], v[74:75]
	s_wait_loadcnt 0x3
	s_delay_alu instid0(VALU_DEP_1) | instskip(SKIP_1) | instid1(VALU_DEP_1)
	v_fmac_f64_e32 v[82:83], v[66:67], v[76:77]
	s_wait_dscnt 0x1
	v_fmac_f64_e32 v[82:83], v[68:69], v[56:57]
	s_wait_loadcnt 0x2
	s_delay_alu instid0(VALU_DEP_1) | instskip(SKIP_4) | instid1(VALU_DEP_1)
	v_fmac_f64_e32 v[82:83], v[70:71], v[58:59]
	ds_load_2addr_b64 v[56:59], v2 offset0:45 offset1:46
	s_wait_dscnt 0x1
	v_fmac_f64_e32 v[82:83], v[72:73], v[60:61]
	s_wait_loadcnt 0x1
	v_fmac_f64_e32 v[82:83], v[52:53], v[62:63]
	s_wait_dscnt 0x0
	s_delay_alu instid0(VALU_DEP_1) | instskip(SKIP_1) | instid1(VALU_DEP_1)
	v_fmac_f64_e32 v[82:83], v[54:55], v[56:57]
	s_wait_loadcnt 0x0
	v_fmac_f64_e32 v[82:83], v[78:79], v[58:59]
	s_delay_alu instid0(VALU_DEP_1)
	v_add_f64_e64 v[2:3], v[50:51], -v[82:83]
	scratch_store_b64 off, v[2:3], off offset:64
	s_wait_xcnt 0x0
	v_cmpx_lt_u32_e32 7, v0
	s_cbranch_execz .LBB86_133
; %bb.132:
	scratch_load_b64 v[2:3], off, off offset:56
	v_mov_b64_e32 v[50:51], 0
	scratch_store_b64 off, v[50:51], off offset:56
	s_wait_loadcnt 0x0
	ds_store_b64 v1, v[2:3]
.LBB86_133:
	s_wait_xcnt 0x0
	s_or_b32 exec_lo, exec_lo, s0
	s_wait_storecnt_dscnt 0x0
	s_barrier_signal -1
	s_barrier_wait -1
	s_clause 0x5
	scratch_load_b128 v[50:53], off, off offset:56
	scratch_load_b128 v[54:57], off, off offset:72
	;; [unrolled: 1-line block ×6, first 2 shown]
	v_mov_b32_e32 v2, 0
	ds_load_b128 v[74:77], v2 offset:256
	ds_load_b128 v[78:81], v2 offset:272
	s_mov_b32 s0, exec_lo
	s_wait_loadcnt_dscnt 0x501
	v_fma_f64 v[82:83], v[52:53], v[74:75], 0
	s_wait_loadcnt 0x4
	s_delay_alu instid0(VALU_DEP_1) | instskip(SKIP_4) | instid1(VALU_DEP_1)
	v_fmac_f64_e32 v[82:83], v[54:55], v[76:77]
	scratch_load_b128 v[52:55], off, off offset:152
	s_wait_dscnt 0x0
	v_fmac_f64_e32 v[82:83], v[56:57], v[78:79]
	s_wait_loadcnt 0x4
	v_fmac_f64_e32 v[82:83], v[58:59], v[80:81]
	scratch_load_b128 v[56:59], off, off offset:168
	ds_load_b128 v[74:77], v2 offset:288
	ds_load_b128 v[78:81], v2 offset:304
	s_wait_dscnt 0x1
	v_fmac_f64_e32 v[82:83], v[60:61], v[74:75]
	s_wait_loadcnt 0x4
	s_delay_alu instid0(VALU_DEP_1) | instskip(SKIP_1) | instid1(VALU_DEP_1)
	v_fmac_f64_e32 v[82:83], v[62:63], v[76:77]
	s_wait_dscnt 0x0
	v_fmac_f64_e32 v[82:83], v[64:65], v[78:79]
	s_wait_loadcnt 0x3
	s_delay_alu instid0(VALU_DEP_1)
	v_fmac_f64_e32 v[82:83], v[66:67], v[80:81]
	ds_load_b128 v[60:63], v2 offset:320
	ds_load_b128 v[64:67], v2 offset:336
	s_wait_dscnt 0x1
	v_fmac_f64_e32 v[82:83], v[68:69], v[60:61]
	s_wait_loadcnt 0x2
	s_delay_alu instid0(VALU_DEP_1) | instskip(SKIP_1) | instid1(VALU_DEP_1)
	v_fmac_f64_e32 v[82:83], v[70:71], v[62:63]
	s_wait_dscnt 0x0
	v_fmac_f64_e32 v[82:83], v[72:73], v[64:65]
	s_wait_loadcnt 0x1
	s_delay_alu instid0(VALU_DEP_1)
	v_fmac_f64_e32 v[82:83], v[52:53], v[66:67]
	ds_load_b128 v[60:63], v2 offset:352
	ds_load_b64 v[52:53], v2 offset:368
	s_wait_dscnt 0x1
	v_fmac_f64_e32 v[82:83], v[54:55], v[60:61]
	s_wait_loadcnt 0x0
	s_delay_alu instid0(VALU_DEP_1) | instskip(SKIP_1) | instid1(VALU_DEP_1)
	v_fmac_f64_e32 v[82:83], v[56:57], v[62:63]
	s_wait_dscnt 0x0
	v_fmac_f64_e32 v[82:83], v[58:59], v[52:53]
	s_delay_alu instid0(VALU_DEP_1)
	v_add_f64_e64 v[50:51], v[50:51], -v[82:83]
	scratch_store_b64 off, v[50:51], off offset:56
	s_wait_xcnt 0x0
	v_cmpx_lt_u32_e32 6, v0
	s_cbranch_execz .LBB86_135
; %bb.134:
	scratch_load_b64 v[50:51], off, off offset:48
	v_mov_b64_e32 v[52:53], 0
	scratch_store_b64 off, v[52:53], off offset:48
	s_wait_loadcnt 0x0
	ds_store_b64 v1, v[50:51]
.LBB86_135:
	s_wait_xcnt 0x0
	s_or_b32 exec_lo, exec_lo, s0
	s_wait_storecnt_dscnt 0x0
	s_barrier_signal -1
	s_barrier_wait -1
	s_clause 0x5
	scratch_load_b128 v[50:53], off, off offset:48
	scratch_load_b128 v[54:57], off, off offset:64
	;; [unrolled: 1-line block ×6, first 2 shown]
	ds_load_2addr_b64 v[74:77], v2 offset0:31 offset1:32
	ds_load_2addr_b64 v[78:81], v2 offset0:33 offset1:34
	s_mov_b32 s0, exec_lo
	s_wait_loadcnt_dscnt 0x501
	v_fma_f64 v[82:83], v[52:53], v[74:75], 0
	s_wait_loadcnt 0x4
	s_delay_alu instid0(VALU_DEP_1) | instskip(SKIP_4) | instid1(VALU_DEP_1)
	v_fmac_f64_e32 v[82:83], v[54:55], v[76:77]
	scratch_load_b128 v[52:55], off, off offset:144
	s_wait_dscnt 0x0
	v_fmac_f64_e32 v[82:83], v[56:57], v[78:79]
	s_wait_loadcnt 0x4
	v_fmac_f64_e32 v[82:83], v[58:59], v[80:81]
	scratch_load_b128 v[56:59], off, off offset:160
	ds_load_2addr_b64 v[74:77], v2 offset0:35 offset1:36
	ds_load_2addr_b64 v[78:81], v2 offset0:37 offset1:38
	s_wait_dscnt 0x1
	v_fmac_f64_e32 v[82:83], v[60:61], v[74:75]
	scratch_load_b64 v[74:75], off, off offset:176
	s_wait_loadcnt 0x5
	v_fmac_f64_e32 v[82:83], v[62:63], v[76:77]
	s_wait_dscnt 0x0
	s_delay_alu instid0(VALU_DEP_1) | instskip(SKIP_1) | instid1(VALU_DEP_1)
	v_fmac_f64_e32 v[82:83], v[64:65], v[78:79]
	s_wait_loadcnt 0x4
	v_fmac_f64_e32 v[82:83], v[66:67], v[80:81]
	ds_load_2addr_b64 v[60:63], v2 offset0:39 offset1:40
	ds_load_2addr_b64 v[64:67], v2 offset0:41 offset1:42
	s_wait_dscnt 0x1
	v_fmac_f64_e32 v[82:83], v[68:69], v[60:61]
	s_wait_loadcnt 0x3
	s_delay_alu instid0(VALU_DEP_1) | instskip(SKIP_1) | instid1(VALU_DEP_1)
	v_fmac_f64_e32 v[82:83], v[70:71], v[62:63]
	s_wait_dscnt 0x0
	v_fmac_f64_e32 v[82:83], v[72:73], v[64:65]
	s_wait_loadcnt 0x2
	s_delay_alu instid0(VALU_DEP_1)
	v_fmac_f64_e32 v[82:83], v[52:53], v[66:67]
	ds_load_2addr_b64 v[60:63], v2 offset0:43 offset1:44
	ds_load_2addr_b64 v[64:67], v2 offset0:45 offset1:46
	s_wait_dscnt 0x1
	v_fmac_f64_e32 v[82:83], v[54:55], v[60:61]
	s_wait_loadcnt 0x1
	s_delay_alu instid0(VALU_DEP_1) | instskip(SKIP_1) | instid1(VALU_DEP_1)
	v_fmac_f64_e32 v[82:83], v[56:57], v[62:63]
	s_wait_dscnt 0x0
	v_fmac_f64_e32 v[82:83], v[58:59], v[64:65]
	s_wait_loadcnt 0x0
	s_delay_alu instid0(VALU_DEP_1) | instskip(NEXT) | instid1(VALU_DEP_1)
	v_fmac_f64_e32 v[82:83], v[74:75], v[66:67]
	v_add_f64_e64 v[2:3], v[50:51], -v[82:83]
	scratch_store_b64 off, v[2:3], off offset:48
	s_wait_xcnt 0x0
	v_cmpx_lt_u32_e32 5, v0
	s_cbranch_execz .LBB86_137
; %bb.136:
	scratch_load_b64 v[2:3], off, off offset:40
	v_mov_b64_e32 v[50:51], 0
	scratch_store_b64 off, v[50:51], off offset:40
	s_wait_loadcnt 0x0
	ds_store_b64 v1, v[2:3]
.LBB86_137:
	s_wait_xcnt 0x0
	s_or_b32 exec_lo, exec_lo, s0
	s_wait_storecnt_dscnt 0x0
	s_barrier_signal -1
	s_barrier_wait -1
	s_clause 0x5
	scratch_load_b128 v[50:53], off, off offset:40
	scratch_load_b128 v[54:57], off, off offset:56
	;; [unrolled: 1-line block ×6, first 2 shown]
	v_mov_b32_e32 v2, 0
	ds_load_b128 v[74:77], v2 offset:240
	ds_load_b128 v[78:81], v2 offset:256
	s_mov_b32 s0, exec_lo
	s_wait_loadcnt_dscnt 0x501
	v_fma_f64 v[82:83], v[52:53], v[74:75], 0
	s_wait_loadcnt 0x4
	s_delay_alu instid0(VALU_DEP_1) | instskip(SKIP_4) | instid1(VALU_DEP_1)
	v_fmac_f64_e32 v[82:83], v[54:55], v[76:77]
	scratch_load_b128 v[52:55], off, off offset:136
	s_wait_dscnt 0x0
	v_fmac_f64_e32 v[82:83], v[56:57], v[78:79]
	s_wait_loadcnt 0x4
	v_fmac_f64_e32 v[82:83], v[58:59], v[80:81]
	scratch_load_b128 v[56:59], off, off offset:152
	ds_load_b128 v[74:77], v2 offset:272
	ds_load_b128 v[78:81], v2 offset:288
	s_wait_dscnt 0x1
	v_fmac_f64_e32 v[82:83], v[60:61], v[74:75]
	s_wait_loadcnt 0x4
	s_delay_alu instid0(VALU_DEP_1) | instskip(SKIP_4) | instid1(VALU_DEP_1)
	v_fmac_f64_e32 v[82:83], v[62:63], v[76:77]
	scratch_load_b128 v[60:63], off, off offset:168
	s_wait_dscnt 0x0
	v_fmac_f64_e32 v[82:83], v[64:65], v[78:79]
	s_wait_loadcnt 0x4
	v_fmac_f64_e32 v[82:83], v[66:67], v[80:81]
	ds_load_b128 v[64:67], v2 offset:304
	ds_load_b128 v[74:77], v2 offset:320
	s_wait_dscnt 0x1
	v_fmac_f64_e32 v[82:83], v[68:69], v[64:65]
	s_wait_loadcnt 0x3
	s_delay_alu instid0(VALU_DEP_1)
	v_fmac_f64_e32 v[82:83], v[70:71], v[66:67]
	ds_load_b128 v[64:67], v2 offset:336
	ds_load_b128 v[68:71], v2 offset:352
	s_wait_dscnt 0x2
	v_fmac_f64_e32 v[82:83], v[72:73], v[74:75]
	s_wait_loadcnt 0x2
	s_delay_alu instid0(VALU_DEP_1) | instskip(SKIP_4) | instid1(VALU_DEP_1)
	v_fmac_f64_e32 v[82:83], v[52:53], v[76:77]
	ds_load_b64 v[52:53], v2 offset:368
	s_wait_dscnt 0x2
	v_fmac_f64_e32 v[82:83], v[54:55], v[64:65]
	s_wait_loadcnt 0x1
	v_fmac_f64_e32 v[82:83], v[56:57], v[66:67]
	s_wait_dscnt 0x1
	s_delay_alu instid0(VALU_DEP_1) | instskip(SKIP_1) | instid1(VALU_DEP_1)
	v_fmac_f64_e32 v[82:83], v[58:59], v[68:69]
	s_wait_loadcnt 0x0
	v_fmac_f64_e32 v[82:83], v[60:61], v[70:71]
	s_wait_dscnt 0x0
	s_delay_alu instid0(VALU_DEP_1) | instskip(NEXT) | instid1(VALU_DEP_1)
	v_fmac_f64_e32 v[82:83], v[62:63], v[52:53]
	v_add_f64_e64 v[50:51], v[50:51], -v[82:83]
	scratch_store_b64 off, v[50:51], off offset:40
	s_wait_xcnt 0x0
	v_cmpx_lt_u32_e32 4, v0
	s_cbranch_execz .LBB86_139
; %bb.138:
	scratch_load_b64 v[50:51], off, off offset:32
	v_mov_b64_e32 v[52:53], 0
	scratch_store_b64 off, v[52:53], off offset:32
	s_wait_loadcnt 0x0
	ds_store_b64 v1, v[50:51]
.LBB86_139:
	s_wait_xcnt 0x0
	s_or_b32 exec_lo, exec_lo, s0
	s_wait_storecnt_dscnt 0x0
	s_barrier_signal -1
	s_barrier_wait -1
	s_clause 0x5
	scratch_load_b128 v[50:53], off, off offset:32
	scratch_load_b128 v[54:57], off, off offset:48
	scratch_load_b128 v[58:61], off, off offset:64
	scratch_load_b128 v[62:65], off, off offset:80
	scratch_load_b128 v[66:69], off, off offset:96
	scratch_load_b128 v[70:73], off, off offset:112
	ds_load_2addr_b64 v[74:77], v2 offset0:29 offset1:30
	ds_load_2addr_b64 v[78:81], v2 offset0:31 offset1:32
	s_mov_b32 s0, exec_lo
	s_wait_loadcnt_dscnt 0x501
	v_fma_f64 v[82:83], v[52:53], v[74:75], 0
	s_wait_loadcnt 0x4
	s_delay_alu instid0(VALU_DEP_1) | instskip(SKIP_4) | instid1(VALU_DEP_1)
	v_fmac_f64_e32 v[82:83], v[54:55], v[76:77]
	scratch_load_b128 v[52:55], off, off offset:128
	s_wait_dscnt 0x0
	v_fmac_f64_e32 v[82:83], v[56:57], v[78:79]
	s_wait_loadcnt 0x4
	v_fmac_f64_e32 v[82:83], v[58:59], v[80:81]
	scratch_load_b128 v[56:59], off, off offset:144
	ds_load_2addr_b64 v[74:77], v2 offset0:33 offset1:34
	ds_load_2addr_b64 v[78:81], v2 offset0:35 offset1:36
	s_wait_dscnt 0x1
	v_fmac_f64_e32 v[82:83], v[60:61], v[74:75]
	s_wait_loadcnt 0x4
	s_delay_alu instid0(VALU_DEP_1)
	v_fmac_f64_e32 v[82:83], v[62:63], v[76:77]
	scratch_load_b128 v[60:63], off, off offset:160
	s_wait_dscnt 0x0
	v_fmac_f64_e32 v[82:83], v[64:65], v[78:79]
	scratch_load_b64 v[78:79], off, off offset:176
	s_wait_loadcnt 0x5
	v_fmac_f64_e32 v[82:83], v[66:67], v[80:81]
	ds_load_2addr_b64 v[64:67], v2 offset0:37 offset1:38
	ds_load_2addr_b64 v[74:77], v2 offset0:39 offset1:40
	s_wait_dscnt 0x1
	v_fmac_f64_e32 v[82:83], v[68:69], v[64:65]
	s_wait_loadcnt 0x4
	s_delay_alu instid0(VALU_DEP_1)
	v_fmac_f64_e32 v[82:83], v[70:71], v[66:67]
	ds_load_2addr_b64 v[64:67], v2 offset0:41 offset1:42
	ds_load_2addr_b64 v[68:71], v2 offset0:43 offset1:44
	s_wait_dscnt 0x2
	v_fmac_f64_e32 v[82:83], v[72:73], v[74:75]
	s_wait_loadcnt 0x3
	s_delay_alu instid0(VALU_DEP_1) | instskip(SKIP_1) | instid1(VALU_DEP_1)
	v_fmac_f64_e32 v[82:83], v[52:53], v[76:77]
	s_wait_dscnt 0x1
	v_fmac_f64_e32 v[82:83], v[54:55], v[64:65]
	ds_load_2addr_b64 v[52:55], v2 offset0:45 offset1:46
	s_wait_loadcnt 0x2
	v_fmac_f64_e32 v[82:83], v[56:57], v[66:67]
	s_wait_dscnt 0x1
	s_delay_alu instid0(VALU_DEP_1) | instskip(SKIP_1) | instid1(VALU_DEP_1)
	v_fmac_f64_e32 v[82:83], v[58:59], v[68:69]
	s_wait_loadcnt 0x1
	v_fmac_f64_e32 v[82:83], v[60:61], v[70:71]
	s_wait_dscnt 0x0
	s_delay_alu instid0(VALU_DEP_1) | instskip(SKIP_1) | instid1(VALU_DEP_1)
	v_fmac_f64_e32 v[82:83], v[62:63], v[52:53]
	s_wait_loadcnt 0x0
	v_fmac_f64_e32 v[82:83], v[78:79], v[54:55]
	s_delay_alu instid0(VALU_DEP_1)
	v_add_f64_e64 v[2:3], v[50:51], -v[82:83]
	scratch_store_b64 off, v[2:3], off offset:32
	s_wait_xcnt 0x0
	v_cmpx_lt_u32_e32 3, v0
	s_cbranch_execz .LBB86_141
; %bb.140:
	scratch_load_b64 v[2:3], off, off offset:24
	v_mov_b64_e32 v[50:51], 0
	scratch_store_b64 off, v[50:51], off offset:24
	s_wait_loadcnt 0x0
	ds_store_b64 v1, v[2:3]
.LBB86_141:
	s_wait_xcnt 0x0
	s_or_b32 exec_lo, exec_lo, s0
	s_wait_storecnt_dscnt 0x0
	s_barrier_signal -1
	s_barrier_wait -1
	s_clause 0x5
	scratch_load_b128 v[50:53], off, off offset:24
	scratch_load_b128 v[54:57], off, off offset:40
	;; [unrolled: 1-line block ×6, first 2 shown]
	v_mov_b32_e32 v2, 0
	ds_load_b128 v[74:77], v2 offset:224
	ds_load_b128 v[78:81], v2 offset:240
	s_mov_b32 s0, exec_lo
	s_wait_loadcnt_dscnt 0x501
	v_fma_f64 v[82:83], v[52:53], v[74:75], 0
	s_wait_loadcnt 0x4
	s_delay_alu instid0(VALU_DEP_1) | instskip(SKIP_4) | instid1(VALU_DEP_1)
	v_fmac_f64_e32 v[82:83], v[54:55], v[76:77]
	scratch_load_b128 v[52:55], off, off offset:120
	s_wait_dscnt 0x0
	v_fmac_f64_e32 v[82:83], v[56:57], v[78:79]
	s_wait_loadcnt 0x4
	v_fmac_f64_e32 v[82:83], v[58:59], v[80:81]
	scratch_load_b128 v[56:59], off, off offset:136
	ds_load_b128 v[74:77], v2 offset:256
	ds_load_b128 v[78:81], v2 offset:272
	s_wait_dscnt 0x1
	v_fmac_f64_e32 v[82:83], v[60:61], v[74:75]
	s_wait_loadcnt 0x4
	s_delay_alu instid0(VALU_DEP_1) | instskip(SKIP_4) | instid1(VALU_DEP_1)
	v_fmac_f64_e32 v[82:83], v[62:63], v[76:77]
	scratch_load_b128 v[60:63], off, off offset:152
	s_wait_dscnt 0x0
	v_fmac_f64_e32 v[82:83], v[64:65], v[78:79]
	s_wait_loadcnt 0x4
	v_fmac_f64_e32 v[82:83], v[66:67], v[80:81]
	scratch_load_b128 v[64:67], off, off offset:168
	ds_load_b128 v[74:77], v2 offset:288
	ds_load_b128 v[78:81], v2 offset:304
	s_wait_dscnt 0x1
	v_fmac_f64_e32 v[82:83], v[68:69], v[74:75]
	s_wait_loadcnt 0x4
	s_delay_alu instid0(VALU_DEP_1) | instskip(SKIP_1) | instid1(VALU_DEP_1)
	v_fmac_f64_e32 v[82:83], v[70:71], v[76:77]
	s_wait_dscnt 0x0
	v_fmac_f64_e32 v[82:83], v[72:73], v[78:79]
	ds_load_b128 v[68:71], v2 offset:320
	ds_load_b128 v[72:75], v2 offset:336
	s_wait_loadcnt 0x3
	v_fmac_f64_e32 v[82:83], v[52:53], v[80:81]
	s_wait_dscnt 0x1
	s_delay_alu instid0(VALU_DEP_1) | instskip(SKIP_1) | instid1(VALU_DEP_1)
	v_fmac_f64_e32 v[82:83], v[54:55], v[68:69]
	s_wait_loadcnt 0x2
	v_fmac_f64_e32 v[82:83], v[56:57], v[70:71]
	ds_load_b128 v[52:55], v2 offset:352
	ds_load_b64 v[56:57], v2 offset:368
	s_wait_dscnt 0x2
	v_fmac_f64_e32 v[82:83], v[58:59], v[72:73]
	s_wait_loadcnt 0x1
	s_delay_alu instid0(VALU_DEP_1) | instskip(SKIP_1) | instid1(VALU_DEP_1)
	v_fmac_f64_e32 v[82:83], v[60:61], v[74:75]
	s_wait_dscnt 0x1
	v_fmac_f64_e32 v[82:83], v[62:63], v[52:53]
	s_wait_loadcnt 0x0
	s_delay_alu instid0(VALU_DEP_1) | instskip(SKIP_1) | instid1(VALU_DEP_1)
	v_fmac_f64_e32 v[82:83], v[64:65], v[54:55]
	s_wait_dscnt 0x0
	v_fmac_f64_e32 v[82:83], v[66:67], v[56:57]
	s_delay_alu instid0(VALU_DEP_1)
	v_add_f64_e64 v[50:51], v[50:51], -v[82:83]
	scratch_store_b64 off, v[50:51], off offset:24
	s_wait_xcnt 0x0
	v_cmpx_lt_u32_e32 2, v0
	s_cbranch_execz .LBB86_143
; %bb.142:
	scratch_load_b64 v[50:51], off, off offset:16
	v_mov_b64_e32 v[52:53], 0
	scratch_store_b64 off, v[52:53], off offset:16
	s_wait_loadcnt 0x0
	ds_store_b64 v1, v[50:51]
.LBB86_143:
	s_wait_xcnt 0x0
	s_or_b32 exec_lo, exec_lo, s0
	s_wait_storecnt_dscnt 0x0
	s_barrier_signal -1
	s_barrier_wait -1
	s_clause 0x5
	scratch_load_b128 v[50:53], off, off offset:16
	scratch_load_b128 v[54:57], off, off offset:32
	;; [unrolled: 1-line block ×6, first 2 shown]
	ds_load_2addr_b64 v[74:77], v2 offset0:27 offset1:28
	ds_load_2addr_b64 v[78:81], v2 offset0:29 offset1:30
	s_mov_b32 s0, exec_lo
	s_wait_loadcnt_dscnt 0x501
	v_fma_f64 v[82:83], v[52:53], v[74:75], 0
	s_wait_loadcnt 0x4
	s_delay_alu instid0(VALU_DEP_1) | instskip(SKIP_4) | instid1(VALU_DEP_1)
	v_fmac_f64_e32 v[82:83], v[54:55], v[76:77]
	scratch_load_b128 v[52:55], off, off offset:112
	s_wait_dscnt 0x0
	v_fmac_f64_e32 v[82:83], v[56:57], v[78:79]
	s_wait_loadcnt 0x4
	v_fmac_f64_e32 v[82:83], v[58:59], v[80:81]
	scratch_load_b128 v[56:59], off, off offset:128
	ds_load_2addr_b64 v[74:77], v2 offset0:31 offset1:32
	ds_load_2addr_b64 v[78:81], v2 offset0:33 offset1:34
	s_wait_dscnt 0x1
	v_fmac_f64_e32 v[82:83], v[60:61], v[74:75]
	s_wait_loadcnt 0x4
	s_delay_alu instid0(VALU_DEP_1) | instskip(SKIP_4) | instid1(VALU_DEP_1)
	v_fmac_f64_e32 v[82:83], v[62:63], v[76:77]
	scratch_load_b128 v[60:63], off, off offset:144
	s_wait_dscnt 0x0
	v_fmac_f64_e32 v[82:83], v[64:65], v[78:79]
	s_wait_loadcnt 0x4
	v_fmac_f64_e32 v[82:83], v[66:67], v[80:81]
	scratch_load_b128 v[64:67], off, off offset:160
	ds_load_2addr_b64 v[74:77], v2 offset0:35 offset1:36
	ds_load_2addr_b64 v[78:81], v2 offset0:37 offset1:38
	s_wait_dscnt 0x1
	v_fmac_f64_e32 v[82:83], v[68:69], v[74:75]
	s_wait_loadcnt 0x4
	s_delay_alu instid0(VALU_DEP_1)
	v_fmac_f64_e32 v[82:83], v[70:71], v[76:77]
	scratch_load_b64 v[76:77], off, off offset:176
	s_wait_dscnt 0x0
	v_fmac_f64_e32 v[82:83], v[72:73], v[78:79]
	ds_load_2addr_b64 v[68:71], v2 offset0:39 offset1:40
	ds_load_2addr_b64 v[72:75], v2 offset0:41 offset1:42
	s_wait_loadcnt 0x4
	v_fmac_f64_e32 v[82:83], v[52:53], v[80:81]
	s_wait_dscnt 0x1
	s_delay_alu instid0(VALU_DEP_1) | instskip(SKIP_1) | instid1(VALU_DEP_1)
	v_fmac_f64_e32 v[82:83], v[54:55], v[68:69]
	s_wait_loadcnt 0x3
	v_fmac_f64_e32 v[82:83], v[56:57], v[70:71]
	s_wait_dscnt 0x0
	s_delay_alu instid0(VALU_DEP_1)
	v_fmac_f64_e32 v[82:83], v[58:59], v[72:73]
	ds_load_2addr_b64 v[52:55], v2 offset0:43 offset1:44
	ds_load_2addr_b64 v[56:59], v2 offset0:45 offset1:46
	s_wait_loadcnt 0x2
	v_fmac_f64_e32 v[82:83], v[60:61], v[74:75]
	s_wait_dscnt 0x1
	s_delay_alu instid0(VALU_DEP_1) | instskip(SKIP_1) | instid1(VALU_DEP_1)
	v_fmac_f64_e32 v[82:83], v[62:63], v[52:53]
	s_wait_loadcnt 0x1
	v_fmac_f64_e32 v[82:83], v[64:65], v[54:55]
	s_wait_dscnt 0x0
	s_delay_alu instid0(VALU_DEP_1) | instskip(SKIP_1) | instid1(VALU_DEP_1)
	v_fmac_f64_e32 v[82:83], v[66:67], v[56:57]
	s_wait_loadcnt 0x0
	v_fmac_f64_e32 v[82:83], v[76:77], v[58:59]
	s_delay_alu instid0(VALU_DEP_1)
	v_add_f64_e64 v[2:3], v[50:51], -v[82:83]
	scratch_store_b64 off, v[2:3], off offset:16
	s_wait_xcnt 0x0
	v_cmpx_lt_u32_e32 1, v0
	s_cbranch_execz .LBB86_145
; %bb.144:
	scratch_load_b64 v[2:3], off, off offset:8
	v_mov_b64_e32 v[50:51], 0
	scratch_store_b64 off, v[50:51], off offset:8
	s_wait_loadcnt 0x0
	ds_store_b64 v1, v[2:3]
.LBB86_145:
	s_wait_xcnt 0x0
	s_or_b32 exec_lo, exec_lo, s0
	s_wait_storecnt_dscnt 0x0
	s_barrier_signal -1
	s_barrier_wait -1
	s_clause 0x3
	scratch_load_b128 v[52:55], off, off offset:8
	scratch_load_b128 v[56:59], off, off offset:24
	;; [unrolled: 1-line block ×4, first 2 shown]
	v_mov_b32_e32 v50, 0
	ds_load_b128 v[68:71], v50 offset:208
	ds_load_b128 v[72:75], v50 offset:224
	scratch_load_b128 v[76:79], off, off offset:72
	v_dual_ashrrev_i32 v9, 31, v8 :: v_dual_ashrrev_i32 v11, 31, v10
	v_dual_ashrrev_i32 v13, 31, v12 :: v_dual_ashrrev_i32 v15, 31, v14
	;; [unrolled: 1-line block ×10, first 2 shown]
	v_ashrrev_i32_e32 v49, 31, v48
	s_mov_b32 s0, exec_lo
	s_wait_loadcnt_dscnt 0x401
	v_fma_f64 v[2:3], v[54:55], v[68:69], 0
	s_wait_loadcnt 0x3
	s_delay_alu instid0(VALU_DEP_1) | instskip(SKIP_4) | instid1(VALU_DEP_1)
	v_fmac_f64_e32 v[2:3], v[56:57], v[70:71]
	scratch_load_b128 v[54:57], off, off offset:88
	s_wait_dscnt 0x0
	v_fmac_f64_e32 v[2:3], v[58:59], v[72:73]
	s_wait_loadcnt 0x3
	v_fmac_f64_e32 v[2:3], v[60:61], v[74:75]
	ds_load_b128 v[58:61], v50 offset:240
	ds_load_b128 v[68:71], v50 offset:256
	scratch_load_b128 v[72:75], off, off offset:104
	s_wait_dscnt 0x1
	v_fmac_f64_e32 v[2:3], v[62:63], v[58:59]
	s_wait_loadcnt 0x3
	s_delay_alu instid0(VALU_DEP_1)
	v_fmac_f64_e32 v[2:3], v[64:65], v[60:61]
	scratch_load_b128 v[58:61], off, off offset:120
	s_wait_dscnt 0x0
	v_fmac_f64_e32 v[2:3], v[66:67], v[68:69]
	ds_load_b128 v[62:65], v50 offset:272
	ds_load_b128 v[66:69], v50 offset:288
	s_wait_loadcnt 0x3
	v_fmac_f64_e32 v[2:3], v[76:77], v[70:71]
	s_wait_dscnt 0x1
	s_delay_alu instid0(VALU_DEP_1) | instskip(SKIP_4) | instid1(VALU_DEP_1)
	v_fmac_f64_e32 v[2:3], v[78:79], v[62:63]
	scratch_load_b128 v[76:79], off, off offset:136
	s_wait_loadcnt 0x3
	v_fmac_f64_e32 v[2:3], v[54:55], v[64:65]
	s_wait_dscnt 0x0
	v_fmac_f64_e32 v[2:3], v[56:57], v[66:67]
	scratch_load_b128 v[54:57], off, off offset:152
	s_wait_loadcnt 0x3
	v_fmac_f64_e32 v[2:3], v[72:73], v[68:69]
	ds_load_b128 v[62:65], v50 offset:304
	ds_load_b128 v[66:69], v50 offset:320
	scratch_load_b128 v[70:73], off, off offset:168
	s_wait_dscnt 0x1
	v_fmac_f64_e32 v[2:3], v[74:75], v[62:63]
	s_wait_loadcnt 0x3
	s_delay_alu instid0(VALU_DEP_1) | instskip(SKIP_1) | instid1(VALU_DEP_1)
	v_fmac_f64_e32 v[2:3], v[58:59], v[64:65]
	s_wait_dscnt 0x0
	v_fmac_f64_e32 v[2:3], v[60:61], v[66:67]
	ds_load_b128 v[58:61], v50 offset:336
	ds_load_b128 v[62:65], v50 offset:352
	s_wait_loadcnt 0x2
	v_fmac_f64_e32 v[2:3], v[76:77], v[68:69]
	s_wait_dscnt 0x1
	s_delay_alu instid0(VALU_DEP_1) | instskip(SKIP_1) | instid1(VALU_DEP_1)
	v_fmac_f64_e32 v[2:3], v[78:79], v[58:59]
	s_wait_loadcnt 0x1
	v_fmac_f64_e32 v[2:3], v[54:55], v[60:61]
	ds_load_b64 v[54:55], v50 offset:368
	s_wait_dscnt 0x1
	v_fmac_f64_e32 v[2:3], v[56:57], v[62:63]
	s_wait_loadcnt 0x0
	s_delay_alu instid0(VALU_DEP_1) | instskip(SKIP_1) | instid1(VALU_DEP_1)
	v_fmac_f64_e32 v[2:3], v[70:71], v[64:65]
	s_wait_dscnt 0x0
	v_fmac_f64_e32 v[2:3], v[72:73], v[54:55]
	s_delay_alu instid0(VALU_DEP_1)
	v_add_f64_e64 v[2:3], v[52:53], -v[2:3]
	scratch_store_b64 off, v[2:3], off offset:8
	s_wait_xcnt 0x0
	v_cmpx_ne_u32_e32 0, v0
	s_cbranch_execz .LBB86_147
; %bb.146:
	scratch_load_b64 v[2:3], off, off
	v_mov_b64_e32 v[52:53], 0
	scratch_store_b64 off, v[52:53], off
	s_wait_loadcnt 0x0
	ds_store_b64 v1, v[2:3]
.LBB86_147:
	s_wait_xcnt 0x0
	s_or_b32 exec_lo, exec_lo, s0
	s_wait_storecnt_dscnt 0x0
	s_barrier_signal -1
	s_barrier_wait -1
	s_clause 0x5
	scratch_load_b128 v[52:55], off, off
	scratch_load_b128 v[0:3], off, off offset:16
	scratch_load_b128 v[56:59], off, off offset:32
	;; [unrolled: 1-line block ×5, first 2 shown]
	ds_load_2addr_b64 v[72:75], v50 offset0:25 offset1:26
	s_clause 0x1
	scratch_load_b128 v[76:79], off, off offset:96
	scratch_load_b128 v[80:83], off, off offset:112
	s_and_b32 vcc_lo, exec_lo, s12
	s_wait_loadcnt_dscnt 0x700
	v_fma_f64 v[84:85], v[54:55], v[72:73], 0
	s_wait_loadcnt 0x6
	s_delay_alu instid0(VALU_DEP_1)
	v_fmac_f64_e32 v[84:85], v[0:1], v[74:75]
	ds_load_2addr_b64 v[72:75], v50 offset0:27 offset1:28
	s_wait_dscnt 0x0
	v_fmac_f64_e32 v[84:85], v[2:3], v[72:73]
	ds_load_2addr_b64 v[0:3], v50 offset0:29 offset1:30
	s_wait_loadcnt 0x5
	v_fmac_f64_e32 v[84:85], v[56:57], v[74:75]
	scratch_load_b128 v[54:57], off, off offset:128
	s_wait_dscnt 0x0
	v_fmac_f64_e32 v[84:85], v[58:59], v[0:1]
	s_wait_loadcnt 0x5
	s_delay_alu instid0(VALU_DEP_1)
	v_fmac_f64_e32 v[84:85], v[60:61], v[2:3]
	ds_load_2addr_b64 v[0:3], v50 offset0:31 offset1:32
	scratch_load_b128 v[58:61], off, off offset:144
	s_wait_dscnt 0x0
	v_fmac_f64_e32 v[84:85], v[62:63], v[0:1]
	s_wait_loadcnt 0x5
	s_delay_alu instid0(VALU_DEP_1)
	v_fmac_f64_e32 v[84:85], v[64:65], v[2:3]
	ds_load_2addr_b64 v[62:65], v50 offset0:33 offset1:34
	scratch_load_b128 v[0:3], off, off offset:160
	s_wait_dscnt 0x0
	v_fmac_f64_e32 v[84:85], v[66:67], v[62:63]
	scratch_load_b64 v[66:67], off, off offset:176
	s_wait_loadcnt 0x6
	v_fmac_f64_e32 v[84:85], v[68:69], v[64:65]
	ds_load_2addr_b64 v[62:65], v50 offset0:35 offset1:36
	s_wait_dscnt 0x0
	v_fmac_f64_e32 v[84:85], v[70:71], v[62:63]
	s_wait_loadcnt 0x5
	s_delay_alu instid0(VALU_DEP_1) | instskip(SKIP_4) | instid1(VALU_DEP_1)
	v_fmac_f64_e32 v[84:85], v[76:77], v[64:65]
	ds_load_2addr_b64 v[62:65], v50 offset0:37 offset1:38
	s_wait_dscnt 0x0
	v_fmac_f64_e32 v[84:85], v[78:79], v[62:63]
	s_wait_loadcnt 0x4
	v_fmac_f64_e32 v[84:85], v[80:81], v[64:65]
	ds_load_2addr_b64 v[62:65], v50 offset0:39 offset1:40
	s_wait_dscnt 0x0
	v_fmac_f64_e32 v[84:85], v[82:83], v[62:63]
	s_wait_loadcnt 0x3
	s_delay_alu instid0(VALU_DEP_1)
	v_fmac_f64_e32 v[84:85], v[54:55], v[64:65]
	ds_load_2addr_b64 v[62:65], v50 offset0:41 offset1:42
	s_wait_dscnt 0x0
	v_fmac_f64_e32 v[84:85], v[56:57], v[62:63]
	ds_load_2addr_b64 v[54:57], v50 offset0:43 offset1:44
	s_wait_loadcnt 0x2
	v_fmac_f64_e32 v[84:85], v[58:59], v[64:65]
	s_wait_dscnt 0x0
	s_delay_alu instid0(VALU_DEP_1) | instskip(SKIP_1) | instid1(VALU_DEP_1)
	v_fmac_f64_e32 v[84:85], v[60:61], v[54:55]
	s_wait_loadcnt 0x1
	v_fmac_f64_e32 v[84:85], v[0:1], v[56:57]
	ds_load_2addr_b64 v[54:57], v50 offset0:45 offset1:46
	s_wait_dscnt 0x0
	v_fmac_f64_e32 v[84:85], v[2:3], v[54:55]
	s_wait_loadcnt 0x0
	s_delay_alu instid0(VALU_DEP_1) | instskip(NEXT) | instid1(VALU_DEP_1)
	v_fmac_f64_e32 v[84:85], v[66:67], v[56:57]
	v_add_f64_e64 v[0:1], v[52:53], -v[84:85]
	scratch_store_b64 off, v[0:1], off
	s_cbranch_vccz .LBB86_192
; %bb.148:
	s_wait_xcnt 0x0
	v_mov_b32_e32 v0, 0
	global_load_b32 v1, v0, s[8:9] offset:84
	s_wait_loadcnt 0x0
	v_cmp_ne_u32_e32 vcc_lo, 22, v1
	s_cbranch_vccz .LBB86_150
; %bb.149:
	v_lshlrev_b32_e32 v1, 3, v1
	scratch_load_b64 v[50:51], v1, off offset:-8
	s_wait_loadcnt 0x0
	scratch_store_b64 off, v[50:51], off offset:168
	scratch_store_b64 v1, v[2:3], off offset:-8
.LBB86_150:
	global_load_b32 v0, v0, s[8:9] offset:80
	s_wait_loadcnt 0x0
	v_cmp_eq_u32_e32 vcc_lo, 21, v0
	s_cbranch_vccnz .LBB86_152
; %bb.151:
	s_wait_xcnt 0x0
	v_lshlrev_b32_e32 v0, 3, v0
	s_delay_alu instid0(VALU_DEP_1)
	v_mov_b32_e32 v50, v0
	scratch_load_b64 v[0:1], v50, off offset:-8
	scratch_load_b64 v[2:3], off, off offset:160
	s_wait_loadcnt 0x1
	scratch_store_b64 off, v[0:1], off offset:160
	s_wait_loadcnt 0x0
	scratch_store_b64 v50, v[2:3], off offset:-8
.LBB86_152:
	s_wait_xcnt 0x0
	v_mov_b32_e32 v0, 0
	global_load_b32 v1, v0, s[8:9] offset:76
	s_wait_loadcnt 0x0
	v_cmp_eq_u32_e32 vcc_lo, 20, v1
	s_cbranch_vccnz .LBB86_154
; %bb.153:
	v_lshlrev_b32_e32 v1, 3, v1
	scratch_load_b64 v[2:3], v1, off offset:-8
	scratch_load_b64 v[50:51], off, off offset:152
	s_wait_loadcnt 0x1
	scratch_store_b64 off, v[2:3], off offset:152
	s_wait_loadcnt 0x0
	scratch_store_b64 v1, v[50:51], off offset:-8
.LBB86_154:
	global_load_b32 v0, v0, s[8:9] offset:72
	s_wait_loadcnt 0x0
	v_cmp_eq_u32_e32 vcc_lo, 19, v0
	s_cbranch_vccnz .LBB86_156
; %bb.155:
	s_wait_xcnt 0x0
	v_lshlrev_b32_e32 v0, 3, v0
	s_delay_alu instid0(VALU_DEP_1)
	v_mov_b32_e32 v50, v0
	scratch_load_b64 v[0:1], v50, off offset:-8
	scratch_load_b64 v[2:3], off, off offset:144
	s_wait_loadcnt 0x1
	scratch_store_b64 off, v[0:1], off offset:144
	s_wait_loadcnt 0x0
	scratch_store_b64 v50, v[2:3], off offset:-8
.LBB86_156:
	s_wait_xcnt 0x0
	v_mov_b32_e32 v0, 0
	global_load_b32 v1, v0, s[8:9] offset:68
	s_wait_loadcnt 0x0
	v_cmp_eq_u32_e32 vcc_lo, 18, v1
	s_cbranch_vccnz .LBB86_158
; %bb.157:
	v_lshlrev_b32_e32 v1, 3, v1
	scratch_load_b64 v[2:3], v1, off offset:-8
	scratch_load_b64 v[50:51], off, off offset:136
	s_wait_loadcnt 0x1
	scratch_store_b64 off, v[2:3], off offset:136
	s_wait_loadcnt 0x0
	scratch_store_b64 v1, v[50:51], off offset:-8
.LBB86_158:
	global_load_b32 v0, v0, s[8:9] offset:64
	s_wait_loadcnt 0x0
	v_cmp_eq_u32_e32 vcc_lo, 17, v0
	s_cbranch_vccnz .LBB86_160
; %bb.159:
	s_wait_xcnt 0x0
	v_lshlrev_b32_e32 v0, 3, v0
	s_delay_alu instid0(VALU_DEP_1)
	v_mov_b32_e32 v50, v0
	scratch_load_b64 v[0:1], v50, off offset:-8
	scratch_load_b64 v[2:3], off, off offset:128
	s_wait_loadcnt 0x1
	scratch_store_b64 off, v[0:1], off offset:128
	s_wait_loadcnt 0x0
	scratch_store_b64 v50, v[2:3], off offset:-8
.LBB86_160:
	s_wait_xcnt 0x0
	v_mov_b32_e32 v0, 0
	global_load_b32 v1, v0, s[8:9] offset:60
	s_wait_loadcnt 0x0
	v_cmp_eq_u32_e32 vcc_lo, 16, v1
	s_cbranch_vccnz .LBB86_162
; %bb.161:
	v_lshlrev_b32_e32 v1, 3, v1
	scratch_load_b64 v[2:3], v1, off offset:-8
	scratch_load_b64 v[50:51], off, off offset:120
	s_wait_loadcnt 0x1
	scratch_store_b64 off, v[2:3], off offset:120
	s_wait_loadcnt 0x0
	scratch_store_b64 v1, v[50:51], off offset:-8
.LBB86_162:
	global_load_b32 v0, v0, s[8:9] offset:56
	s_wait_loadcnt 0x0
	v_cmp_eq_u32_e32 vcc_lo, 15, v0
	s_cbranch_vccnz .LBB86_164
; %bb.163:
	s_wait_xcnt 0x0
	v_lshlrev_b32_e32 v0, 3, v0
	s_delay_alu instid0(VALU_DEP_1)
	v_mov_b32_e32 v50, v0
	scratch_load_b64 v[0:1], v50, off offset:-8
	scratch_load_b64 v[2:3], off, off offset:112
	s_wait_loadcnt 0x1
	scratch_store_b64 off, v[0:1], off offset:112
	s_wait_loadcnt 0x0
	scratch_store_b64 v50, v[2:3], off offset:-8
.LBB86_164:
	s_wait_xcnt 0x0
	v_mov_b32_e32 v0, 0
	global_load_b32 v1, v0, s[8:9] offset:52
	s_wait_loadcnt 0x0
	v_cmp_eq_u32_e32 vcc_lo, 14, v1
	s_cbranch_vccnz .LBB86_166
; %bb.165:
	v_lshlrev_b32_e32 v1, 3, v1
	scratch_load_b64 v[2:3], v1, off offset:-8
	scratch_load_b64 v[50:51], off, off offset:104
	s_wait_loadcnt 0x1
	scratch_store_b64 off, v[2:3], off offset:104
	s_wait_loadcnt 0x0
	scratch_store_b64 v1, v[50:51], off offset:-8
.LBB86_166:
	global_load_b32 v0, v0, s[8:9] offset:48
	s_wait_loadcnt 0x0
	v_cmp_eq_u32_e32 vcc_lo, 13, v0
	s_cbranch_vccnz .LBB86_168
; %bb.167:
	s_wait_xcnt 0x0
	v_lshlrev_b32_e32 v0, 3, v0
	s_delay_alu instid0(VALU_DEP_1)
	v_mov_b32_e32 v50, v0
	scratch_load_b64 v[0:1], v50, off offset:-8
	scratch_load_b64 v[2:3], off, off offset:96
	s_wait_loadcnt 0x1
	scratch_store_b64 off, v[0:1], off offset:96
	s_wait_loadcnt 0x0
	scratch_store_b64 v50, v[2:3], off offset:-8
.LBB86_168:
	s_wait_xcnt 0x0
	v_mov_b32_e32 v0, 0
	global_load_b32 v1, v0, s[8:9] offset:44
	s_wait_loadcnt 0x0
	v_cmp_eq_u32_e32 vcc_lo, 12, v1
	s_cbranch_vccnz .LBB86_170
; %bb.169:
	v_lshlrev_b32_e32 v1, 3, v1
	scratch_load_b64 v[2:3], v1, off offset:-8
	scratch_load_b64 v[50:51], off, off offset:88
	s_wait_loadcnt 0x1
	scratch_store_b64 off, v[2:3], off offset:88
	s_wait_loadcnt 0x0
	scratch_store_b64 v1, v[50:51], off offset:-8
.LBB86_170:
	global_load_b32 v0, v0, s[8:9] offset:40
	s_wait_loadcnt 0x0
	v_cmp_eq_u32_e32 vcc_lo, 11, v0
	s_cbranch_vccnz .LBB86_172
; %bb.171:
	s_wait_xcnt 0x0
	v_lshlrev_b32_e32 v0, 3, v0
	s_delay_alu instid0(VALU_DEP_1)
	v_mov_b32_e32 v50, v0
	scratch_load_b64 v[0:1], v50, off offset:-8
	scratch_load_b64 v[2:3], off, off offset:80
	s_wait_loadcnt 0x1
	scratch_store_b64 off, v[0:1], off offset:80
	s_wait_loadcnt 0x0
	scratch_store_b64 v50, v[2:3], off offset:-8
.LBB86_172:
	s_wait_xcnt 0x0
	v_mov_b32_e32 v0, 0
	global_load_b32 v1, v0, s[8:9] offset:36
	s_wait_loadcnt 0x0
	v_cmp_eq_u32_e32 vcc_lo, 10, v1
	s_cbranch_vccnz .LBB86_174
; %bb.173:
	v_lshlrev_b32_e32 v1, 3, v1
	scratch_load_b64 v[2:3], v1, off offset:-8
	scratch_load_b64 v[50:51], off, off offset:72
	s_wait_loadcnt 0x1
	scratch_store_b64 off, v[2:3], off offset:72
	s_wait_loadcnt 0x0
	scratch_store_b64 v1, v[50:51], off offset:-8
.LBB86_174:
	global_load_b32 v0, v0, s[8:9] offset:32
	s_wait_loadcnt 0x0
	v_cmp_eq_u32_e32 vcc_lo, 9, v0
	s_cbranch_vccnz .LBB86_176
; %bb.175:
	s_wait_xcnt 0x0
	v_lshlrev_b32_e32 v0, 3, v0
	s_delay_alu instid0(VALU_DEP_1)
	v_mov_b32_e32 v50, v0
	scratch_load_b64 v[0:1], v50, off offset:-8
	scratch_load_b64 v[2:3], off, off offset:64
	s_wait_loadcnt 0x1
	scratch_store_b64 off, v[0:1], off offset:64
	s_wait_loadcnt 0x0
	scratch_store_b64 v50, v[2:3], off offset:-8
.LBB86_176:
	s_wait_xcnt 0x0
	v_mov_b32_e32 v0, 0
	global_load_b32 v1, v0, s[8:9] offset:28
	s_wait_loadcnt 0x0
	v_cmp_eq_u32_e32 vcc_lo, 8, v1
	s_cbranch_vccnz .LBB86_178
; %bb.177:
	v_lshlrev_b32_e32 v1, 3, v1
	scratch_load_b64 v[2:3], v1, off offset:-8
	scratch_load_b64 v[50:51], off, off offset:56
	s_wait_loadcnt 0x1
	scratch_store_b64 off, v[2:3], off offset:56
	s_wait_loadcnt 0x0
	scratch_store_b64 v1, v[50:51], off offset:-8
.LBB86_178:
	global_load_b32 v0, v0, s[8:9] offset:24
	s_wait_loadcnt 0x0
	v_cmp_eq_u32_e32 vcc_lo, 7, v0
	s_cbranch_vccnz .LBB86_180
; %bb.179:
	s_wait_xcnt 0x0
	v_lshlrev_b32_e32 v0, 3, v0
	s_delay_alu instid0(VALU_DEP_1)
	v_mov_b32_e32 v50, v0
	scratch_load_b64 v[0:1], v50, off offset:-8
	scratch_load_b64 v[2:3], off, off offset:48
	s_wait_loadcnt 0x1
	scratch_store_b64 off, v[0:1], off offset:48
	s_wait_loadcnt 0x0
	scratch_store_b64 v50, v[2:3], off offset:-8
.LBB86_180:
	s_wait_xcnt 0x0
	v_mov_b32_e32 v0, 0
	global_load_b32 v1, v0, s[8:9] offset:20
	s_wait_loadcnt 0x0
	v_cmp_eq_u32_e32 vcc_lo, 6, v1
	s_cbranch_vccnz .LBB86_182
; %bb.181:
	v_lshlrev_b32_e32 v1, 3, v1
	scratch_load_b64 v[2:3], v1, off offset:-8
	scratch_load_b64 v[50:51], off, off offset:40
	s_wait_loadcnt 0x1
	scratch_store_b64 off, v[2:3], off offset:40
	s_wait_loadcnt 0x0
	scratch_store_b64 v1, v[50:51], off offset:-8
.LBB86_182:
	global_load_b32 v0, v0, s[8:9] offset:16
	s_wait_loadcnt 0x0
	v_cmp_eq_u32_e32 vcc_lo, 5, v0
	s_cbranch_vccnz .LBB86_184
; %bb.183:
	s_wait_xcnt 0x0
	v_lshlrev_b32_e32 v0, 3, v0
	s_delay_alu instid0(VALU_DEP_1)
	v_mov_b32_e32 v50, v0
	scratch_load_b64 v[0:1], v50, off offset:-8
	scratch_load_b64 v[2:3], off, off offset:32
	s_wait_loadcnt 0x1
	scratch_store_b64 off, v[0:1], off offset:32
	s_wait_loadcnt 0x0
	scratch_store_b64 v50, v[2:3], off offset:-8
.LBB86_184:
	s_wait_xcnt 0x0
	v_mov_b32_e32 v0, 0
	global_load_b32 v1, v0, s[8:9] offset:12
	s_wait_loadcnt 0x0
	v_cmp_eq_u32_e32 vcc_lo, 4, v1
	s_cbranch_vccnz .LBB86_186
; %bb.185:
	v_lshlrev_b32_e32 v1, 3, v1
	scratch_load_b64 v[2:3], v1, off offset:-8
	scratch_load_b64 v[50:51], off, off offset:24
	s_wait_loadcnt 0x1
	scratch_store_b64 off, v[2:3], off offset:24
	s_wait_loadcnt 0x0
	scratch_store_b64 v1, v[50:51], off offset:-8
.LBB86_186:
	global_load_b32 v0, v0, s[8:9] offset:8
	s_wait_loadcnt 0x0
	v_cmp_eq_u32_e32 vcc_lo, 3, v0
	s_cbranch_vccnz .LBB86_188
; %bb.187:
	s_wait_xcnt 0x0
	v_lshlrev_b32_e32 v0, 3, v0
	s_delay_alu instid0(VALU_DEP_1)
	v_mov_b32_e32 v50, v0
	scratch_load_b64 v[0:1], v50, off offset:-8
	scratch_load_b64 v[2:3], off, off offset:16
	s_wait_loadcnt 0x1
	scratch_store_b64 off, v[0:1], off offset:16
	s_wait_loadcnt 0x0
	scratch_store_b64 v50, v[2:3], off offset:-8
.LBB86_188:
	s_wait_xcnt 0x0
	v_mov_b32_e32 v0, 0
	global_load_b32 v1, v0, s[8:9] offset:4
	s_wait_loadcnt 0x0
	v_cmp_eq_u32_e32 vcc_lo, 2, v1
	s_cbranch_vccnz .LBB86_190
; %bb.189:
	v_lshlrev_b32_e32 v1, 3, v1
	scratch_load_b64 v[2:3], v1, off offset:-8
	scratch_load_b64 v[50:51], off, off offset:8
	s_wait_loadcnt 0x1
	scratch_store_b64 off, v[2:3], off offset:8
	s_wait_loadcnt 0x0
	scratch_store_b64 v1, v[50:51], off offset:-8
.LBB86_190:
	global_load_b32 v2, v0, s[8:9]
	scratch_load_b64 v[0:1], off, off
	s_wait_loadcnt 0x1
	v_cmp_eq_u32_e32 vcc_lo, 1, v2
	s_cbranch_vccnz .LBB86_192
; %bb.191:
	v_lshlrev_b32_e32 v2, 3, v2
	s_delay_alu instid0(VALU_DEP_1)
	v_mov_b32_e32 v50, v2
	scratch_load_b64 v[2:3], v50, off offset:-8
	s_wait_loadcnt 0x0
	scratch_store_b64 off, v[2:3], off
	scratch_store_b64 v50, v[0:1], off offset:-8
	scratch_load_b64 v[0:1], off, off
.LBB86_192:
	s_wait_loadcnt 0x0
	flat_store_b64 v[4:5], v[0:1]
	scratch_load_b64 v[0:1], off, off offset:8
	v_lshl_add_u64 v[68:69], v[8:9], 3, s[2:3]
	v_lshl_add_u64 v[66:67], v[10:11], 3, s[2:3]
	;; [unrolled: 1-line block ×21, first 2 shown]
	s_wait_loadcnt 0x0
	flat_store_b64 v[6:7], v[0:1]
	scratch_load_b64 v[0:1], off, off offset:16
	s_wait_loadcnt 0x0
	flat_store_b64 v[68:69], v[0:1]
	scratch_load_b64 v[0:1], off, off offset:24
	;; [unrolled: 3-line block ×21, first 2 shown]
	s_wait_loadcnt 0x0
	flat_store_b64 v[2:3], v[0:1]
	s_sendmsg sendmsg(MSG_DEALLOC_VGPRS)
	s_endpgm
	.section	.rodata,"a",@progbits
	.p2align	6, 0x0
	.amdhsa_kernel _ZN9rocsolver6v33100L18getri_kernel_smallILi23EdPKPdEEvT1_iilPiilS6_bb
		.amdhsa_group_segment_fixed_size 376
		.amdhsa_private_segment_fixed_size 192
		.amdhsa_kernarg_size 60
		.amdhsa_user_sgpr_count 2
		.amdhsa_user_sgpr_dispatch_ptr 0
		.amdhsa_user_sgpr_queue_ptr 0
		.amdhsa_user_sgpr_kernarg_segment_ptr 1
		.amdhsa_user_sgpr_dispatch_id 0
		.amdhsa_user_sgpr_kernarg_preload_length 0
		.amdhsa_user_sgpr_kernarg_preload_offset 0
		.amdhsa_user_sgpr_private_segment_size 0
		.amdhsa_wavefront_size32 1
		.amdhsa_uses_dynamic_stack 0
		.amdhsa_enable_private_segment 1
		.amdhsa_system_sgpr_workgroup_id_x 1
		.amdhsa_system_sgpr_workgroup_id_y 0
		.amdhsa_system_sgpr_workgroup_id_z 0
		.amdhsa_system_sgpr_workgroup_info 0
		.amdhsa_system_vgpr_workitem_id 0
		.amdhsa_next_free_vgpr 86
		.amdhsa_next_free_sgpr 19
		.amdhsa_named_barrier_count 0
		.amdhsa_reserve_vcc 1
		.amdhsa_float_round_mode_32 0
		.amdhsa_float_round_mode_16_64 0
		.amdhsa_float_denorm_mode_32 3
		.amdhsa_float_denorm_mode_16_64 3
		.amdhsa_fp16_overflow 0
		.amdhsa_memory_ordered 1
		.amdhsa_forward_progress 1
		.amdhsa_inst_pref_size 129
		.amdhsa_round_robin_scheduling 0
		.amdhsa_exception_fp_ieee_invalid_op 0
		.amdhsa_exception_fp_denorm_src 0
		.amdhsa_exception_fp_ieee_div_zero 0
		.amdhsa_exception_fp_ieee_overflow 0
		.amdhsa_exception_fp_ieee_underflow 0
		.amdhsa_exception_fp_ieee_inexact 0
		.amdhsa_exception_int_div_zero 0
	.end_amdhsa_kernel
	.section	.text._ZN9rocsolver6v33100L18getri_kernel_smallILi23EdPKPdEEvT1_iilPiilS6_bb,"axG",@progbits,_ZN9rocsolver6v33100L18getri_kernel_smallILi23EdPKPdEEvT1_iilPiilS6_bb,comdat
.Lfunc_end86:
	.size	_ZN9rocsolver6v33100L18getri_kernel_smallILi23EdPKPdEEvT1_iilPiilS6_bb, .Lfunc_end86-_ZN9rocsolver6v33100L18getri_kernel_smallILi23EdPKPdEEvT1_iilPiilS6_bb
                                        ; -- End function
	.set _ZN9rocsolver6v33100L18getri_kernel_smallILi23EdPKPdEEvT1_iilPiilS6_bb.num_vgpr, 86
	.set _ZN9rocsolver6v33100L18getri_kernel_smallILi23EdPKPdEEvT1_iilPiilS6_bb.num_agpr, 0
	.set _ZN9rocsolver6v33100L18getri_kernel_smallILi23EdPKPdEEvT1_iilPiilS6_bb.numbered_sgpr, 19
	.set _ZN9rocsolver6v33100L18getri_kernel_smallILi23EdPKPdEEvT1_iilPiilS6_bb.num_named_barrier, 0
	.set _ZN9rocsolver6v33100L18getri_kernel_smallILi23EdPKPdEEvT1_iilPiilS6_bb.private_seg_size, 192
	.set _ZN9rocsolver6v33100L18getri_kernel_smallILi23EdPKPdEEvT1_iilPiilS6_bb.uses_vcc, 1
	.set _ZN9rocsolver6v33100L18getri_kernel_smallILi23EdPKPdEEvT1_iilPiilS6_bb.uses_flat_scratch, 1
	.set _ZN9rocsolver6v33100L18getri_kernel_smallILi23EdPKPdEEvT1_iilPiilS6_bb.has_dyn_sized_stack, 0
	.set _ZN9rocsolver6v33100L18getri_kernel_smallILi23EdPKPdEEvT1_iilPiilS6_bb.has_recursion, 0
	.set _ZN9rocsolver6v33100L18getri_kernel_smallILi23EdPKPdEEvT1_iilPiilS6_bb.has_indirect_call, 0
	.section	.AMDGPU.csdata,"",@progbits
; Kernel info:
; codeLenInByte = 16408
; TotalNumSgprs: 21
; NumVgprs: 86
; ScratchSize: 192
; MemoryBound: 0
; FloatMode: 240
; IeeeMode: 1
; LDSByteSize: 376 bytes/workgroup (compile time only)
; SGPRBlocks: 0
; VGPRBlocks: 5
; NumSGPRsForWavesPerEU: 21
; NumVGPRsForWavesPerEU: 86
; NamedBarCnt: 0
; Occupancy: 10
; WaveLimiterHint : 1
; COMPUTE_PGM_RSRC2:SCRATCH_EN: 1
; COMPUTE_PGM_RSRC2:USER_SGPR: 2
; COMPUTE_PGM_RSRC2:TRAP_HANDLER: 0
; COMPUTE_PGM_RSRC2:TGID_X_EN: 1
; COMPUTE_PGM_RSRC2:TGID_Y_EN: 0
; COMPUTE_PGM_RSRC2:TGID_Z_EN: 0
; COMPUTE_PGM_RSRC2:TIDIG_COMP_CNT: 0
	.section	.text._ZN9rocsolver6v33100L18getri_kernel_smallILi24EdPKPdEEvT1_iilPiilS6_bb,"axG",@progbits,_ZN9rocsolver6v33100L18getri_kernel_smallILi24EdPKPdEEvT1_iilPiilS6_bb,comdat
	.globl	_ZN9rocsolver6v33100L18getri_kernel_smallILi24EdPKPdEEvT1_iilPiilS6_bb ; -- Begin function _ZN9rocsolver6v33100L18getri_kernel_smallILi24EdPKPdEEvT1_iilPiilS6_bb
	.p2align	8
	.type	_ZN9rocsolver6v33100L18getri_kernel_smallILi24EdPKPdEEvT1_iilPiilS6_bb,@function
_ZN9rocsolver6v33100L18getri_kernel_smallILi24EdPKPdEEvT1_iilPiilS6_bb: ; @_ZN9rocsolver6v33100L18getri_kernel_smallILi24EdPKPdEEvT1_iilPiilS6_bb
; %bb.0:
	s_mov_b32 s2, exec_lo
	v_cmpx_gt_u32_e32 24, v0
	s_cbranch_execz .LBB87_106
; %bb.1:
	s_clause 0x1
	s_load_b32 s13, s[0:1], 0x38
	s_load_b64 s[2:3], s[0:1], 0x0
	s_getreg_b32 s6, hwreg(HW_REG_IB_STS2, 6, 4)
	s_wait_kmcnt 0x0
	s_bitcmp1_b32 s13, 8
	s_cselect_b32 s12, -1, 0
	s_bfe_u32 s4, ttmp6, 0x4000c
	s_and_b32 s5, ttmp6, 15
	s_add_co_i32 s4, s4, 1
	s_delay_alu instid0(SALU_CYCLE_1) | instskip(NEXT) | instid1(SALU_CYCLE_1)
	s_mul_i32 s4, ttmp9, s4
	s_add_co_i32 s5, s5, s4
	s_cmp_eq_u32 s6, 0
	s_cselect_b32 s10, ttmp9, s5
	s_load_b128 s[4:7], s[0:1], 0x28
	s_ashr_i32 s11, s10, 31
	s_delay_alu instid0(SALU_CYCLE_1) | instskip(NEXT) | instid1(SALU_CYCLE_1)
	s_lshl_b64 s[8:9], s[10:11], 3
	s_add_nc_u64 s[2:3], s[2:3], s[8:9]
	s_bfe_u32 s8, s13, 0x10008
	s_load_b64 s[2:3], s[2:3], 0x0
	s_cmp_eq_u32 s8, 0
                                        ; implicit-def: $sgpr8_sgpr9
	s_cbranch_scc1 .LBB87_3
; %bb.2:
	s_load_b96 s[16:18], s[0:1], 0x18
	s_wait_kmcnt 0x0
	s_mul_u64 s[4:5], s[4:5], s[10:11]
	s_delay_alu instid0(SALU_CYCLE_1) | instskip(SKIP_4) | instid1(SALU_CYCLE_1)
	s_lshl_b64 s[4:5], s[4:5], 2
	s_ashr_i32 s9, s18, 31
	s_mov_b32 s8, s18
	s_add_nc_u64 s[4:5], s[16:17], s[4:5]
	s_lshl_b64 s[8:9], s[8:9], 2
	s_add_nc_u64 s[8:9], s[4:5], s[8:9]
.LBB87_3:
	s_wait_kmcnt 0x0
	s_clause 0x1
	s_load_b64 s[4:5], s[0:1], 0x8
	s_load_b32 s13, s[0:1], 0x38
	v_dual_mov_b32 v3, 0 :: v_dual_lshlrev_b32 v2, 3, v0
	s_wait_kmcnt 0x0
	s_ashr_i32 s1, s4, 31
	s_mov_b32 s0, s4
	s_delay_alu instid0(SALU_CYCLE_1) | instskip(NEXT) | instid1(SALU_CYCLE_1)
	s_lshl_b64 s[0:1], s[0:1], 3
	s_add_nc_u64 s[2:3], s[2:3], s[0:1]
	s_ashr_i32 s1, s5, 31
	flat_load_b64 v[8:9], v0, s[2:3] scale_offset
	v_add_nc_u64_e32 v[4:5], s[2:3], v[2:3]
	s_mov_b32 s0, s5
	s_bitcmp0_b32 s13, 0
	s_delay_alu instid0(VALU_DEP_1)
	v_lshl_add_u64 v[6:7], s[0:1], 3, v[4:5]
	s_mov_b32 s1, -1
	s_wait_loadcnt_dscnt 0x0
	scratch_store_b64 off, v[8:9], off
	flat_load_b64 v[10:11], v[6:7]
	s_wait_xcnt 0x1
	v_add3_u32 v8, s5, s5, v0
	s_wait_loadcnt_dscnt 0x0
	scratch_store_b64 off, v[10:11], off offset:8
	flat_load_b64 v[12:13], v8, s[2:3] scale_offset
	s_wait_xcnt 0x1
	v_add_nc_u32_e32 v10, s5, v8
	s_wait_loadcnt_dscnt 0x0
	scratch_store_b64 off, v[12:13], off offset:16
	flat_load_b64 v[14:15], v10, s[2:3] scale_offset
	s_wait_xcnt 0x1
	v_add_nc_u32_e32 v12, s5, v10
	;; [unrolled: 5-line block ×21, first 2 shown]
	s_wait_loadcnt_dscnt 0x0
	scratch_store_b64 off, v[52:53], off offset:176
	flat_load_b64 v[52:53], v50, s[2:3] scale_offset
	s_wait_loadcnt_dscnt 0x0
	scratch_store_b64 off, v[52:53], off offset:184
	s_cbranch_scc1 .LBB87_104
; %bb.4:
	v_cmp_eq_u32_e64 s0, 0, v0
	s_wait_xcnt 0x0
	s_and_saveexec_b32 s1, s0
; %bb.5:
	v_mov_b32_e32 v1, 0
	ds_store_b32 v1, v1 offset:384
; %bb.6:
	s_or_b32 exec_lo, exec_lo, s1
	s_wait_storecnt_dscnt 0x0
	s_barrier_signal -1
	s_barrier_wait -1
	scratch_load_b64 v[52:53], v0, off scale_offset
	s_mov_b32 s4, exec_lo
	s_wait_loadcnt 0x0
	v_cmpx_eq_f64_e32 0, v[52:53]
	s_cbranch_execz .LBB87_10
; %bb.7:
	v_mov_b32_e32 v1, 0
	s_mov_b32 s5, 0
	ds_load_b32 v3, v1 offset:384
	s_wait_dscnt 0x0
	v_readfirstlane_b32 s1, v3
	v_add_nc_u32_e32 v3, 1, v0
	s_cmp_eq_u32 s1, 0
	s_delay_alu instid0(VALU_DEP_1) | instskip(SKIP_1) | instid1(SALU_CYCLE_1)
	v_cmp_gt_i32_e32 vcc_lo, s1, v3
	s_cselect_b32 s13, -1, 0
	s_or_b32 s13, s13, vcc_lo
	s_delay_alu instid0(SALU_CYCLE_1)
	s_and_b32 exec_lo, exec_lo, s13
	s_cbranch_execz .LBB87_10
; %bb.8:
	v_mov_b32_e32 v9, s1
.LBB87_9:                               ; =>This Inner Loop Header: Depth=1
	ds_cmpstore_rtn_b32 v9, v1, v3, v9 offset:384
	s_wait_dscnt 0x0
	v_cmp_ne_u32_e32 vcc_lo, 0, v9
	v_cmp_le_i32_e64 s1, v9, v3
	s_and_b32 s1, vcc_lo, s1
	s_delay_alu instid0(SALU_CYCLE_1) | instskip(NEXT) | instid1(SALU_CYCLE_1)
	s_and_b32 s1, exec_lo, s1
	s_or_b32 s5, s1, s5
	s_delay_alu instid0(SALU_CYCLE_1)
	s_and_not1_b32 exec_lo, exec_lo, s5
	s_cbranch_execnz .LBB87_9
.LBB87_10:
	s_or_b32 exec_lo, exec_lo, s4
	v_mov_b32_e32 v1, 0
	s_barrier_signal -1
	s_barrier_wait -1
	ds_load_b32 v3, v1 offset:384
	s_and_saveexec_b32 s1, s0
	s_cbranch_execz .LBB87_12
; %bb.11:
	s_lshl_b64 s[4:5], s[10:11], 2
	s_delay_alu instid0(SALU_CYCLE_1)
	s_add_nc_u64 s[4:5], s[6:7], s[4:5]
	s_wait_dscnt 0x0
	global_store_b32 v1, v3, s[4:5]
.LBB87_12:
	s_wait_xcnt 0x0
	s_or_b32 exec_lo, exec_lo, s1
	s_wait_dscnt 0x0
	v_cmp_ne_u32_e32 vcc_lo, 0, v3
	s_mov_b32 s1, 0
	s_cbranch_vccnz .LBB87_104
; %bb.13:
	v_lshl_add_u32 v3, v0, 3, 0
	v_add_nc_u32_e32 v1, 0xc0, v2
	scratch_load_b64 v[52:53], v3, off
	s_wait_loadcnt 0x0
	v_div_scale_f64 v[54:55], null, v[52:53], v[52:53], 1.0
	v_div_scale_f64 v[60:61], vcc_lo, 1.0, v[52:53], 1.0
	s_delay_alu instid0(VALU_DEP_2) | instskip(SKIP_1) | instid1(TRANS32_DEP_1)
	v_rcp_f64_e32 v[56:57], v[54:55]
	v_nop
	v_fma_f64 v[58:59], -v[54:55], v[56:57], 1.0
	s_delay_alu instid0(VALU_DEP_1) | instskip(NEXT) | instid1(VALU_DEP_1)
	v_fmac_f64_e32 v[56:57], v[56:57], v[58:59]
	v_fma_f64 v[58:59], -v[54:55], v[56:57], 1.0
	s_delay_alu instid0(VALU_DEP_1) | instskip(NEXT) | instid1(VALU_DEP_1)
	v_fmac_f64_e32 v[56:57], v[56:57], v[58:59]
	v_mul_f64_e32 v[58:59], v[60:61], v[56:57]
	s_delay_alu instid0(VALU_DEP_1) | instskip(NEXT) | instid1(VALU_DEP_1)
	v_fma_f64 v[54:55], -v[54:55], v[58:59], v[60:61]
	v_div_fmas_f64 v[54:55], v[54:55], v[56:57], v[58:59]
	s_delay_alu instid0(VALU_DEP_1)
	v_div_fixup_f64 v[52:53], v[54:55], v[52:53], 1.0
	scratch_store_b64 v3, v[52:53], off
	scratch_load_b64 v[54:55], off, off offset:8
	s_wait_xcnt 0x1
	v_xor_b32_e32 v53, 0x80000000, v53
	s_wait_loadcnt 0x0
	ds_store_2addr_b64 v2, v[52:53], v[54:55] offset1:24
	s_wait_storecnt_dscnt 0x0
	s_barrier_signal -1
	s_barrier_wait -1
	s_wait_xcnt 0x0
	s_and_saveexec_b32 s1, s0
	s_cbranch_execz .LBB87_15
; %bb.14:
	scratch_load_b64 v[52:53], v3, off
	ds_load_b64 v[54:55], v1
	s_wait_loadcnt_dscnt 0x0
	v_fma_f64 v[52:53], v[52:53], v[54:55], 0
	v_mov_b32_e32 v9, 0
	ds_load_b64 v[56:57], v9 offset:8
	s_wait_dscnt 0x0
	v_mul_f64_e32 v[52:53], v[52:53], v[56:57]
	scratch_store_b64 off, v[52:53], off offset:8
.LBB87_15:
	s_wait_xcnt 0x0
	s_or_b32 exec_lo, exec_lo, s1
	s_wait_storecnt 0x0
	s_barrier_signal -1
	s_barrier_wait -1
	scratch_load_b64 v[52:53], off, off offset:16
	s_mov_b32 s1, exec_lo
	s_wait_loadcnt 0x0
	ds_store_b64 v1, v[52:53]
	s_wait_dscnt 0x0
	s_barrier_signal -1
	s_barrier_wait -1
	v_cmpx_gt_u32_e32 2, v0
	s_cbranch_execz .LBB87_19
; %bb.16:
	scratch_load_b64 v[52:53], v3, off
	ds_load_b64 v[54:55], v1
	s_wait_loadcnt_dscnt 0x0
	v_fma_f64 v[52:53], v[52:53], v[54:55], 0
	s_and_saveexec_b32 s4, s0
	s_cbranch_execz .LBB87_18
; %bb.17:
	scratch_load_b64 v[54:55], off, off offset:8
	v_mov_b32_e32 v3, 0
	ds_load_b64 v[56:57], v3 offset:200
	s_wait_loadcnt_dscnt 0x0
	v_fmac_f64_e32 v[52:53], v[54:55], v[56:57]
.LBB87_18:
	s_or_b32 exec_lo, exec_lo, s4
	v_mov_b32_e32 v3, 0
	ds_load_b64 v[54:55], v3 offset:16
	s_wait_dscnt 0x0
	v_mul_f64_e32 v[52:53], v[52:53], v[54:55]
	scratch_store_b64 off, v[52:53], off offset:16
.LBB87_19:
	s_wait_xcnt 0x0
	s_or_b32 exec_lo, exec_lo, s1
	s_wait_storecnt 0x0
	s_barrier_signal -1
	s_barrier_wait -1
	scratch_load_b64 v[52:53], off, off offset:24
	v_add_nc_u32_e32 v3, -1, v0
	s_mov_b32 s0, exec_lo
	s_wait_loadcnt 0x0
	ds_store_b64 v1, v[52:53]
	s_wait_dscnt 0x0
	s_barrier_signal -1
	s_barrier_wait -1
	v_cmpx_gt_u32_e32 3, v0
	s_cbranch_execz .LBB87_23
; %bb.20:
	v_mov_b64_e32 v[52:53], 0
	v_dual_add_nc_u32 v9, -1, v0 :: v_dual_mov_b32 v13, v2
	v_add_nc_u32_e32 v11, 0xc0, v2
	s_mov_b32 s1, 0
.LBB87_21:                              ; =>This Inner Loop Header: Depth=1
	scratch_load_b64 v[54:55], v13, off
	ds_load_b64 v[56:57], v11
	v_dual_add_nc_u32 v9, 1, v9 :: v_dual_add_nc_u32 v11, 8, v11
	s_wait_xcnt 0x0
	v_add_nc_u32_e32 v13, 8, v13
	s_delay_alu instid0(VALU_DEP_2)
	v_cmp_lt_u32_e32 vcc_lo, 1, v9
	s_or_b32 s1, vcc_lo, s1
	s_wait_loadcnt_dscnt 0x0
	v_fmac_f64_e32 v[52:53], v[54:55], v[56:57]
	s_and_not1_b32 exec_lo, exec_lo, s1
	s_cbranch_execnz .LBB87_21
; %bb.22:
	s_or_b32 exec_lo, exec_lo, s1
	v_mov_b32_e32 v9, 0
	ds_load_b64 v[54:55], v9 offset:24
	s_wait_dscnt 0x0
	v_mul_f64_e32 v[52:53], v[52:53], v[54:55]
	scratch_store_b64 off, v[52:53], off offset:24
.LBB87_23:
	s_wait_xcnt 0x0
	s_or_b32 exec_lo, exec_lo, s0
	s_wait_storecnt 0x0
	s_barrier_signal -1
	s_barrier_wait -1
	scratch_load_b64 v[52:53], off, off offset:32
	s_mov_b32 s0, exec_lo
	s_wait_loadcnt 0x0
	ds_store_b64 v1, v[52:53]
	s_wait_dscnt 0x0
	s_barrier_signal -1
	s_barrier_wait -1
	v_cmpx_gt_u32_e32 4, v0
	s_cbranch_execz .LBB87_27
; %bb.24:
	v_mov_b64_e32 v[52:53], 0
	v_dual_add_nc_u32 v9, -1, v0 :: v_dual_mov_b32 v13, v2
	v_add_nc_u32_e32 v11, 0xc0, v2
	s_mov_b32 s1, 0
.LBB87_25:                              ; =>This Inner Loop Header: Depth=1
	scratch_load_b64 v[54:55], v13, off
	ds_load_b64 v[56:57], v11
	v_dual_add_nc_u32 v9, 1, v9 :: v_dual_add_nc_u32 v11, 8, v11
	s_wait_xcnt 0x0
	v_add_nc_u32_e32 v13, 8, v13
	s_delay_alu instid0(VALU_DEP_2)
	v_cmp_lt_u32_e32 vcc_lo, 2, v9
	s_or_b32 s1, vcc_lo, s1
	s_wait_loadcnt_dscnt 0x0
	v_fmac_f64_e32 v[52:53], v[54:55], v[56:57]
	s_and_not1_b32 exec_lo, exec_lo, s1
	s_cbranch_execnz .LBB87_25
; %bb.26:
	s_or_b32 exec_lo, exec_lo, s1
	v_mov_b32_e32 v9, 0
	ds_load_b64 v[54:55], v9 offset:32
	s_wait_dscnt 0x0
	v_mul_f64_e32 v[52:53], v[52:53], v[54:55]
	scratch_store_b64 off, v[52:53], off offset:32
.LBB87_27:
	s_wait_xcnt 0x0
	s_or_b32 exec_lo, exec_lo, s0
	s_wait_storecnt 0x0
	s_barrier_signal -1
	s_barrier_wait -1
	scratch_load_b64 v[52:53], off, off offset:40
	s_mov_b32 s0, exec_lo
	s_wait_loadcnt 0x0
	ds_store_b64 v1, v[52:53]
	s_wait_dscnt 0x0
	s_barrier_signal -1
	s_barrier_wait -1
	v_cmpx_gt_u32_e32 5, v0
	s_cbranch_execz .LBB87_31
; %bb.28:
	v_mov_b64_e32 v[52:53], 0
	v_dual_add_nc_u32 v9, -1, v0 :: v_dual_mov_b32 v13, v2
	v_add_nc_u32_e32 v11, 0xc0, v2
	s_mov_b32 s1, 0
.LBB87_29:                              ; =>This Inner Loop Header: Depth=1
	scratch_load_b64 v[54:55], v13, off
	ds_load_b64 v[56:57], v11
	v_dual_add_nc_u32 v9, 1, v9 :: v_dual_add_nc_u32 v11, 8, v11
	s_wait_xcnt 0x0
	v_add_nc_u32_e32 v13, 8, v13
	s_delay_alu instid0(VALU_DEP_2)
	v_cmp_lt_u32_e32 vcc_lo, 3, v9
	s_or_b32 s1, vcc_lo, s1
	s_wait_loadcnt_dscnt 0x0
	v_fmac_f64_e32 v[52:53], v[54:55], v[56:57]
	s_and_not1_b32 exec_lo, exec_lo, s1
	s_cbranch_execnz .LBB87_29
; %bb.30:
	s_or_b32 exec_lo, exec_lo, s1
	v_mov_b32_e32 v9, 0
	ds_load_b64 v[54:55], v9 offset:40
	s_wait_dscnt 0x0
	v_mul_f64_e32 v[52:53], v[52:53], v[54:55]
	scratch_store_b64 off, v[52:53], off offset:40
.LBB87_31:
	s_wait_xcnt 0x0
	s_or_b32 exec_lo, exec_lo, s0
	s_wait_storecnt 0x0
	s_barrier_signal -1
	s_barrier_wait -1
	scratch_load_b64 v[52:53], off, off offset:48
	s_mov_b32 s0, exec_lo
	s_wait_loadcnt 0x0
	ds_store_b64 v1, v[52:53]
	s_wait_dscnt 0x0
	s_barrier_signal -1
	s_barrier_wait -1
	v_cmpx_gt_u32_e32 6, v0
	s_cbranch_execz .LBB87_35
; %bb.32:
	v_mov_b64_e32 v[52:53], 0
	v_dual_add_nc_u32 v9, -1, v0 :: v_dual_mov_b32 v13, v2
	v_add_nc_u32_e32 v11, 0xc0, v2
	s_mov_b32 s1, 0
.LBB87_33:                              ; =>This Inner Loop Header: Depth=1
	scratch_load_b64 v[54:55], v13, off
	ds_load_b64 v[56:57], v11
	v_dual_add_nc_u32 v9, 1, v9 :: v_dual_add_nc_u32 v11, 8, v11
	s_wait_xcnt 0x0
	v_add_nc_u32_e32 v13, 8, v13
	s_delay_alu instid0(VALU_DEP_2)
	v_cmp_lt_u32_e32 vcc_lo, 4, v9
	s_or_b32 s1, vcc_lo, s1
	s_wait_loadcnt_dscnt 0x0
	v_fmac_f64_e32 v[52:53], v[54:55], v[56:57]
	s_and_not1_b32 exec_lo, exec_lo, s1
	s_cbranch_execnz .LBB87_33
; %bb.34:
	s_or_b32 exec_lo, exec_lo, s1
	v_mov_b32_e32 v9, 0
	ds_load_b64 v[54:55], v9 offset:48
	s_wait_dscnt 0x0
	v_mul_f64_e32 v[52:53], v[52:53], v[54:55]
	scratch_store_b64 off, v[52:53], off offset:48
.LBB87_35:
	s_wait_xcnt 0x0
	s_or_b32 exec_lo, exec_lo, s0
	s_wait_storecnt 0x0
	s_barrier_signal -1
	s_barrier_wait -1
	scratch_load_b64 v[52:53], off, off offset:56
	s_mov_b32 s0, exec_lo
	s_wait_loadcnt 0x0
	ds_store_b64 v1, v[52:53]
	s_wait_dscnt 0x0
	s_barrier_signal -1
	s_barrier_wait -1
	v_cmpx_gt_u32_e32 7, v0
	s_cbranch_execz .LBB87_39
; %bb.36:
	v_mov_b64_e32 v[52:53], 0
	v_dual_add_nc_u32 v9, -1, v0 :: v_dual_mov_b32 v13, v2
	v_add_nc_u32_e32 v11, 0xc0, v2
	s_mov_b32 s1, 0
.LBB87_37:                              ; =>This Inner Loop Header: Depth=1
	scratch_load_b64 v[54:55], v13, off
	ds_load_b64 v[56:57], v11
	v_dual_add_nc_u32 v9, 1, v9 :: v_dual_add_nc_u32 v11, 8, v11
	s_wait_xcnt 0x0
	v_add_nc_u32_e32 v13, 8, v13
	s_delay_alu instid0(VALU_DEP_2)
	v_cmp_lt_u32_e32 vcc_lo, 5, v9
	s_or_b32 s1, vcc_lo, s1
	s_wait_loadcnt_dscnt 0x0
	v_fmac_f64_e32 v[52:53], v[54:55], v[56:57]
	s_and_not1_b32 exec_lo, exec_lo, s1
	s_cbranch_execnz .LBB87_37
; %bb.38:
	s_or_b32 exec_lo, exec_lo, s1
	v_mov_b32_e32 v9, 0
	ds_load_b64 v[54:55], v9 offset:56
	s_wait_dscnt 0x0
	v_mul_f64_e32 v[52:53], v[52:53], v[54:55]
	scratch_store_b64 off, v[52:53], off offset:56
.LBB87_39:
	s_wait_xcnt 0x0
	s_or_b32 exec_lo, exec_lo, s0
	s_wait_storecnt 0x0
	s_barrier_signal -1
	s_barrier_wait -1
	scratch_load_b64 v[52:53], off, off offset:64
	s_mov_b32 s0, exec_lo
	s_wait_loadcnt 0x0
	ds_store_b64 v1, v[52:53]
	s_wait_dscnt 0x0
	s_barrier_signal -1
	s_barrier_wait -1
	v_cmpx_gt_u32_e32 8, v0
	s_cbranch_execz .LBB87_43
; %bb.40:
	v_mov_b64_e32 v[52:53], 0
	v_dual_add_nc_u32 v9, -1, v0 :: v_dual_mov_b32 v13, v2
	v_add_nc_u32_e32 v11, 0xc0, v2
	s_mov_b32 s1, 0
.LBB87_41:                              ; =>This Inner Loop Header: Depth=1
	scratch_load_b64 v[54:55], v13, off
	ds_load_b64 v[56:57], v11
	v_dual_add_nc_u32 v9, 1, v9 :: v_dual_add_nc_u32 v11, 8, v11
	s_wait_xcnt 0x0
	v_add_nc_u32_e32 v13, 8, v13
	s_delay_alu instid0(VALU_DEP_2)
	v_cmp_lt_u32_e32 vcc_lo, 6, v9
	s_or_b32 s1, vcc_lo, s1
	s_wait_loadcnt_dscnt 0x0
	v_fmac_f64_e32 v[52:53], v[54:55], v[56:57]
	s_and_not1_b32 exec_lo, exec_lo, s1
	s_cbranch_execnz .LBB87_41
; %bb.42:
	s_or_b32 exec_lo, exec_lo, s1
	v_mov_b32_e32 v9, 0
	ds_load_b64 v[54:55], v9 offset:64
	s_wait_dscnt 0x0
	v_mul_f64_e32 v[52:53], v[52:53], v[54:55]
	scratch_store_b64 off, v[52:53], off offset:64
.LBB87_43:
	s_wait_xcnt 0x0
	s_or_b32 exec_lo, exec_lo, s0
	s_wait_storecnt 0x0
	s_barrier_signal -1
	s_barrier_wait -1
	scratch_load_b64 v[52:53], off, off offset:72
	s_mov_b32 s0, exec_lo
	s_wait_loadcnt 0x0
	ds_store_b64 v1, v[52:53]
	s_wait_dscnt 0x0
	s_barrier_signal -1
	s_barrier_wait -1
	v_cmpx_gt_u32_e32 9, v0
	s_cbranch_execz .LBB87_47
; %bb.44:
	v_mov_b64_e32 v[52:53], 0
	v_dual_add_nc_u32 v9, -1, v0 :: v_dual_mov_b32 v13, v2
	v_add_nc_u32_e32 v11, 0xc0, v2
	s_mov_b32 s1, 0
.LBB87_45:                              ; =>This Inner Loop Header: Depth=1
	scratch_load_b64 v[54:55], v13, off
	ds_load_b64 v[56:57], v11
	v_dual_add_nc_u32 v9, 1, v9 :: v_dual_add_nc_u32 v11, 8, v11
	s_wait_xcnt 0x0
	v_add_nc_u32_e32 v13, 8, v13
	s_delay_alu instid0(VALU_DEP_2)
	v_cmp_lt_u32_e32 vcc_lo, 7, v9
	s_or_b32 s1, vcc_lo, s1
	s_wait_loadcnt_dscnt 0x0
	v_fmac_f64_e32 v[52:53], v[54:55], v[56:57]
	s_and_not1_b32 exec_lo, exec_lo, s1
	s_cbranch_execnz .LBB87_45
; %bb.46:
	s_or_b32 exec_lo, exec_lo, s1
	v_mov_b32_e32 v9, 0
	ds_load_b64 v[54:55], v9 offset:72
	s_wait_dscnt 0x0
	v_mul_f64_e32 v[52:53], v[52:53], v[54:55]
	scratch_store_b64 off, v[52:53], off offset:72
.LBB87_47:
	s_wait_xcnt 0x0
	s_or_b32 exec_lo, exec_lo, s0
	s_wait_storecnt 0x0
	s_barrier_signal -1
	s_barrier_wait -1
	scratch_load_b64 v[52:53], off, off offset:80
	s_mov_b32 s0, exec_lo
	s_wait_loadcnt 0x0
	ds_store_b64 v1, v[52:53]
	s_wait_dscnt 0x0
	s_barrier_signal -1
	s_barrier_wait -1
	v_cmpx_gt_u32_e32 10, v0
	s_cbranch_execz .LBB87_51
; %bb.48:
	v_mov_b64_e32 v[52:53], 0
	v_dual_add_nc_u32 v9, -1, v0 :: v_dual_mov_b32 v13, v2
	v_add_nc_u32_e32 v11, 0xc0, v2
	s_mov_b32 s1, 0
.LBB87_49:                              ; =>This Inner Loop Header: Depth=1
	scratch_load_b64 v[54:55], v13, off
	ds_load_b64 v[56:57], v11
	v_dual_add_nc_u32 v9, 1, v9 :: v_dual_add_nc_u32 v11, 8, v11
	s_wait_xcnt 0x0
	v_add_nc_u32_e32 v13, 8, v13
	s_delay_alu instid0(VALU_DEP_2)
	v_cmp_lt_u32_e32 vcc_lo, 8, v9
	s_or_b32 s1, vcc_lo, s1
	s_wait_loadcnt_dscnt 0x0
	v_fmac_f64_e32 v[52:53], v[54:55], v[56:57]
	s_and_not1_b32 exec_lo, exec_lo, s1
	s_cbranch_execnz .LBB87_49
; %bb.50:
	s_or_b32 exec_lo, exec_lo, s1
	v_mov_b32_e32 v9, 0
	ds_load_b64 v[54:55], v9 offset:80
	s_wait_dscnt 0x0
	v_mul_f64_e32 v[52:53], v[52:53], v[54:55]
	scratch_store_b64 off, v[52:53], off offset:80
.LBB87_51:
	s_wait_xcnt 0x0
	s_or_b32 exec_lo, exec_lo, s0
	s_wait_storecnt 0x0
	s_barrier_signal -1
	s_barrier_wait -1
	scratch_load_b64 v[52:53], off, off offset:88
	s_mov_b32 s0, exec_lo
	s_wait_loadcnt 0x0
	ds_store_b64 v1, v[52:53]
	s_wait_dscnt 0x0
	s_barrier_signal -1
	s_barrier_wait -1
	v_cmpx_gt_u32_e32 11, v0
	s_cbranch_execz .LBB87_55
; %bb.52:
	v_mov_b64_e32 v[52:53], 0
	v_dual_add_nc_u32 v9, -1, v0 :: v_dual_mov_b32 v13, v2
	v_add_nc_u32_e32 v11, 0xc0, v2
	s_mov_b32 s1, 0
.LBB87_53:                              ; =>This Inner Loop Header: Depth=1
	scratch_load_b64 v[54:55], v13, off
	ds_load_b64 v[56:57], v11
	v_dual_add_nc_u32 v9, 1, v9 :: v_dual_add_nc_u32 v11, 8, v11
	s_wait_xcnt 0x0
	v_add_nc_u32_e32 v13, 8, v13
	s_delay_alu instid0(VALU_DEP_2)
	v_cmp_lt_u32_e32 vcc_lo, 9, v9
	s_or_b32 s1, vcc_lo, s1
	s_wait_loadcnt_dscnt 0x0
	v_fmac_f64_e32 v[52:53], v[54:55], v[56:57]
	s_and_not1_b32 exec_lo, exec_lo, s1
	s_cbranch_execnz .LBB87_53
; %bb.54:
	s_or_b32 exec_lo, exec_lo, s1
	v_mov_b32_e32 v9, 0
	ds_load_b64 v[54:55], v9 offset:88
	s_wait_dscnt 0x0
	v_mul_f64_e32 v[52:53], v[52:53], v[54:55]
	scratch_store_b64 off, v[52:53], off offset:88
.LBB87_55:
	s_wait_xcnt 0x0
	s_or_b32 exec_lo, exec_lo, s0
	s_wait_storecnt 0x0
	s_barrier_signal -1
	s_barrier_wait -1
	scratch_load_b64 v[52:53], off, off offset:96
	s_mov_b32 s0, exec_lo
	s_wait_loadcnt 0x0
	ds_store_b64 v1, v[52:53]
	s_wait_dscnt 0x0
	s_barrier_signal -1
	s_barrier_wait -1
	v_cmpx_gt_u32_e32 12, v0
	s_cbranch_execz .LBB87_59
; %bb.56:
	v_mov_b64_e32 v[52:53], 0
	v_dual_add_nc_u32 v9, -1, v0 :: v_dual_mov_b32 v13, v2
	v_add_nc_u32_e32 v11, 0xc0, v2
	s_mov_b32 s1, 0
.LBB87_57:                              ; =>This Inner Loop Header: Depth=1
	scratch_load_b64 v[54:55], v13, off
	ds_load_b64 v[56:57], v11
	v_dual_add_nc_u32 v9, 1, v9 :: v_dual_add_nc_u32 v11, 8, v11
	s_wait_xcnt 0x0
	v_add_nc_u32_e32 v13, 8, v13
	s_delay_alu instid0(VALU_DEP_2)
	v_cmp_lt_u32_e32 vcc_lo, 10, v9
	s_or_b32 s1, vcc_lo, s1
	s_wait_loadcnt_dscnt 0x0
	v_fmac_f64_e32 v[52:53], v[54:55], v[56:57]
	s_and_not1_b32 exec_lo, exec_lo, s1
	s_cbranch_execnz .LBB87_57
; %bb.58:
	s_or_b32 exec_lo, exec_lo, s1
	v_mov_b32_e32 v9, 0
	ds_load_b64 v[54:55], v9 offset:96
	s_wait_dscnt 0x0
	v_mul_f64_e32 v[52:53], v[52:53], v[54:55]
	scratch_store_b64 off, v[52:53], off offset:96
.LBB87_59:
	s_wait_xcnt 0x0
	s_or_b32 exec_lo, exec_lo, s0
	s_wait_storecnt 0x0
	s_barrier_signal -1
	s_barrier_wait -1
	scratch_load_b64 v[52:53], off, off offset:104
	s_mov_b32 s0, exec_lo
	s_wait_loadcnt 0x0
	ds_store_b64 v1, v[52:53]
	s_wait_dscnt 0x0
	s_barrier_signal -1
	s_barrier_wait -1
	v_cmpx_gt_u32_e32 13, v0
	s_cbranch_execz .LBB87_63
; %bb.60:
	v_mov_b64_e32 v[52:53], 0
	v_dual_add_nc_u32 v9, -1, v0 :: v_dual_mov_b32 v13, v2
	v_add_nc_u32_e32 v11, 0xc0, v2
	s_mov_b32 s1, 0
.LBB87_61:                              ; =>This Inner Loop Header: Depth=1
	scratch_load_b64 v[54:55], v13, off
	ds_load_b64 v[56:57], v11
	v_dual_add_nc_u32 v9, 1, v9 :: v_dual_add_nc_u32 v11, 8, v11
	s_wait_xcnt 0x0
	v_add_nc_u32_e32 v13, 8, v13
	s_delay_alu instid0(VALU_DEP_2)
	v_cmp_lt_u32_e32 vcc_lo, 11, v9
	s_or_b32 s1, vcc_lo, s1
	s_wait_loadcnt_dscnt 0x0
	v_fmac_f64_e32 v[52:53], v[54:55], v[56:57]
	s_and_not1_b32 exec_lo, exec_lo, s1
	s_cbranch_execnz .LBB87_61
; %bb.62:
	s_or_b32 exec_lo, exec_lo, s1
	v_mov_b32_e32 v9, 0
	ds_load_b64 v[54:55], v9 offset:104
	s_wait_dscnt 0x0
	v_mul_f64_e32 v[52:53], v[52:53], v[54:55]
	scratch_store_b64 off, v[52:53], off offset:104
.LBB87_63:
	s_wait_xcnt 0x0
	s_or_b32 exec_lo, exec_lo, s0
	s_wait_storecnt 0x0
	s_barrier_signal -1
	s_barrier_wait -1
	scratch_load_b64 v[52:53], off, off offset:112
	s_mov_b32 s0, exec_lo
	s_wait_loadcnt 0x0
	ds_store_b64 v1, v[52:53]
	s_wait_dscnt 0x0
	s_barrier_signal -1
	s_barrier_wait -1
	v_cmpx_gt_u32_e32 14, v0
	s_cbranch_execz .LBB87_67
; %bb.64:
	v_mov_b64_e32 v[52:53], 0
	v_dual_add_nc_u32 v9, -1, v0 :: v_dual_mov_b32 v13, v2
	v_add_nc_u32_e32 v11, 0xc0, v2
	s_mov_b32 s1, 0
.LBB87_65:                              ; =>This Inner Loop Header: Depth=1
	scratch_load_b64 v[54:55], v13, off
	ds_load_b64 v[56:57], v11
	v_dual_add_nc_u32 v9, 1, v9 :: v_dual_add_nc_u32 v11, 8, v11
	s_wait_xcnt 0x0
	v_add_nc_u32_e32 v13, 8, v13
	s_delay_alu instid0(VALU_DEP_2)
	v_cmp_lt_u32_e32 vcc_lo, 12, v9
	s_or_b32 s1, vcc_lo, s1
	s_wait_loadcnt_dscnt 0x0
	v_fmac_f64_e32 v[52:53], v[54:55], v[56:57]
	s_and_not1_b32 exec_lo, exec_lo, s1
	s_cbranch_execnz .LBB87_65
; %bb.66:
	s_or_b32 exec_lo, exec_lo, s1
	v_mov_b32_e32 v9, 0
	ds_load_b64 v[54:55], v9 offset:112
	s_wait_dscnt 0x0
	v_mul_f64_e32 v[52:53], v[52:53], v[54:55]
	scratch_store_b64 off, v[52:53], off offset:112
.LBB87_67:
	s_wait_xcnt 0x0
	s_or_b32 exec_lo, exec_lo, s0
	s_wait_storecnt 0x0
	s_barrier_signal -1
	s_barrier_wait -1
	scratch_load_b64 v[52:53], off, off offset:120
	s_mov_b32 s0, exec_lo
	s_wait_loadcnt 0x0
	ds_store_b64 v1, v[52:53]
	s_wait_dscnt 0x0
	s_barrier_signal -1
	s_barrier_wait -1
	v_cmpx_gt_u32_e32 15, v0
	s_cbranch_execz .LBB87_71
; %bb.68:
	v_mov_b64_e32 v[52:53], 0
	v_dual_add_nc_u32 v9, -1, v0 :: v_dual_mov_b32 v13, v2
	v_add_nc_u32_e32 v11, 0xc0, v2
	s_mov_b32 s1, 0
.LBB87_69:                              ; =>This Inner Loop Header: Depth=1
	scratch_load_b64 v[54:55], v13, off
	ds_load_b64 v[56:57], v11
	v_dual_add_nc_u32 v9, 1, v9 :: v_dual_add_nc_u32 v11, 8, v11
	s_wait_xcnt 0x0
	v_add_nc_u32_e32 v13, 8, v13
	s_delay_alu instid0(VALU_DEP_2)
	v_cmp_lt_u32_e32 vcc_lo, 13, v9
	s_or_b32 s1, vcc_lo, s1
	s_wait_loadcnt_dscnt 0x0
	v_fmac_f64_e32 v[52:53], v[54:55], v[56:57]
	s_and_not1_b32 exec_lo, exec_lo, s1
	s_cbranch_execnz .LBB87_69
; %bb.70:
	s_or_b32 exec_lo, exec_lo, s1
	v_mov_b32_e32 v9, 0
	ds_load_b64 v[54:55], v9 offset:120
	s_wait_dscnt 0x0
	v_mul_f64_e32 v[52:53], v[52:53], v[54:55]
	scratch_store_b64 off, v[52:53], off offset:120
.LBB87_71:
	s_wait_xcnt 0x0
	s_or_b32 exec_lo, exec_lo, s0
	s_wait_storecnt 0x0
	s_barrier_signal -1
	s_barrier_wait -1
	scratch_load_b64 v[52:53], off, off offset:128
	s_mov_b32 s0, exec_lo
	s_wait_loadcnt 0x0
	ds_store_b64 v1, v[52:53]
	s_wait_dscnt 0x0
	s_barrier_signal -1
	s_barrier_wait -1
	v_cmpx_gt_u32_e32 16, v0
	s_cbranch_execz .LBB87_75
; %bb.72:
	v_mov_b64_e32 v[52:53], 0
	v_dual_add_nc_u32 v9, -1, v0 :: v_dual_mov_b32 v13, v2
	v_add_nc_u32_e32 v11, 0xc0, v2
	s_mov_b32 s1, 0
.LBB87_73:                              ; =>This Inner Loop Header: Depth=1
	scratch_load_b64 v[54:55], v13, off
	ds_load_b64 v[56:57], v11
	v_dual_add_nc_u32 v9, 1, v9 :: v_dual_add_nc_u32 v11, 8, v11
	s_wait_xcnt 0x0
	v_add_nc_u32_e32 v13, 8, v13
	s_delay_alu instid0(VALU_DEP_2)
	v_cmp_lt_u32_e32 vcc_lo, 14, v9
	s_or_b32 s1, vcc_lo, s1
	s_wait_loadcnt_dscnt 0x0
	v_fmac_f64_e32 v[52:53], v[54:55], v[56:57]
	s_and_not1_b32 exec_lo, exec_lo, s1
	s_cbranch_execnz .LBB87_73
; %bb.74:
	s_or_b32 exec_lo, exec_lo, s1
	v_mov_b32_e32 v9, 0
	ds_load_b64 v[54:55], v9 offset:128
	s_wait_dscnt 0x0
	v_mul_f64_e32 v[52:53], v[52:53], v[54:55]
	scratch_store_b64 off, v[52:53], off offset:128
.LBB87_75:
	s_wait_xcnt 0x0
	s_or_b32 exec_lo, exec_lo, s0
	s_wait_storecnt 0x0
	s_barrier_signal -1
	s_barrier_wait -1
	scratch_load_b64 v[52:53], off, off offset:136
	s_mov_b32 s0, exec_lo
	s_wait_loadcnt 0x0
	ds_store_b64 v1, v[52:53]
	s_wait_dscnt 0x0
	s_barrier_signal -1
	s_barrier_wait -1
	v_cmpx_gt_u32_e32 17, v0
	s_cbranch_execz .LBB87_79
; %bb.76:
	v_mov_b64_e32 v[52:53], 0
	v_dual_add_nc_u32 v9, -1, v0 :: v_dual_mov_b32 v13, v2
	v_add_nc_u32_e32 v11, 0xc0, v2
	s_mov_b32 s1, 0
.LBB87_77:                              ; =>This Inner Loop Header: Depth=1
	scratch_load_b64 v[54:55], v13, off
	ds_load_b64 v[56:57], v11
	v_dual_add_nc_u32 v9, 1, v9 :: v_dual_add_nc_u32 v11, 8, v11
	s_wait_xcnt 0x0
	v_add_nc_u32_e32 v13, 8, v13
	s_delay_alu instid0(VALU_DEP_2)
	v_cmp_lt_u32_e32 vcc_lo, 15, v9
	s_or_b32 s1, vcc_lo, s1
	s_wait_loadcnt_dscnt 0x0
	v_fmac_f64_e32 v[52:53], v[54:55], v[56:57]
	s_and_not1_b32 exec_lo, exec_lo, s1
	s_cbranch_execnz .LBB87_77
; %bb.78:
	s_or_b32 exec_lo, exec_lo, s1
	v_mov_b32_e32 v9, 0
	ds_load_b64 v[54:55], v9 offset:136
	s_wait_dscnt 0x0
	v_mul_f64_e32 v[52:53], v[52:53], v[54:55]
	scratch_store_b64 off, v[52:53], off offset:136
.LBB87_79:
	s_wait_xcnt 0x0
	s_or_b32 exec_lo, exec_lo, s0
	s_wait_storecnt 0x0
	s_barrier_signal -1
	s_barrier_wait -1
	scratch_load_b64 v[52:53], off, off offset:144
	s_mov_b32 s0, exec_lo
	s_wait_loadcnt 0x0
	ds_store_b64 v1, v[52:53]
	s_wait_dscnt 0x0
	s_barrier_signal -1
	s_barrier_wait -1
	v_cmpx_gt_u32_e32 18, v0
	s_cbranch_execz .LBB87_83
; %bb.80:
	v_mov_b64_e32 v[52:53], 0
	v_dual_add_nc_u32 v9, -1, v0 :: v_dual_mov_b32 v13, v2
	v_add_nc_u32_e32 v11, 0xc0, v2
	s_mov_b32 s1, 0
.LBB87_81:                              ; =>This Inner Loop Header: Depth=1
	scratch_load_b64 v[54:55], v13, off
	ds_load_b64 v[56:57], v11
	v_dual_add_nc_u32 v9, 1, v9 :: v_dual_add_nc_u32 v11, 8, v11
	s_wait_xcnt 0x0
	v_add_nc_u32_e32 v13, 8, v13
	s_delay_alu instid0(VALU_DEP_2)
	v_cmp_lt_u32_e32 vcc_lo, 16, v9
	s_or_b32 s1, vcc_lo, s1
	s_wait_loadcnt_dscnt 0x0
	v_fmac_f64_e32 v[52:53], v[54:55], v[56:57]
	s_and_not1_b32 exec_lo, exec_lo, s1
	s_cbranch_execnz .LBB87_81
; %bb.82:
	s_or_b32 exec_lo, exec_lo, s1
	v_mov_b32_e32 v9, 0
	ds_load_b64 v[54:55], v9 offset:144
	s_wait_dscnt 0x0
	v_mul_f64_e32 v[52:53], v[52:53], v[54:55]
	scratch_store_b64 off, v[52:53], off offset:144
.LBB87_83:
	s_wait_xcnt 0x0
	s_or_b32 exec_lo, exec_lo, s0
	s_wait_storecnt 0x0
	s_barrier_signal -1
	s_barrier_wait -1
	scratch_load_b64 v[52:53], off, off offset:152
	s_mov_b32 s0, exec_lo
	s_wait_loadcnt 0x0
	ds_store_b64 v1, v[52:53]
	s_wait_dscnt 0x0
	s_barrier_signal -1
	s_barrier_wait -1
	v_cmpx_gt_u32_e32 19, v0
	s_cbranch_execz .LBB87_87
; %bb.84:
	v_mov_b64_e32 v[52:53], 0
	v_dual_add_nc_u32 v9, -1, v0 :: v_dual_mov_b32 v13, v2
	v_add_nc_u32_e32 v11, 0xc0, v2
	s_mov_b32 s1, 0
.LBB87_85:                              ; =>This Inner Loop Header: Depth=1
	scratch_load_b64 v[54:55], v13, off
	ds_load_b64 v[56:57], v11
	v_dual_add_nc_u32 v9, 1, v9 :: v_dual_add_nc_u32 v11, 8, v11
	s_wait_xcnt 0x0
	v_add_nc_u32_e32 v13, 8, v13
	s_delay_alu instid0(VALU_DEP_2)
	v_cmp_lt_u32_e32 vcc_lo, 17, v9
	s_or_b32 s1, vcc_lo, s1
	s_wait_loadcnt_dscnt 0x0
	v_fmac_f64_e32 v[52:53], v[54:55], v[56:57]
	s_and_not1_b32 exec_lo, exec_lo, s1
	s_cbranch_execnz .LBB87_85
; %bb.86:
	s_or_b32 exec_lo, exec_lo, s1
	v_mov_b32_e32 v9, 0
	ds_load_b64 v[54:55], v9 offset:152
	s_wait_dscnt 0x0
	v_mul_f64_e32 v[52:53], v[52:53], v[54:55]
	scratch_store_b64 off, v[52:53], off offset:152
.LBB87_87:
	s_wait_xcnt 0x0
	s_or_b32 exec_lo, exec_lo, s0
	s_wait_storecnt 0x0
	s_barrier_signal -1
	s_barrier_wait -1
	scratch_load_b64 v[52:53], off, off offset:160
	s_mov_b32 s0, exec_lo
	s_wait_loadcnt 0x0
	ds_store_b64 v1, v[52:53]
	s_wait_dscnt 0x0
	s_barrier_signal -1
	s_barrier_wait -1
	v_cmpx_gt_u32_e32 20, v0
	s_cbranch_execz .LBB87_91
; %bb.88:
	v_mov_b64_e32 v[52:53], 0
	v_dual_add_nc_u32 v9, -1, v0 :: v_dual_mov_b32 v13, v2
	v_add_nc_u32_e32 v11, 0xc0, v2
	s_mov_b32 s1, 0
.LBB87_89:                              ; =>This Inner Loop Header: Depth=1
	scratch_load_b64 v[54:55], v13, off
	ds_load_b64 v[56:57], v11
	v_dual_add_nc_u32 v9, 1, v9 :: v_dual_add_nc_u32 v11, 8, v11
	s_wait_xcnt 0x0
	v_add_nc_u32_e32 v13, 8, v13
	s_delay_alu instid0(VALU_DEP_2)
	v_cmp_lt_u32_e32 vcc_lo, 18, v9
	s_or_b32 s1, vcc_lo, s1
	s_wait_loadcnt_dscnt 0x0
	v_fmac_f64_e32 v[52:53], v[54:55], v[56:57]
	s_and_not1_b32 exec_lo, exec_lo, s1
	s_cbranch_execnz .LBB87_89
; %bb.90:
	s_or_b32 exec_lo, exec_lo, s1
	v_mov_b32_e32 v9, 0
	ds_load_b64 v[54:55], v9 offset:160
	s_wait_dscnt 0x0
	v_mul_f64_e32 v[52:53], v[52:53], v[54:55]
	scratch_store_b64 off, v[52:53], off offset:160
.LBB87_91:
	s_wait_xcnt 0x0
	s_or_b32 exec_lo, exec_lo, s0
	s_wait_storecnt 0x0
	s_barrier_signal -1
	s_barrier_wait -1
	scratch_load_b64 v[52:53], off, off offset:168
	s_mov_b32 s0, exec_lo
	s_wait_loadcnt 0x0
	ds_store_b64 v1, v[52:53]
	s_wait_dscnt 0x0
	s_barrier_signal -1
	s_barrier_wait -1
	v_cmpx_gt_u32_e32 21, v0
	s_cbranch_execz .LBB87_95
; %bb.92:
	v_mov_b64_e32 v[52:53], 0
	v_dual_add_nc_u32 v9, -1, v0 :: v_dual_mov_b32 v13, v2
	v_add_nc_u32_e32 v11, 0xc0, v2
	s_mov_b32 s1, 0
.LBB87_93:                              ; =>This Inner Loop Header: Depth=1
	scratch_load_b64 v[54:55], v13, off
	ds_load_b64 v[56:57], v11
	v_dual_add_nc_u32 v9, 1, v9 :: v_dual_add_nc_u32 v11, 8, v11
	s_wait_xcnt 0x0
	v_add_nc_u32_e32 v13, 8, v13
	s_delay_alu instid0(VALU_DEP_2)
	v_cmp_lt_u32_e32 vcc_lo, 19, v9
	s_or_b32 s1, vcc_lo, s1
	s_wait_loadcnt_dscnt 0x0
	v_fmac_f64_e32 v[52:53], v[54:55], v[56:57]
	s_and_not1_b32 exec_lo, exec_lo, s1
	s_cbranch_execnz .LBB87_93
; %bb.94:
	s_or_b32 exec_lo, exec_lo, s1
	v_mov_b32_e32 v9, 0
	ds_load_b64 v[54:55], v9 offset:168
	s_wait_dscnt 0x0
	v_mul_f64_e32 v[52:53], v[52:53], v[54:55]
	scratch_store_b64 off, v[52:53], off offset:168
.LBB87_95:
	s_wait_xcnt 0x0
	s_or_b32 exec_lo, exec_lo, s0
	s_wait_storecnt 0x0
	s_barrier_signal -1
	s_barrier_wait -1
	scratch_load_b64 v[52:53], off, off offset:176
	s_mov_b32 s0, exec_lo
	s_wait_loadcnt 0x0
	ds_store_b64 v1, v[52:53]
	s_wait_dscnt 0x0
	s_barrier_signal -1
	s_barrier_wait -1
	v_cmpx_gt_u32_e32 22, v0
	s_cbranch_execz .LBB87_99
; %bb.96:
	v_mov_b64_e32 v[52:53], 0
	v_dual_add_nc_u32 v9, -1, v0 :: v_dual_mov_b32 v13, v2
	v_add_nc_u32_e32 v11, 0xc0, v2
	s_mov_b32 s1, 0
.LBB87_97:                              ; =>This Inner Loop Header: Depth=1
	scratch_load_b64 v[54:55], v13, off
	ds_load_b64 v[56:57], v11
	v_dual_add_nc_u32 v9, 1, v9 :: v_dual_add_nc_u32 v11, 8, v11
	s_wait_xcnt 0x0
	v_add_nc_u32_e32 v13, 8, v13
	s_delay_alu instid0(VALU_DEP_2)
	v_cmp_lt_u32_e32 vcc_lo, 20, v9
	s_or_b32 s1, vcc_lo, s1
	s_wait_loadcnt_dscnt 0x0
	v_fmac_f64_e32 v[52:53], v[54:55], v[56:57]
	s_and_not1_b32 exec_lo, exec_lo, s1
	s_cbranch_execnz .LBB87_97
; %bb.98:
	s_or_b32 exec_lo, exec_lo, s1
	v_mov_b32_e32 v9, 0
	ds_load_b64 v[54:55], v9 offset:176
	s_wait_dscnt 0x0
	v_mul_f64_e32 v[52:53], v[52:53], v[54:55]
	scratch_store_b64 off, v[52:53], off offset:176
.LBB87_99:
	s_wait_xcnt 0x0
	s_or_b32 exec_lo, exec_lo, s0
	s_wait_storecnt 0x0
	s_barrier_signal -1
	s_barrier_wait -1
	scratch_load_b64 v[52:53], off, off offset:184
	s_mov_b32 s0, exec_lo
	s_wait_loadcnt 0x0
	ds_store_b64 v1, v[52:53]
	s_wait_dscnt 0x0
	s_barrier_signal -1
	s_barrier_wait -1
	v_cmpx_ne_u32_e32 23, v0
	s_cbranch_execz .LBB87_103
; %bb.100:
	v_mov_b64_e32 v[52:53], 0
	s_mov_b32 s1, 0
.LBB87_101:                             ; =>This Inner Loop Header: Depth=1
	scratch_load_b64 v[54:55], v2, off
	ds_load_b64 v[56:57], v1
	v_dual_add_nc_u32 v3, 1, v3 :: v_dual_add_nc_u32 v1, 8, v1
	s_wait_xcnt 0x0
	v_add_nc_u32_e32 v2, 8, v2
	s_delay_alu instid0(VALU_DEP_2)
	v_cmp_lt_u32_e32 vcc_lo, 21, v3
	s_or_b32 s1, vcc_lo, s1
	s_wait_loadcnt_dscnt 0x0
	v_fmac_f64_e32 v[52:53], v[54:55], v[56:57]
	s_and_not1_b32 exec_lo, exec_lo, s1
	s_cbranch_execnz .LBB87_101
; %bb.102:
	s_or_b32 exec_lo, exec_lo, s1
	v_mov_b32_e32 v1, 0
	ds_load_b64 v[2:3], v1 offset:184
	s_wait_dscnt 0x0
	v_mul_f64_e32 v[2:3], v[52:53], v[2:3]
	scratch_store_b64 off, v[2:3], off offset:184
.LBB87_103:
	s_wait_xcnt 0x0
	s_or_b32 exec_lo, exec_lo, s0
	s_mov_b32 s1, -1
	s_wait_storecnt 0x0
	s_barrier_signal -1
	s_barrier_wait -1
.LBB87_104:
	s_and_b32 vcc_lo, exec_lo, s1
	s_cbranch_vccz .LBB87_106
; %bb.105:
	v_mov_b32_e32 v1, 0
	s_lshl_b64 s[0:1], s[10:11], 2
	s_delay_alu instid0(SALU_CYCLE_1)
	s_add_nc_u64 s[0:1], s[6:7], s[0:1]
	global_load_b32 v1, v1, s[0:1]
	s_wait_loadcnt 0x0
	v_cmp_ne_u32_e32 vcc_lo, 0, v1
	s_cbranch_vccz .LBB87_107
.LBB87_106:
	s_sendmsg sendmsg(MSG_DEALLOC_VGPRS)
	s_endpgm
.LBB87_107:
	s_wait_xcnt 0x0
	v_lshl_add_u32 v1, v0, 3, 0xc0
	s_mov_b32 s0, exec_lo
	v_cmpx_eq_u32_e32 23, v0
	s_cbranch_execz .LBB87_109
; %bb.108:
	scratch_load_b64 v[2:3], off, off offset:176
	v_mov_b64_e32 v[52:53], 0
	scratch_store_b64 off, v[52:53], off offset:176
	s_wait_loadcnt 0x0
	ds_store_b64 v1, v[2:3]
.LBB87_109:
	s_wait_xcnt 0x0
	s_or_b32 exec_lo, exec_lo, s0
	s_wait_storecnt_dscnt 0x0
	s_barrier_signal -1
	s_barrier_wait -1
	scratch_load_b128 v[52:55], off, off offset:176
	v_mov_b32_e32 v2, 0
	s_mov_b32 s0, exec_lo
	ds_load_b64 v[56:57], v2 offset:376
	s_wait_loadcnt_dscnt 0x0
	v_fma_f64 v[54:55], v[54:55], v[56:57], 0
	s_delay_alu instid0(VALU_DEP_1)
	v_add_f64_e64 v[52:53], v[52:53], -v[54:55]
	scratch_store_b64 off, v[52:53], off offset:176
	s_wait_xcnt 0x0
	v_cmpx_lt_u32_e32 21, v0
	s_cbranch_execz .LBB87_111
; %bb.110:
	scratch_load_b64 v[52:53], off, off offset:168
	v_mov_b64_e32 v[54:55], 0
	scratch_store_b64 off, v[54:55], off offset:168
	s_wait_loadcnt 0x0
	ds_store_b64 v1, v[52:53]
.LBB87_111:
	s_wait_xcnt 0x0
	s_or_b32 exec_lo, exec_lo, s0
	s_wait_storecnt_dscnt 0x0
	s_barrier_signal -1
	s_barrier_wait -1
	s_clause 0x1
	scratch_load_b128 v[52:55], off, off offset:168
	scratch_load_b64 v[60:61], off, off offset:184
	ds_load_b128 v[56:59], v2 offset:368
	s_mov_b32 s0, exec_lo
	s_wait_loadcnt_dscnt 0x100
	v_fma_f64 v[2:3], v[54:55], v[56:57], 0
	s_wait_loadcnt 0x0
	s_delay_alu instid0(VALU_DEP_1) | instskip(NEXT) | instid1(VALU_DEP_1)
	v_fmac_f64_e32 v[2:3], v[60:61], v[58:59]
	v_add_f64_e64 v[2:3], v[52:53], -v[2:3]
	scratch_store_b64 off, v[2:3], off offset:168
	s_wait_xcnt 0x0
	v_cmpx_lt_u32_e32 20, v0
	s_cbranch_execz .LBB87_113
; %bb.112:
	scratch_load_b64 v[2:3], off, off offset:160
	v_mov_b64_e32 v[52:53], 0
	scratch_store_b64 off, v[52:53], off offset:160
	s_wait_loadcnt 0x0
	ds_store_b64 v1, v[2:3]
.LBB87_113:
	s_wait_xcnt 0x0
	s_or_b32 exec_lo, exec_lo, s0
	s_wait_storecnt_dscnt 0x0
	s_barrier_signal -1
	s_barrier_wait -1
	s_clause 0x1
	scratch_load_b128 v[52:55], off, off offset:160
	scratch_load_b128 v[56:59], off, off offset:176
	v_mov_b32_e32 v2, 0
	ds_load_2addr_b64 v[60:63], v2 offset0:45 offset1:46
	ds_load_b64 v[64:65], v2 offset:376
	s_mov_b32 s0, exec_lo
	s_wait_loadcnt_dscnt 0x101
	v_fma_f64 v[54:55], v[54:55], v[60:61], 0
	s_wait_loadcnt 0x0
	s_delay_alu instid0(VALU_DEP_1) | instskip(SKIP_1) | instid1(VALU_DEP_1)
	v_fmac_f64_e32 v[54:55], v[56:57], v[62:63]
	s_wait_dscnt 0x0
	v_fmac_f64_e32 v[54:55], v[58:59], v[64:65]
	s_delay_alu instid0(VALU_DEP_1)
	v_add_f64_e64 v[52:53], v[52:53], -v[54:55]
	scratch_store_b64 off, v[52:53], off offset:160
	s_wait_xcnt 0x0
	v_cmpx_lt_u32_e32 19, v0
	s_cbranch_execz .LBB87_115
; %bb.114:
	scratch_load_b64 v[52:53], off, off offset:152
	v_mov_b64_e32 v[54:55], 0
	scratch_store_b64 off, v[54:55], off offset:152
	s_wait_loadcnt 0x0
	ds_store_b64 v1, v[52:53]
.LBB87_115:
	s_wait_xcnt 0x0
	s_or_b32 exec_lo, exec_lo, s0
	s_wait_storecnt_dscnt 0x0
	s_barrier_signal -1
	s_barrier_wait -1
	s_clause 0x2
	scratch_load_b128 v[52:55], off, off offset:152
	scratch_load_b128 v[56:59], off, off offset:168
	scratch_load_b64 v[68:69], off, off offset:184
	ds_load_b128 v[60:63], v2 offset:352
	ds_load_b128 v[64:67], v2 offset:368
	s_mov_b32 s0, exec_lo
	s_wait_loadcnt_dscnt 0x201
	v_fma_f64 v[2:3], v[54:55], v[60:61], 0
	s_wait_loadcnt 0x1
	s_delay_alu instid0(VALU_DEP_1) | instskip(SKIP_1) | instid1(VALU_DEP_1)
	v_fmac_f64_e32 v[2:3], v[56:57], v[62:63]
	s_wait_dscnt 0x0
	v_fmac_f64_e32 v[2:3], v[58:59], v[64:65]
	s_wait_loadcnt 0x0
	s_delay_alu instid0(VALU_DEP_1) | instskip(NEXT) | instid1(VALU_DEP_1)
	v_fmac_f64_e32 v[2:3], v[68:69], v[66:67]
	v_add_f64_e64 v[2:3], v[52:53], -v[2:3]
	scratch_store_b64 off, v[2:3], off offset:152
	s_wait_xcnt 0x0
	v_cmpx_lt_u32_e32 18, v0
	s_cbranch_execz .LBB87_117
; %bb.116:
	scratch_load_b64 v[2:3], off, off offset:144
	v_mov_b64_e32 v[52:53], 0
	scratch_store_b64 off, v[52:53], off offset:144
	s_wait_loadcnt 0x0
	ds_store_b64 v1, v[2:3]
.LBB87_117:
	s_wait_xcnt 0x0
	s_or_b32 exec_lo, exec_lo, s0
	s_wait_storecnt_dscnt 0x0
	s_barrier_signal -1
	s_barrier_wait -1
	s_clause 0x2
	scratch_load_b128 v[52:55], off, off offset:144
	scratch_load_b128 v[56:59], off, off offset:160
	;; [unrolled: 1-line block ×3, first 2 shown]
	v_mov_b32_e32 v2, 0
	ds_load_2addr_b64 v[64:67], v2 offset0:43 offset1:44
	ds_load_2addr_b64 v[68:71], v2 offset0:45 offset1:46
	s_mov_b32 s0, exec_lo
	s_wait_loadcnt_dscnt 0x201
	v_fma_f64 v[54:55], v[54:55], v[64:65], 0
	s_wait_loadcnt 0x1
	s_delay_alu instid0(VALU_DEP_1) | instskip(SKIP_4) | instid1(VALU_DEP_1)
	v_fmac_f64_e32 v[54:55], v[56:57], v[66:67]
	ds_load_b64 v[56:57], v2 offset:376
	s_wait_dscnt 0x1
	v_fmac_f64_e32 v[54:55], v[58:59], v[68:69]
	s_wait_loadcnt 0x0
	v_fmac_f64_e32 v[54:55], v[60:61], v[70:71]
	s_wait_dscnt 0x0
	s_delay_alu instid0(VALU_DEP_1) | instskip(NEXT) | instid1(VALU_DEP_1)
	v_fmac_f64_e32 v[54:55], v[62:63], v[56:57]
	v_add_f64_e64 v[52:53], v[52:53], -v[54:55]
	scratch_store_b64 off, v[52:53], off offset:144
	s_wait_xcnt 0x0
	v_cmpx_lt_u32_e32 17, v0
	s_cbranch_execz .LBB87_119
; %bb.118:
	scratch_load_b64 v[52:53], off, off offset:136
	v_mov_b64_e32 v[54:55], 0
	scratch_store_b64 off, v[54:55], off offset:136
	s_wait_loadcnt 0x0
	ds_store_b64 v1, v[52:53]
.LBB87_119:
	s_wait_xcnt 0x0
	s_or_b32 exec_lo, exec_lo, s0
	s_wait_storecnt_dscnt 0x0
	s_barrier_signal -1
	s_barrier_wait -1
	s_clause 0x3
	scratch_load_b128 v[52:55], off, off offset:136
	scratch_load_b128 v[56:59], off, off offset:152
	;; [unrolled: 1-line block ×3, first 2 shown]
	scratch_load_b64 v[72:73], off, off offset:184
	ds_load_b128 v[64:67], v2 offset:336
	ds_load_b128 v[68:71], v2 offset:352
	s_mov_b32 s0, exec_lo
	s_wait_loadcnt_dscnt 0x301
	v_fma_f64 v[64:65], v[54:55], v[64:65], 0
	s_wait_loadcnt 0x2
	s_delay_alu instid0(VALU_DEP_1) | instskip(SKIP_4) | instid1(VALU_DEP_1)
	v_fmac_f64_e32 v[64:65], v[56:57], v[66:67]
	ds_load_b128 v[54:57], v2 offset:368
	s_wait_dscnt 0x1
	v_fmac_f64_e32 v[64:65], v[58:59], v[68:69]
	s_wait_loadcnt 0x1
	v_fmac_f64_e32 v[64:65], v[60:61], v[70:71]
	s_wait_dscnt 0x0
	s_delay_alu instid0(VALU_DEP_1) | instskip(SKIP_1) | instid1(VALU_DEP_1)
	v_fmac_f64_e32 v[64:65], v[62:63], v[54:55]
	s_wait_loadcnt 0x0
	v_fmac_f64_e32 v[64:65], v[72:73], v[56:57]
	s_delay_alu instid0(VALU_DEP_1)
	v_add_f64_e64 v[2:3], v[52:53], -v[64:65]
	scratch_store_b64 off, v[2:3], off offset:136
	s_wait_xcnt 0x0
	v_cmpx_lt_u32_e32 16, v0
	s_cbranch_execz .LBB87_121
; %bb.120:
	scratch_load_b64 v[2:3], off, off offset:128
	v_mov_b64_e32 v[52:53], 0
	scratch_store_b64 off, v[52:53], off offset:128
	s_wait_loadcnt 0x0
	ds_store_b64 v1, v[2:3]
.LBB87_121:
	s_wait_xcnt 0x0
	s_or_b32 exec_lo, exec_lo, s0
	s_wait_storecnt_dscnt 0x0
	s_barrier_signal -1
	s_barrier_wait -1
	s_clause 0x3
	scratch_load_b128 v[52:55], off, off offset:128
	scratch_load_b128 v[56:59], off, off offset:144
	;; [unrolled: 1-line block ×4, first 2 shown]
	v_mov_b32_e32 v2, 0
	ds_load_2addr_b64 v[68:71], v2 offset0:41 offset1:42
	ds_load_2addr_b64 v[72:75], v2 offset0:43 offset1:44
	s_mov_b32 s0, exec_lo
	s_wait_loadcnt_dscnt 0x301
	v_fma_f64 v[68:69], v[54:55], v[68:69], 0
	s_wait_loadcnt 0x2
	s_delay_alu instid0(VALU_DEP_1) | instskip(SKIP_1) | instid1(VALU_DEP_1)
	v_fmac_f64_e32 v[68:69], v[56:57], v[70:71]
	s_wait_dscnt 0x0
	v_fmac_f64_e32 v[68:69], v[58:59], v[72:73]
	ds_load_2addr_b64 v[54:57], v2 offset0:45 offset1:46
	ds_load_b64 v[58:59], v2 offset:376
	s_wait_loadcnt 0x1
	v_fmac_f64_e32 v[68:69], v[60:61], v[74:75]
	s_wait_dscnt 0x1
	s_delay_alu instid0(VALU_DEP_1) | instskip(SKIP_1) | instid1(VALU_DEP_1)
	v_fmac_f64_e32 v[68:69], v[62:63], v[54:55]
	s_wait_loadcnt 0x0
	v_fmac_f64_e32 v[68:69], v[64:65], v[56:57]
	s_wait_dscnt 0x0
	s_delay_alu instid0(VALU_DEP_1) | instskip(NEXT) | instid1(VALU_DEP_1)
	v_fmac_f64_e32 v[68:69], v[66:67], v[58:59]
	v_add_f64_e64 v[52:53], v[52:53], -v[68:69]
	scratch_store_b64 off, v[52:53], off offset:128
	s_wait_xcnt 0x0
	v_cmpx_lt_u32_e32 15, v0
	s_cbranch_execz .LBB87_123
; %bb.122:
	scratch_load_b64 v[52:53], off, off offset:120
	v_mov_b64_e32 v[54:55], 0
	scratch_store_b64 off, v[54:55], off offset:120
	s_wait_loadcnt 0x0
	ds_store_b64 v1, v[52:53]
.LBB87_123:
	s_wait_xcnt 0x0
	s_or_b32 exec_lo, exec_lo, s0
	s_wait_storecnt_dscnt 0x0
	s_barrier_signal -1
	s_barrier_wait -1
	s_clause 0x4
	scratch_load_b128 v[52:55], off, off offset:120
	scratch_load_b128 v[56:59], off, off offset:136
	;; [unrolled: 1-line block ×4, first 2 shown]
	scratch_load_b64 v[76:77], off, off offset:184
	ds_load_b128 v[68:71], v2 offset:320
	ds_load_b128 v[72:75], v2 offset:336
	s_mov_b32 s0, exec_lo
	s_wait_loadcnt_dscnt 0x401
	v_fma_f64 v[68:69], v[54:55], v[68:69], 0
	s_wait_loadcnt 0x3
	s_delay_alu instid0(VALU_DEP_1) | instskip(SKIP_1) | instid1(VALU_DEP_1)
	v_fmac_f64_e32 v[68:69], v[56:57], v[70:71]
	s_wait_dscnt 0x0
	v_fmac_f64_e32 v[68:69], v[58:59], v[72:73]
	s_wait_loadcnt 0x2
	s_delay_alu instid0(VALU_DEP_1)
	v_fmac_f64_e32 v[68:69], v[60:61], v[74:75]
	ds_load_b128 v[54:57], v2 offset:352
	ds_load_b128 v[58:61], v2 offset:368
	s_wait_dscnt 0x1
	v_fmac_f64_e32 v[68:69], v[62:63], v[54:55]
	s_wait_loadcnt 0x1
	s_delay_alu instid0(VALU_DEP_1) | instskip(SKIP_1) | instid1(VALU_DEP_1)
	v_fmac_f64_e32 v[68:69], v[64:65], v[56:57]
	s_wait_dscnt 0x0
	v_fmac_f64_e32 v[68:69], v[66:67], v[58:59]
	s_wait_loadcnt 0x0
	s_delay_alu instid0(VALU_DEP_1) | instskip(NEXT) | instid1(VALU_DEP_1)
	v_fmac_f64_e32 v[68:69], v[76:77], v[60:61]
	v_add_f64_e64 v[2:3], v[52:53], -v[68:69]
	scratch_store_b64 off, v[2:3], off offset:120
	s_wait_xcnt 0x0
	v_cmpx_lt_u32_e32 14, v0
	s_cbranch_execz .LBB87_125
; %bb.124:
	scratch_load_b64 v[2:3], off, off offset:112
	v_mov_b64_e32 v[52:53], 0
	scratch_store_b64 off, v[52:53], off offset:112
	s_wait_loadcnt 0x0
	ds_store_b64 v1, v[2:3]
.LBB87_125:
	s_wait_xcnt 0x0
	s_or_b32 exec_lo, exec_lo, s0
	s_wait_storecnt_dscnt 0x0
	s_barrier_signal -1
	s_barrier_wait -1
	s_clause 0x4
	scratch_load_b128 v[52:55], off, off offset:112
	scratch_load_b128 v[56:59], off, off offset:128
	;; [unrolled: 1-line block ×5, first 2 shown]
	v_mov_b32_e32 v2, 0
	ds_load_2addr_b64 v[72:75], v2 offset0:39 offset1:40
	ds_load_2addr_b64 v[76:79], v2 offset0:41 offset1:42
	s_mov_b32 s0, exec_lo
	s_wait_loadcnt_dscnt 0x401
	v_fma_f64 v[72:73], v[54:55], v[72:73], 0
	s_wait_loadcnt 0x3
	s_delay_alu instid0(VALU_DEP_1) | instskip(SKIP_1) | instid1(VALU_DEP_1)
	v_fmac_f64_e32 v[72:73], v[56:57], v[74:75]
	s_wait_dscnt 0x0
	v_fmac_f64_e32 v[72:73], v[58:59], v[76:77]
	s_wait_loadcnt 0x2
	s_delay_alu instid0(VALU_DEP_1)
	v_fmac_f64_e32 v[72:73], v[60:61], v[78:79]
	ds_load_2addr_b64 v[54:57], v2 offset0:43 offset1:44
	ds_load_2addr_b64 v[58:61], v2 offset0:45 offset1:46
	s_wait_dscnt 0x1
	v_fmac_f64_e32 v[72:73], v[62:63], v[54:55]
	ds_load_b64 v[54:55], v2 offset:376
	s_wait_loadcnt 0x1
	v_fmac_f64_e32 v[72:73], v[64:65], v[56:57]
	s_wait_dscnt 0x1
	s_delay_alu instid0(VALU_DEP_1) | instskip(SKIP_1) | instid1(VALU_DEP_1)
	v_fmac_f64_e32 v[72:73], v[66:67], v[58:59]
	s_wait_loadcnt 0x0
	v_fmac_f64_e32 v[72:73], v[68:69], v[60:61]
	s_wait_dscnt 0x0
	s_delay_alu instid0(VALU_DEP_1) | instskip(NEXT) | instid1(VALU_DEP_1)
	v_fmac_f64_e32 v[72:73], v[70:71], v[54:55]
	v_add_f64_e64 v[52:53], v[52:53], -v[72:73]
	scratch_store_b64 off, v[52:53], off offset:112
	s_wait_xcnt 0x0
	v_cmpx_lt_u32_e32 13, v0
	s_cbranch_execz .LBB87_127
; %bb.126:
	scratch_load_b64 v[52:53], off, off offset:104
	v_mov_b64_e32 v[54:55], 0
	scratch_store_b64 off, v[54:55], off offset:104
	s_wait_loadcnt 0x0
	ds_store_b64 v1, v[52:53]
.LBB87_127:
	s_wait_xcnt 0x0
	s_or_b32 exec_lo, exec_lo, s0
	s_wait_storecnt_dscnt 0x0
	s_barrier_signal -1
	s_barrier_wait -1
	s_clause 0x5
	scratch_load_b128 v[52:55], off, off offset:104
	scratch_load_b128 v[56:59], off, off offset:120
	;; [unrolled: 1-line block ×5, first 2 shown]
	scratch_load_b64 v[80:81], off, off offset:184
	ds_load_b128 v[72:75], v2 offset:304
	ds_load_b128 v[76:79], v2 offset:320
	s_mov_b32 s0, exec_lo
	s_wait_loadcnt_dscnt 0x501
	v_fma_f64 v[72:73], v[54:55], v[72:73], 0
	s_wait_loadcnt 0x4
	s_delay_alu instid0(VALU_DEP_1) | instskip(SKIP_1) | instid1(VALU_DEP_1)
	v_fmac_f64_e32 v[72:73], v[56:57], v[74:75]
	s_wait_dscnt 0x0
	v_fmac_f64_e32 v[72:73], v[58:59], v[76:77]
	s_wait_loadcnt 0x3
	s_delay_alu instid0(VALU_DEP_1)
	v_fmac_f64_e32 v[72:73], v[60:61], v[78:79]
	ds_load_b128 v[54:57], v2 offset:336
	ds_load_b128 v[58:61], v2 offset:352
	s_wait_dscnt 0x1
	v_fmac_f64_e32 v[72:73], v[62:63], v[54:55]
	s_wait_loadcnt 0x2
	s_delay_alu instid0(VALU_DEP_1) | instskip(SKIP_4) | instid1(VALU_DEP_1)
	v_fmac_f64_e32 v[72:73], v[64:65], v[56:57]
	ds_load_b128 v[54:57], v2 offset:368
	s_wait_dscnt 0x1
	v_fmac_f64_e32 v[72:73], v[66:67], v[58:59]
	s_wait_loadcnt 0x1
	v_fmac_f64_e32 v[72:73], v[68:69], v[60:61]
	s_wait_dscnt 0x0
	s_delay_alu instid0(VALU_DEP_1) | instskip(SKIP_1) | instid1(VALU_DEP_1)
	v_fmac_f64_e32 v[72:73], v[70:71], v[54:55]
	s_wait_loadcnt 0x0
	v_fmac_f64_e32 v[72:73], v[80:81], v[56:57]
	s_delay_alu instid0(VALU_DEP_1)
	v_add_f64_e64 v[2:3], v[52:53], -v[72:73]
	scratch_store_b64 off, v[2:3], off offset:104
	s_wait_xcnt 0x0
	v_cmpx_lt_u32_e32 12, v0
	s_cbranch_execz .LBB87_129
; %bb.128:
	scratch_load_b64 v[2:3], off, off offset:96
	v_mov_b64_e32 v[52:53], 0
	scratch_store_b64 off, v[52:53], off offset:96
	s_wait_loadcnt 0x0
	ds_store_b64 v1, v[2:3]
.LBB87_129:
	s_wait_xcnt 0x0
	s_or_b32 exec_lo, exec_lo, s0
	s_wait_storecnt_dscnt 0x0
	s_barrier_signal -1
	s_barrier_wait -1
	s_clause 0x5
	scratch_load_b128 v[52:55], off, off offset:96
	scratch_load_b128 v[56:59], off, off offset:112
	;; [unrolled: 1-line block ×6, first 2 shown]
	v_mov_b32_e32 v2, 0
	ds_load_2addr_b64 v[76:79], v2 offset0:37 offset1:38
	ds_load_2addr_b64 v[80:83], v2 offset0:39 offset1:40
	s_mov_b32 s0, exec_lo
	s_wait_loadcnt_dscnt 0x501
	v_fma_f64 v[76:77], v[54:55], v[76:77], 0
	s_wait_loadcnt 0x4
	s_delay_alu instid0(VALU_DEP_1) | instskip(SKIP_1) | instid1(VALU_DEP_1)
	v_fmac_f64_e32 v[76:77], v[56:57], v[78:79]
	s_wait_dscnt 0x0
	v_fmac_f64_e32 v[76:77], v[58:59], v[80:81]
	s_wait_loadcnt 0x3
	s_delay_alu instid0(VALU_DEP_1)
	v_fmac_f64_e32 v[76:77], v[60:61], v[82:83]
	ds_load_2addr_b64 v[54:57], v2 offset0:41 offset1:42
	ds_load_2addr_b64 v[58:61], v2 offset0:43 offset1:44
	s_wait_dscnt 0x1
	v_fmac_f64_e32 v[76:77], v[62:63], v[54:55]
	s_wait_loadcnt 0x2
	s_delay_alu instid0(VALU_DEP_1) | instskip(SKIP_1) | instid1(VALU_DEP_1)
	v_fmac_f64_e32 v[76:77], v[64:65], v[56:57]
	s_wait_dscnt 0x0
	v_fmac_f64_e32 v[76:77], v[66:67], v[58:59]
	ds_load_2addr_b64 v[54:57], v2 offset0:45 offset1:46
	ds_load_b64 v[58:59], v2 offset:376
	s_wait_loadcnt 0x1
	v_fmac_f64_e32 v[76:77], v[68:69], v[60:61]
	s_wait_dscnt 0x1
	s_delay_alu instid0(VALU_DEP_1) | instskip(SKIP_1) | instid1(VALU_DEP_1)
	v_fmac_f64_e32 v[76:77], v[70:71], v[54:55]
	s_wait_loadcnt 0x0
	v_fmac_f64_e32 v[76:77], v[72:73], v[56:57]
	s_wait_dscnt 0x0
	s_delay_alu instid0(VALU_DEP_1) | instskip(NEXT) | instid1(VALU_DEP_1)
	v_fmac_f64_e32 v[76:77], v[74:75], v[58:59]
	v_add_f64_e64 v[52:53], v[52:53], -v[76:77]
	scratch_store_b64 off, v[52:53], off offset:96
	s_wait_xcnt 0x0
	v_cmpx_lt_u32_e32 11, v0
	s_cbranch_execz .LBB87_131
; %bb.130:
	scratch_load_b64 v[52:53], off, off offset:88
	v_mov_b64_e32 v[54:55], 0
	scratch_store_b64 off, v[54:55], off offset:88
	s_wait_loadcnt 0x0
	ds_store_b64 v1, v[52:53]
.LBB87_131:
	s_wait_xcnt 0x0
	s_or_b32 exec_lo, exec_lo, s0
	s_wait_storecnt_dscnt 0x0
	s_barrier_signal -1
	s_barrier_wait -1
	s_clause 0x5
	scratch_load_b128 v[52:55], off, off offset:88
	scratch_load_b128 v[56:59], off, off offset:104
	;; [unrolled: 1-line block ×6, first 2 shown]
	ds_load_b128 v[76:79], v2 offset:288
	ds_load_b128 v[80:83], v2 offset:304
	s_mov_b32 s0, exec_lo
	s_wait_loadcnt_dscnt 0x501
	v_fma_f64 v[76:77], v[54:55], v[76:77], 0
	s_wait_loadcnt 0x4
	s_delay_alu instid0(VALU_DEP_1) | instskip(SKIP_4) | instid1(VALU_DEP_1)
	v_fmac_f64_e32 v[76:77], v[56:57], v[78:79]
	scratch_load_b64 v[78:79], off, off offset:184
	s_wait_dscnt 0x0
	v_fmac_f64_e32 v[76:77], v[58:59], v[80:81]
	s_wait_loadcnt 0x4
	v_fmac_f64_e32 v[76:77], v[60:61], v[82:83]
	ds_load_b128 v[54:57], v2 offset:320
	ds_load_b128 v[58:61], v2 offset:336
	s_wait_dscnt 0x1
	v_fmac_f64_e32 v[76:77], v[62:63], v[54:55]
	s_wait_loadcnt 0x3
	s_delay_alu instid0(VALU_DEP_1) | instskip(SKIP_1) | instid1(VALU_DEP_1)
	v_fmac_f64_e32 v[76:77], v[64:65], v[56:57]
	s_wait_dscnt 0x0
	v_fmac_f64_e32 v[76:77], v[66:67], v[58:59]
	s_wait_loadcnt 0x2
	s_delay_alu instid0(VALU_DEP_1)
	v_fmac_f64_e32 v[76:77], v[68:69], v[60:61]
	ds_load_b128 v[54:57], v2 offset:352
	ds_load_b128 v[58:61], v2 offset:368
	s_wait_dscnt 0x1
	v_fmac_f64_e32 v[76:77], v[70:71], v[54:55]
	s_wait_loadcnt 0x1
	s_delay_alu instid0(VALU_DEP_1) | instskip(SKIP_1) | instid1(VALU_DEP_1)
	v_fmac_f64_e32 v[76:77], v[72:73], v[56:57]
	s_wait_dscnt 0x0
	v_fmac_f64_e32 v[76:77], v[74:75], v[58:59]
	s_wait_loadcnt 0x0
	s_delay_alu instid0(VALU_DEP_1) | instskip(NEXT) | instid1(VALU_DEP_1)
	v_fmac_f64_e32 v[76:77], v[78:79], v[60:61]
	v_add_f64_e64 v[2:3], v[52:53], -v[76:77]
	scratch_store_b64 off, v[2:3], off offset:88
	s_wait_xcnt 0x0
	v_cmpx_lt_u32_e32 10, v0
	s_cbranch_execz .LBB87_133
; %bb.132:
	scratch_load_b64 v[2:3], off, off offset:80
	v_mov_b64_e32 v[52:53], 0
	scratch_store_b64 off, v[52:53], off offset:80
	s_wait_loadcnt 0x0
	ds_store_b64 v1, v[2:3]
.LBB87_133:
	s_wait_xcnt 0x0
	s_or_b32 exec_lo, exec_lo, s0
	s_wait_storecnt_dscnt 0x0
	s_barrier_signal -1
	s_barrier_wait -1
	s_clause 0x5
	scratch_load_b128 v[52:55], off, off offset:80
	scratch_load_b128 v[56:59], off, off offset:96
	;; [unrolled: 1-line block ×6, first 2 shown]
	v_mov_b32_e32 v2, 0
	ds_load_2addr_b64 v[76:79], v2 offset0:35 offset1:36
	ds_load_2addr_b64 v[80:83], v2 offset0:37 offset1:38
	s_mov_b32 s0, exec_lo
	s_wait_loadcnt_dscnt 0x501
	v_fma_f64 v[84:85], v[54:55], v[76:77], 0
	s_wait_loadcnt 0x4
	s_delay_alu instid0(VALU_DEP_1) | instskip(SKIP_4) | instid1(VALU_DEP_1)
	v_fmac_f64_e32 v[84:85], v[56:57], v[78:79]
	scratch_load_b128 v[54:57], off, off offset:176
	s_wait_dscnt 0x0
	v_fmac_f64_e32 v[84:85], v[58:59], v[80:81]
	s_wait_loadcnt 0x4
	v_fmac_f64_e32 v[84:85], v[60:61], v[82:83]
	ds_load_2addr_b64 v[58:61], v2 offset0:39 offset1:40
	ds_load_2addr_b64 v[76:79], v2 offset0:41 offset1:42
	s_wait_dscnt 0x1
	v_fmac_f64_e32 v[84:85], v[62:63], v[58:59]
	s_wait_loadcnt 0x3
	s_delay_alu instid0(VALU_DEP_1)
	v_fmac_f64_e32 v[84:85], v[64:65], v[60:61]
	ds_load_2addr_b64 v[58:61], v2 offset0:43 offset1:44
	ds_load_2addr_b64 v[62:65], v2 offset0:45 offset1:46
	s_wait_dscnt 0x2
	v_fmac_f64_e32 v[84:85], v[66:67], v[76:77]
	s_wait_loadcnt 0x2
	s_delay_alu instid0(VALU_DEP_1) | instskip(SKIP_1) | instid1(VALU_DEP_1)
	v_fmac_f64_e32 v[84:85], v[68:69], v[78:79]
	s_wait_dscnt 0x1
	v_fmac_f64_e32 v[84:85], v[70:71], v[58:59]
	s_wait_loadcnt 0x1
	s_delay_alu instid0(VALU_DEP_1) | instskip(SKIP_1) | instid1(VALU_DEP_1)
	v_fmac_f64_e32 v[84:85], v[72:73], v[60:61]
	s_wait_dscnt 0x0
	v_fmac_f64_e32 v[84:85], v[74:75], v[62:63]
	s_wait_loadcnt 0x0
	s_delay_alu instid0(VALU_DEP_1) | instskip(SKIP_3) | instid1(VALU_DEP_1)
	v_fmac_f64_e32 v[84:85], v[54:55], v[64:65]
	ds_load_b64 v[54:55], v2 offset:376
	s_wait_dscnt 0x0
	v_fmac_f64_e32 v[84:85], v[56:57], v[54:55]
	v_add_f64_e64 v[52:53], v[52:53], -v[84:85]
	scratch_store_b64 off, v[52:53], off offset:80
	s_wait_xcnt 0x0
	v_cmpx_lt_u32_e32 9, v0
	s_cbranch_execz .LBB87_135
; %bb.134:
	scratch_load_b64 v[52:53], off, off offset:72
	v_mov_b64_e32 v[54:55], 0
	scratch_store_b64 off, v[54:55], off offset:72
	s_wait_loadcnt 0x0
	ds_store_b64 v1, v[52:53]
.LBB87_135:
	s_wait_xcnt 0x0
	s_or_b32 exec_lo, exec_lo, s0
	s_wait_storecnt_dscnt 0x0
	s_barrier_signal -1
	s_barrier_wait -1
	s_clause 0x5
	scratch_load_b128 v[52:55], off, off offset:72
	scratch_load_b128 v[56:59], off, off offset:88
	;; [unrolled: 1-line block ×6, first 2 shown]
	ds_load_b128 v[76:79], v2 offset:272
	ds_load_b128 v[80:83], v2 offset:288
	s_mov_b32 s0, exec_lo
	s_wait_loadcnt_dscnt 0x501
	v_fma_f64 v[84:85], v[54:55], v[76:77], 0
	s_wait_loadcnt 0x4
	s_delay_alu instid0(VALU_DEP_1)
	v_fmac_f64_e32 v[84:85], v[56:57], v[78:79]
	scratch_load_b128 v[54:57], off, off offset:168
	s_wait_dscnt 0x0
	v_fmac_f64_e32 v[84:85], v[58:59], v[80:81]
	scratch_load_b64 v[80:81], off, off offset:184
	s_wait_loadcnt 0x5
	v_fmac_f64_e32 v[84:85], v[60:61], v[82:83]
	ds_load_b128 v[58:61], v2 offset:304
	ds_load_b128 v[76:79], v2 offset:320
	s_wait_dscnt 0x1
	v_fmac_f64_e32 v[84:85], v[62:63], v[58:59]
	s_wait_loadcnt 0x4
	s_delay_alu instid0(VALU_DEP_1)
	v_fmac_f64_e32 v[84:85], v[64:65], v[60:61]
	ds_load_b128 v[58:61], v2 offset:336
	ds_load_b128 v[62:65], v2 offset:352
	s_wait_dscnt 0x2
	v_fmac_f64_e32 v[84:85], v[66:67], v[76:77]
	s_wait_loadcnt 0x3
	s_delay_alu instid0(VALU_DEP_1) | instskip(SKIP_1) | instid1(VALU_DEP_1)
	v_fmac_f64_e32 v[84:85], v[68:69], v[78:79]
	s_wait_dscnt 0x1
	v_fmac_f64_e32 v[84:85], v[70:71], v[58:59]
	s_wait_loadcnt 0x2
	s_delay_alu instid0(VALU_DEP_1) | instskip(SKIP_4) | instid1(VALU_DEP_1)
	v_fmac_f64_e32 v[84:85], v[72:73], v[60:61]
	ds_load_b128 v[58:61], v2 offset:368
	s_wait_dscnt 0x1
	v_fmac_f64_e32 v[84:85], v[74:75], v[62:63]
	s_wait_loadcnt 0x1
	v_fmac_f64_e32 v[84:85], v[54:55], v[64:65]
	s_wait_dscnt 0x0
	s_delay_alu instid0(VALU_DEP_1) | instskip(SKIP_1) | instid1(VALU_DEP_1)
	v_fmac_f64_e32 v[84:85], v[56:57], v[58:59]
	s_wait_loadcnt 0x0
	v_fmac_f64_e32 v[84:85], v[80:81], v[60:61]
	s_delay_alu instid0(VALU_DEP_1)
	v_add_f64_e64 v[2:3], v[52:53], -v[84:85]
	scratch_store_b64 off, v[2:3], off offset:72
	s_wait_xcnt 0x0
	v_cmpx_lt_u32_e32 8, v0
	s_cbranch_execz .LBB87_137
; %bb.136:
	scratch_load_b64 v[2:3], off, off offset:64
	v_mov_b64_e32 v[52:53], 0
	scratch_store_b64 off, v[52:53], off offset:64
	s_wait_loadcnt 0x0
	ds_store_b64 v1, v[2:3]
.LBB87_137:
	s_wait_xcnt 0x0
	s_or_b32 exec_lo, exec_lo, s0
	s_wait_storecnt_dscnt 0x0
	s_barrier_signal -1
	s_barrier_wait -1
	s_clause 0x5
	scratch_load_b128 v[52:55], off, off offset:64
	scratch_load_b128 v[56:59], off, off offset:80
	;; [unrolled: 1-line block ×6, first 2 shown]
	v_mov_b32_e32 v2, 0
	ds_load_2addr_b64 v[76:79], v2 offset0:33 offset1:34
	ds_load_2addr_b64 v[80:83], v2 offset0:35 offset1:36
	s_mov_b32 s0, exec_lo
	s_wait_loadcnt_dscnt 0x501
	v_fma_f64 v[84:85], v[54:55], v[76:77], 0
	s_wait_loadcnt 0x4
	s_delay_alu instid0(VALU_DEP_1) | instskip(SKIP_4) | instid1(VALU_DEP_1)
	v_fmac_f64_e32 v[84:85], v[56:57], v[78:79]
	scratch_load_b128 v[54:57], off, off offset:160
	s_wait_dscnt 0x0
	v_fmac_f64_e32 v[84:85], v[58:59], v[80:81]
	s_wait_loadcnt 0x4
	v_fmac_f64_e32 v[84:85], v[60:61], v[82:83]
	scratch_load_b128 v[58:61], off, off offset:176
	ds_load_2addr_b64 v[76:79], v2 offset0:37 offset1:38
	ds_load_2addr_b64 v[80:83], v2 offset0:39 offset1:40
	s_wait_dscnt 0x1
	v_fmac_f64_e32 v[84:85], v[62:63], v[76:77]
	s_wait_loadcnt 0x4
	s_delay_alu instid0(VALU_DEP_1) | instskip(SKIP_1) | instid1(VALU_DEP_1)
	v_fmac_f64_e32 v[84:85], v[64:65], v[78:79]
	s_wait_dscnt 0x0
	v_fmac_f64_e32 v[84:85], v[66:67], v[80:81]
	s_wait_loadcnt 0x3
	s_delay_alu instid0(VALU_DEP_1)
	v_fmac_f64_e32 v[84:85], v[68:69], v[82:83]
	ds_load_2addr_b64 v[62:65], v2 offset0:41 offset1:42
	ds_load_2addr_b64 v[66:69], v2 offset0:43 offset1:44
	s_wait_dscnt 0x1
	v_fmac_f64_e32 v[84:85], v[70:71], v[62:63]
	s_wait_loadcnt 0x2
	s_delay_alu instid0(VALU_DEP_1) | instskip(SKIP_1) | instid1(VALU_DEP_1)
	v_fmac_f64_e32 v[84:85], v[72:73], v[64:65]
	s_wait_dscnt 0x0
	v_fmac_f64_e32 v[84:85], v[74:75], v[66:67]
	s_wait_loadcnt 0x1
	s_delay_alu instid0(VALU_DEP_1)
	v_fmac_f64_e32 v[84:85], v[54:55], v[68:69]
	ds_load_2addr_b64 v[62:65], v2 offset0:45 offset1:46
	ds_load_b64 v[54:55], v2 offset:376
	s_wait_dscnt 0x1
	v_fmac_f64_e32 v[84:85], v[56:57], v[62:63]
	s_wait_loadcnt 0x0
	s_delay_alu instid0(VALU_DEP_1) | instskip(SKIP_1) | instid1(VALU_DEP_1)
	v_fmac_f64_e32 v[84:85], v[58:59], v[64:65]
	s_wait_dscnt 0x0
	v_fmac_f64_e32 v[84:85], v[60:61], v[54:55]
	s_delay_alu instid0(VALU_DEP_1)
	v_add_f64_e64 v[52:53], v[52:53], -v[84:85]
	scratch_store_b64 off, v[52:53], off offset:64
	s_wait_xcnt 0x0
	v_cmpx_lt_u32_e32 7, v0
	s_cbranch_execz .LBB87_139
; %bb.138:
	scratch_load_b64 v[52:53], off, off offset:56
	v_mov_b64_e32 v[54:55], 0
	scratch_store_b64 off, v[54:55], off offset:56
	s_wait_loadcnt 0x0
	ds_store_b64 v1, v[52:53]
.LBB87_139:
	s_wait_xcnt 0x0
	s_or_b32 exec_lo, exec_lo, s0
	s_wait_storecnt_dscnt 0x0
	s_barrier_signal -1
	s_barrier_wait -1
	s_clause 0x5
	scratch_load_b128 v[52:55], off, off offset:56
	scratch_load_b128 v[56:59], off, off offset:72
	;; [unrolled: 1-line block ×6, first 2 shown]
	ds_load_b128 v[76:79], v2 offset:256
	ds_load_b128 v[80:83], v2 offset:272
	s_mov_b32 s0, exec_lo
	s_wait_loadcnt_dscnt 0x501
	v_fma_f64 v[84:85], v[54:55], v[76:77], 0
	s_wait_loadcnt 0x4
	s_delay_alu instid0(VALU_DEP_1) | instskip(SKIP_4) | instid1(VALU_DEP_1)
	v_fmac_f64_e32 v[84:85], v[56:57], v[78:79]
	scratch_load_b128 v[54:57], off, off offset:152
	s_wait_dscnt 0x0
	v_fmac_f64_e32 v[84:85], v[58:59], v[80:81]
	s_wait_loadcnt 0x4
	v_fmac_f64_e32 v[84:85], v[60:61], v[82:83]
	scratch_load_b128 v[58:61], off, off offset:168
	ds_load_b128 v[76:79], v2 offset:288
	ds_load_b128 v[80:83], v2 offset:304
	s_wait_dscnt 0x1
	v_fmac_f64_e32 v[84:85], v[62:63], v[76:77]
	scratch_load_b64 v[76:77], off, off offset:184
	s_wait_loadcnt 0x5
	v_fmac_f64_e32 v[84:85], v[64:65], v[78:79]
	s_wait_dscnt 0x0
	s_delay_alu instid0(VALU_DEP_1) | instskip(SKIP_1) | instid1(VALU_DEP_1)
	v_fmac_f64_e32 v[84:85], v[66:67], v[80:81]
	s_wait_loadcnt 0x4
	v_fmac_f64_e32 v[84:85], v[68:69], v[82:83]
	ds_load_b128 v[62:65], v2 offset:320
	ds_load_b128 v[66:69], v2 offset:336
	s_wait_dscnt 0x1
	v_fmac_f64_e32 v[84:85], v[70:71], v[62:63]
	s_wait_loadcnt 0x3
	s_delay_alu instid0(VALU_DEP_1) | instskip(SKIP_1) | instid1(VALU_DEP_1)
	v_fmac_f64_e32 v[84:85], v[72:73], v[64:65]
	s_wait_dscnt 0x0
	v_fmac_f64_e32 v[84:85], v[74:75], v[66:67]
	s_wait_loadcnt 0x2
	s_delay_alu instid0(VALU_DEP_1)
	v_fmac_f64_e32 v[84:85], v[54:55], v[68:69]
	ds_load_b128 v[62:65], v2 offset:352
	ds_load_b128 v[66:69], v2 offset:368
	s_wait_dscnt 0x1
	v_fmac_f64_e32 v[84:85], v[56:57], v[62:63]
	s_wait_loadcnt 0x1
	s_delay_alu instid0(VALU_DEP_1) | instskip(SKIP_1) | instid1(VALU_DEP_1)
	v_fmac_f64_e32 v[84:85], v[58:59], v[64:65]
	s_wait_dscnt 0x0
	v_fmac_f64_e32 v[84:85], v[60:61], v[66:67]
	s_wait_loadcnt 0x0
	s_delay_alu instid0(VALU_DEP_1) | instskip(NEXT) | instid1(VALU_DEP_1)
	v_fmac_f64_e32 v[84:85], v[76:77], v[68:69]
	v_add_f64_e64 v[2:3], v[52:53], -v[84:85]
	scratch_store_b64 off, v[2:3], off offset:56
	s_wait_xcnt 0x0
	v_cmpx_lt_u32_e32 6, v0
	s_cbranch_execz .LBB87_141
; %bb.140:
	scratch_load_b64 v[2:3], off, off offset:48
	v_mov_b64_e32 v[52:53], 0
	scratch_store_b64 off, v[52:53], off offset:48
	s_wait_loadcnt 0x0
	ds_store_b64 v1, v[2:3]
.LBB87_141:
	s_wait_xcnt 0x0
	s_or_b32 exec_lo, exec_lo, s0
	s_wait_storecnt_dscnt 0x0
	s_barrier_signal -1
	s_barrier_wait -1
	s_clause 0x5
	scratch_load_b128 v[52:55], off, off offset:48
	scratch_load_b128 v[56:59], off, off offset:64
	;; [unrolled: 1-line block ×6, first 2 shown]
	v_mov_b32_e32 v2, 0
	ds_load_2addr_b64 v[76:79], v2 offset0:31 offset1:32
	ds_load_2addr_b64 v[80:83], v2 offset0:33 offset1:34
	s_mov_b32 s0, exec_lo
	s_wait_loadcnt_dscnt 0x501
	v_fma_f64 v[84:85], v[54:55], v[76:77], 0
	s_wait_loadcnt 0x4
	s_delay_alu instid0(VALU_DEP_1) | instskip(SKIP_4) | instid1(VALU_DEP_1)
	v_fmac_f64_e32 v[84:85], v[56:57], v[78:79]
	scratch_load_b128 v[54:57], off, off offset:144
	s_wait_dscnt 0x0
	v_fmac_f64_e32 v[84:85], v[58:59], v[80:81]
	s_wait_loadcnt 0x4
	v_fmac_f64_e32 v[84:85], v[60:61], v[82:83]
	scratch_load_b128 v[58:61], off, off offset:160
	ds_load_2addr_b64 v[76:79], v2 offset0:35 offset1:36
	ds_load_2addr_b64 v[80:83], v2 offset0:37 offset1:38
	s_wait_dscnt 0x1
	v_fmac_f64_e32 v[84:85], v[62:63], v[76:77]
	s_wait_loadcnt 0x4
	s_delay_alu instid0(VALU_DEP_1) | instskip(SKIP_4) | instid1(VALU_DEP_1)
	v_fmac_f64_e32 v[84:85], v[64:65], v[78:79]
	scratch_load_b128 v[62:65], off, off offset:176
	s_wait_dscnt 0x0
	v_fmac_f64_e32 v[84:85], v[66:67], v[80:81]
	s_wait_loadcnt 0x4
	v_fmac_f64_e32 v[84:85], v[68:69], v[82:83]
	ds_load_2addr_b64 v[66:69], v2 offset0:39 offset1:40
	ds_load_2addr_b64 v[76:79], v2 offset0:41 offset1:42
	s_wait_dscnt 0x1
	v_fmac_f64_e32 v[84:85], v[70:71], v[66:67]
	s_wait_loadcnt 0x3
	s_delay_alu instid0(VALU_DEP_1)
	v_fmac_f64_e32 v[84:85], v[72:73], v[68:69]
	ds_load_2addr_b64 v[66:69], v2 offset0:43 offset1:44
	ds_load_2addr_b64 v[70:73], v2 offset0:45 offset1:46
	s_wait_dscnt 0x2
	v_fmac_f64_e32 v[84:85], v[74:75], v[76:77]
	s_wait_loadcnt 0x2
	s_delay_alu instid0(VALU_DEP_1) | instskip(SKIP_4) | instid1(VALU_DEP_1)
	v_fmac_f64_e32 v[84:85], v[54:55], v[78:79]
	ds_load_b64 v[54:55], v2 offset:376
	s_wait_dscnt 0x2
	v_fmac_f64_e32 v[84:85], v[56:57], v[66:67]
	s_wait_loadcnt 0x1
	v_fmac_f64_e32 v[84:85], v[58:59], v[68:69]
	s_wait_dscnt 0x1
	s_delay_alu instid0(VALU_DEP_1) | instskip(SKIP_1) | instid1(VALU_DEP_1)
	v_fmac_f64_e32 v[84:85], v[60:61], v[70:71]
	s_wait_loadcnt 0x0
	v_fmac_f64_e32 v[84:85], v[62:63], v[72:73]
	s_wait_dscnt 0x0
	s_delay_alu instid0(VALU_DEP_1) | instskip(NEXT) | instid1(VALU_DEP_1)
	v_fmac_f64_e32 v[84:85], v[64:65], v[54:55]
	v_add_f64_e64 v[52:53], v[52:53], -v[84:85]
	scratch_store_b64 off, v[52:53], off offset:48
	s_wait_xcnt 0x0
	v_cmpx_lt_u32_e32 5, v0
	s_cbranch_execz .LBB87_143
; %bb.142:
	scratch_load_b64 v[52:53], off, off offset:40
	v_mov_b64_e32 v[54:55], 0
	scratch_store_b64 off, v[54:55], off offset:40
	s_wait_loadcnt 0x0
	ds_store_b64 v1, v[52:53]
.LBB87_143:
	s_wait_xcnt 0x0
	s_or_b32 exec_lo, exec_lo, s0
	s_wait_storecnt_dscnt 0x0
	s_barrier_signal -1
	s_barrier_wait -1
	s_clause 0x5
	scratch_load_b128 v[52:55], off, off offset:40
	scratch_load_b128 v[56:59], off, off offset:56
	;; [unrolled: 1-line block ×6, first 2 shown]
	ds_load_b128 v[76:79], v2 offset:240
	ds_load_b128 v[80:83], v2 offset:256
	s_mov_b32 s0, exec_lo
	s_wait_loadcnt_dscnt 0x501
	v_fma_f64 v[84:85], v[54:55], v[76:77], 0
	s_wait_loadcnt 0x4
	s_delay_alu instid0(VALU_DEP_1) | instskip(SKIP_4) | instid1(VALU_DEP_1)
	v_fmac_f64_e32 v[84:85], v[56:57], v[78:79]
	scratch_load_b128 v[54:57], off, off offset:136
	s_wait_dscnt 0x0
	v_fmac_f64_e32 v[84:85], v[58:59], v[80:81]
	s_wait_loadcnt 0x4
	v_fmac_f64_e32 v[84:85], v[60:61], v[82:83]
	scratch_load_b128 v[58:61], off, off offset:152
	ds_load_b128 v[76:79], v2 offset:272
	ds_load_b128 v[80:83], v2 offset:288
	s_wait_dscnt 0x1
	v_fmac_f64_e32 v[84:85], v[62:63], v[76:77]
	s_wait_loadcnt 0x4
	s_delay_alu instid0(VALU_DEP_1)
	v_fmac_f64_e32 v[84:85], v[64:65], v[78:79]
	scratch_load_b128 v[62:65], off, off offset:168
	s_wait_dscnt 0x0
	v_fmac_f64_e32 v[84:85], v[66:67], v[80:81]
	scratch_load_b64 v[80:81], off, off offset:184
	s_wait_loadcnt 0x5
	v_fmac_f64_e32 v[84:85], v[68:69], v[82:83]
	ds_load_b128 v[66:69], v2 offset:304
	ds_load_b128 v[76:79], v2 offset:320
	s_wait_dscnt 0x1
	v_fmac_f64_e32 v[84:85], v[70:71], v[66:67]
	s_wait_loadcnt 0x4
	s_delay_alu instid0(VALU_DEP_1)
	v_fmac_f64_e32 v[84:85], v[72:73], v[68:69]
	ds_load_b128 v[66:69], v2 offset:336
	ds_load_b128 v[70:73], v2 offset:352
	s_wait_dscnt 0x2
	v_fmac_f64_e32 v[84:85], v[74:75], v[76:77]
	s_wait_loadcnt 0x3
	s_delay_alu instid0(VALU_DEP_1) | instskip(SKIP_1) | instid1(VALU_DEP_1)
	v_fmac_f64_e32 v[84:85], v[54:55], v[78:79]
	s_wait_dscnt 0x1
	v_fmac_f64_e32 v[84:85], v[56:57], v[66:67]
	ds_load_b128 v[54:57], v2 offset:368
	s_wait_loadcnt 0x2
	v_fmac_f64_e32 v[84:85], v[58:59], v[68:69]
	s_wait_dscnt 0x1
	s_delay_alu instid0(VALU_DEP_1) | instskip(SKIP_1) | instid1(VALU_DEP_1)
	v_fmac_f64_e32 v[84:85], v[60:61], v[70:71]
	s_wait_loadcnt 0x1
	v_fmac_f64_e32 v[84:85], v[62:63], v[72:73]
	s_wait_dscnt 0x0
	s_delay_alu instid0(VALU_DEP_1) | instskip(SKIP_1) | instid1(VALU_DEP_1)
	v_fmac_f64_e32 v[84:85], v[64:65], v[54:55]
	s_wait_loadcnt 0x0
	v_fmac_f64_e32 v[84:85], v[80:81], v[56:57]
	s_delay_alu instid0(VALU_DEP_1)
	v_add_f64_e64 v[2:3], v[52:53], -v[84:85]
	scratch_store_b64 off, v[2:3], off offset:40
	s_wait_xcnt 0x0
	v_cmpx_lt_u32_e32 4, v0
	s_cbranch_execz .LBB87_145
; %bb.144:
	scratch_load_b64 v[2:3], off, off offset:32
	v_mov_b64_e32 v[52:53], 0
	scratch_store_b64 off, v[52:53], off offset:32
	s_wait_loadcnt 0x0
	ds_store_b64 v1, v[2:3]
.LBB87_145:
	s_wait_xcnt 0x0
	s_or_b32 exec_lo, exec_lo, s0
	s_wait_storecnt_dscnt 0x0
	s_barrier_signal -1
	s_barrier_wait -1
	s_clause 0x5
	scratch_load_b128 v[52:55], off, off offset:32
	scratch_load_b128 v[56:59], off, off offset:48
	;; [unrolled: 1-line block ×6, first 2 shown]
	v_mov_b32_e32 v2, 0
	ds_load_2addr_b64 v[76:79], v2 offset0:29 offset1:30
	ds_load_2addr_b64 v[80:83], v2 offset0:31 offset1:32
	s_mov_b32 s0, exec_lo
	s_wait_loadcnt_dscnt 0x501
	v_fma_f64 v[84:85], v[54:55], v[76:77], 0
	s_wait_loadcnt 0x4
	s_delay_alu instid0(VALU_DEP_1) | instskip(SKIP_4) | instid1(VALU_DEP_1)
	v_fmac_f64_e32 v[84:85], v[56:57], v[78:79]
	scratch_load_b128 v[54:57], off, off offset:128
	s_wait_dscnt 0x0
	v_fmac_f64_e32 v[84:85], v[58:59], v[80:81]
	s_wait_loadcnt 0x4
	v_fmac_f64_e32 v[84:85], v[60:61], v[82:83]
	scratch_load_b128 v[58:61], off, off offset:144
	ds_load_2addr_b64 v[76:79], v2 offset0:33 offset1:34
	ds_load_2addr_b64 v[80:83], v2 offset0:35 offset1:36
	s_wait_dscnt 0x1
	v_fmac_f64_e32 v[84:85], v[62:63], v[76:77]
	s_wait_loadcnt 0x4
	s_delay_alu instid0(VALU_DEP_1) | instskip(SKIP_4) | instid1(VALU_DEP_1)
	v_fmac_f64_e32 v[84:85], v[64:65], v[78:79]
	scratch_load_b128 v[62:65], off, off offset:160
	s_wait_dscnt 0x0
	v_fmac_f64_e32 v[84:85], v[66:67], v[80:81]
	s_wait_loadcnt 0x4
	v_fmac_f64_e32 v[84:85], v[68:69], v[82:83]
	scratch_load_b128 v[66:69], off, off offset:176
	ds_load_2addr_b64 v[76:79], v2 offset0:37 offset1:38
	ds_load_2addr_b64 v[80:83], v2 offset0:39 offset1:40
	s_wait_dscnt 0x1
	v_fmac_f64_e32 v[84:85], v[70:71], v[76:77]
	s_wait_loadcnt 0x4
	s_delay_alu instid0(VALU_DEP_1) | instskip(SKIP_1) | instid1(VALU_DEP_1)
	v_fmac_f64_e32 v[84:85], v[72:73], v[78:79]
	s_wait_dscnt 0x0
	v_fmac_f64_e32 v[84:85], v[74:75], v[80:81]
	ds_load_2addr_b64 v[70:73], v2 offset0:41 offset1:42
	ds_load_2addr_b64 v[74:77], v2 offset0:43 offset1:44
	s_wait_loadcnt 0x3
	v_fmac_f64_e32 v[84:85], v[54:55], v[82:83]
	s_wait_dscnt 0x1
	s_delay_alu instid0(VALU_DEP_1) | instskip(SKIP_1) | instid1(VALU_DEP_1)
	v_fmac_f64_e32 v[84:85], v[56:57], v[70:71]
	s_wait_loadcnt 0x2
	v_fmac_f64_e32 v[84:85], v[58:59], v[72:73]
	ds_load_2addr_b64 v[54:57], v2 offset0:45 offset1:46
	ds_load_b64 v[58:59], v2 offset:376
	s_wait_dscnt 0x2
	v_fmac_f64_e32 v[84:85], v[60:61], v[74:75]
	s_wait_loadcnt 0x1
	s_delay_alu instid0(VALU_DEP_1) | instskip(SKIP_1) | instid1(VALU_DEP_1)
	v_fmac_f64_e32 v[84:85], v[62:63], v[76:77]
	s_wait_dscnt 0x1
	v_fmac_f64_e32 v[84:85], v[64:65], v[54:55]
	s_wait_loadcnt 0x0
	s_delay_alu instid0(VALU_DEP_1) | instskip(SKIP_1) | instid1(VALU_DEP_1)
	v_fmac_f64_e32 v[84:85], v[66:67], v[56:57]
	s_wait_dscnt 0x0
	v_fmac_f64_e32 v[84:85], v[68:69], v[58:59]
	s_delay_alu instid0(VALU_DEP_1)
	v_add_f64_e64 v[52:53], v[52:53], -v[84:85]
	scratch_store_b64 off, v[52:53], off offset:32
	s_wait_xcnt 0x0
	v_cmpx_lt_u32_e32 3, v0
	s_cbranch_execz .LBB87_147
; %bb.146:
	scratch_load_b64 v[52:53], off, off offset:24
	v_mov_b64_e32 v[54:55], 0
	scratch_store_b64 off, v[54:55], off offset:24
	s_wait_loadcnt 0x0
	ds_store_b64 v1, v[52:53]
.LBB87_147:
	s_wait_xcnt 0x0
	s_or_b32 exec_lo, exec_lo, s0
	s_wait_storecnt_dscnt 0x0
	s_barrier_signal -1
	s_barrier_wait -1
	s_clause 0x5
	scratch_load_b128 v[52:55], off, off offset:24
	scratch_load_b128 v[56:59], off, off offset:40
	;; [unrolled: 1-line block ×6, first 2 shown]
	ds_load_b128 v[76:79], v2 offset:224
	ds_load_b128 v[80:83], v2 offset:240
	s_mov_b32 s0, exec_lo
	s_wait_loadcnt_dscnt 0x501
	v_fma_f64 v[84:85], v[54:55], v[76:77], 0
	s_wait_loadcnt 0x4
	s_delay_alu instid0(VALU_DEP_1) | instskip(SKIP_4) | instid1(VALU_DEP_1)
	v_fmac_f64_e32 v[84:85], v[56:57], v[78:79]
	scratch_load_b128 v[54:57], off, off offset:120
	s_wait_dscnt 0x0
	v_fmac_f64_e32 v[84:85], v[58:59], v[80:81]
	s_wait_loadcnt 0x4
	v_fmac_f64_e32 v[84:85], v[60:61], v[82:83]
	scratch_load_b128 v[58:61], off, off offset:136
	ds_load_b128 v[76:79], v2 offset:256
	ds_load_b128 v[80:83], v2 offset:272
	s_wait_dscnt 0x1
	v_fmac_f64_e32 v[84:85], v[62:63], v[76:77]
	s_wait_loadcnt 0x4
	s_delay_alu instid0(VALU_DEP_1) | instskip(SKIP_4) | instid1(VALU_DEP_1)
	v_fmac_f64_e32 v[84:85], v[64:65], v[78:79]
	scratch_load_b128 v[62:65], off, off offset:152
	s_wait_dscnt 0x0
	v_fmac_f64_e32 v[84:85], v[66:67], v[80:81]
	s_wait_loadcnt 0x4
	v_fmac_f64_e32 v[84:85], v[68:69], v[82:83]
	scratch_load_b128 v[66:69], off, off offset:168
	ds_load_b128 v[76:79], v2 offset:288
	ds_load_b128 v[80:83], v2 offset:304
	s_wait_dscnt 0x1
	v_fmac_f64_e32 v[84:85], v[70:71], v[76:77]
	s_wait_loadcnt 0x4
	s_delay_alu instid0(VALU_DEP_1)
	v_fmac_f64_e32 v[84:85], v[72:73], v[78:79]
	scratch_load_b64 v[78:79], off, off offset:184
	s_wait_dscnt 0x0
	v_fmac_f64_e32 v[84:85], v[74:75], v[80:81]
	ds_load_b128 v[70:73], v2 offset:320
	ds_load_b128 v[74:77], v2 offset:336
	s_wait_loadcnt 0x4
	v_fmac_f64_e32 v[84:85], v[54:55], v[82:83]
	s_wait_dscnt 0x1
	s_delay_alu instid0(VALU_DEP_1) | instskip(SKIP_1) | instid1(VALU_DEP_1)
	v_fmac_f64_e32 v[84:85], v[56:57], v[70:71]
	s_wait_loadcnt 0x3
	v_fmac_f64_e32 v[84:85], v[58:59], v[72:73]
	s_wait_dscnt 0x0
	s_delay_alu instid0(VALU_DEP_1)
	v_fmac_f64_e32 v[84:85], v[60:61], v[74:75]
	ds_load_b128 v[54:57], v2 offset:352
	ds_load_b128 v[58:61], v2 offset:368
	s_wait_loadcnt 0x2
	v_fmac_f64_e32 v[84:85], v[62:63], v[76:77]
	s_wait_dscnt 0x1
	s_delay_alu instid0(VALU_DEP_1) | instskip(SKIP_1) | instid1(VALU_DEP_1)
	v_fmac_f64_e32 v[84:85], v[64:65], v[54:55]
	s_wait_loadcnt 0x1
	v_fmac_f64_e32 v[84:85], v[66:67], v[56:57]
	s_wait_dscnt 0x0
	s_delay_alu instid0(VALU_DEP_1) | instskip(SKIP_1) | instid1(VALU_DEP_1)
	v_fmac_f64_e32 v[84:85], v[68:69], v[58:59]
	s_wait_loadcnt 0x0
	v_fmac_f64_e32 v[84:85], v[78:79], v[60:61]
	s_delay_alu instid0(VALU_DEP_1)
	v_add_f64_e64 v[2:3], v[52:53], -v[84:85]
	scratch_store_b64 off, v[2:3], off offset:24
	s_wait_xcnt 0x0
	v_cmpx_lt_u32_e32 2, v0
	s_cbranch_execz .LBB87_149
; %bb.148:
	scratch_load_b64 v[2:3], off, off offset:16
	v_mov_b64_e32 v[52:53], 0
	scratch_store_b64 off, v[52:53], off offset:16
	s_wait_loadcnt 0x0
	ds_store_b64 v1, v[2:3]
.LBB87_149:
	s_wait_xcnt 0x0
	s_or_b32 exec_lo, exec_lo, s0
	s_wait_storecnt_dscnt 0x0
	s_barrier_signal -1
	s_barrier_wait -1
	s_clause 0x5
	scratch_load_b128 v[52:55], off, off offset:16
	scratch_load_b128 v[56:59], off, off offset:32
	scratch_load_b128 v[60:63], off, off offset:48
	scratch_load_b128 v[64:67], off, off offset:64
	scratch_load_b128 v[68:71], off, off offset:80
	scratch_load_b128 v[72:75], off, off offset:96
	v_mov_b32_e32 v2, 0
	ds_load_2addr_b64 v[76:79], v2 offset0:27 offset1:28
	ds_load_2addr_b64 v[80:83], v2 offset0:29 offset1:30
	s_mov_b32 s0, exec_lo
	s_wait_loadcnt_dscnt 0x501
	v_fma_f64 v[84:85], v[54:55], v[76:77], 0
	s_wait_loadcnt 0x4
	s_delay_alu instid0(VALU_DEP_1) | instskip(SKIP_4) | instid1(VALU_DEP_1)
	v_fmac_f64_e32 v[84:85], v[56:57], v[78:79]
	scratch_load_b128 v[54:57], off, off offset:112
	s_wait_dscnt 0x0
	v_fmac_f64_e32 v[84:85], v[58:59], v[80:81]
	s_wait_loadcnt 0x4
	v_fmac_f64_e32 v[84:85], v[60:61], v[82:83]
	scratch_load_b128 v[58:61], off, off offset:128
	ds_load_2addr_b64 v[76:79], v2 offset0:31 offset1:32
	ds_load_2addr_b64 v[80:83], v2 offset0:33 offset1:34
	s_wait_dscnt 0x1
	v_fmac_f64_e32 v[84:85], v[62:63], v[76:77]
	s_wait_loadcnt 0x4
	s_delay_alu instid0(VALU_DEP_1) | instskip(SKIP_4) | instid1(VALU_DEP_1)
	v_fmac_f64_e32 v[84:85], v[64:65], v[78:79]
	scratch_load_b128 v[62:65], off, off offset:144
	s_wait_dscnt 0x0
	v_fmac_f64_e32 v[84:85], v[66:67], v[80:81]
	s_wait_loadcnt 0x4
	v_fmac_f64_e32 v[84:85], v[68:69], v[82:83]
	scratch_load_b128 v[66:69], off, off offset:160
	ds_load_2addr_b64 v[76:79], v2 offset0:35 offset1:36
	ds_load_2addr_b64 v[80:83], v2 offset0:37 offset1:38
	s_wait_dscnt 0x1
	v_fmac_f64_e32 v[84:85], v[70:71], v[76:77]
	s_wait_loadcnt 0x4
	s_delay_alu instid0(VALU_DEP_1)
	v_fmac_f64_e32 v[84:85], v[72:73], v[78:79]
	scratch_load_b128 v[70:73], off, off offset:176
	s_wait_dscnt 0x0
	v_fmac_f64_e32 v[84:85], v[74:75], v[80:81]
	ds_load_2addr_b64 v[74:77], v2 offset0:39 offset1:40
	ds_load_2addr_b64 v[78:81], v2 offset0:41 offset1:42
	s_wait_loadcnt 0x4
	v_fmac_f64_e32 v[84:85], v[54:55], v[82:83]
	s_wait_dscnt 0x1
	s_delay_alu instid0(VALU_DEP_1) | instskip(SKIP_1) | instid1(VALU_DEP_1)
	v_fmac_f64_e32 v[84:85], v[56:57], v[74:75]
	s_wait_loadcnt 0x3
	v_fmac_f64_e32 v[84:85], v[58:59], v[76:77]
	s_wait_dscnt 0x0
	s_delay_alu instid0(VALU_DEP_1)
	v_fmac_f64_e32 v[84:85], v[60:61], v[78:79]
	ds_load_2addr_b64 v[54:57], v2 offset0:43 offset1:44
	ds_load_2addr_b64 v[58:61], v2 offset0:45 offset1:46
	s_wait_loadcnt 0x2
	v_fmac_f64_e32 v[84:85], v[62:63], v[80:81]
	s_wait_dscnt 0x1
	s_delay_alu instid0(VALU_DEP_1) | instskip(SKIP_4) | instid1(VALU_DEP_1)
	v_fmac_f64_e32 v[84:85], v[64:65], v[54:55]
	ds_load_b64 v[54:55], v2 offset:376
	s_wait_loadcnt 0x1
	v_fmac_f64_e32 v[84:85], v[66:67], v[56:57]
	s_wait_dscnt 0x1
	v_fmac_f64_e32 v[84:85], v[68:69], v[58:59]
	s_wait_loadcnt 0x0
	s_delay_alu instid0(VALU_DEP_1) | instskip(SKIP_1) | instid1(VALU_DEP_1)
	v_fmac_f64_e32 v[84:85], v[70:71], v[60:61]
	s_wait_dscnt 0x0
	v_fmac_f64_e32 v[84:85], v[72:73], v[54:55]
	s_delay_alu instid0(VALU_DEP_1)
	v_add_f64_e64 v[52:53], v[52:53], -v[84:85]
	scratch_store_b64 off, v[52:53], off offset:16
	s_wait_xcnt 0x0
	v_cmpx_lt_u32_e32 1, v0
	s_cbranch_execz .LBB87_151
; %bb.150:
	scratch_load_b64 v[52:53], off, off offset:8
	v_mov_b64_e32 v[54:55], 0
	scratch_store_b64 off, v[54:55], off offset:8
	s_wait_loadcnt 0x0
	ds_store_b64 v1, v[52:53]
.LBB87_151:
	s_wait_xcnt 0x0
	s_or_b32 exec_lo, exec_lo, s0
	s_wait_storecnt_dscnt 0x0
	s_barrier_signal -1
	s_barrier_wait -1
	s_clause 0x3
	scratch_load_b128 v[52:55], off, off offset:8
	scratch_load_b128 v[56:59], off, off offset:24
	;; [unrolled: 1-line block ×4, first 2 shown]
	ds_load_b128 v[68:71], v2 offset:208
	ds_load_b128 v[72:75], v2 offset:224
	scratch_load_b128 v[76:79], off, off offset:72
	v_dual_ashrrev_i32 v9, 31, v8 :: v_dual_ashrrev_i32 v15, 31, v14
	v_dual_ashrrev_i32 v13, 31, v12 :: v_dual_ashrrev_i32 v19, 31, v18
	;; [unrolled: 1-line block ×10, first 2 shown]
	v_ashrrev_i32_e32 v49, 31, v48
	s_mov_b32 s0, exec_lo
	v_ashrrev_i32_e32 v11, 31, v10
	s_wait_loadcnt_dscnt 0x401
	v_fma_f64 v[80:81], v[54:55], v[68:69], 0
	s_wait_loadcnt 0x3
	s_delay_alu instid0(VALU_DEP_1) | instskip(SKIP_4) | instid1(VALU_DEP_1)
	v_fmac_f64_e32 v[80:81], v[56:57], v[70:71]
	scratch_load_b128 v[54:57], off, off offset:88
	s_wait_dscnt 0x0
	v_fmac_f64_e32 v[80:81], v[58:59], v[72:73]
	s_wait_loadcnt 0x3
	v_fmac_f64_e32 v[80:81], v[60:61], v[74:75]
	ds_load_b128 v[58:61], v2 offset:240
	ds_load_b128 v[68:71], v2 offset:256
	scratch_load_b128 v[72:75], off, off offset:104
	s_wait_dscnt 0x1
	v_fmac_f64_e32 v[80:81], v[62:63], v[58:59]
	s_wait_loadcnt 0x3
	s_delay_alu instid0(VALU_DEP_1)
	v_fmac_f64_e32 v[80:81], v[64:65], v[60:61]
	scratch_load_b128 v[58:61], off, off offset:120
	s_wait_dscnt 0x0
	v_fmac_f64_e32 v[80:81], v[66:67], v[68:69]
	ds_load_b128 v[62:65], v2 offset:272
	ds_load_b128 v[66:69], v2 offset:288
	s_wait_loadcnt 0x3
	v_fmac_f64_e32 v[80:81], v[76:77], v[70:71]
	s_wait_dscnt 0x1
	s_delay_alu instid0(VALU_DEP_1) | instskip(SKIP_4) | instid1(VALU_DEP_1)
	v_fmac_f64_e32 v[80:81], v[78:79], v[62:63]
	scratch_load_b128 v[76:79], off, off offset:136
	s_wait_loadcnt 0x3
	v_fmac_f64_e32 v[80:81], v[54:55], v[64:65]
	s_wait_dscnt 0x0
	v_fmac_f64_e32 v[80:81], v[56:57], v[66:67]
	scratch_load_b128 v[54:57], off, off offset:152
	s_wait_loadcnt 0x3
	v_fmac_f64_e32 v[80:81], v[72:73], v[68:69]
	ds_load_b128 v[62:65], v2 offset:304
	ds_load_b128 v[66:69], v2 offset:320
	scratch_load_b128 v[70:73], off, off offset:168
	s_wait_dscnt 0x1
	v_fmac_f64_e32 v[80:81], v[74:75], v[62:63]
	scratch_load_b64 v[74:75], off, off offset:184
	s_wait_loadcnt 0x4
	v_fmac_f64_e32 v[80:81], v[58:59], v[64:65]
	s_wait_dscnt 0x0
	s_delay_alu instid0(VALU_DEP_1)
	v_fmac_f64_e32 v[80:81], v[60:61], v[66:67]
	ds_load_b128 v[58:61], v2 offset:336
	ds_load_b128 v[62:65], v2 offset:352
	s_wait_loadcnt 0x3
	v_fmac_f64_e32 v[80:81], v[76:77], v[68:69]
	s_wait_dscnt 0x1
	s_delay_alu instid0(VALU_DEP_1) | instskip(SKIP_1) | instid1(VALU_DEP_1)
	v_fmac_f64_e32 v[80:81], v[78:79], v[58:59]
	s_wait_loadcnt 0x2
	v_fmac_f64_e32 v[80:81], v[54:55], v[60:61]
	s_wait_dscnt 0x0
	s_delay_alu instid0(VALU_DEP_1) | instskip(SKIP_4) | instid1(VALU_DEP_1)
	v_fmac_f64_e32 v[80:81], v[56:57], v[62:63]
	ds_load_b128 v[54:57], v2 offset:368
	s_wait_loadcnt 0x1
	v_fmac_f64_e32 v[80:81], v[70:71], v[64:65]
	s_wait_dscnt 0x0
	v_fmac_f64_e32 v[80:81], v[72:73], v[54:55]
	s_wait_loadcnt 0x0
	s_delay_alu instid0(VALU_DEP_1) | instskip(NEXT) | instid1(VALU_DEP_1)
	v_fmac_f64_e32 v[80:81], v[74:75], v[56:57]
	v_add_f64_e64 v[2:3], v[52:53], -v[80:81]
	scratch_store_b64 off, v[2:3], off offset:8
	s_wait_xcnt 0x0
	v_cmpx_ne_u32_e32 0, v0
	s_cbranch_execz .LBB87_153
; %bb.152:
	scratch_load_b64 v[2:3], off, off
	v_mov_b64_e32 v[52:53], 0
	scratch_store_b64 off, v[52:53], off
	s_wait_loadcnt 0x0
	ds_store_b64 v1, v[2:3]
.LBB87_153:
	s_wait_xcnt 0x0
	s_or_b32 exec_lo, exec_lo, s0
	s_wait_storecnt_dscnt 0x0
	s_barrier_signal -1
	s_barrier_wait -1
	s_clause 0x5
	scratch_load_b128 v[54:57], off, off
	scratch_load_b128 v[0:3], off, off offset:16
	scratch_load_b128 v[58:61], off, off offset:32
	;; [unrolled: 1-line block ×5, first 2 shown]
	v_mov_b32_e32 v52, 0
	s_clause 0x1
	scratch_load_b128 v[78:81], off, off offset:96
	scratch_load_b128 v[82:85], off, off offset:112
	s_and_b32 vcc_lo, exec_lo, s12
	ds_load_2addr_b64 v[74:77], v52 offset0:25 offset1:26
	s_wait_loadcnt_dscnt 0x700
	v_fma_f64 v[86:87], v[56:57], v[74:75], 0
	s_wait_loadcnt 0x6
	s_delay_alu instid0(VALU_DEP_1)
	v_fmac_f64_e32 v[86:87], v[0:1], v[76:77]
	ds_load_2addr_b64 v[74:77], v52 offset0:27 offset1:28
	s_wait_dscnt 0x0
	v_fmac_f64_e32 v[86:87], v[2:3], v[74:75]
	ds_load_2addr_b64 v[0:3], v52 offset0:29 offset1:30
	s_wait_loadcnt 0x5
	v_fmac_f64_e32 v[86:87], v[58:59], v[76:77]
	scratch_load_b128 v[56:59], off, off offset:128
	s_wait_dscnt 0x0
	v_fmac_f64_e32 v[86:87], v[60:61], v[0:1]
	s_wait_loadcnt 0x5
	s_delay_alu instid0(VALU_DEP_1)
	v_fmac_f64_e32 v[86:87], v[62:63], v[2:3]
	ds_load_2addr_b64 v[0:3], v52 offset0:31 offset1:32
	scratch_load_b128 v[60:63], off, off offset:144
	s_wait_dscnt 0x0
	v_fmac_f64_e32 v[86:87], v[64:65], v[0:1]
	s_wait_loadcnt 0x5
	s_delay_alu instid0(VALU_DEP_1)
	v_fmac_f64_e32 v[86:87], v[66:67], v[2:3]
	ds_load_2addr_b64 v[0:3], v52 offset0:33 offset1:34
	;; [unrolled: 7-line block ×3, first 2 shown]
	scratch_load_b128 v[0:3], off, off offset:176
	s_wait_dscnt 0x0
	v_fmac_f64_e32 v[86:87], v[72:73], v[68:69]
	s_wait_loadcnt 0x5
	s_delay_alu instid0(VALU_DEP_1) | instskip(SKIP_4) | instid1(VALU_DEP_1)
	v_fmac_f64_e32 v[86:87], v[78:79], v[70:71]
	ds_load_2addr_b64 v[68:71], v52 offset0:37 offset1:38
	s_wait_dscnt 0x0
	v_fmac_f64_e32 v[86:87], v[80:81], v[68:69]
	s_wait_loadcnt 0x4
	v_fmac_f64_e32 v[86:87], v[82:83], v[70:71]
	ds_load_2addr_b64 v[68:71], v52 offset0:39 offset1:40
	s_wait_dscnt 0x0
	v_fmac_f64_e32 v[86:87], v[84:85], v[68:69]
	s_wait_loadcnt 0x3
	s_delay_alu instid0(VALU_DEP_1)
	v_fmac_f64_e32 v[86:87], v[56:57], v[70:71]
	ds_load_2addr_b64 v[68:71], v52 offset0:41 offset1:42
	s_wait_dscnt 0x0
	v_fmac_f64_e32 v[86:87], v[58:59], v[68:69]
	ds_load_2addr_b64 v[56:59], v52 offset0:43 offset1:44
	s_wait_loadcnt 0x2
	v_fmac_f64_e32 v[86:87], v[60:61], v[70:71]
	s_wait_dscnt 0x0
	s_delay_alu instid0(VALU_DEP_1) | instskip(SKIP_1) | instid1(VALU_DEP_1)
	v_fmac_f64_e32 v[86:87], v[62:63], v[56:57]
	s_wait_loadcnt 0x1
	v_fmac_f64_e32 v[86:87], v[64:65], v[58:59]
	ds_load_2addr_b64 v[56:59], v52 offset0:45 offset1:46
	s_wait_dscnt 0x0
	v_fmac_f64_e32 v[86:87], v[66:67], v[56:57]
	ds_load_b64 v[56:57], v52 offset:376
	s_wait_loadcnt 0x0
	v_fmac_f64_e32 v[86:87], v[0:1], v[58:59]
	s_wait_dscnt 0x0
	s_delay_alu instid0(VALU_DEP_1) | instskip(NEXT) | instid1(VALU_DEP_1)
	v_fmac_f64_e32 v[86:87], v[2:3], v[56:57]
	v_add_f64_e64 v[2:3], v[54:55], -v[86:87]
	scratch_store_b64 off, v[2:3], off
	s_cbranch_vccz .LBB87_200
; %bb.154:
	global_load_b32 v2, v52, s[8:9] offset:88
	s_wait_loadcnt 0x0
	v_cmp_ne_u32_e32 vcc_lo, 23, v2
	s_cbranch_vccz .LBB87_156
; %bb.155:
	v_lshlrev_b32_e32 v2, 3, v2
	s_wait_xcnt 0x0
	s_delay_alu instid0(VALU_DEP_1)
	v_mov_b32_e32 v52, v2
	scratch_load_b64 v[2:3], v52, off offset:-8
	s_wait_loadcnt 0x0
	scratch_store_b64 off, v[2:3], off offset:176
	scratch_store_b64 v52, v[0:1], off offset:-8
.LBB87_156:
	s_wait_xcnt 0x0
	v_mov_b32_e32 v0, 0
	global_load_b32 v1, v0, s[8:9] offset:84
	s_wait_loadcnt 0x0
	v_cmp_eq_u32_e32 vcc_lo, 22, v1
	s_cbranch_vccnz .LBB87_158
; %bb.157:
	v_lshlrev_b32_e32 v1, 3, v1
	scratch_load_b64 v[2:3], v1, off offset:-8
	scratch_load_b64 v[52:53], off, off offset:168
	s_wait_loadcnt 0x1
	scratch_store_b64 off, v[2:3], off offset:168
	s_wait_loadcnt 0x0
	scratch_store_b64 v1, v[52:53], off offset:-8
.LBB87_158:
	global_load_b32 v0, v0, s[8:9] offset:80
	s_wait_loadcnt 0x0
	v_cmp_eq_u32_e32 vcc_lo, 21, v0
	s_cbranch_vccnz .LBB87_160
; %bb.159:
	s_wait_xcnt 0x0
	v_lshlrev_b32_e32 v0, 3, v0
	s_delay_alu instid0(VALU_DEP_1)
	v_mov_b32_e32 v52, v0
	scratch_load_b64 v[0:1], v52, off offset:-8
	scratch_load_b64 v[2:3], off, off offset:160
	s_wait_loadcnt 0x1
	scratch_store_b64 off, v[0:1], off offset:160
	s_wait_loadcnt 0x0
	scratch_store_b64 v52, v[2:3], off offset:-8
.LBB87_160:
	s_wait_xcnt 0x0
	v_mov_b32_e32 v0, 0
	global_load_b32 v1, v0, s[8:9] offset:76
	s_wait_loadcnt 0x0
	v_cmp_eq_u32_e32 vcc_lo, 20, v1
	s_cbranch_vccnz .LBB87_162
; %bb.161:
	v_lshlrev_b32_e32 v1, 3, v1
	scratch_load_b64 v[2:3], v1, off offset:-8
	scratch_load_b64 v[52:53], off, off offset:152
	s_wait_loadcnt 0x1
	scratch_store_b64 off, v[2:3], off offset:152
	s_wait_loadcnt 0x0
	scratch_store_b64 v1, v[52:53], off offset:-8
.LBB87_162:
	global_load_b32 v0, v0, s[8:9] offset:72
	s_wait_loadcnt 0x0
	v_cmp_eq_u32_e32 vcc_lo, 19, v0
	s_cbranch_vccnz .LBB87_164
; %bb.163:
	s_wait_xcnt 0x0
	v_lshlrev_b32_e32 v0, 3, v0
	s_delay_alu instid0(VALU_DEP_1)
	v_mov_b32_e32 v52, v0
	scratch_load_b64 v[0:1], v52, off offset:-8
	scratch_load_b64 v[2:3], off, off offset:144
	s_wait_loadcnt 0x1
	scratch_store_b64 off, v[0:1], off offset:144
	s_wait_loadcnt 0x0
	scratch_store_b64 v52, v[2:3], off offset:-8
.LBB87_164:
	;; [unrolled: 31-line block ×10, first 2 shown]
	s_wait_xcnt 0x0
	v_mov_b32_e32 v0, 0
	global_load_b32 v1, v0, s[8:9] offset:4
	s_wait_loadcnt 0x0
	v_cmp_eq_u32_e32 vcc_lo, 2, v1
	s_cbranch_vccnz .LBB87_198
; %bb.197:
	v_lshlrev_b32_e32 v1, 3, v1
	scratch_load_b64 v[2:3], v1, off offset:-8
	scratch_load_b64 v[52:53], off, off offset:8
	s_wait_loadcnt 0x1
	scratch_store_b64 off, v[2:3], off offset:8
	s_wait_loadcnt 0x0
	scratch_store_b64 v1, v[52:53], off offset:-8
.LBB87_198:
	global_load_b32 v0, v0, s[8:9]
	scratch_load_b64 v[2:3], off, off
	s_wait_loadcnt 0x1
	v_cmp_eq_u32_e32 vcc_lo, 1, v0
	s_cbranch_vccnz .LBB87_200
; %bb.199:
	s_wait_xcnt 0x1
	v_lshlrev_b32_e32 v0, 3, v0
	s_delay_alu instid0(VALU_DEP_1)
	v_mov_b32_e32 v52, v0
	scratch_load_b64 v[0:1], v52, off offset:-8
	s_wait_loadcnt 0x0
	scratch_store_b64 off, v[0:1], off
	scratch_store_b64 v52, v[2:3], off offset:-8
	scratch_load_b64 v[2:3], off, off
.LBB87_200:
	s_wait_loadcnt 0x0
	flat_store_b64 v[4:5], v[2:3]
	scratch_load_b64 v[2:3], off, off offset:8
	v_lshl_add_u64 v[70:71], v[8:9], 3, s[2:3]
	v_lshl_add_u64 v[68:69], v[10:11], 3, s[2:3]
	;; [unrolled: 1-line block ×22, first 2 shown]
	s_wait_loadcnt 0x0
	flat_store_b64 v[6:7], v[2:3]
	scratch_load_b64 v[2:3], off, off offset:16
	s_wait_loadcnt 0x0
	flat_store_b64 v[70:71], v[2:3]
	scratch_load_b64 v[2:3], off, off offset:24
	s_wait_loadcnt 0x0
	flat_store_b64 v[68:69], v[2:3]
	scratch_load_b64 v[2:3], off, off offset:32
	s_wait_loadcnt 0x0
	flat_store_b64 v[66:67], v[2:3]
	scratch_load_b64 v[2:3], off, off offset:40
	s_wait_loadcnt 0x0
	flat_store_b64 v[64:65], v[2:3]
	scratch_load_b64 v[2:3], off, off offset:48
	s_wait_loadcnt 0x0
	flat_store_b64 v[62:63], v[2:3]
	scratch_load_b64 v[2:3], off, off offset:56
	s_wait_loadcnt 0x0
	flat_store_b64 v[60:61], v[2:3]
	scratch_load_b64 v[2:3], off, off offset:64
	s_wait_loadcnt 0x0
	flat_store_b64 v[58:59], v[2:3]
	scratch_load_b64 v[2:3], off, off offset:72
	s_wait_loadcnt 0x0
	flat_store_b64 v[56:57], v[2:3]
	scratch_load_b64 v[2:3], off, off offset:80
	s_wait_loadcnt 0x0
	flat_store_b64 v[54:55], v[2:3]
	scratch_load_b64 v[2:3], off, off offset:88
	s_wait_loadcnt 0x0
	flat_store_b64 v[52:53], v[2:3]
	scratch_load_b64 v[2:3], off, off offset:96
	s_wait_loadcnt 0x0
	flat_store_b64 v[28:29], v[2:3]
	scratch_load_b64 v[2:3], off, off offset:104
	s_wait_loadcnt 0x0
	flat_store_b64 v[26:27], v[2:3]
	scratch_load_b64 v[2:3], off, off offset:112
	s_wait_loadcnt 0x0
	flat_store_b64 v[24:25], v[2:3]
	scratch_load_b64 v[2:3], off, off offset:120
	s_wait_loadcnt 0x0
	flat_store_b64 v[22:23], v[2:3]
	scratch_load_b64 v[2:3], off, off offset:128
	s_wait_loadcnt 0x0
	flat_store_b64 v[20:21], v[2:3]
	scratch_load_b64 v[2:3], off, off offset:136
	s_wait_loadcnt 0x0
	flat_store_b64 v[18:19], v[2:3]
	scratch_load_b64 v[2:3], off, off offset:144
	s_wait_loadcnt 0x0
	flat_store_b64 v[16:17], v[2:3]
	scratch_load_b64 v[2:3], off, off offset:152
	s_wait_loadcnt 0x0
	flat_store_b64 v[14:15], v[2:3]
	scratch_load_b64 v[2:3], off, off offset:160
	s_wait_loadcnt 0x0
	flat_store_b64 v[12:13], v[2:3]
	scratch_load_b64 v[2:3], off, off offset:168
	s_wait_loadcnt 0x0
	flat_store_b64 v[10:11], v[2:3]
	scratch_load_b64 v[2:3], off, off offset:176
	s_wait_loadcnt 0x0
	flat_store_b64 v[8:9], v[2:3]
	scratch_load_b64 v[2:3], off, off offset:184
	s_wait_loadcnt 0x0
	flat_store_b64 v[0:1], v[2:3]
	s_sendmsg sendmsg(MSG_DEALLOC_VGPRS)
	s_endpgm
	.section	.rodata,"a",@progbits
	.p2align	6, 0x0
	.amdhsa_kernel _ZN9rocsolver6v33100L18getri_kernel_smallILi24EdPKPdEEvT1_iilPiilS6_bb
		.amdhsa_group_segment_fixed_size 392
		.amdhsa_private_segment_fixed_size 208
		.amdhsa_kernarg_size 60
		.amdhsa_user_sgpr_count 2
		.amdhsa_user_sgpr_dispatch_ptr 0
		.amdhsa_user_sgpr_queue_ptr 0
		.amdhsa_user_sgpr_kernarg_segment_ptr 1
		.amdhsa_user_sgpr_dispatch_id 0
		.amdhsa_user_sgpr_kernarg_preload_length 0
		.amdhsa_user_sgpr_kernarg_preload_offset 0
		.amdhsa_user_sgpr_private_segment_size 0
		.amdhsa_wavefront_size32 1
		.amdhsa_uses_dynamic_stack 0
		.amdhsa_enable_private_segment 1
		.amdhsa_system_sgpr_workgroup_id_x 1
		.amdhsa_system_sgpr_workgroup_id_y 0
		.amdhsa_system_sgpr_workgroup_id_z 0
		.amdhsa_system_sgpr_workgroup_info 0
		.amdhsa_system_vgpr_workitem_id 0
		.amdhsa_next_free_vgpr 88
		.amdhsa_next_free_sgpr 19
		.amdhsa_named_barrier_count 0
		.amdhsa_reserve_vcc 1
		.amdhsa_float_round_mode_32 0
		.amdhsa_float_round_mode_16_64 0
		.amdhsa_float_denorm_mode_32 3
		.amdhsa_float_denorm_mode_16_64 3
		.amdhsa_fp16_overflow 0
		.amdhsa_memory_ordered 1
		.amdhsa_forward_progress 1
		.amdhsa_inst_pref_size 136
		.amdhsa_round_robin_scheduling 0
		.amdhsa_exception_fp_ieee_invalid_op 0
		.amdhsa_exception_fp_denorm_src 0
		.amdhsa_exception_fp_ieee_div_zero 0
		.amdhsa_exception_fp_ieee_overflow 0
		.amdhsa_exception_fp_ieee_underflow 0
		.amdhsa_exception_fp_ieee_inexact 0
		.amdhsa_exception_int_div_zero 0
	.end_amdhsa_kernel
	.section	.text._ZN9rocsolver6v33100L18getri_kernel_smallILi24EdPKPdEEvT1_iilPiilS6_bb,"axG",@progbits,_ZN9rocsolver6v33100L18getri_kernel_smallILi24EdPKPdEEvT1_iilPiilS6_bb,comdat
.Lfunc_end87:
	.size	_ZN9rocsolver6v33100L18getri_kernel_smallILi24EdPKPdEEvT1_iilPiilS6_bb, .Lfunc_end87-_ZN9rocsolver6v33100L18getri_kernel_smallILi24EdPKPdEEvT1_iilPiilS6_bb
                                        ; -- End function
	.set _ZN9rocsolver6v33100L18getri_kernel_smallILi24EdPKPdEEvT1_iilPiilS6_bb.num_vgpr, 88
	.set _ZN9rocsolver6v33100L18getri_kernel_smallILi24EdPKPdEEvT1_iilPiilS6_bb.num_agpr, 0
	.set _ZN9rocsolver6v33100L18getri_kernel_smallILi24EdPKPdEEvT1_iilPiilS6_bb.numbered_sgpr, 19
	.set _ZN9rocsolver6v33100L18getri_kernel_smallILi24EdPKPdEEvT1_iilPiilS6_bb.num_named_barrier, 0
	.set _ZN9rocsolver6v33100L18getri_kernel_smallILi24EdPKPdEEvT1_iilPiilS6_bb.private_seg_size, 208
	.set _ZN9rocsolver6v33100L18getri_kernel_smallILi24EdPKPdEEvT1_iilPiilS6_bb.uses_vcc, 1
	.set _ZN9rocsolver6v33100L18getri_kernel_smallILi24EdPKPdEEvT1_iilPiilS6_bb.uses_flat_scratch, 1
	.set _ZN9rocsolver6v33100L18getri_kernel_smallILi24EdPKPdEEvT1_iilPiilS6_bb.has_dyn_sized_stack, 0
	.set _ZN9rocsolver6v33100L18getri_kernel_smallILi24EdPKPdEEvT1_iilPiilS6_bb.has_recursion, 0
	.set _ZN9rocsolver6v33100L18getri_kernel_smallILi24EdPKPdEEvT1_iilPiilS6_bb.has_indirect_call, 0
	.section	.AMDGPU.csdata,"",@progbits
; Kernel info:
; codeLenInByte = 17352
; TotalNumSgprs: 21
; NumVgprs: 88
; ScratchSize: 208
; MemoryBound: 0
; FloatMode: 240
; IeeeMode: 1
; LDSByteSize: 392 bytes/workgroup (compile time only)
; SGPRBlocks: 0
; VGPRBlocks: 5
; NumSGPRsForWavesPerEU: 21
; NumVGPRsForWavesPerEU: 88
; NamedBarCnt: 0
; Occupancy: 10
; WaveLimiterHint : 1
; COMPUTE_PGM_RSRC2:SCRATCH_EN: 1
; COMPUTE_PGM_RSRC2:USER_SGPR: 2
; COMPUTE_PGM_RSRC2:TRAP_HANDLER: 0
; COMPUTE_PGM_RSRC2:TGID_X_EN: 1
; COMPUTE_PGM_RSRC2:TGID_Y_EN: 0
; COMPUTE_PGM_RSRC2:TGID_Z_EN: 0
; COMPUTE_PGM_RSRC2:TIDIG_COMP_CNT: 0
	.section	.text._ZN9rocsolver6v33100L18getri_kernel_smallILi25EdPKPdEEvT1_iilPiilS6_bb,"axG",@progbits,_ZN9rocsolver6v33100L18getri_kernel_smallILi25EdPKPdEEvT1_iilPiilS6_bb,comdat
	.globl	_ZN9rocsolver6v33100L18getri_kernel_smallILi25EdPKPdEEvT1_iilPiilS6_bb ; -- Begin function _ZN9rocsolver6v33100L18getri_kernel_smallILi25EdPKPdEEvT1_iilPiilS6_bb
	.p2align	8
	.type	_ZN9rocsolver6v33100L18getri_kernel_smallILi25EdPKPdEEvT1_iilPiilS6_bb,@function
_ZN9rocsolver6v33100L18getri_kernel_smallILi25EdPKPdEEvT1_iilPiilS6_bb: ; @_ZN9rocsolver6v33100L18getri_kernel_smallILi25EdPKPdEEvT1_iilPiilS6_bb
; %bb.0:
	s_mov_b32 s2, exec_lo
	v_cmpx_gt_u32_e32 25, v0
	s_cbranch_execz .LBB88_110
; %bb.1:
	s_clause 0x1
	s_load_b32 s13, s[0:1], 0x38
	s_load_b64 s[2:3], s[0:1], 0x0
	s_getreg_b32 s6, hwreg(HW_REG_IB_STS2, 6, 4)
	s_wait_kmcnt 0x0
	s_bitcmp1_b32 s13, 8
	s_cselect_b32 s12, -1, 0
	s_bfe_u32 s4, ttmp6, 0x4000c
	s_and_b32 s5, ttmp6, 15
	s_add_co_i32 s4, s4, 1
	s_delay_alu instid0(SALU_CYCLE_1) | instskip(NEXT) | instid1(SALU_CYCLE_1)
	s_mul_i32 s4, ttmp9, s4
	s_add_co_i32 s5, s5, s4
	s_cmp_eq_u32 s6, 0
	s_cselect_b32 s10, ttmp9, s5
	s_load_b128 s[4:7], s[0:1], 0x28
	s_ashr_i32 s11, s10, 31
	s_delay_alu instid0(SALU_CYCLE_1) | instskip(NEXT) | instid1(SALU_CYCLE_1)
	s_lshl_b64 s[8:9], s[10:11], 3
	s_add_nc_u64 s[2:3], s[2:3], s[8:9]
	s_bfe_u32 s8, s13, 0x10008
	s_load_b64 s[2:3], s[2:3], 0x0
	s_cmp_eq_u32 s8, 0
                                        ; implicit-def: $sgpr8_sgpr9
	s_cbranch_scc1 .LBB88_3
; %bb.2:
	s_load_b96 s[16:18], s[0:1], 0x18
	s_wait_kmcnt 0x0
	s_mul_u64 s[4:5], s[4:5], s[10:11]
	s_delay_alu instid0(SALU_CYCLE_1) | instskip(SKIP_4) | instid1(SALU_CYCLE_1)
	s_lshl_b64 s[4:5], s[4:5], 2
	s_ashr_i32 s9, s18, 31
	s_mov_b32 s8, s18
	s_add_nc_u64 s[4:5], s[16:17], s[4:5]
	s_lshl_b64 s[8:9], s[8:9], 2
	s_add_nc_u64 s[8:9], s[4:5], s[8:9]
.LBB88_3:
	s_wait_kmcnt 0x0
	s_clause 0x1
	s_load_b64 s[4:5], s[0:1], 0x8
	s_load_b32 s13, s[0:1], 0x38
	v_dual_mov_b32 v3, 0 :: v_dual_lshlrev_b32 v2, 3, v0
	s_wait_kmcnt 0x0
	s_ashr_i32 s1, s4, 31
	s_mov_b32 s0, s4
	s_delay_alu instid0(SALU_CYCLE_1) | instskip(NEXT) | instid1(SALU_CYCLE_1)
	s_lshl_b64 s[0:1], s[0:1], 3
	s_add_nc_u64 s[2:3], s[2:3], s[0:1]
	s_ashr_i32 s1, s5, 31
	flat_load_b64 v[8:9], v0, s[2:3] scale_offset
	v_add_nc_u64_e32 v[4:5], s[2:3], v[2:3]
	s_mov_b32 s0, s5
	s_bitcmp0_b32 s13, 0
	s_delay_alu instid0(VALU_DEP_1)
	v_lshl_add_u64 v[6:7], s[0:1], 3, v[4:5]
	s_mov_b32 s1, -1
	s_wait_loadcnt_dscnt 0x0
	scratch_store_b64 off, v[8:9], off
	flat_load_b64 v[10:11], v[6:7]
	s_wait_xcnt 0x1
	v_add3_u32 v8, s5, s5, v0
	s_wait_loadcnt_dscnt 0x0
	scratch_store_b64 off, v[10:11], off offset:8
	flat_load_b64 v[12:13], v8, s[2:3] scale_offset
	s_wait_xcnt 0x1
	v_add_nc_u32_e32 v10, s5, v8
	s_wait_loadcnt_dscnt 0x0
	scratch_store_b64 off, v[12:13], off offset:16
	flat_load_b64 v[14:15], v10, s[2:3] scale_offset
	s_wait_xcnt 0x1
	v_add_nc_u32_e32 v12, s5, v10
	;; [unrolled: 5-line block ×22, first 2 shown]
	s_wait_loadcnt_dscnt 0x0
	scratch_store_b64 off, v[54:55], off offset:184
	flat_load_b64 v[54:55], v52, s[2:3] scale_offset
	s_wait_loadcnt_dscnt 0x0
	scratch_store_b64 off, v[54:55], off offset:192
	s_cbranch_scc1 .LBB88_108
; %bb.4:
	v_cmp_eq_u32_e64 s0, 0, v0
	s_wait_xcnt 0x0
	s_and_saveexec_b32 s1, s0
; %bb.5:
	v_mov_b32_e32 v1, 0
	ds_store_b32 v1, v1 offset:200
; %bb.6:
	s_or_b32 exec_lo, exec_lo, s1
	s_wait_storecnt_dscnt 0x0
	s_barrier_signal -1
	s_barrier_wait -1
	scratch_load_b64 v[54:55], v0, off scale_offset
	s_mov_b32 s4, exec_lo
	s_wait_loadcnt 0x0
	v_cmpx_eq_f64_e32 0, v[54:55]
	s_cbranch_execz .LBB88_10
; %bb.7:
	v_mov_b32_e32 v1, 0
	s_mov_b32 s5, 0
	ds_load_b32 v3, v1 offset:200
	s_wait_dscnt 0x0
	v_readfirstlane_b32 s1, v3
	v_add_nc_u32_e32 v3, 1, v0
	s_cmp_eq_u32 s1, 0
	s_delay_alu instid0(VALU_DEP_1) | instskip(SKIP_1) | instid1(SALU_CYCLE_1)
	v_cmp_gt_i32_e32 vcc_lo, s1, v3
	s_cselect_b32 s13, -1, 0
	s_or_b32 s13, s13, vcc_lo
	s_delay_alu instid0(SALU_CYCLE_1)
	s_and_b32 exec_lo, exec_lo, s13
	s_cbranch_execz .LBB88_10
; %bb.8:
	v_mov_b32_e32 v9, s1
.LBB88_9:                               ; =>This Inner Loop Header: Depth=1
	ds_cmpstore_rtn_b32 v9, v1, v3, v9 offset:200
	s_wait_dscnt 0x0
	v_cmp_ne_u32_e32 vcc_lo, 0, v9
	v_cmp_le_i32_e64 s1, v9, v3
	s_and_b32 s1, vcc_lo, s1
	s_delay_alu instid0(SALU_CYCLE_1) | instskip(NEXT) | instid1(SALU_CYCLE_1)
	s_and_b32 s1, exec_lo, s1
	s_or_b32 s5, s1, s5
	s_delay_alu instid0(SALU_CYCLE_1)
	s_and_not1_b32 exec_lo, exec_lo, s5
	s_cbranch_execnz .LBB88_9
.LBB88_10:
	s_or_b32 exec_lo, exec_lo, s4
	v_mov_b32_e32 v1, 0
	s_barrier_signal -1
	s_barrier_wait -1
	ds_load_b32 v3, v1 offset:200
	s_and_saveexec_b32 s1, s0
	s_cbranch_execz .LBB88_12
; %bb.11:
	s_lshl_b64 s[4:5], s[10:11], 2
	s_delay_alu instid0(SALU_CYCLE_1)
	s_add_nc_u64 s[4:5], s[6:7], s[4:5]
	s_wait_dscnt 0x0
	global_store_b32 v1, v3, s[4:5]
.LBB88_12:
	s_wait_xcnt 0x0
	s_or_b32 exec_lo, exec_lo, s1
	s_wait_dscnt 0x0
	v_cmp_ne_u32_e32 vcc_lo, 0, v3
	s_mov_b32 s1, 0
	s_cbranch_vccnz .LBB88_108
; %bb.13:
	v_lshl_add_u32 v3, v0, 3, 0
	v_add_nc_u32_e32 v1, 0xd0, v2
	scratch_load_b64 v[54:55], v3, off
	s_wait_loadcnt 0x0
	v_div_scale_f64 v[56:57], null, v[54:55], v[54:55], 1.0
	v_div_scale_f64 v[62:63], vcc_lo, 1.0, v[54:55], 1.0
	s_delay_alu instid0(VALU_DEP_2) | instskip(SKIP_1) | instid1(TRANS32_DEP_1)
	v_rcp_f64_e32 v[58:59], v[56:57]
	v_nop
	v_fma_f64 v[60:61], -v[56:57], v[58:59], 1.0
	s_delay_alu instid0(VALU_DEP_1) | instskip(NEXT) | instid1(VALU_DEP_1)
	v_fmac_f64_e32 v[58:59], v[58:59], v[60:61]
	v_fma_f64 v[60:61], -v[56:57], v[58:59], 1.0
	s_delay_alu instid0(VALU_DEP_1) | instskip(NEXT) | instid1(VALU_DEP_1)
	v_fmac_f64_e32 v[58:59], v[58:59], v[60:61]
	v_mul_f64_e32 v[60:61], v[62:63], v[58:59]
	s_delay_alu instid0(VALU_DEP_1) | instskip(NEXT) | instid1(VALU_DEP_1)
	v_fma_f64 v[56:57], -v[56:57], v[60:61], v[62:63]
	v_div_fmas_f64 v[56:57], v[56:57], v[58:59], v[60:61]
	s_delay_alu instid0(VALU_DEP_1)
	v_div_fixup_f64 v[54:55], v[56:57], v[54:55], 1.0
	scratch_store_b64 v3, v[54:55], off
	scratch_load_b64 v[56:57], off, off offset:8
	s_wait_xcnt 0x1
	v_xor_b32_e32 v55, 0x80000000, v55
	s_wait_loadcnt 0x0
	ds_store_2addr_b64 v2, v[54:55], v[56:57] offset1:26
	s_wait_storecnt_dscnt 0x0
	s_barrier_signal -1
	s_barrier_wait -1
	s_wait_xcnt 0x0
	s_and_saveexec_b32 s1, s0
	s_cbranch_execz .LBB88_15
; %bb.14:
	scratch_load_b64 v[54:55], v3, off
	ds_load_b64 v[56:57], v1
	s_wait_loadcnt_dscnt 0x0
	v_fma_f64 v[54:55], v[54:55], v[56:57], 0
	v_mov_b32_e32 v9, 0
	ds_load_b64 v[58:59], v9 offset:8
	s_wait_dscnt 0x0
	v_mul_f64_e32 v[54:55], v[54:55], v[58:59]
	scratch_store_b64 off, v[54:55], off offset:8
.LBB88_15:
	s_wait_xcnt 0x0
	s_or_b32 exec_lo, exec_lo, s1
	s_wait_storecnt 0x0
	s_barrier_signal -1
	s_barrier_wait -1
	scratch_load_b64 v[54:55], off, off offset:16
	s_mov_b32 s1, exec_lo
	s_wait_loadcnt 0x0
	ds_store_b64 v1, v[54:55]
	s_wait_dscnt 0x0
	s_barrier_signal -1
	s_barrier_wait -1
	v_cmpx_gt_u32_e32 2, v0
	s_cbranch_execz .LBB88_19
; %bb.16:
	scratch_load_b64 v[54:55], v3, off
	ds_load_b64 v[56:57], v1
	s_wait_loadcnt_dscnt 0x0
	v_fma_f64 v[54:55], v[54:55], v[56:57], 0
	s_and_saveexec_b32 s4, s0
	s_cbranch_execz .LBB88_18
; %bb.17:
	scratch_load_b64 v[56:57], off, off offset:8
	v_mov_b32_e32 v3, 0
	ds_load_b64 v[58:59], v3 offset:216
	s_wait_loadcnt_dscnt 0x0
	v_fmac_f64_e32 v[54:55], v[56:57], v[58:59]
.LBB88_18:
	s_or_b32 exec_lo, exec_lo, s4
	v_mov_b32_e32 v3, 0
	ds_load_b64 v[56:57], v3 offset:16
	s_wait_dscnt 0x0
	v_mul_f64_e32 v[54:55], v[54:55], v[56:57]
	scratch_store_b64 off, v[54:55], off offset:16
.LBB88_19:
	s_wait_xcnt 0x0
	s_or_b32 exec_lo, exec_lo, s1
	s_wait_storecnt 0x0
	s_barrier_signal -1
	s_barrier_wait -1
	scratch_load_b64 v[54:55], off, off offset:24
	v_add_nc_u32_e32 v3, -1, v0
	s_mov_b32 s0, exec_lo
	s_wait_loadcnt 0x0
	ds_store_b64 v1, v[54:55]
	s_wait_dscnt 0x0
	s_barrier_signal -1
	s_barrier_wait -1
	v_cmpx_gt_u32_e32 3, v0
	s_cbranch_execz .LBB88_23
; %bb.20:
	v_mov_b64_e32 v[54:55], 0
	v_dual_add_nc_u32 v9, -1, v0 :: v_dual_mov_b32 v13, v2
	v_add_nc_u32_e32 v11, 0xd0, v2
	s_mov_b32 s1, 0
.LBB88_21:                              ; =>This Inner Loop Header: Depth=1
	scratch_load_b64 v[56:57], v13, off
	ds_load_b64 v[58:59], v11
	v_dual_add_nc_u32 v9, 1, v9 :: v_dual_add_nc_u32 v11, 8, v11
	s_wait_xcnt 0x0
	v_add_nc_u32_e32 v13, 8, v13
	s_delay_alu instid0(VALU_DEP_2)
	v_cmp_lt_u32_e32 vcc_lo, 1, v9
	s_or_b32 s1, vcc_lo, s1
	s_wait_loadcnt_dscnt 0x0
	v_fmac_f64_e32 v[54:55], v[56:57], v[58:59]
	s_and_not1_b32 exec_lo, exec_lo, s1
	s_cbranch_execnz .LBB88_21
; %bb.22:
	s_or_b32 exec_lo, exec_lo, s1
	v_mov_b32_e32 v9, 0
	ds_load_b64 v[56:57], v9 offset:24
	s_wait_dscnt 0x0
	v_mul_f64_e32 v[54:55], v[54:55], v[56:57]
	scratch_store_b64 off, v[54:55], off offset:24
.LBB88_23:
	s_wait_xcnt 0x0
	s_or_b32 exec_lo, exec_lo, s0
	s_wait_storecnt 0x0
	s_barrier_signal -1
	s_barrier_wait -1
	scratch_load_b64 v[54:55], off, off offset:32
	s_mov_b32 s0, exec_lo
	s_wait_loadcnt 0x0
	ds_store_b64 v1, v[54:55]
	s_wait_dscnt 0x0
	s_barrier_signal -1
	s_barrier_wait -1
	v_cmpx_gt_u32_e32 4, v0
	s_cbranch_execz .LBB88_27
; %bb.24:
	v_mov_b64_e32 v[54:55], 0
	v_dual_add_nc_u32 v9, -1, v0 :: v_dual_mov_b32 v13, v2
	v_add_nc_u32_e32 v11, 0xd0, v2
	s_mov_b32 s1, 0
.LBB88_25:                              ; =>This Inner Loop Header: Depth=1
	scratch_load_b64 v[56:57], v13, off
	ds_load_b64 v[58:59], v11
	v_dual_add_nc_u32 v9, 1, v9 :: v_dual_add_nc_u32 v11, 8, v11
	s_wait_xcnt 0x0
	v_add_nc_u32_e32 v13, 8, v13
	s_delay_alu instid0(VALU_DEP_2)
	v_cmp_lt_u32_e32 vcc_lo, 2, v9
	s_or_b32 s1, vcc_lo, s1
	s_wait_loadcnt_dscnt 0x0
	v_fmac_f64_e32 v[54:55], v[56:57], v[58:59]
	s_and_not1_b32 exec_lo, exec_lo, s1
	s_cbranch_execnz .LBB88_25
; %bb.26:
	s_or_b32 exec_lo, exec_lo, s1
	v_mov_b32_e32 v9, 0
	ds_load_b64 v[56:57], v9 offset:32
	s_wait_dscnt 0x0
	v_mul_f64_e32 v[54:55], v[54:55], v[56:57]
	scratch_store_b64 off, v[54:55], off offset:32
.LBB88_27:
	s_wait_xcnt 0x0
	s_or_b32 exec_lo, exec_lo, s0
	s_wait_storecnt 0x0
	s_barrier_signal -1
	s_barrier_wait -1
	scratch_load_b64 v[54:55], off, off offset:40
	;; [unrolled: 40-line block ×20, first 2 shown]
	s_mov_b32 s0, exec_lo
	s_wait_loadcnt 0x0
	ds_store_b64 v1, v[54:55]
	s_wait_dscnt 0x0
	s_barrier_signal -1
	s_barrier_wait -1
	v_cmpx_gt_u32_e32 23, v0
	s_cbranch_execz .LBB88_103
; %bb.100:
	v_mov_b64_e32 v[54:55], 0
	v_dual_add_nc_u32 v9, -1, v0 :: v_dual_mov_b32 v13, v2
	v_add_nc_u32_e32 v11, 0xd0, v2
	s_mov_b32 s1, 0
.LBB88_101:                             ; =>This Inner Loop Header: Depth=1
	scratch_load_b64 v[56:57], v13, off
	ds_load_b64 v[58:59], v11
	v_dual_add_nc_u32 v9, 1, v9 :: v_dual_add_nc_u32 v11, 8, v11
	s_wait_xcnt 0x0
	v_add_nc_u32_e32 v13, 8, v13
	s_delay_alu instid0(VALU_DEP_2)
	v_cmp_lt_u32_e32 vcc_lo, 21, v9
	s_or_b32 s1, vcc_lo, s1
	s_wait_loadcnt_dscnt 0x0
	v_fmac_f64_e32 v[54:55], v[56:57], v[58:59]
	s_and_not1_b32 exec_lo, exec_lo, s1
	s_cbranch_execnz .LBB88_101
; %bb.102:
	s_or_b32 exec_lo, exec_lo, s1
	v_mov_b32_e32 v9, 0
	ds_load_b64 v[56:57], v9 offset:184
	s_wait_dscnt 0x0
	v_mul_f64_e32 v[54:55], v[54:55], v[56:57]
	scratch_store_b64 off, v[54:55], off offset:184
.LBB88_103:
	s_wait_xcnt 0x0
	s_or_b32 exec_lo, exec_lo, s0
	s_wait_storecnt 0x0
	s_barrier_signal -1
	s_barrier_wait -1
	scratch_load_b64 v[54:55], off, off offset:192
	s_mov_b32 s0, exec_lo
	s_wait_loadcnt 0x0
	ds_store_b64 v1, v[54:55]
	s_wait_dscnt 0x0
	s_barrier_signal -1
	s_barrier_wait -1
	v_cmpx_ne_u32_e32 24, v0
	s_cbranch_execz .LBB88_107
; %bb.104:
	v_mov_b64_e32 v[54:55], 0
	s_mov_b32 s1, 0
.LBB88_105:                             ; =>This Inner Loop Header: Depth=1
	scratch_load_b64 v[56:57], v2, off
	ds_load_b64 v[58:59], v1
	v_dual_add_nc_u32 v3, 1, v3 :: v_dual_add_nc_u32 v1, 8, v1
	s_wait_xcnt 0x0
	v_add_nc_u32_e32 v2, 8, v2
	s_delay_alu instid0(VALU_DEP_2)
	v_cmp_lt_u32_e32 vcc_lo, 22, v3
	s_or_b32 s1, vcc_lo, s1
	s_wait_loadcnt_dscnt 0x0
	v_fmac_f64_e32 v[54:55], v[56:57], v[58:59]
	s_and_not1_b32 exec_lo, exec_lo, s1
	s_cbranch_execnz .LBB88_105
; %bb.106:
	s_or_b32 exec_lo, exec_lo, s1
	v_mov_b32_e32 v1, 0
	ds_load_b64 v[2:3], v1 offset:192
	s_wait_dscnt 0x0
	v_mul_f64_e32 v[2:3], v[54:55], v[2:3]
	scratch_store_b64 off, v[2:3], off offset:192
.LBB88_107:
	s_wait_xcnt 0x0
	s_or_b32 exec_lo, exec_lo, s0
	s_mov_b32 s1, -1
	s_wait_storecnt 0x0
	s_barrier_signal -1
	s_barrier_wait -1
.LBB88_108:
	s_and_b32 vcc_lo, exec_lo, s1
	s_cbranch_vccz .LBB88_110
; %bb.109:
	v_mov_b32_e32 v1, 0
	s_lshl_b64 s[0:1], s[10:11], 2
	s_delay_alu instid0(SALU_CYCLE_1)
	s_add_nc_u64 s[0:1], s[6:7], s[0:1]
	global_load_b32 v1, v1, s[0:1]
	s_wait_loadcnt 0x0
	v_cmp_ne_u32_e32 vcc_lo, 0, v1
	s_cbranch_vccz .LBB88_111
.LBB88_110:
	s_sendmsg sendmsg(MSG_DEALLOC_VGPRS)
	s_endpgm
.LBB88_111:
	s_wait_xcnt 0x0
	v_lshl_add_u32 v1, v0, 3, 0xd0
	s_mov_b32 s0, exec_lo
	v_cmpx_eq_u32_e32 24, v0
	s_cbranch_execz .LBB88_113
; %bb.112:
	scratch_load_b64 v[2:3], off, off offset:184
	v_mov_b64_e32 v[54:55], 0
	scratch_store_b64 off, v[54:55], off offset:184
	s_wait_loadcnt 0x0
	ds_store_b64 v1, v[2:3]
.LBB88_113:
	s_wait_xcnt 0x0
	s_or_b32 exec_lo, exec_lo, s0
	s_wait_storecnt_dscnt 0x0
	s_barrier_signal -1
	s_barrier_wait -1
	scratch_load_b128 v[54:57], off, off offset:184
	v_mov_b32_e32 v2, 0
	s_mov_b32 s0, exec_lo
	ds_load_b64 v[58:59], v2 offset:400
	s_wait_loadcnt_dscnt 0x0
	v_fma_f64 v[56:57], v[56:57], v[58:59], 0
	s_delay_alu instid0(VALU_DEP_1)
	v_add_f64_e64 v[54:55], v[54:55], -v[56:57]
	scratch_store_b64 off, v[54:55], off offset:184
	s_wait_xcnt 0x0
	v_cmpx_lt_u32_e32 22, v0
	s_cbranch_execz .LBB88_115
; %bb.114:
	scratch_load_b64 v[54:55], off, off offset:176
	v_mov_b64_e32 v[56:57], 0
	scratch_store_b64 off, v[56:57], off offset:176
	s_wait_loadcnt 0x0
	ds_store_b64 v1, v[54:55]
.LBB88_115:
	s_wait_xcnt 0x0
	s_or_b32 exec_lo, exec_lo, s0
	s_wait_storecnt_dscnt 0x0
	s_barrier_signal -1
	s_barrier_wait -1
	s_clause 0x1
	scratch_load_b128 v[54:57], off, off offset:176
	scratch_load_b64 v[62:63], off, off offset:192
	ds_load_2addr_b64 v[58:61], v2 offset0:49 offset1:50
	s_mov_b32 s0, exec_lo
	s_wait_loadcnt_dscnt 0x100
	v_fma_f64 v[2:3], v[56:57], v[58:59], 0
	s_wait_loadcnt 0x0
	s_delay_alu instid0(VALU_DEP_1) | instskip(NEXT) | instid1(VALU_DEP_1)
	v_fmac_f64_e32 v[2:3], v[62:63], v[60:61]
	v_add_f64_e64 v[2:3], v[54:55], -v[2:3]
	scratch_store_b64 off, v[2:3], off offset:176
	s_wait_xcnt 0x0
	v_cmpx_lt_u32_e32 21, v0
	s_cbranch_execz .LBB88_117
; %bb.116:
	scratch_load_b64 v[2:3], off, off offset:168
	v_mov_b64_e32 v[54:55], 0
	scratch_store_b64 off, v[54:55], off offset:168
	s_wait_loadcnt 0x0
	ds_store_b64 v1, v[2:3]
.LBB88_117:
	s_wait_xcnt 0x0
	s_or_b32 exec_lo, exec_lo, s0
	s_wait_storecnt_dscnt 0x0
	s_barrier_signal -1
	s_barrier_wait -1
	s_clause 0x1
	scratch_load_b128 v[54:57], off, off offset:168
	scratch_load_b128 v[58:61], off, off offset:184
	v_mov_b32_e32 v2, 0
	ds_load_b128 v[62:65], v2 offset:384
	ds_load_b64 v[66:67], v2 offset:400
	s_mov_b32 s0, exec_lo
	s_wait_loadcnt_dscnt 0x101
	v_fma_f64 v[56:57], v[56:57], v[62:63], 0
	s_wait_loadcnt 0x0
	s_delay_alu instid0(VALU_DEP_1) | instskip(SKIP_1) | instid1(VALU_DEP_1)
	v_fmac_f64_e32 v[56:57], v[58:59], v[64:65]
	s_wait_dscnt 0x0
	v_fmac_f64_e32 v[56:57], v[60:61], v[66:67]
	s_delay_alu instid0(VALU_DEP_1)
	v_add_f64_e64 v[54:55], v[54:55], -v[56:57]
	scratch_store_b64 off, v[54:55], off offset:168
	s_wait_xcnt 0x0
	v_cmpx_lt_u32_e32 20, v0
	s_cbranch_execz .LBB88_119
; %bb.118:
	scratch_load_b64 v[54:55], off, off offset:160
	v_mov_b64_e32 v[56:57], 0
	scratch_store_b64 off, v[56:57], off offset:160
	s_wait_loadcnt 0x0
	ds_store_b64 v1, v[54:55]
.LBB88_119:
	s_wait_xcnt 0x0
	s_or_b32 exec_lo, exec_lo, s0
	s_wait_storecnt_dscnt 0x0
	s_barrier_signal -1
	s_barrier_wait -1
	s_clause 0x2
	scratch_load_b128 v[54:57], off, off offset:160
	scratch_load_b128 v[58:61], off, off offset:176
	scratch_load_b64 v[70:71], off, off offset:192
	ds_load_2addr_b64 v[62:65], v2 offset0:47 offset1:48
	ds_load_2addr_b64 v[66:69], v2 offset0:49 offset1:50
	s_mov_b32 s0, exec_lo
	s_wait_loadcnt_dscnt 0x201
	v_fma_f64 v[2:3], v[56:57], v[62:63], 0
	s_wait_loadcnt 0x1
	s_delay_alu instid0(VALU_DEP_1) | instskip(SKIP_1) | instid1(VALU_DEP_1)
	v_fmac_f64_e32 v[2:3], v[58:59], v[64:65]
	s_wait_dscnt 0x0
	v_fmac_f64_e32 v[2:3], v[60:61], v[66:67]
	s_wait_loadcnt 0x0
	s_delay_alu instid0(VALU_DEP_1) | instskip(NEXT) | instid1(VALU_DEP_1)
	v_fmac_f64_e32 v[2:3], v[70:71], v[68:69]
	v_add_f64_e64 v[2:3], v[54:55], -v[2:3]
	scratch_store_b64 off, v[2:3], off offset:160
	s_wait_xcnt 0x0
	v_cmpx_lt_u32_e32 19, v0
	s_cbranch_execz .LBB88_121
; %bb.120:
	scratch_load_b64 v[2:3], off, off offset:152
	v_mov_b64_e32 v[54:55], 0
	scratch_store_b64 off, v[54:55], off offset:152
	s_wait_loadcnt 0x0
	ds_store_b64 v1, v[2:3]
.LBB88_121:
	s_wait_xcnt 0x0
	s_or_b32 exec_lo, exec_lo, s0
	s_wait_storecnt_dscnt 0x0
	s_barrier_signal -1
	s_barrier_wait -1
	s_clause 0x2
	scratch_load_b128 v[54:57], off, off offset:152
	scratch_load_b128 v[58:61], off, off offset:168
	;; [unrolled: 1-line block ×3, first 2 shown]
	v_mov_b32_e32 v2, 0
	ds_load_b128 v[66:69], v2 offset:368
	ds_load_b128 v[70:73], v2 offset:384
	s_mov_b32 s0, exec_lo
	s_wait_loadcnt_dscnt 0x201
	v_fma_f64 v[56:57], v[56:57], v[66:67], 0
	s_wait_loadcnt 0x1
	s_delay_alu instid0(VALU_DEP_1) | instskip(SKIP_4) | instid1(VALU_DEP_1)
	v_fmac_f64_e32 v[56:57], v[58:59], v[68:69]
	ds_load_b64 v[58:59], v2 offset:400
	s_wait_dscnt 0x1
	v_fmac_f64_e32 v[56:57], v[60:61], v[70:71]
	s_wait_loadcnt 0x0
	v_fmac_f64_e32 v[56:57], v[62:63], v[72:73]
	s_wait_dscnt 0x0
	s_delay_alu instid0(VALU_DEP_1) | instskip(NEXT) | instid1(VALU_DEP_1)
	v_fmac_f64_e32 v[56:57], v[64:65], v[58:59]
	v_add_f64_e64 v[54:55], v[54:55], -v[56:57]
	scratch_store_b64 off, v[54:55], off offset:152
	s_wait_xcnt 0x0
	v_cmpx_lt_u32_e32 18, v0
	s_cbranch_execz .LBB88_123
; %bb.122:
	scratch_load_b64 v[54:55], off, off offset:144
	v_mov_b64_e32 v[56:57], 0
	scratch_store_b64 off, v[56:57], off offset:144
	s_wait_loadcnt 0x0
	ds_store_b64 v1, v[54:55]
.LBB88_123:
	s_wait_xcnt 0x0
	s_or_b32 exec_lo, exec_lo, s0
	s_wait_storecnt_dscnt 0x0
	s_barrier_signal -1
	s_barrier_wait -1
	s_clause 0x3
	scratch_load_b128 v[54:57], off, off offset:144
	scratch_load_b128 v[58:61], off, off offset:160
	;; [unrolled: 1-line block ×3, first 2 shown]
	scratch_load_b64 v[74:75], off, off offset:192
	ds_load_2addr_b64 v[66:69], v2 offset0:45 offset1:46
	ds_load_2addr_b64 v[70:73], v2 offset0:47 offset1:48
	s_mov_b32 s0, exec_lo
	s_wait_loadcnt_dscnt 0x301
	v_fma_f64 v[66:67], v[56:57], v[66:67], 0
	s_wait_loadcnt 0x2
	s_delay_alu instid0(VALU_DEP_1) | instskip(SKIP_4) | instid1(VALU_DEP_1)
	v_fmac_f64_e32 v[66:67], v[58:59], v[68:69]
	ds_load_2addr_b64 v[56:59], v2 offset0:49 offset1:50
	s_wait_dscnt 0x1
	v_fmac_f64_e32 v[66:67], v[60:61], v[70:71]
	s_wait_loadcnt 0x1
	v_fmac_f64_e32 v[66:67], v[62:63], v[72:73]
	s_wait_dscnt 0x0
	s_delay_alu instid0(VALU_DEP_1) | instskip(SKIP_1) | instid1(VALU_DEP_1)
	v_fmac_f64_e32 v[66:67], v[64:65], v[56:57]
	s_wait_loadcnt 0x0
	v_fmac_f64_e32 v[66:67], v[74:75], v[58:59]
	s_delay_alu instid0(VALU_DEP_1)
	v_add_f64_e64 v[2:3], v[54:55], -v[66:67]
	scratch_store_b64 off, v[2:3], off offset:144
	s_wait_xcnt 0x0
	v_cmpx_lt_u32_e32 17, v0
	s_cbranch_execz .LBB88_125
; %bb.124:
	scratch_load_b64 v[2:3], off, off offset:136
	v_mov_b64_e32 v[54:55], 0
	scratch_store_b64 off, v[54:55], off offset:136
	s_wait_loadcnt 0x0
	ds_store_b64 v1, v[2:3]
.LBB88_125:
	s_wait_xcnt 0x0
	s_or_b32 exec_lo, exec_lo, s0
	s_wait_storecnt_dscnt 0x0
	s_barrier_signal -1
	s_barrier_wait -1
	s_clause 0x3
	scratch_load_b128 v[54:57], off, off offset:136
	scratch_load_b128 v[58:61], off, off offset:152
	;; [unrolled: 1-line block ×4, first 2 shown]
	v_mov_b32_e32 v2, 0
	ds_load_b128 v[70:73], v2 offset:352
	ds_load_b128 v[74:77], v2 offset:368
	s_mov_b32 s0, exec_lo
	s_wait_loadcnt_dscnt 0x301
	v_fma_f64 v[70:71], v[56:57], v[70:71], 0
	s_wait_loadcnt 0x2
	s_delay_alu instid0(VALU_DEP_1) | instskip(SKIP_1) | instid1(VALU_DEP_1)
	v_fmac_f64_e32 v[70:71], v[58:59], v[72:73]
	s_wait_dscnt 0x0
	v_fmac_f64_e32 v[70:71], v[60:61], v[74:75]
	ds_load_b128 v[56:59], v2 offset:384
	ds_load_b64 v[60:61], v2 offset:400
	s_wait_loadcnt 0x1
	v_fmac_f64_e32 v[70:71], v[62:63], v[76:77]
	s_wait_dscnt 0x1
	s_delay_alu instid0(VALU_DEP_1) | instskip(SKIP_1) | instid1(VALU_DEP_1)
	v_fmac_f64_e32 v[70:71], v[64:65], v[56:57]
	s_wait_loadcnt 0x0
	v_fmac_f64_e32 v[70:71], v[66:67], v[58:59]
	s_wait_dscnt 0x0
	s_delay_alu instid0(VALU_DEP_1) | instskip(NEXT) | instid1(VALU_DEP_1)
	v_fmac_f64_e32 v[70:71], v[68:69], v[60:61]
	v_add_f64_e64 v[54:55], v[54:55], -v[70:71]
	scratch_store_b64 off, v[54:55], off offset:136
	s_wait_xcnt 0x0
	v_cmpx_lt_u32_e32 16, v0
	s_cbranch_execz .LBB88_127
; %bb.126:
	scratch_load_b64 v[54:55], off, off offset:128
	v_mov_b64_e32 v[56:57], 0
	scratch_store_b64 off, v[56:57], off offset:128
	s_wait_loadcnt 0x0
	ds_store_b64 v1, v[54:55]
.LBB88_127:
	s_wait_xcnt 0x0
	s_or_b32 exec_lo, exec_lo, s0
	s_wait_storecnt_dscnt 0x0
	s_barrier_signal -1
	s_barrier_wait -1
	s_clause 0x4
	scratch_load_b128 v[54:57], off, off offset:128
	scratch_load_b128 v[58:61], off, off offset:144
	;; [unrolled: 1-line block ×4, first 2 shown]
	scratch_load_b64 v[78:79], off, off offset:192
	ds_load_2addr_b64 v[70:73], v2 offset0:43 offset1:44
	ds_load_2addr_b64 v[74:77], v2 offset0:45 offset1:46
	s_mov_b32 s0, exec_lo
	s_wait_loadcnt_dscnt 0x401
	v_fma_f64 v[70:71], v[56:57], v[70:71], 0
	s_wait_loadcnt 0x3
	s_delay_alu instid0(VALU_DEP_1) | instskip(SKIP_1) | instid1(VALU_DEP_1)
	v_fmac_f64_e32 v[70:71], v[58:59], v[72:73]
	s_wait_dscnt 0x0
	v_fmac_f64_e32 v[70:71], v[60:61], v[74:75]
	s_wait_loadcnt 0x2
	s_delay_alu instid0(VALU_DEP_1)
	v_fmac_f64_e32 v[70:71], v[62:63], v[76:77]
	ds_load_2addr_b64 v[56:59], v2 offset0:47 offset1:48
	ds_load_2addr_b64 v[60:63], v2 offset0:49 offset1:50
	s_wait_dscnt 0x1
	v_fmac_f64_e32 v[70:71], v[64:65], v[56:57]
	s_wait_loadcnt 0x1
	s_delay_alu instid0(VALU_DEP_1) | instskip(SKIP_1) | instid1(VALU_DEP_1)
	v_fmac_f64_e32 v[70:71], v[66:67], v[58:59]
	s_wait_dscnt 0x0
	v_fmac_f64_e32 v[70:71], v[68:69], v[60:61]
	s_wait_loadcnt 0x0
	s_delay_alu instid0(VALU_DEP_1) | instskip(NEXT) | instid1(VALU_DEP_1)
	v_fmac_f64_e32 v[70:71], v[78:79], v[62:63]
	v_add_f64_e64 v[2:3], v[54:55], -v[70:71]
	scratch_store_b64 off, v[2:3], off offset:128
	s_wait_xcnt 0x0
	v_cmpx_lt_u32_e32 15, v0
	s_cbranch_execz .LBB88_129
; %bb.128:
	scratch_load_b64 v[2:3], off, off offset:120
	v_mov_b64_e32 v[54:55], 0
	scratch_store_b64 off, v[54:55], off offset:120
	s_wait_loadcnt 0x0
	ds_store_b64 v1, v[2:3]
.LBB88_129:
	s_wait_xcnt 0x0
	s_or_b32 exec_lo, exec_lo, s0
	s_wait_storecnt_dscnt 0x0
	s_barrier_signal -1
	s_barrier_wait -1
	s_clause 0x4
	scratch_load_b128 v[54:57], off, off offset:120
	scratch_load_b128 v[58:61], off, off offset:136
	;; [unrolled: 1-line block ×5, first 2 shown]
	v_mov_b32_e32 v2, 0
	ds_load_b128 v[74:77], v2 offset:336
	ds_load_b128 v[78:81], v2 offset:352
	s_mov_b32 s0, exec_lo
	s_wait_loadcnt_dscnt 0x401
	v_fma_f64 v[74:75], v[56:57], v[74:75], 0
	s_wait_loadcnt 0x3
	s_delay_alu instid0(VALU_DEP_1) | instskip(SKIP_1) | instid1(VALU_DEP_1)
	v_fmac_f64_e32 v[74:75], v[58:59], v[76:77]
	s_wait_dscnt 0x0
	v_fmac_f64_e32 v[74:75], v[60:61], v[78:79]
	s_wait_loadcnt 0x2
	s_delay_alu instid0(VALU_DEP_1)
	v_fmac_f64_e32 v[74:75], v[62:63], v[80:81]
	ds_load_b128 v[56:59], v2 offset:368
	ds_load_b128 v[60:63], v2 offset:384
	s_wait_dscnt 0x1
	v_fmac_f64_e32 v[74:75], v[64:65], v[56:57]
	ds_load_b64 v[56:57], v2 offset:400
	s_wait_loadcnt 0x1
	v_fmac_f64_e32 v[74:75], v[66:67], v[58:59]
	s_wait_dscnt 0x1
	s_delay_alu instid0(VALU_DEP_1) | instskip(SKIP_1) | instid1(VALU_DEP_1)
	v_fmac_f64_e32 v[74:75], v[68:69], v[60:61]
	s_wait_loadcnt 0x0
	v_fmac_f64_e32 v[74:75], v[70:71], v[62:63]
	s_wait_dscnt 0x0
	s_delay_alu instid0(VALU_DEP_1) | instskip(NEXT) | instid1(VALU_DEP_1)
	v_fmac_f64_e32 v[74:75], v[72:73], v[56:57]
	v_add_f64_e64 v[54:55], v[54:55], -v[74:75]
	scratch_store_b64 off, v[54:55], off offset:120
	s_wait_xcnt 0x0
	v_cmpx_lt_u32_e32 14, v0
	s_cbranch_execz .LBB88_131
; %bb.130:
	scratch_load_b64 v[54:55], off, off offset:112
	v_mov_b64_e32 v[56:57], 0
	scratch_store_b64 off, v[56:57], off offset:112
	s_wait_loadcnt 0x0
	ds_store_b64 v1, v[54:55]
.LBB88_131:
	s_wait_xcnt 0x0
	s_or_b32 exec_lo, exec_lo, s0
	s_wait_storecnt_dscnt 0x0
	s_barrier_signal -1
	s_barrier_wait -1
	s_clause 0x5
	scratch_load_b128 v[54:57], off, off offset:112
	scratch_load_b128 v[58:61], off, off offset:128
	;; [unrolled: 1-line block ×5, first 2 shown]
	scratch_load_b64 v[82:83], off, off offset:192
	ds_load_2addr_b64 v[74:77], v2 offset0:41 offset1:42
	ds_load_2addr_b64 v[78:81], v2 offset0:43 offset1:44
	s_mov_b32 s0, exec_lo
	s_wait_loadcnt_dscnt 0x501
	v_fma_f64 v[74:75], v[56:57], v[74:75], 0
	s_wait_loadcnt 0x4
	s_delay_alu instid0(VALU_DEP_1) | instskip(SKIP_1) | instid1(VALU_DEP_1)
	v_fmac_f64_e32 v[74:75], v[58:59], v[76:77]
	s_wait_dscnt 0x0
	v_fmac_f64_e32 v[74:75], v[60:61], v[78:79]
	s_wait_loadcnt 0x3
	s_delay_alu instid0(VALU_DEP_1)
	v_fmac_f64_e32 v[74:75], v[62:63], v[80:81]
	ds_load_2addr_b64 v[56:59], v2 offset0:45 offset1:46
	ds_load_2addr_b64 v[60:63], v2 offset0:47 offset1:48
	s_wait_dscnt 0x1
	v_fmac_f64_e32 v[74:75], v[64:65], v[56:57]
	s_wait_loadcnt 0x2
	s_delay_alu instid0(VALU_DEP_1) | instskip(SKIP_4) | instid1(VALU_DEP_1)
	v_fmac_f64_e32 v[74:75], v[66:67], v[58:59]
	ds_load_2addr_b64 v[56:59], v2 offset0:49 offset1:50
	s_wait_dscnt 0x1
	v_fmac_f64_e32 v[74:75], v[68:69], v[60:61]
	s_wait_loadcnt 0x1
	v_fmac_f64_e32 v[74:75], v[70:71], v[62:63]
	s_wait_dscnt 0x0
	s_delay_alu instid0(VALU_DEP_1) | instskip(SKIP_1) | instid1(VALU_DEP_1)
	v_fmac_f64_e32 v[74:75], v[72:73], v[56:57]
	s_wait_loadcnt 0x0
	v_fmac_f64_e32 v[74:75], v[82:83], v[58:59]
	s_delay_alu instid0(VALU_DEP_1)
	v_add_f64_e64 v[2:3], v[54:55], -v[74:75]
	scratch_store_b64 off, v[2:3], off offset:112
	s_wait_xcnt 0x0
	v_cmpx_lt_u32_e32 13, v0
	s_cbranch_execz .LBB88_133
; %bb.132:
	scratch_load_b64 v[2:3], off, off offset:104
	v_mov_b64_e32 v[54:55], 0
	scratch_store_b64 off, v[54:55], off offset:104
	s_wait_loadcnt 0x0
	ds_store_b64 v1, v[2:3]
.LBB88_133:
	s_wait_xcnt 0x0
	s_or_b32 exec_lo, exec_lo, s0
	s_wait_storecnt_dscnt 0x0
	s_barrier_signal -1
	s_barrier_wait -1
	s_clause 0x5
	scratch_load_b128 v[54:57], off, off offset:104
	scratch_load_b128 v[58:61], off, off offset:120
	;; [unrolled: 1-line block ×6, first 2 shown]
	v_mov_b32_e32 v2, 0
	ds_load_b128 v[78:81], v2 offset:320
	ds_load_b128 v[82:85], v2 offset:336
	s_mov_b32 s0, exec_lo
	s_wait_loadcnt_dscnt 0x501
	v_fma_f64 v[78:79], v[56:57], v[78:79], 0
	s_wait_loadcnt 0x4
	s_delay_alu instid0(VALU_DEP_1) | instskip(SKIP_1) | instid1(VALU_DEP_1)
	v_fmac_f64_e32 v[78:79], v[58:59], v[80:81]
	s_wait_dscnt 0x0
	v_fmac_f64_e32 v[78:79], v[60:61], v[82:83]
	s_wait_loadcnt 0x3
	s_delay_alu instid0(VALU_DEP_1)
	v_fmac_f64_e32 v[78:79], v[62:63], v[84:85]
	ds_load_b128 v[56:59], v2 offset:352
	ds_load_b128 v[60:63], v2 offset:368
	s_wait_dscnt 0x1
	v_fmac_f64_e32 v[78:79], v[64:65], v[56:57]
	s_wait_loadcnt 0x2
	s_delay_alu instid0(VALU_DEP_1) | instskip(SKIP_1) | instid1(VALU_DEP_1)
	v_fmac_f64_e32 v[78:79], v[66:67], v[58:59]
	s_wait_dscnt 0x0
	v_fmac_f64_e32 v[78:79], v[68:69], v[60:61]
	ds_load_b128 v[56:59], v2 offset:384
	ds_load_b64 v[60:61], v2 offset:400
	s_wait_loadcnt 0x1
	v_fmac_f64_e32 v[78:79], v[70:71], v[62:63]
	s_wait_dscnt 0x1
	s_delay_alu instid0(VALU_DEP_1) | instskip(SKIP_1) | instid1(VALU_DEP_1)
	v_fmac_f64_e32 v[78:79], v[72:73], v[56:57]
	s_wait_loadcnt 0x0
	v_fmac_f64_e32 v[78:79], v[74:75], v[58:59]
	s_wait_dscnt 0x0
	s_delay_alu instid0(VALU_DEP_1) | instskip(NEXT) | instid1(VALU_DEP_1)
	v_fmac_f64_e32 v[78:79], v[76:77], v[60:61]
	v_add_f64_e64 v[54:55], v[54:55], -v[78:79]
	scratch_store_b64 off, v[54:55], off offset:104
	s_wait_xcnt 0x0
	v_cmpx_lt_u32_e32 12, v0
	s_cbranch_execz .LBB88_135
; %bb.134:
	scratch_load_b64 v[54:55], off, off offset:96
	v_mov_b64_e32 v[56:57], 0
	scratch_store_b64 off, v[56:57], off offset:96
	s_wait_loadcnt 0x0
	ds_store_b64 v1, v[54:55]
.LBB88_135:
	s_wait_xcnt 0x0
	s_or_b32 exec_lo, exec_lo, s0
	s_wait_storecnt_dscnt 0x0
	s_barrier_signal -1
	s_barrier_wait -1
	s_clause 0x5
	scratch_load_b128 v[54:57], off, off offset:96
	scratch_load_b128 v[58:61], off, off offset:112
	;; [unrolled: 1-line block ×6, first 2 shown]
	ds_load_2addr_b64 v[78:81], v2 offset0:39 offset1:40
	ds_load_2addr_b64 v[82:85], v2 offset0:41 offset1:42
	s_mov_b32 s0, exec_lo
	s_wait_loadcnt_dscnt 0x501
	v_fma_f64 v[78:79], v[56:57], v[78:79], 0
	s_wait_loadcnt 0x4
	s_delay_alu instid0(VALU_DEP_1) | instskip(SKIP_4) | instid1(VALU_DEP_1)
	v_fmac_f64_e32 v[78:79], v[58:59], v[80:81]
	scratch_load_b64 v[80:81], off, off offset:192
	s_wait_dscnt 0x0
	v_fmac_f64_e32 v[78:79], v[60:61], v[82:83]
	s_wait_loadcnt 0x4
	v_fmac_f64_e32 v[78:79], v[62:63], v[84:85]
	ds_load_2addr_b64 v[56:59], v2 offset0:43 offset1:44
	ds_load_2addr_b64 v[60:63], v2 offset0:45 offset1:46
	s_wait_dscnt 0x1
	v_fmac_f64_e32 v[78:79], v[64:65], v[56:57]
	s_wait_loadcnt 0x3
	s_delay_alu instid0(VALU_DEP_1) | instskip(SKIP_1) | instid1(VALU_DEP_1)
	v_fmac_f64_e32 v[78:79], v[66:67], v[58:59]
	s_wait_dscnt 0x0
	v_fmac_f64_e32 v[78:79], v[68:69], v[60:61]
	s_wait_loadcnt 0x2
	s_delay_alu instid0(VALU_DEP_1)
	v_fmac_f64_e32 v[78:79], v[70:71], v[62:63]
	ds_load_2addr_b64 v[56:59], v2 offset0:47 offset1:48
	ds_load_2addr_b64 v[60:63], v2 offset0:49 offset1:50
	s_wait_dscnt 0x1
	v_fmac_f64_e32 v[78:79], v[72:73], v[56:57]
	s_wait_loadcnt 0x1
	s_delay_alu instid0(VALU_DEP_1) | instskip(SKIP_1) | instid1(VALU_DEP_1)
	v_fmac_f64_e32 v[78:79], v[74:75], v[58:59]
	s_wait_dscnt 0x0
	v_fmac_f64_e32 v[78:79], v[76:77], v[60:61]
	s_wait_loadcnt 0x0
	s_delay_alu instid0(VALU_DEP_1) | instskip(NEXT) | instid1(VALU_DEP_1)
	v_fmac_f64_e32 v[78:79], v[80:81], v[62:63]
	v_add_f64_e64 v[2:3], v[54:55], -v[78:79]
	scratch_store_b64 off, v[2:3], off offset:96
	s_wait_xcnt 0x0
	v_cmpx_lt_u32_e32 11, v0
	s_cbranch_execz .LBB88_137
; %bb.136:
	scratch_load_b64 v[2:3], off, off offset:88
	v_mov_b64_e32 v[54:55], 0
	scratch_store_b64 off, v[54:55], off offset:88
	s_wait_loadcnt 0x0
	ds_store_b64 v1, v[2:3]
.LBB88_137:
	s_wait_xcnt 0x0
	s_or_b32 exec_lo, exec_lo, s0
	s_wait_storecnt_dscnt 0x0
	s_barrier_signal -1
	s_barrier_wait -1
	s_clause 0x5
	scratch_load_b128 v[54:57], off, off offset:88
	scratch_load_b128 v[58:61], off, off offset:104
	;; [unrolled: 1-line block ×6, first 2 shown]
	v_mov_b32_e32 v2, 0
	ds_load_b128 v[78:81], v2 offset:304
	ds_load_b128 v[82:85], v2 offset:320
	s_mov_b32 s0, exec_lo
	s_wait_loadcnt_dscnt 0x501
	v_fma_f64 v[86:87], v[56:57], v[78:79], 0
	s_wait_loadcnt 0x4
	s_delay_alu instid0(VALU_DEP_1) | instskip(SKIP_4) | instid1(VALU_DEP_1)
	v_fmac_f64_e32 v[86:87], v[58:59], v[80:81]
	scratch_load_b128 v[56:59], off, off offset:184
	s_wait_dscnt 0x0
	v_fmac_f64_e32 v[86:87], v[60:61], v[82:83]
	s_wait_loadcnt 0x4
	v_fmac_f64_e32 v[86:87], v[62:63], v[84:85]
	ds_load_b128 v[60:63], v2 offset:336
	ds_load_b128 v[78:81], v2 offset:352
	s_wait_dscnt 0x1
	v_fmac_f64_e32 v[86:87], v[64:65], v[60:61]
	s_wait_loadcnt 0x3
	s_delay_alu instid0(VALU_DEP_1)
	v_fmac_f64_e32 v[86:87], v[66:67], v[62:63]
	ds_load_b128 v[60:63], v2 offset:368
	ds_load_b128 v[64:67], v2 offset:384
	s_wait_dscnt 0x2
	v_fmac_f64_e32 v[86:87], v[68:69], v[78:79]
	s_wait_loadcnt 0x2
	s_delay_alu instid0(VALU_DEP_1) | instskip(SKIP_1) | instid1(VALU_DEP_1)
	v_fmac_f64_e32 v[86:87], v[70:71], v[80:81]
	s_wait_dscnt 0x1
	v_fmac_f64_e32 v[86:87], v[72:73], v[60:61]
	s_wait_loadcnt 0x1
	s_delay_alu instid0(VALU_DEP_1) | instskip(SKIP_1) | instid1(VALU_DEP_1)
	v_fmac_f64_e32 v[86:87], v[74:75], v[62:63]
	s_wait_dscnt 0x0
	v_fmac_f64_e32 v[86:87], v[76:77], v[64:65]
	s_wait_loadcnt 0x0
	s_delay_alu instid0(VALU_DEP_1) | instskip(SKIP_3) | instid1(VALU_DEP_1)
	v_fmac_f64_e32 v[86:87], v[56:57], v[66:67]
	ds_load_b64 v[56:57], v2 offset:400
	s_wait_dscnt 0x0
	v_fmac_f64_e32 v[86:87], v[58:59], v[56:57]
	v_add_f64_e64 v[54:55], v[54:55], -v[86:87]
	scratch_store_b64 off, v[54:55], off offset:88
	s_wait_xcnt 0x0
	v_cmpx_lt_u32_e32 10, v0
	s_cbranch_execz .LBB88_139
; %bb.138:
	scratch_load_b64 v[54:55], off, off offset:80
	v_mov_b64_e32 v[56:57], 0
	scratch_store_b64 off, v[56:57], off offset:80
	s_wait_loadcnt 0x0
	ds_store_b64 v1, v[54:55]
.LBB88_139:
	s_wait_xcnt 0x0
	s_or_b32 exec_lo, exec_lo, s0
	s_wait_storecnt_dscnt 0x0
	s_barrier_signal -1
	s_barrier_wait -1
	s_clause 0x5
	scratch_load_b128 v[54:57], off, off offset:80
	scratch_load_b128 v[58:61], off, off offset:96
	;; [unrolled: 1-line block ×6, first 2 shown]
	ds_load_2addr_b64 v[78:81], v2 offset0:37 offset1:38
	ds_load_2addr_b64 v[82:85], v2 offset0:39 offset1:40
	s_mov_b32 s0, exec_lo
	s_wait_loadcnt_dscnt 0x501
	v_fma_f64 v[86:87], v[56:57], v[78:79], 0
	s_wait_loadcnt 0x4
	s_delay_alu instid0(VALU_DEP_1)
	v_fmac_f64_e32 v[86:87], v[58:59], v[80:81]
	scratch_load_b128 v[56:59], off, off offset:176
	s_wait_dscnt 0x0
	v_fmac_f64_e32 v[86:87], v[60:61], v[82:83]
	scratch_load_b64 v[82:83], off, off offset:192
	s_wait_loadcnt 0x5
	v_fmac_f64_e32 v[86:87], v[62:63], v[84:85]
	ds_load_2addr_b64 v[60:63], v2 offset0:41 offset1:42
	ds_load_2addr_b64 v[78:81], v2 offset0:43 offset1:44
	s_wait_dscnt 0x1
	v_fmac_f64_e32 v[86:87], v[64:65], v[60:61]
	s_wait_loadcnt 0x4
	s_delay_alu instid0(VALU_DEP_1)
	v_fmac_f64_e32 v[86:87], v[66:67], v[62:63]
	ds_load_2addr_b64 v[60:63], v2 offset0:45 offset1:46
	ds_load_2addr_b64 v[64:67], v2 offset0:47 offset1:48
	s_wait_dscnt 0x2
	v_fmac_f64_e32 v[86:87], v[68:69], v[78:79]
	s_wait_loadcnt 0x3
	s_delay_alu instid0(VALU_DEP_1) | instskip(SKIP_1) | instid1(VALU_DEP_1)
	v_fmac_f64_e32 v[86:87], v[70:71], v[80:81]
	s_wait_dscnt 0x1
	v_fmac_f64_e32 v[86:87], v[72:73], v[60:61]
	s_wait_loadcnt 0x2
	s_delay_alu instid0(VALU_DEP_1) | instskip(SKIP_4) | instid1(VALU_DEP_1)
	v_fmac_f64_e32 v[86:87], v[74:75], v[62:63]
	ds_load_2addr_b64 v[60:63], v2 offset0:49 offset1:50
	s_wait_dscnt 0x1
	v_fmac_f64_e32 v[86:87], v[76:77], v[64:65]
	s_wait_loadcnt 0x1
	v_fmac_f64_e32 v[86:87], v[56:57], v[66:67]
	s_wait_dscnt 0x0
	s_delay_alu instid0(VALU_DEP_1) | instskip(SKIP_1) | instid1(VALU_DEP_1)
	v_fmac_f64_e32 v[86:87], v[58:59], v[60:61]
	s_wait_loadcnt 0x0
	v_fmac_f64_e32 v[86:87], v[82:83], v[62:63]
	s_delay_alu instid0(VALU_DEP_1)
	v_add_f64_e64 v[2:3], v[54:55], -v[86:87]
	scratch_store_b64 off, v[2:3], off offset:80
	s_wait_xcnt 0x0
	v_cmpx_lt_u32_e32 9, v0
	s_cbranch_execz .LBB88_141
; %bb.140:
	scratch_load_b64 v[2:3], off, off offset:72
	v_mov_b64_e32 v[54:55], 0
	scratch_store_b64 off, v[54:55], off offset:72
	s_wait_loadcnt 0x0
	ds_store_b64 v1, v[2:3]
.LBB88_141:
	s_wait_xcnt 0x0
	s_or_b32 exec_lo, exec_lo, s0
	s_wait_storecnt_dscnt 0x0
	s_barrier_signal -1
	s_barrier_wait -1
	s_clause 0x5
	scratch_load_b128 v[54:57], off, off offset:72
	scratch_load_b128 v[58:61], off, off offset:88
	;; [unrolled: 1-line block ×6, first 2 shown]
	v_mov_b32_e32 v2, 0
	ds_load_b128 v[78:81], v2 offset:288
	ds_load_b128 v[82:85], v2 offset:304
	s_mov_b32 s0, exec_lo
	s_wait_loadcnt_dscnt 0x501
	v_fma_f64 v[86:87], v[56:57], v[78:79], 0
	s_wait_loadcnt 0x4
	s_delay_alu instid0(VALU_DEP_1) | instskip(SKIP_4) | instid1(VALU_DEP_1)
	v_fmac_f64_e32 v[86:87], v[58:59], v[80:81]
	scratch_load_b128 v[56:59], off, off offset:168
	s_wait_dscnt 0x0
	v_fmac_f64_e32 v[86:87], v[60:61], v[82:83]
	s_wait_loadcnt 0x4
	v_fmac_f64_e32 v[86:87], v[62:63], v[84:85]
	scratch_load_b128 v[60:63], off, off offset:184
	ds_load_b128 v[78:81], v2 offset:320
	ds_load_b128 v[82:85], v2 offset:336
	s_wait_dscnt 0x1
	v_fmac_f64_e32 v[86:87], v[64:65], v[78:79]
	s_wait_loadcnt 0x4
	s_delay_alu instid0(VALU_DEP_1) | instskip(SKIP_1) | instid1(VALU_DEP_1)
	v_fmac_f64_e32 v[86:87], v[66:67], v[80:81]
	s_wait_dscnt 0x0
	v_fmac_f64_e32 v[86:87], v[68:69], v[82:83]
	s_wait_loadcnt 0x3
	s_delay_alu instid0(VALU_DEP_1)
	v_fmac_f64_e32 v[86:87], v[70:71], v[84:85]
	ds_load_b128 v[64:67], v2 offset:352
	ds_load_b128 v[68:71], v2 offset:368
	s_wait_dscnt 0x1
	v_fmac_f64_e32 v[86:87], v[72:73], v[64:65]
	s_wait_loadcnt 0x2
	s_delay_alu instid0(VALU_DEP_1) | instskip(SKIP_1) | instid1(VALU_DEP_1)
	v_fmac_f64_e32 v[86:87], v[74:75], v[66:67]
	s_wait_dscnt 0x0
	v_fmac_f64_e32 v[86:87], v[76:77], v[68:69]
	s_wait_loadcnt 0x1
	s_delay_alu instid0(VALU_DEP_1)
	v_fmac_f64_e32 v[86:87], v[56:57], v[70:71]
	ds_load_b128 v[64:67], v2 offset:384
	ds_load_b64 v[56:57], v2 offset:400
	s_wait_dscnt 0x1
	v_fmac_f64_e32 v[86:87], v[58:59], v[64:65]
	s_wait_loadcnt 0x0
	s_delay_alu instid0(VALU_DEP_1) | instskip(SKIP_1) | instid1(VALU_DEP_1)
	v_fmac_f64_e32 v[86:87], v[60:61], v[66:67]
	s_wait_dscnt 0x0
	v_fmac_f64_e32 v[86:87], v[62:63], v[56:57]
	s_delay_alu instid0(VALU_DEP_1)
	v_add_f64_e64 v[54:55], v[54:55], -v[86:87]
	scratch_store_b64 off, v[54:55], off offset:72
	s_wait_xcnt 0x0
	v_cmpx_lt_u32_e32 8, v0
	s_cbranch_execz .LBB88_143
; %bb.142:
	scratch_load_b64 v[54:55], off, off offset:64
	v_mov_b64_e32 v[56:57], 0
	scratch_store_b64 off, v[56:57], off offset:64
	s_wait_loadcnt 0x0
	ds_store_b64 v1, v[54:55]
.LBB88_143:
	s_wait_xcnt 0x0
	s_or_b32 exec_lo, exec_lo, s0
	s_wait_storecnt_dscnt 0x0
	s_barrier_signal -1
	s_barrier_wait -1
	s_clause 0x5
	scratch_load_b128 v[54:57], off, off offset:64
	scratch_load_b128 v[58:61], off, off offset:80
	;; [unrolled: 1-line block ×6, first 2 shown]
	ds_load_2addr_b64 v[78:81], v2 offset0:35 offset1:36
	ds_load_2addr_b64 v[82:85], v2 offset0:37 offset1:38
	s_mov_b32 s0, exec_lo
	s_wait_loadcnt_dscnt 0x501
	v_fma_f64 v[86:87], v[56:57], v[78:79], 0
	s_wait_loadcnt 0x4
	s_delay_alu instid0(VALU_DEP_1) | instskip(SKIP_4) | instid1(VALU_DEP_1)
	v_fmac_f64_e32 v[86:87], v[58:59], v[80:81]
	scratch_load_b128 v[56:59], off, off offset:160
	s_wait_dscnt 0x0
	v_fmac_f64_e32 v[86:87], v[60:61], v[82:83]
	s_wait_loadcnt 0x4
	v_fmac_f64_e32 v[86:87], v[62:63], v[84:85]
	scratch_load_b128 v[60:63], off, off offset:176
	ds_load_2addr_b64 v[78:81], v2 offset0:39 offset1:40
	ds_load_2addr_b64 v[82:85], v2 offset0:41 offset1:42
	s_wait_dscnt 0x1
	v_fmac_f64_e32 v[86:87], v[64:65], v[78:79]
	scratch_load_b64 v[78:79], off, off offset:192
	s_wait_loadcnt 0x5
	v_fmac_f64_e32 v[86:87], v[66:67], v[80:81]
	s_wait_dscnt 0x0
	s_delay_alu instid0(VALU_DEP_1) | instskip(SKIP_1) | instid1(VALU_DEP_1)
	v_fmac_f64_e32 v[86:87], v[68:69], v[82:83]
	s_wait_loadcnt 0x4
	v_fmac_f64_e32 v[86:87], v[70:71], v[84:85]
	ds_load_2addr_b64 v[64:67], v2 offset0:43 offset1:44
	ds_load_2addr_b64 v[68:71], v2 offset0:45 offset1:46
	s_wait_dscnt 0x1
	v_fmac_f64_e32 v[86:87], v[72:73], v[64:65]
	s_wait_loadcnt 0x3
	s_delay_alu instid0(VALU_DEP_1) | instskip(SKIP_1) | instid1(VALU_DEP_1)
	v_fmac_f64_e32 v[86:87], v[74:75], v[66:67]
	s_wait_dscnt 0x0
	v_fmac_f64_e32 v[86:87], v[76:77], v[68:69]
	s_wait_loadcnt 0x2
	s_delay_alu instid0(VALU_DEP_1)
	v_fmac_f64_e32 v[86:87], v[56:57], v[70:71]
	ds_load_2addr_b64 v[64:67], v2 offset0:47 offset1:48
	ds_load_2addr_b64 v[68:71], v2 offset0:49 offset1:50
	s_wait_dscnt 0x1
	v_fmac_f64_e32 v[86:87], v[58:59], v[64:65]
	s_wait_loadcnt 0x1
	s_delay_alu instid0(VALU_DEP_1) | instskip(SKIP_1) | instid1(VALU_DEP_1)
	v_fmac_f64_e32 v[86:87], v[60:61], v[66:67]
	s_wait_dscnt 0x0
	v_fmac_f64_e32 v[86:87], v[62:63], v[68:69]
	s_wait_loadcnt 0x0
	s_delay_alu instid0(VALU_DEP_1) | instskip(NEXT) | instid1(VALU_DEP_1)
	v_fmac_f64_e32 v[86:87], v[78:79], v[70:71]
	v_add_f64_e64 v[2:3], v[54:55], -v[86:87]
	scratch_store_b64 off, v[2:3], off offset:64
	s_wait_xcnt 0x0
	v_cmpx_lt_u32_e32 7, v0
	s_cbranch_execz .LBB88_145
; %bb.144:
	scratch_load_b64 v[2:3], off, off offset:56
	v_mov_b64_e32 v[54:55], 0
	scratch_store_b64 off, v[54:55], off offset:56
	s_wait_loadcnt 0x0
	ds_store_b64 v1, v[2:3]
.LBB88_145:
	s_wait_xcnt 0x0
	s_or_b32 exec_lo, exec_lo, s0
	s_wait_storecnt_dscnt 0x0
	s_barrier_signal -1
	s_barrier_wait -1
	s_clause 0x5
	scratch_load_b128 v[54:57], off, off offset:56
	scratch_load_b128 v[58:61], off, off offset:72
	;; [unrolled: 1-line block ×6, first 2 shown]
	v_mov_b32_e32 v2, 0
	ds_load_b128 v[78:81], v2 offset:272
	ds_load_b128 v[82:85], v2 offset:288
	s_mov_b32 s0, exec_lo
	s_wait_loadcnt_dscnt 0x501
	v_fma_f64 v[86:87], v[56:57], v[78:79], 0
	s_wait_loadcnt 0x4
	s_delay_alu instid0(VALU_DEP_1) | instskip(SKIP_4) | instid1(VALU_DEP_1)
	v_fmac_f64_e32 v[86:87], v[58:59], v[80:81]
	scratch_load_b128 v[56:59], off, off offset:152
	s_wait_dscnt 0x0
	v_fmac_f64_e32 v[86:87], v[60:61], v[82:83]
	s_wait_loadcnt 0x4
	v_fmac_f64_e32 v[86:87], v[62:63], v[84:85]
	scratch_load_b128 v[60:63], off, off offset:168
	ds_load_b128 v[78:81], v2 offset:304
	ds_load_b128 v[82:85], v2 offset:320
	s_wait_dscnt 0x1
	v_fmac_f64_e32 v[86:87], v[64:65], v[78:79]
	s_wait_loadcnt 0x4
	s_delay_alu instid0(VALU_DEP_1) | instskip(SKIP_4) | instid1(VALU_DEP_1)
	v_fmac_f64_e32 v[86:87], v[66:67], v[80:81]
	scratch_load_b128 v[64:67], off, off offset:184
	s_wait_dscnt 0x0
	v_fmac_f64_e32 v[86:87], v[68:69], v[82:83]
	s_wait_loadcnt 0x4
	v_fmac_f64_e32 v[86:87], v[70:71], v[84:85]
	ds_load_b128 v[68:71], v2 offset:336
	ds_load_b128 v[78:81], v2 offset:352
	s_wait_dscnt 0x1
	v_fmac_f64_e32 v[86:87], v[72:73], v[68:69]
	s_wait_loadcnt 0x3
	s_delay_alu instid0(VALU_DEP_1)
	v_fmac_f64_e32 v[86:87], v[74:75], v[70:71]
	ds_load_b128 v[68:71], v2 offset:368
	ds_load_b128 v[72:75], v2 offset:384
	s_wait_dscnt 0x2
	v_fmac_f64_e32 v[86:87], v[76:77], v[78:79]
	s_wait_loadcnt 0x2
	s_delay_alu instid0(VALU_DEP_1) | instskip(SKIP_4) | instid1(VALU_DEP_1)
	v_fmac_f64_e32 v[86:87], v[56:57], v[80:81]
	ds_load_b64 v[56:57], v2 offset:400
	s_wait_dscnt 0x2
	v_fmac_f64_e32 v[86:87], v[58:59], v[68:69]
	s_wait_loadcnt 0x1
	v_fmac_f64_e32 v[86:87], v[60:61], v[70:71]
	s_wait_dscnt 0x1
	s_delay_alu instid0(VALU_DEP_1) | instskip(SKIP_1) | instid1(VALU_DEP_1)
	v_fmac_f64_e32 v[86:87], v[62:63], v[72:73]
	s_wait_loadcnt 0x0
	v_fmac_f64_e32 v[86:87], v[64:65], v[74:75]
	s_wait_dscnt 0x0
	s_delay_alu instid0(VALU_DEP_1) | instskip(NEXT) | instid1(VALU_DEP_1)
	v_fmac_f64_e32 v[86:87], v[66:67], v[56:57]
	v_add_f64_e64 v[54:55], v[54:55], -v[86:87]
	scratch_store_b64 off, v[54:55], off offset:56
	s_wait_xcnt 0x0
	v_cmpx_lt_u32_e32 6, v0
	s_cbranch_execz .LBB88_147
; %bb.146:
	scratch_load_b64 v[54:55], off, off offset:48
	v_mov_b64_e32 v[56:57], 0
	scratch_store_b64 off, v[56:57], off offset:48
	s_wait_loadcnt 0x0
	ds_store_b64 v1, v[54:55]
.LBB88_147:
	s_wait_xcnt 0x0
	s_or_b32 exec_lo, exec_lo, s0
	s_wait_storecnt_dscnt 0x0
	s_barrier_signal -1
	s_barrier_wait -1
	s_clause 0x5
	scratch_load_b128 v[54:57], off, off offset:48
	scratch_load_b128 v[58:61], off, off offset:64
	;; [unrolled: 1-line block ×6, first 2 shown]
	ds_load_2addr_b64 v[78:81], v2 offset0:33 offset1:34
	ds_load_2addr_b64 v[82:85], v2 offset0:35 offset1:36
	s_mov_b32 s0, exec_lo
	s_wait_loadcnt_dscnt 0x501
	v_fma_f64 v[86:87], v[56:57], v[78:79], 0
	s_wait_loadcnt 0x4
	s_delay_alu instid0(VALU_DEP_1) | instskip(SKIP_4) | instid1(VALU_DEP_1)
	v_fmac_f64_e32 v[86:87], v[58:59], v[80:81]
	scratch_load_b128 v[56:59], off, off offset:144
	s_wait_dscnt 0x0
	v_fmac_f64_e32 v[86:87], v[60:61], v[82:83]
	s_wait_loadcnt 0x4
	v_fmac_f64_e32 v[86:87], v[62:63], v[84:85]
	scratch_load_b128 v[60:63], off, off offset:160
	ds_load_2addr_b64 v[78:81], v2 offset0:37 offset1:38
	ds_load_2addr_b64 v[82:85], v2 offset0:39 offset1:40
	s_wait_dscnt 0x1
	v_fmac_f64_e32 v[86:87], v[64:65], v[78:79]
	s_wait_loadcnt 0x4
	s_delay_alu instid0(VALU_DEP_1)
	v_fmac_f64_e32 v[86:87], v[66:67], v[80:81]
	scratch_load_b128 v[64:67], off, off offset:176
	s_wait_dscnt 0x0
	v_fmac_f64_e32 v[86:87], v[68:69], v[82:83]
	scratch_load_b64 v[82:83], off, off offset:192
	s_wait_loadcnt 0x5
	v_fmac_f64_e32 v[86:87], v[70:71], v[84:85]
	ds_load_2addr_b64 v[68:71], v2 offset0:41 offset1:42
	ds_load_2addr_b64 v[78:81], v2 offset0:43 offset1:44
	s_wait_dscnt 0x1
	v_fmac_f64_e32 v[86:87], v[72:73], v[68:69]
	s_wait_loadcnt 0x4
	s_delay_alu instid0(VALU_DEP_1)
	v_fmac_f64_e32 v[86:87], v[74:75], v[70:71]
	ds_load_2addr_b64 v[68:71], v2 offset0:45 offset1:46
	ds_load_2addr_b64 v[72:75], v2 offset0:47 offset1:48
	s_wait_dscnt 0x2
	v_fmac_f64_e32 v[86:87], v[76:77], v[78:79]
	s_wait_loadcnt 0x3
	s_delay_alu instid0(VALU_DEP_1) | instskip(SKIP_1) | instid1(VALU_DEP_1)
	v_fmac_f64_e32 v[86:87], v[56:57], v[80:81]
	s_wait_dscnt 0x1
	v_fmac_f64_e32 v[86:87], v[58:59], v[68:69]
	ds_load_2addr_b64 v[56:59], v2 offset0:49 offset1:50
	s_wait_loadcnt 0x2
	v_fmac_f64_e32 v[86:87], v[60:61], v[70:71]
	s_wait_dscnt 0x1
	s_delay_alu instid0(VALU_DEP_1) | instskip(SKIP_1) | instid1(VALU_DEP_1)
	v_fmac_f64_e32 v[86:87], v[62:63], v[72:73]
	s_wait_loadcnt 0x1
	v_fmac_f64_e32 v[86:87], v[64:65], v[74:75]
	s_wait_dscnt 0x0
	s_delay_alu instid0(VALU_DEP_1) | instskip(SKIP_1) | instid1(VALU_DEP_1)
	v_fmac_f64_e32 v[86:87], v[66:67], v[56:57]
	s_wait_loadcnt 0x0
	v_fmac_f64_e32 v[86:87], v[82:83], v[58:59]
	s_delay_alu instid0(VALU_DEP_1)
	v_add_f64_e64 v[2:3], v[54:55], -v[86:87]
	scratch_store_b64 off, v[2:3], off offset:48
	s_wait_xcnt 0x0
	v_cmpx_lt_u32_e32 5, v0
	s_cbranch_execz .LBB88_149
; %bb.148:
	scratch_load_b64 v[2:3], off, off offset:40
	v_mov_b64_e32 v[54:55], 0
	scratch_store_b64 off, v[54:55], off offset:40
	s_wait_loadcnt 0x0
	ds_store_b64 v1, v[2:3]
.LBB88_149:
	s_wait_xcnt 0x0
	s_or_b32 exec_lo, exec_lo, s0
	s_wait_storecnt_dscnt 0x0
	s_barrier_signal -1
	s_barrier_wait -1
	s_clause 0x5
	scratch_load_b128 v[54:57], off, off offset:40
	scratch_load_b128 v[58:61], off, off offset:56
	;; [unrolled: 1-line block ×6, first 2 shown]
	v_mov_b32_e32 v2, 0
	ds_load_b128 v[78:81], v2 offset:256
	ds_load_b128 v[82:85], v2 offset:272
	s_mov_b32 s0, exec_lo
	s_wait_loadcnt_dscnt 0x501
	v_fma_f64 v[86:87], v[56:57], v[78:79], 0
	s_wait_loadcnt 0x4
	s_delay_alu instid0(VALU_DEP_1) | instskip(SKIP_4) | instid1(VALU_DEP_1)
	v_fmac_f64_e32 v[86:87], v[58:59], v[80:81]
	scratch_load_b128 v[56:59], off, off offset:136
	s_wait_dscnt 0x0
	v_fmac_f64_e32 v[86:87], v[60:61], v[82:83]
	s_wait_loadcnt 0x4
	v_fmac_f64_e32 v[86:87], v[62:63], v[84:85]
	scratch_load_b128 v[60:63], off, off offset:152
	ds_load_b128 v[78:81], v2 offset:288
	ds_load_b128 v[82:85], v2 offset:304
	s_wait_dscnt 0x1
	v_fmac_f64_e32 v[86:87], v[64:65], v[78:79]
	s_wait_loadcnt 0x4
	s_delay_alu instid0(VALU_DEP_1) | instskip(SKIP_4) | instid1(VALU_DEP_1)
	v_fmac_f64_e32 v[86:87], v[66:67], v[80:81]
	scratch_load_b128 v[64:67], off, off offset:168
	s_wait_dscnt 0x0
	v_fmac_f64_e32 v[86:87], v[68:69], v[82:83]
	s_wait_loadcnt 0x4
	v_fmac_f64_e32 v[86:87], v[70:71], v[84:85]
	scratch_load_b128 v[68:71], off, off offset:184
	ds_load_b128 v[78:81], v2 offset:320
	ds_load_b128 v[82:85], v2 offset:336
	s_wait_dscnt 0x1
	v_fmac_f64_e32 v[86:87], v[72:73], v[78:79]
	s_wait_loadcnt 0x4
	s_delay_alu instid0(VALU_DEP_1) | instskip(SKIP_1) | instid1(VALU_DEP_1)
	v_fmac_f64_e32 v[86:87], v[74:75], v[80:81]
	s_wait_dscnt 0x0
	v_fmac_f64_e32 v[86:87], v[76:77], v[82:83]
	ds_load_b128 v[72:75], v2 offset:352
	ds_load_b128 v[76:79], v2 offset:368
	s_wait_loadcnt 0x3
	v_fmac_f64_e32 v[86:87], v[56:57], v[84:85]
	s_wait_dscnt 0x1
	s_delay_alu instid0(VALU_DEP_1) | instskip(SKIP_1) | instid1(VALU_DEP_1)
	v_fmac_f64_e32 v[86:87], v[58:59], v[72:73]
	s_wait_loadcnt 0x2
	v_fmac_f64_e32 v[86:87], v[60:61], v[74:75]
	ds_load_b128 v[56:59], v2 offset:384
	ds_load_b64 v[60:61], v2 offset:400
	s_wait_dscnt 0x2
	v_fmac_f64_e32 v[86:87], v[62:63], v[76:77]
	s_wait_loadcnt 0x1
	s_delay_alu instid0(VALU_DEP_1) | instskip(SKIP_1) | instid1(VALU_DEP_1)
	v_fmac_f64_e32 v[86:87], v[64:65], v[78:79]
	s_wait_dscnt 0x1
	v_fmac_f64_e32 v[86:87], v[66:67], v[56:57]
	s_wait_loadcnt 0x0
	s_delay_alu instid0(VALU_DEP_1) | instskip(SKIP_1) | instid1(VALU_DEP_1)
	v_fmac_f64_e32 v[86:87], v[68:69], v[58:59]
	s_wait_dscnt 0x0
	v_fmac_f64_e32 v[86:87], v[70:71], v[60:61]
	s_delay_alu instid0(VALU_DEP_1)
	v_add_f64_e64 v[54:55], v[54:55], -v[86:87]
	scratch_store_b64 off, v[54:55], off offset:40
	s_wait_xcnt 0x0
	v_cmpx_lt_u32_e32 4, v0
	s_cbranch_execz .LBB88_151
; %bb.150:
	scratch_load_b64 v[54:55], off, off offset:32
	v_mov_b64_e32 v[56:57], 0
	scratch_store_b64 off, v[56:57], off offset:32
	s_wait_loadcnt 0x0
	ds_store_b64 v1, v[54:55]
.LBB88_151:
	s_wait_xcnt 0x0
	s_or_b32 exec_lo, exec_lo, s0
	s_wait_storecnt_dscnt 0x0
	s_barrier_signal -1
	s_barrier_wait -1
	s_clause 0x5
	scratch_load_b128 v[54:57], off, off offset:32
	scratch_load_b128 v[58:61], off, off offset:48
	;; [unrolled: 1-line block ×6, first 2 shown]
	ds_load_2addr_b64 v[78:81], v2 offset0:31 offset1:32
	ds_load_2addr_b64 v[82:85], v2 offset0:33 offset1:34
	s_mov_b32 s0, exec_lo
	s_wait_loadcnt_dscnt 0x501
	v_fma_f64 v[86:87], v[56:57], v[78:79], 0
	s_wait_loadcnt 0x4
	s_delay_alu instid0(VALU_DEP_1) | instskip(SKIP_4) | instid1(VALU_DEP_1)
	v_fmac_f64_e32 v[86:87], v[58:59], v[80:81]
	scratch_load_b128 v[56:59], off, off offset:128
	s_wait_dscnt 0x0
	v_fmac_f64_e32 v[86:87], v[60:61], v[82:83]
	s_wait_loadcnt 0x4
	v_fmac_f64_e32 v[86:87], v[62:63], v[84:85]
	scratch_load_b128 v[60:63], off, off offset:144
	ds_load_2addr_b64 v[78:81], v2 offset0:35 offset1:36
	ds_load_2addr_b64 v[82:85], v2 offset0:37 offset1:38
	s_wait_dscnt 0x1
	v_fmac_f64_e32 v[86:87], v[64:65], v[78:79]
	s_wait_loadcnt 0x4
	s_delay_alu instid0(VALU_DEP_1) | instskip(SKIP_4) | instid1(VALU_DEP_1)
	v_fmac_f64_e32 v[86:87], v[66:67], v[80:81]
	scratch_load_b128 v[64:67], off, off offset:160
	s_wait_dscnt 0x0
	v_fmac_f64_e32 v[86:87], v[68:69], v[82:83]
	s_wait_loadcnt 0x4
	v_fmac_f64_e32 v[86:87], v[70:71], v[84:85]
	scratch_load_b128 v[68:71], off, off offset:176
	ds_load_2addr_b64 v[78:81], v2 offset0:39 offset1:40
	ds_load_2addr_b64 v[82:85], v2 offset0:41 offset1:42
	s_wait_dscnt 0x1
	v_fmac_f64_e32 v[86:87], v[72:73], v[78:79]
	s_wait_loadcnt 0x4
	s_delay_alu instid0(VALU_DEP_1)
	v_fmac_f64_e32 v[86:87], v[74:75], v[80:81]
	scratch_load_b64 v[80:81], off, off offset:192
	s_wait_dscnt 0x0
	v_fmac_f64_e32 v[86:87], v[76:77], v[82:83]
	ds_load_2addr_b64 v[72:75], v2 offset0:43 offset1:44
	ds_load_2addr_b64 v[76:79], v2 offset0:45 offset1:46
	s_wait_loadcnt 0x4
	v_fmac_f64_e32 v[86:87], v[56:57], v[84:85]
	s_wait_dscnt 0x1
	s_delay_alu instid0(VALU_DEP_1) | instskip(SKIP_1) | instid1(VALU_DEP_1)
	v_fmac_f64_e32 v[86:87], v[58:59], v[72:73]
	s_wait_loadcnt 0x3
	v_fmac_f64_e32 v[86:87], v[60:61], v[74:75]
	s_wait_dscnt 0x0
	s_delay_alu instid0(VALU_DEP_1)
	v_fmac_f64_e32 v[86:87], v[62:63], v[76:77]
	ds_load_2addr_b64 v[56:59], v2 offset0:47 offset1:48
	ds_load_2addr_b64 v[60:63], v2 offset0:49 offset1:50
	s_wait_loadcnt 0x2
	v_fmac_f64_e32 v[86:87], v[64:65], v[78:79]
	s_wait_dscnt 0x1
	s_delay_alu instid0(VALU_DEP_1) | instskip(SKIP_1) | instid1(VALU_DEP_1)
	v_fmac_f64_e32 v[86:87], v[66:67], v[56:57]
	s_wait_loadcnt 0x1
	v_fmac_f64_e32 v[86:87], v[68:69], v[58:59]
	s_wait_dscnt 0x0
	s_delay_alu instid0(VALU_DEP_1) | instskip(SKIP_1) | instid1(VALU_DEP_1)
	v_fmac_f64_e32 v[86:87], v[70:71], v[60:61]
	s_wait_loadcnt 0x0
	v_fmac_f64_e32 v[86:87], v[80:81], v[62:63]
	s_delay_alu instid0(VALU_DEP_1)
	v_add_f64_e64 v[2:3], v[54:55], -v[86:87]
	scratch_store_b64 off, v[2:3], off offset:32
	s_wait_xcnt 0x0
	v_cmpx_lt_u32_e32 3, v0
	s_cbranch_execz .LBB88_153
; %bb.152:
	scratch_load_b64 v[2:3], off, off offset:24
	v_mov_b64_e32 v[54:55], 0
	scratch_store_b64 off, v[54:55], off offset:24
	s_wait_loadcnt 0x0
	ds_store_b64 v1, v[2:3]
.LBB88_153:
	s_wait_xcnt 0x0
	s_or_b32 exec_lo, exec_lo, s0
	s_wait_storecnt_dscnt 0x0
	s_barrier_signal -1
	s_barrier_wait -1
	s_clause 0x5
	scratch_load_b128 v[54:57], off, off offset:24
	scratch_load_b128 v[58:61], off, off offset:40
	;; [unrolled: 1-line block ×6, first 2 shown]
	v_mov_b32_e32 v2, 0
	ds_load_b128 v[78:81], v2 offset:240
	ds_load_b128 v[82:85], v2 offset:256
	s_mov_b32 s0, exec_lo
	s_wait_loadcnt_dscnt 0x501
	v_fma_f64 v[86:87], v[56:57], v[78:79], 0
	s_wait_loadcnt 0x4
	s_delay_alu instid0(VALU_DEP_1) | instskip(SKIP_4) | instid1(VALU_DEP_1)
	v_fmac_f64_e32 v[86:87], v[58:59], v[80:81]
	scratch_load_b128 v[56:59], off, off offset:120
	s_wait_dscnt 0x0
	v_fmac_f64_e32 v[86:87], v[60:61], v[82:83]
	s_wait_loadcnt 0x4
	v_fmac_f64_e32 v[86:87], v[62:63], v[84:85]
	scratch_load_b128 v[60:63], off, off offset:136
	ds_load_b128 v[78:81], v2 offset:272
	ds_load_b128 v[82:85], v2 offset:288
	s_wait_dscnt 0x1
	v_fmac_f64_e32 v[86:87], v[64:65], v[78:79]
	s_wait_loadcnt 0x4
	s_delay_alu instid0(VALU_DEP_1) | instskip(SKIP_4) | instid1(VALU_DEP_1)
	v_fmac_f64_e32 v[86:87], v[66:67], v[80:81]
	scratch_load_b128 v[64:67], off, off offset:152
	s_wait_dscnt 0x0
	v_fmac_f64_e32 v[86:87], v[68:69], v[82:83]
	s_wait_loadcnt 0x4
	v_fmac_f64_e32 v[86:87], v[70:71], v[84:85]
	scratch_load_b128 v[68:71], off, off offset:168
	ds_load_b128 v[78:81], v2 offset:304
	ds_load_b128 v[82:85], v2 offset:320
	s_wait_dscnt 0x1
	v_fmac_f64_e32 v[86:87], v[72:73], v[78:79]
	s_wait_loadcnt 0x4
	s_delay_alu instid0(VALU_DEP_1)
	v_fmac_f64_e32 v[86:87], v[74:75], v[80:81]
	scratch_load_b128 v[72:75], off, off offset:184
	s_wait_dscnt 0x0
	v_fmac_f64_e32 v[86:87], v[76:77], v[82:83]
	ds_load_b128 v[76:79], v2 offset:336
	ds_load_b128 v[80:83], v2 offset:352
	s_wait_loadcnt 0x4
	v_fmac_f64_e32 v[86:87], v[56:57], v[84:85]
	s_wait_dscnt 0x1
	s_delay_alu instid0(VALU_DEP_1) | instskip(SKIP_1) | instid1(VALU_DEP_1)
	v_fmac_f64_e32 v[86:87], v[58:59], v[76:77]
	s_wait_loadcnt 0x3
	v_fmac_f64_e32 v[86:87], v[60:61], v[78:79]
	s_wait_dscnt 0x0
	s_delay_alu instid0(VALU_DEP_1)
	v_fmac_f64_e32 v[86:87], v[62:63], v[80:81]
	ds_load_b128 v[56:59], v2 offset:368
	ds_load_b128 v[60:63], v2 offset:384
	s_wait_loadcnt 0x2
	v_fmac_f64_e32 v[86:87], v[64:65], v[82:83]
	s_wait_dscnt 0x1
	s_delay_alu instid0(VALU_DEP_1) | instskip(SKIP_4) | instid1(VALU_DEP_1)
	v_fmac_f64_e32 v[86:87], v[66:67], v[56:57]
	ds_load_b64 v[56:57], v2 offset:400
	s_wait_loadcnt 0x1
	v_fmac_f64_e32 v[86:87], v[68:69], v[58:59]
	s_wait_dscnt 0x1
	v_fmac_f64_e32 v[86:87], v[70:71], v[60:61]
	s_wait_loadcnt 0x0
	s_delay_alu instid0(VALU_DEP_1) | instskip(SKIP_1) | instid1(VALU_DEP_1)
	v_fmac_f64_e32 v[86:87], v[72:73], v[62:63]
	s_wait_dscnt 0x0
	v_fmac_f64_e32 v[86:87], v[74:75], v[56:57]
	s_delay_alu instid0(VALU_DEP_1)
	v_add_f64_e64 v[54:55], v[54:55], -v[86:87]
	scratch_store_b64 off, v[54:55], off offset:24
	s_wait_xcnt 0x0
	v_cmpx_lt_u32_e32 2, v0
	s_cbranch_execz .LBB88_155
; %bb.154:
	scratch_load_b64 v[54:55], off, off offset:16
	v_mov_b64_e32 v[56:57], 0
	scratch_store_b64 off, v[56:57], off offset:16
	s_wait_loadcnt 0x0
	ds_store_b64 v1, v[54:55]
.LBB88_155:
	s_wait_xcnt 0x0
	s_or_b32 exec_lo, exec_lo, s0
	s_wait_storecnt_dscnt 0x0
	s_barrier_signal -1
	s_barrier_wait -1
	s_clause 0x5
	scratch_load_b128 v[54:57], off, off offset:16
	scratch_load_b128 v[58:61], off, off offset:32
	;; [unrolled: 1-line block ×6, first 2 shown]
	ds_load_2addr_b64 v[78:81], v2 offset0:29 offset1:30
	ds_load_2addr_b64 v[82:85], v2 offset0:31 offset1:32
	scratch_load_b128 v[86:89], off, off offset:112
	s_mov_b32 s0, exec_lo
	s_wait_loadcnt_dscnt 0x601
	v_fma_f64 v[90:91], v[56:57], v[78:79], 0
	s_wait_loadcnt 0x5
	s_delay_alu instid0(VALU_DEP_1) | instskip(SKIP_4) | instid1(VALU_DEP_1)
	v_fmac_f64_e32 v[90:91], v[58:59], v[80:81]
	scratch_load_b128 v[56:59], off, off offset:128
	s_wait_dscnt 0x0
	v_fmac_f64_e32 v[90:91], v[60:61], v[82:83]
	s_wait_loadcnt 0x5
	v_fmac_f64_e32 v[90:91], v[62:63], v[84:85]
	ds_load_2addr_b64 v[60:63], v2 offset0:33 offset1:34
	ds_load_2addr_b64 v[78:81], v2 offset0:35 offset1:36
	s_wait_dscnt 0x1
	v_fmac_f64_e32 v[90:91], v[64:65], v[60:61]
	s_wait_loadcnt 0x4
	s_delay_alu instid0(VALU_DEP_1)
	v_fmac_f64_e32 v[90:91], v[66:67], v[62:63]
	s_clause 0x1
	scratch_load_b128 v[60:63], off, off offset:144
	scratch_load_b128 v[64:67], off, off offset:160
	s_wait_dscnt 0x0
	v_fmac_f64_e32 v[90:91], v[68:69], v[78:79]
	s_wait_loadcnt 0x5
	s_delay_alu instid0(VALU_DEP_1)
	v_fmac_f64_e32 v[90:91], v[70:71], v[80:81]
	ds_load_2addr_b64 v[68:71], v2 offset0:37 offset1:38
	ds_load_2addr_b64 v[78:81], v2 offset0:39 offset1:40
	s_wait_dscnt 0x1
	v_fmac_f64_e32 v[90:91], v[72:73], v[68:69]
	s_wait_loadcnt 0x4
	s_delay_alu instid0(VALU_DEP_1) | instskip(SKIP_4) | instid1(VALU_DEP_1)
	v_fmac_f64_e32 v[90:91], v[74:75], v[70:71]
	scratch_load_b128 v[68:71], off, off offset:176
	s_wait_dscnt 0x0
	v_fmac_f64_e32 v[90:91], v[76:77], v[78:79]
	s_wait_loadcnt 0x4
	v_fmac_f64_e32 v[90:91], v[86:87], v[80:81]
	scratch_load_b64 v[80:81], off, off offset:192
	ds_load_2addr_b64 v[72:75], v2 offset0:41 offset1:42
	ds_load_2addr_b64 v[76:79], v2 offset0:43 offset1:44
	s_wait_dscnt 0x1
	v_fmac_f64_e32 v[90:91], v[88:89], v[72:73]
	s_wait_loadcnt 0x4
	s_delay_alu instid0(VALU_DEP_1) | instskip(SKIP_1) | instid1(VALU_DEP_1)
	v_fmac_f64_e32 v[90:91], v[56:57], v[74:75]
	s_wait_dscnt 0x0
	v_fmac_f64_e32 v[90:91], v[58:59], v[76:77]
	ds_load_2addr_b64 v[56:59], v2 offset0:45 offset1:46
	ds_load_2addr_b64 v[72:75], v2 offset0:47 offset1:48
	s_wait_loadcnt 0x3
	v_fmac_f64_e32 v[90:91], v[60:61], v[78:79]
	s_wait_dscnt 0x1
	s_delay_alu instid0(VALU_DEP_1) | instskip(SKIP_1) | instid1(VALU_DEP_1)
	v_fmac_f64_e32 v[90:91], v[62:63], v[56:57]
	s_wait_loadcnt 0x2
	v_fmac_f64_e32 v[90:91], v[64:65], v[58:59]
	ds_load_2addr_b64 v[56:59], v2 offset0:49 offset1:50
	s_wait_dscnt 0x1
	v_fmac_f64_e32 v[90:91], v[66:67], v[72:73]
	s_wait_loadcnt 0x1
	s_delay_alu instid0(VALU_DEP_1) | instskip(SKIP_1) | instid1(VALU_DEP_1)
	v_fmac_f64_e32 v[90:91], v[68:69], v[74:75]
	s_wait_dscnt 0x0
	v_fmac_f64_e32 v[90:91], v[70:71], v[56:57]
	s_wait_loadcnt 0x0
	s_delay_alu instid0(VALU_DEP_1) | instskip(NEXT) | instid1(VALU_DEP_1)
	v_fmac_f64_e32 v[90:91], v[80:81], v[58:59]
	v_add_f64_e64 v[2:3], v[54:55], -v[90:91]
	scratch_store_b64 off, v[2:3], off offset:16
	s_wait_xcnt 0x0
	v_cmpx_lt_u32_e32 1, v0
	s_cbranch_execz .LBB88_157
; %bb.156:
	scratch_load_b64 v[2:3], off, off offset:8
	v_mov_b64_e32 v[54:55], 0
	scratch_store_b64 off, v[54:55], off offset:8
	s_wait_loadcnt 0x0
	ds_store_b64 v1, v[2:3]
.LBB88_157:
	s_wait_xcnt 0x0
	s_or_b32 exec_lo, exec_lo, s0
	s_wait_storecnt_dscnt 0x0
	s_barrier_signal -1
	s_barrier_wait -1
	s_clause 0x5
	scratch_load_b128 v[56:59], off, off offset:8
	scratch_load_b128 v[60:63], off, off offset:24
	;; [unrolled: 1-line block ×6, first 2 shown]
	v_mov_b32_e32 v54, 0
	ds_load_b128 v[80:83], v54 offset:224
	ds_load_b128 v[84:87], v54 offset:240
	scratch_load_b128 v[88:91], off, off offset:104
	v_dual_ashrrev_i32 v9, 31, v8 :: v_dual_ashrrev_i32 v11, 31, v10
	v_dual_ashrrev_i32 v13, 31, v12 :: v_dual_ashrrev_i32 v15, 31, v14
	;; [unrolled: 1-line block ×11, first 2 shown]
	v_ashrrev_i32_e32 v53, 31, v52
	s_mov_b32 s0, exec_lo
	s_wait_loadcnt_dscnt 0x601
	v_fma_f64 v[2:3], v[58:59], v[80:81], 0
	s_wait_loadcnt 0x5
	s_delay_alu instid0(VALU_DEP_1) | instskip(SKIP_4) | instid1(VALU_DEP_1)
	v_fmac_f64_e32 v[2:3], v[60:61], v[82:83]
	scratch_load_b128 v[58:61], off, off offset:120
	s_wait_dscnt 0x0
	v_fmac_f64_e32 v[2:3], v[62:63], v[84:85]
	s_wait_loadcnt 0x5
	v_fmac_f64_e32 v[2:3], v[64:65], v[86:87]
	ds_load_b128 v[62:65], v54 offset:256
	ds_load_b128 v[80:83], v54 offset:272
	s_wait_dscnt 0x1
	v_fmac_f64_e32 v[2:3], v[66:67], v[62:63]
	s_wait_loadcnt 0x4
	s_delay_alu instid0(VALU_DEP_1)
	v_fmac_f64_e32 v[2:3], v[68:69], v[64:65]
	s_clause 0x1
	scratch_load_b128 v[62:65], off, off offset:136
	scratch_load_b128 v[66:69], off, off offset:152
	s_wait_dscnt 0x0
	v_fmac_f64_e32 v[2:3], v[70:71], v[80:81]
	s_wait_loadcnt 0x5
	s_delay_alu instid0(VALU_DEP_1)
	v_fmac_f64_e32 v[2:3], v[72:73], v[82:83]
	ds_load_b128 v[70:73], v54 offset:288
	ds_load_b128 v[80:83], v54 offset:304
	s_wait_dscnt 0x1
	v_fmac_f64_e32 v[2:3], v[74:75], v[70:71]
	s_wait_loadcnt 0x4
	s_delay_alu instid0(VALU_DEP_1)
	v_fmac_f64_e32 v[2:3], v[76:77], v[72:73]
	s_clause 0x1
	scratch_load_b128 v[70:73], off, off offset:168
	scratch_load_b128 v[74:77], off, off offset:184
	s_wait_dscnt 0x0
	v_fmac_f64_e32 v[2:3], v[78:79], v[80:81]
	s_wait_loadcnt 0x5
	s_delay_alu instid0(VALU_DEP_1)
	v_fmac_f64_e32 v[2:3], v[88:89], v[82:83]
	ds_load_b128 v[78:81], v54 offset:320
	ds_load_b128 v[82:85], v54 offset:336
	s_wait_dscnt 0x1
	v_fmac_f64_e32 v[2:3], v[90:91], v[78:79]
	s_wait_loadcnt 0x4
	s_delay_alu instid0(VALU_DEP_1) | instskip(SKIP_1) | instid1(VALU_DEP_1)
	v_fmac_f64_e32 v[2:3], v[58:59], v[80:81]
	s_wait_dscnt 0x0
	v_fmac_f64_e32 v[2:3], v[60:61], v[82:83]
	ds_load_b128 v[58:61], v54 offset:352
	ds_load_b128 v[78:81], v54 offset:368
	s_wait_loadcnt 0x3
	v_fmac_f64_e32 v[2:3], v[62:63], v[84:85]
	s_wait_dscnt 0x1
	s_delay_alu instid0(VALU_DEP_1) | instskip(SKIP_1) | instid1(VALU_DEP_1)
	v_fmac_f64_e32 v[2:3], v[64:65], v[58:59]
	s_wait_loadcnt 0x2
	v_fmac_f64_e32 v[2:3], v[66:67], v[60:61]
	ds_load_b128 v[58:61], v54 offset:384
	s_wait_dscnt 0x1
	v_fmac_f64_e32 v[2:3], v[68:69], v[78:79]
	s_wait_loadcnt 0x1
	s_delay_alu instid0(VALU_DEP_1) | instskip(SKIP_1) | instid1(VALU_DEP_1)
	v_fmac_f64_e32 v[2:3], v[70:71], v[80:81]
	s_wait_dscnt 0x0
	v_fmac_f64_e32 v[2:3], v[72:73], v[58:59]
	ds_load_b64 v[58:59], v54 offset:400
	s_wait_loadcnt 0x0
	v_fmac_f64_e32 v[2:3], v[74:75], v[60:61]
	s_wait_dscnt 0x0
	s_delay_alu instid0(VALU_DEP_1) | instskip(NEXT) | instid1(VALU_DEP_1)
	v_fmac_f64_e32 v[2:3], v[76:77], v[58:59]
	v_add_f64_e64 v[2:3], v[56:57], -v[2:3]
	scratch_store_b64 off, v[2:3], off offset:8
	s_wait_xcnt 0x0
	v_cmpx_ne_u32_e32 0, v0
	s_cbranch_execz .LBB88_159
; %bb.158:
	scratch_load_b64 v[2:3], off, off
	v_mov_b64_e32 v[56:57], 0
	scratch_store_b64 off, v[56:57], off
	s_wait_loadcnt 0x0
	ds_store_b64 v1, v[2:3]
.LBB88_159:
	s_wait_xcnt 0x0
	s_or_b32 exec_lo, exec_lo, s0
	s_wait_storecnt_dscnt 0x0
	s_barrier_signal -1
	s_barrier_wait -1
	s_clause 0x5
	scratch_load_b128 v[56:59], off, off
	scratch_load_b128 v[0:3], off, off offset:16
	scratch_load_b128 v[60:63], off, off offset:32
	;; [unrolled: 1-line block ×5, first 2 shown]
	ds_load_2addr_b64 v[76:79], v54 offset0:27 offset1:28
	s_clause 0x1
	scratch_load_b128 v[80:83], off, off offset:96
	scratch_load_b128 v[84:87], off, off offset:112
	s_and_b32 vcc_lo, exec_lo, s12
	s_wait_loadcnt_dscnt 0x700
	v_fma_f64 v[88:89], v[58:59], v[76:77], 0
	s_wait_loadcnt 0x6
	s_delay_alu instid0(VALU_DEP_1)
	v_fmac_f64_e32 v[88:89], v[0:1], v[78:79]
	ds_load_2addr_b64 v[76:79], v54 offset0:29 offset1:30
	s_wait_dscnt 0x0
	v_fmac_f64_e32 v[88:89], v[2:3], v[76:77]
	ds_load_2addr_b64 v[0:3], v54 offset0:31 offset1:32
	s_wait_loadcnt 0x5
	v_fmac_f64_e32 v[88:89], v[60:61], v[78:79]
	scratch_load_b128 v[58:61], off, off offset:128
	s_wait_dscnt 0x0
	v_fmac_f64_e32 v[88:89], v[62:63], v[0:1]
	s_wait_loadcnt 0x5
	s_delay_alu instid0(VALU_DEP_1)
	v_fmac_f64_e32 v[88:89], v[64:65], v[2:3]
	ds_load_2addr_b64 v[0:3], v54 offset0:33 offset1:34
	scratch_load_b128 v[62:65], off, off offset:144
	s_wait_dscnt 0x0
	v_fmac_f64_e32 v[88:89], v[66:67], v[0:1]
	s_wait_loadcnt 0x5
	s_delay_alu instid0(VALU_DEP_1)
	v_fmac_f64_e32 v[88:89], v[68:69], v[2:3]
	ds_load_2addr_b64 v[0:3], v54 offset0:35 offset1:36
	;; [unrolled: 7-line block ×3, first 2 shown]
	scratch_load_b128 v[0:3], off, off offset:176
	s_wait_dscnt 0x0
	v_fmac_f64_e32 v[88:89], v[74:75], v[70:71]
	scratch_load_b64 v[74:75], off, off offset:192
	s_wait_loadcnt 0x6
	v_fmac_f64_e32 v[88:89], v[80:81], v[72:73]
	ds_load_2addr_b64 v[70:73], v54 offset0:39 offset1:40
	s_wait_dscnt 0x0
	v_fmac_f64_e32 v[88:89], v[82:83], v[70:71]
	s_wait_loadcnt 0x5
	s_delay_alu instid0(VALU_DEP_1) | instskip(SKIP_4) | instid1(VALU_DEP_1)
	v_fmac_f64_e32 v[88:89], v[84:85], v[72:73]
	ds_load_2addr_b64 v[70:73], v54 offset0:41 offset1:42
	s_wait_dscnt 0x0
	v_fmac_f64_e32 v[88:89], v[86:87], v[70:71]
	s_wait_loadcnt 0x4
	v_fmac_f64_e32 v[88:89], v[58:59], v[72:73]
	ds_load_2addr_b64 v[70:73], v54 offset0:43 offset1:44
	s_wait_dscnt 0x0
	v_fmac_f64_e32 v[88:89], v[60:61], v[70:71]
	ds_load_2addr_b64 v[58:61], v54 offset0:45 offset1:46
	s_wait_loadcnt 0x3
	v_fmac_f64_e32 v[88:89], v[62:63], v[72:73]
	s_wait_dscnt 0x0
	s_delay_alu instid0(VALU_DEP_1) | instskip(SKIP_1) | instid1(VALU_DEP_1)
	v_fmac_f64_e32 v[88:89], v[64:65], v[58:59]
	s_wait_loadcnt 0x2
	v_fmac_f64_e32 v[88:89], v[66:67], v[60:61]
	ds_load_2addr_b64 v[58:61], v54 offset0:47 offset1:48
	s_wait_dscnt 0x0
	v_fmac_f64_e32 v[88:89], v[68:69], v[58:59]
	s_wait_loadcnt 0x1
	s_delay_alu instid0(VALU_DEP_1) | instskip(SKIP_4) | instid1(VALU_DEP_1)
	v_fmac_f64_e32 v[88:89], v[0:1], v[60:61]
	ds_load_2addr_b64 v[58:61], v54 offset0:49 offset1:50
	s_wait_dscnt 0x0
	v_fmac_f64_e32 v[88:89], v[2:3], v[58:59]
	s_wait_loadcnt 0x0
	v_fmac_f64_e32 v[88:89], v[74:75], v[60:61]
	s_delay_alu instid0(VALU_DEP_1)
	v_add_f64_e64 v[0:1], v[56:57], -v[88:89]
	scratch_store_b64 off, v[0:1], off
	s_cbranch_vccz .LBB88_208
; %bb.160:
	s_wait_xcnt 0x0
	v_mov_b32_e32 v0, 0
	global_load_b32 v1, v0, s[8:9] offset:92
	s_wait_loadcnt 0x0
	v_cmp_ne_u32_e32 vcc_lo, 24, v1
	s_cbranch_vccz .LBB88_162
; %bb.161:
	v_lshlrev_b32_e32 v1, 3, v1
	scratch_load_b64 v[54:55], v1, off offset:-8
	s_wait_loadcnt 0x0
	scratch_store_b64 off, v[54:55], off offset:184
	scratch_store_b64 v1, v[2:3], off offset:-8
.LBB88_162:
	global_load_b32 v0, v0, s[8:9] offset:88
	s_wait_loadcnt 0x0
	v_cmp_eq_u32_e32 vcc_lo, 23, v0
	s_cbranch_vccnz .LBB88_164
; %bb.163:
	s_wait_xcnt 0x0
	v_lshlrev_b32_e32 v0, 3, v0
	s_delay_alu instid0(VALU_DEP_1)
	v_mov_b32_e32 v54, v0
	scratch_load_b64 v[0:1], v54, off offset:-8
	scratch_load_b64 v[2:3], off, off offset:176
	s_wait_loadcnt 0x1
	scratch_store_b64 off, v[0:1], off offset:176
	s_wait_loadcnt 0x0
	scratch_store_b64 v54, v[2:3], off offset:-8
.LBB88_164:
	s_wait_xcnt 0x0
	v_mov_b32_e32 v0, 0
	global_load_b32 v1, v0, s[8:9] offset:84
	s_wait_loadcnt 0x0
	v_cmp_eq_u32_e32 vcc_lo, 22, v1
	s_cbranch_vccnz .LBB88_166
; %bb.165:
	v_lshlrev_b32_e32 v1, 3, v1
	scratch_load_b64 v[2:3], v1, off offset:-8
	scratch_load_b64 v[54:55], off, off offset:168
	s_wait_loadcnt 0x1
	scratch_store_b64 off, v[2:3], off offset:168
	s_wait_loadcnt 0x0
	scratch_store_b64 v1, v[54:55], off offset:-8
.LBB88_166:
	global_load_b32 v0, v0, s[8:9] offset:80
	s_wait_loadcnt 0x0
	v_cmp_eq_u32_e32 vcc_lo, 21, v0
	s_cbranch_vccnz .LBB88_168
; %bb.167:
	s_wait_xcnt 0x0
	v_lshlrev_b32_e32 v0, 3, v0
	s_delay_alu instid0(VALU_DEP_1)
	v_mov_b32_e32 v54, v0
	scratch_load_b64 v[0:1], v54, off offset:-8
	scratch_load_b64 v[2:3], off, off offset:160
	s_wait_loadcnt 0x1
	scratch_store_b64 off, v[0:1], off offset:160
	s_wait_loadcnt 0x0
	scratch_store_b64 v54, v[2:3], off offset:-8
.LBB88_168:
	s_wait_xcnt 0x0
	v_mov_b32_e32 v0, 0
	global_load_b32 v1, v0, s[8:9] offset:76
	s_wait_loadcnt 0x0
	v_cmp_eq_u32_e32 vcc_lo, 20, v1
	s_cbranch_vccnz .LBB88_170
; %bb.169:
	v_lshlrev_b32_e32 v1, 3, v1
	scratch_load_b64 v[2:3], v1, off offset:-8
	scratch_load_b64 v[54:55], off, off offset:152
	s_wait_loadcnt 0x1
	scratch_store_b64 off, v[2:3], off offset:152
	s_wait_loadcnt 0x0
	scratch_store_b64 v1, v[54:55], off offset:-8
.LBB88_170:
	;; [unrolled: 31-line block ×11, first 2 shown]
	global_load_b32 v2, v0, s[8:9]
	scratch_load_b64 v[0:1], off, off
	s_wait_loadcnt 0x1
	v_cmp_eq_u32_e32 vcc_lo, 1, v2
	s_cbranch_vccnz .LBB88_208
; %bb.207:
	v_lshlrev_b32_e32 v2, 3, v2
	s_delay_alu instid0(VALU_DEP_1)
	v_mov_b32_e32 v54, v2
	scratch_load_b64 v[2:3], v54, off offset:-8
	s_wait_loadcnt 0x0
	scratch_store_b64 off, v[2:3], off
	scratch_store_b64 v54, v[0:1], off offset:-8
	scratch_load_b64 v[0:1], off, off
.LBB88_208:
	s_wait_loadcnt 0x0
	flat_store_b64 v[4:5], v[0:1]
	scratch_load_b64 v[0:1], off, off offset:8
	v_lshl_add_u64 v[74:75], v[8:9], 3, s[2:3]
	v_lshl_add_u64 v[72:73], v[10:11], 3, s[2:3]
	;; [unrolled: 1-line block ×23, first 2 shown]
	s_wait_loadcnt 0x0
	flat_store_b64 v[6:7], v[0:1]
	scratch_load_b64 v[0:1], off, off offset:16
	s_wait_loadcnt 0x0
	flat_store_b64 v[74:75], v[0:1]
	scratch_load_b64 v[0:1], off, off offset:24
	;; [unrolled: 3-line block ×23, first 2 shown]
	s_wait_loadcnt 0x0
	flat_store_b64 v[2:3], v[0:1]
	s_sendmsg sendmsg(MSG_DEALLOC_VGPRS)
	s_endpgm
	.section	.rodata,"a",@progbits
	.p2align	6, 0x0
	.amdhsa_kernel _ZN9rocsolver6v33100L18getri_kernel_smallILi25EdPKPdEEvT1_iilPiilS6_bb
		.amdhsa_group_segment_fixed_size 408
		.amdhsa_private_segment_fixed_size 208
		.amdhsa_kernarg_size 60
		.amdhsa_user_sgpr_count 2
		.amdhsa_user_sgpr_dispatch_ptr 0
		.amdhsa_user_sgpr_queue_ptr 0
		.amdhsa_user_sgpr_kernarg_segment_ptr 1
		.amdhsa_user_sgpr_dispatch_id 0
		.amdhsa_user_sgpr_kernarg_preload_length 0
		.amdhsa_user_sgpr_kernarg_preload_offset 0
		.amdhsa_user_sgpr_private_segment_size 0
		.amdhsa_wavefront_size32 1
		.amdhsa_uses_dynamic_stack 0
		.amdhsa_enable_private_segment 1
		.amdhsa_system_sgpr_workgroup_id_x 1
		.amdhsa_system_sgpr_workgroup_id_y 0
		.amdhsa_system_sgpr_workgroup_id_z 0
		.amdhsa_system_sgpr_workgroup_info 0
		.amdhsa_system_vgpr_workitem_id 0
		.amdhsa_next_free_vgpr 92
		.amdhsa_next_free_sgpr 19
		.amdhsa_named_barrier_count 0
		.amdhsa_reserve_vcc 1
		.amdhsa_float_round_mode_32 0
		.amdhsa_float_round_mode_16_64 0
		.amdhsa_float_denorm_mode_32 3
		.amdhsa_float_denorm_mode_16_64 3
		.amdhsa_fp16_overflow 0
		.amdhsa_memory_ordered 1
		.amdhsa_forward_progress 1
		.amdhsa_inst_pref_size 144
		.amdhsa_round_robin_scheduling 0
		.amdhsa_exception_fp_ieee_invalid_op 0
		.amdhsa_exception_fp_denorm_src 0
		.amdhsa_exception_fp_ieee_div_zero 0
		.amdhsa_exception_fp_ieee_overflow 0
		.amdhsa_exception_fp_ieee_underflow 0
		.amdhsa_exception_fp_ieee_inexact 0
		.amdhsa_exception_int_div_zero 0
	.end_amdhsa_kernel
	.section	.text._ZN9rocsolver6v33100L18getri_kernel_smallILi25EdPKPdEEvT1_iilPiilS6_bb,"axG",@progbits,_ZN9rocsolver6v33100L18getri_kernel_smallILi25EdPKPdEEvT1_iilPiilS6_bb,comdat
.Lfunc_end88:
	.size	_ZN9rocsolver6v33100L18getri_kernel_smallILi25EdPKPdEEvT1_iilPiilS6_bb, .Lfunc_end88-_ZN9rocsolver6v33100L18getri_kernel_smallILi25EdPKPdEEvT1_iilPiilS6_bb
                                        ; -- End function
	.set _ZN9rocsolver6v33100L18getri_kernel_smallILi25EdPKPdEEvT1_iilPiilS6_bb.num_vgpr, 92
	.set _ZN9rocsolver6v33100L18getri_kernel_smallILi25EdPKPdEEvT1_iilPiilS6_bb.num_agpr, 0
	.set _ZN9rocsolver6v33100L18getri_kernel_smallILi25EdPKPdEEvT1_iilPiilS6_bb.numbered_sgpr, 19
	.set _ZN9rocsolver6v33100L18getri_kernel_smallILi25EdPKPdEEvT1_iilPiilS6_bb.num_named_barrier, 0
	.set _ZN9rocsolver6v33100L18getri_kernel_smallILi25EdPKPdEEvT1_iilPiilS6_bb.private_seg_size, 208
	.set _ZN9rocsolver6v33100L18getri_kernel_smallILi25EdPKPdEEvT1_iilPiilS6_bb.uses_vcc, 1
	.set _ZN9rocsolver6v33100L18getri_kernel_smallILi25EdPKPdEEvT1_iilPiilS6_bb.uses_flat_scratch, 1
	.set _ZN9rocsolver6v33100L18getri_kernel_smallILi25EdPKPdEEvT1_iilPiilS6_bb.has_dyn_sized_stack, 0
	.set _ZN9rocsolver6v33100L18getri_kernel_smallILi25EdPKPdEEvT1_iilPiilS6_bb.has_recursion, 0
	.set _ZN9rocsolver6v33100L18getri_kernel_smallILi25EdPKPdEEvT1_iilPiilS6_bb.has_indirect_call, 0
	.section	.AMDGPU.csdata,"",@progbits
; Kernel info:
; codeLenInByte = 18320
; TotalNumSgprs: 21
; NumVgprs: 92
; ScratchSize: 208
; MemoryBound: 0
; FloatMode: 240
; IeeeMode: 1
; LDSByteSize: 408 bytes/workgroup (compile time only)
; SGPRBlocks: 0
; VGPRBlocks: 5
; NumSGPRsForWavesPerEU: 21
; NumVGPRsForWavesPerEU: 92
; NamedBarCnt: 0
; Occupancy: 10
; WaveLimiterHint : 1
; COMPUTE_PGM_RSRC2:SCRATCH_EN: 1
; COMPUTE_PGM_RSRC2:USER_SGPR: 2
; COMPUTE_PGM_RSRC2:TRAP_HANDLER: 0
; COMPUTE_PGM_RSRC2:TGID_X_EN: 1
; COMPUTE_PGM_RSRC2:TGID_Y_EN: 0
; COMPUTE_PGM_RSRC2:TGID_Z_EN: 0
; COMPUTE_PGM_RSRC2:TIDIG_COMP_CNT: 0
	.section	.text._ZN9rocsolver6v33100L18getri_kernel_smallILi26EdPKPdEEvT1_iilPiilS6_bb,"axG",@progbits,_ZN9rocsolver6v33100L18getri_kernel_smallILi26EdPKPdEEvT1_iilPiilS6_bb,comdat
	.globl	_ZN9rocsolver6v33100L18getri_kernel_smallILi26EdPKPdEEvT1_iilPiilS6_bb ; -- Begin function _ZN9rocsolver6v33100L18getri_kernel_smallILi26EdPKPdEEvT1_iilPiilS6_bb
	.p2align	8
	.type	_ZN9rocsolver6v33100L18getri_kernel_smallILi26EdPKPdEEvT1_iilPiilS6_bb,@function
_ZN9rocsolver6v33100L18getri_kernel_smallILi26EdPKPdEEvT1_iilPiilS6_bb: ; @_ZN9rocsolver6v33100L18getri_kernel_smallILi26EdPKPdEEvT1_iilPiilS6_bb
; %bb.0:
	s_mov_b32 s2, exec_lo
	v_cmpx_gt_u32_e32 26, v0
	s_cbranch_execz .LBB89_114
; %bb.1:
	s_clause 0x1
	s_load_b32 s13, s[0:1], 0x38
	s_load_b64 s[2:3], s[0:1], 0x0
	s_getreg_b32 s6, hwreg(HW_REG_IB_STS2, 6, 4)
	s_wait_kmcnt 0x0
	s_bitcmp1_b32 s13, 8
	s_cselect_b32 s12, -1, 0
	s_bfe_u32 s4, ttmp6, 0x4000c
	s_and_b32 s5, ttmp6, 15
	s_add_co_i32 s4, s4, 1
	s_delay_alu instid0(SALU_CYCLE_1) | instskip(NEXT) | instid1(SALU_CYCLE_1)
	s_mul_i32 s4, ttmp9, s4
	s_add_co_i32 s5, s5, s4
	s_cmp_eq_u32 s6, 0
	s_cselect_b32 s10, ttmp9, s5
	s_load_b128 s[4:7], s[0:1], 0x28
	s_ashr_i32 s11, s10, 31
	s_delay_alu instid0(SALU_CYCLE_1) | instskip(NEXT) | instid1(SALU_CYCLE_1)
	s_lshl_b64 s[8:9], s[10:11], 3
	s_add_nc_u64 s[2:3], s[2:3], s[8:9]
	s_bfe_u32 s8, s13, 0x10008
	s_load_b64 s[2:3], s[2:3], 0x0
	s_cmp_eq_u32 s8, 0
                                        ; implicit-def: $sgpr8_sgpr9
	s_cbranch_scc1 .LBB89_3
; %bb.2:
	s_load_b96 s[16:18], s[0:1], 0x18
	s_wait_kmcnt 0x0
	s_mul_u64 s[4:5], s[4:5], s[10:11]
	s_delay_alu instid0(SALU_CYCLE_1) | instskip(SKIP_4) | instid1(SALU_CYCLE_1)
	s_lshl_b64 s[4:5], s[4:5], 2
	s_ashr_i32 s9, s18, 31
	s_mov_b32 s8, s18
	s_add_nc_u64 s[4:5], s[16:17], s[4:5]
	s_lshl_b64 s[8:9], s[8:9], 2
	s_add_nc_u64 s[8:9], s[4:5], s[8:9]
.LBB89_3:
	s_wait_kmcnt 0x0
	s_clause 0x1
	s_load_b64 s[4:5], s[0:1], 0x8
	s_load_b32 s13, s[0:1], 0x38
	v_dual_mov_b32 v3, 0 :: v_dual_lshlrev_b32 v2, 3, v0
	s_wait_kmcnt 0x0
	s_ashr_i32 s1, s4, 31
	s_mov_b32 s0, s4
	s_delay_alu instid0(SALU_CYCLE_1) | instskip(NEXT) | instid1(SALU_CYCLE_1)
	s_lshl_b64 s[0:1], s[0:1], 3
	s_add_nc_u64 s[2:3], s[2:3], s[0:1]
	s_ashr_i32 s1, s5, 31
	flat_load_b64 v[8:9], v0, s[2:3] scale_offset
	v_add_nc_u64_e32 v[4:5], s[2:3], v[2:3]
	s_mov_b32 s0, s5
	s_bitcmp0_b32 s13, 0
	s_delay_alu instid0(VALU_DEP_1)
	v_lshl_add_u64 v[6:7], s[0:1], 3, v[4:5]
	s_mov_b32 s1, -1
	s_wait_loadcnt_dscnt 0x0
	scratch_store_b64 off, v[8:9], off
	flat_load_b64 v[10:11], v[6:7]
	s_wait_xcnt 0x1
	v_add3_u32 v8, s5, s5, v0
	s_wait_loadcnt_dscnt 0x0
	scratch_store_b64 off, v[10:11], off offset:8
	flat_load_b64 v[12:13], v8, s[2:3] scale_offset
	s_wait_xcnt 0x1
	v_add_nc_u32_e32 v10, s5, v8
	s_wait_loadcnt_dscnt 0x0
	scratch_store_b64 off, v[12:13], off offset:16
	flat_load_b64 v[14:15], v10, s[2:3] scale_offset
	s_wait_xcnt 0x1
	v_add_nc_u32_e32 v12, s5, v10
	s_wait_loadcnt_dscnt 0x0
	scratch_store_b64 off, v[14:15], off offset:24
	flat_load_b64 v[16:17], v12, s[2:3] scale_offset
	s_wait_xcnt 0x1
	v_add_nc_u32_e32 v14, s5, v12
	s_wait_loadcnt_dscnt 0x0
	scratch_store_b64 off, v[16:17], off offset:32
	flat_load_b64 v[18:19], v14, s[2:3] scale_offset
	s_wait_xcnt 0x1
	v_add_nc_u32_e32 v16, s5, v14
	s_wait_loadcnt_dscnt 0x0
	scratch_store_b64 off, v[18:19], off offset:40
	flat_load_b64 v[20:21], v16, s[2:3] scale_offset
	s_wait_xcnt 0x1
	v_add_nc_u32_e32 v18, s5, v16
	s_wait_loadcnt_dscnt 0x0
	scratch_store_b64 off, v[20:21], off offset:48
	flat_load_b64 v[22:23], v18, s[2:3] scale_offset
	s_wait_xcnt 0x1
	v_add_nc_u32_e32 v20, s5, v18
	s_wait_loadcnt_dscnt 0x0
	scratch_store_b64 off, v[22:23], off offset:56
	flat_load_b64 v[24:25], v20, s[2:3] scale_offset
	s_wait_xcnt 0x1
	v_add_nc_u32_e32 v22, s5, v20
	s_wait_loadcnt_dscnt 0x0
	scratch_store_b64 off, v[24:25], off offset:64
	flat_load_b64 v[26:27], v22, s[2:3] scale_offset
	s_wait_xcnt 0x1
	v_add_nc_u32_e32 v24, s5, v22
	s_wait_loadcnt_dscnt 0x0
	scratch_store_b64 off, v[26:27], off offset:72
	flat_load_b64 v[28:29], v24, s[2:3] scale_offset
	s_wait_xcnt 0x1
	v_add_nc_u32_e32 v26, s5, v24
	s_wait_loadcnt_dscnt 0x0
	scratch_store_b64 off, v[28:29], off offset:80
	flat_load_b64 v[30:31], v26, s[2:3] scale_offset
	s_wait_xcnt 0x1
	v_add_nc_u32_e32 v28, s5, v26
	s_wait_loadcnt_dscnt 0x0
	scratch_store_b64 off, v[30:31], off offset:88
	flat_load_b64 v[32:33], v28, s[2:3] scale_offset
	s_wait_xcnt 0x1
	v_add_nc_u32_e32 v30, s5, v28
	s_wait_loadcnt_dscnt 0x0
	scratch_store_b64 off, v[32:33], off offset:96
	flat_load_b64 v[34:35], v30, s[2:3] scale_offset
	s_wait_xcnt 0x1
	v_add_nc_u32_e32 v32, s5, v30
	s_wait_loadcnt_dscnt 0x0
	scratch_store_b64 off, v[34:35], off offset:104
	flat_load_b64 v[36:37], v32, s[2:3] scale_offset
	s_wait_xcnt 0x1
	v_add_nc_u32_e32 v34, s5, v32
	s_wait_loadcnt_dscnt 0x0
	scratch_store_b64 off, v[36:37], off offset:112
	flat_load_b64 v[38:39], v34, s[2:3] scale_offset
	s_wait_xcnt 0x1
	v_add_nc_u32_e32 v36, s5, v34
	s_wait_loadcnt_dscnt 0x0
	scratch_store_b64 off, v[38:39], off offset:120
	flat_load_b64 v[40:41], v36, s[2:3] scale_offset
	s_wait_xcnt 0x1
	v_add_nc_u32_e32 v38, s5, v36
	s_wait_loadcnt_dscnt 0x0
	scratch_store_b64 off, v[40:41], off offset:128
	flat_load_b64 v[42:43], v38, s[2:3] scale_offset
	s_wait_xcnt 0x1
	v_add_nc_u32_e32 v40, s5, v38
	s_wait_loadcnt_dscnt 0x0
	scratch_store_b64 off, v[42:43], off offset:136
	flat_load_b64 v[44:45], v40, s[2:3] scale_offset
	s_wait_xcnt 0x1
	v_add_nc_u32_e32 v42, s5, v40
	s_wait_loadcnt_dscnt 0x0
	scratch_store_b64 off, v[44:45], off offset:144
	flat_load_b64 v[46:47], v42, s[2:3] scale_offset
	s_wait_xcnt 0x1
	v_add_nc_u32_e32 v44, s5, v42
	s_wait_loadcnt_dscnt 0x0
	scratch_store_b64 off, v[46:47], off offset:152
	flat_load_b64 v[48:49], v44, s[2:3] scale_offset
	s_wait_xcnt 0x1
	v_add_nc_u32_e32 v46, s5, v44
	s_wait_loadcnt_dscnt 0x0
	scratch_store_b64 off, v[48:49], off offset:160
	flat_load_b64 v[50:51], v46, s[2:3] scale_offset
	s_wait_xcnt 0x1
	v_add_nc_u32_e32 v48, s5, v46
	s_wait_loadcnt_dscnt 0x0
	scratch_store_b64 off, v[50:51], off offset:168
	flat_load_b64 v[52:53], v48, s[2:3] scale_offset
	s_wait_xcnt 0x1
	v_add_nc_u32_e32 v50, s5, v48
	s_wait_loadcnt_dscnt 0x0
	scratch_store_b64 off, v[52:53], off offset:176
	flat_load_b64 v[54:55], v50, s[2:3] scale_offset
	s_wait_xcnt 0x1
	v_add_nc_u32_e32 v52, s5, v50
	s_wait_loadcnt_dscnt 0x0
	scratch_store_b64 off, v[54:55], off offset:184
	flat_load_b64 v[56:57], v52, s[2:3] scale_offset
	s_wait_xcnt 0x1
	v_add_nc_u32_e32 v54, s5, v52
	s_wait_loadcnt_dscnt 0x0
	scratch_store_b64 off, v[56:57], off offset:192
	flat_load_b64 v[56:57], v54, s[2:3] scale_offset
	s_wait_loadcnt_dscnt 0x0
	scratch_store_b64 off, v[56:57], off offset:200
	s_cbranch_scc1 .LBB89_112
; %bb.4:
	v_cmp_eq_u32_e64 s0, 0, v0
	s_wait_xcnt 0x0
	s_and_saveexec_b32 s1, s0
; %bb.5:
	v_mov_b32_e32 v1, 0
	ds_store_b32 v1, v1 offset:416
; %bb.6:
	s_or_b32 exec_lo, exec_lo, s1
	s_wait_storecnt_dscnt 0x0
	s_barrier_signal -1
	s_barrier_wait -1
	scratch_load_b64 v[56:57], v0, off scale_offset
	s_mov_b32 s4, exec_lo
	s_wait_loadcnt 0x0
	v_cmpx_eq_f64_e32 0, v[56:57]
	s_cbranch_execz .LBB89_10
; %bb.7:
	v_mov_b32_e32 v1, 0
	s_mov_b32 s5, 0
	ds_load_b32 v3, v1 offset:416
	s_wait_dscnt 0x0
	v_readfirstlane_b32 s1, v3
	v_add_nc_u32_e32 v3, 1, v0
	s_cmp_eq_u32 s1, 0
	s_delay_alu instid0(VALU_DEP_1) | instskip(SKIP_1) | instid1(SALU_CYCLE_1)
	v_cmp_gt_i32_e32 vcc_lo, s1, v3
	s_cselect_b32 s13, -1, 0
	s_or_b32 s13, s13, vcc_lo
	s_delay_alu instid0(SALU_CYCLE_1)
	s_and_b32 exec_lo, exec_lo, s13
	s_cbranch_execz .LBB89_10
; %bb.8:
	v_mov_b32_e32 v9, s1
.LBB89_9:                               ; =>This Inner Loop Header: Depth=1
	ds_cmpstore_rtn_b32 v9, v1, v3, v9 offset:416
	s_wait_dscnt 0x0
	v_cmp_ne_u32_e32 vcc_lo, 0, v9
	v_cmp_le_i32_e64 s1, v9, v3
	s_and_b32 s1, vcc_lo, s1
	s_delay_alu instid0(SALU_CYCLE_1) | instskip(NEXT) | instid1(SALU_CYCLE_1)
	s_and_b32 s1, exec_lo, s1
	s_or_b32 s5, s1, s5
	s_delay_alu instid0(SALU_CYCLE_1)
	s_and_not1_b32 exec_lo, exec_lo, s5
	s_cbranch_execnz .LBB89_9
.LBB89_10:
	s_or_b32 exec_lo, exec_lo, s4
	v_mov_b32_e32 v1, 0
	s_barrier_signal -1
	s_barrier_wait -1
	ds_load_b32 v3, v1 offset:416
	s_and_saveexec_b32 s1, s0
	s_cbranch_execz .LBB89_12
; %bb.11:
	s_lshl_b64 s[4:5], s[10:11], 2
	s_delay_alu instid0(SALU_CYCLE_1)
	s_add_nc_u64 s[4:5], s[6:7], s[4:5]
	s_wait_dscnt 0x0
	global_store_b32 v1, v3, s[4:5]
.LBB89_12:
	s_wait_xcnt 0x0
	s_or_b32 exec_lo, exec_lo, s1
	s_wait_dscnt 0x0
	v_cmp_ne_u32_e32 vcc_lo, 0, v3
	s_mov_b32 s1, 0
	s_cbranch_vccnz .LBB89_112
; %bb.13:
	v_lshl_add_u32 v3, v0, 3, 0
	v_add_nc_u32_e32 v1, 0xd0, v2
	scratch_load_b64 v[56:57], v3, off
	s_wait_loadcnt 0x0
	v_div_scale_f64 v[58:59], null, v[56:57], v[56:57], 1.0
	v_div_scale_f64 v[64:65], vcc_lo, 1.0, v[56:57], 1.0
	s_delay_alu instid0(VALU_DEP_2) | instskip(SKIP_1) | instid1(TRANS32_DEP_1)
	v_rcp_f64_e32 v[60:61], v[58:59]
	v_nop
	v_fma_f64 v[62:63], -v[58:59], v[60:61], 1.0
	s_delay_alu instid0(VALU_DEP_1) | instskip(NEXT) | instid1(VALU_DEP_1)
	v_fmac_f64_e32 v[60:61], v[60:61], v[62:63]
	v_fma_f64 v[62:63], -v[58:59], v[60:61], 1.0
	s_delay_alu instid0(VALU_DEP_1) | instskip(NEXT) | instid1(VALU_DEP_1)
	v_fmac_f64_e32 v[60:61], v[60:61], v[62:63]
	v_mul_f64_e32 v[62:63], v[64:65], v[60:61]
	s_delay_alu instid0(VALU_DEP_1) | instskip(NEXT) | instid1(VALU_DEP_1)
	v_fma_f64 v[58:59], -v[58:59], v[62:63], v[64:65]
	v_div_fmas_f64 v[58:59], v[58:59], v[60:61], v[62:63]
	s_delay_alu instid0(VALU_DEP_1)
	v_div_fixup_f64 v[56:57], v[58:59], v[56:57], 1.0
	scratch_store_b64 v3, v[56:57], off
	scratch_load_b64 v[58:59], off, off offset:8
	s_wait_xcnt 0x1
	v_xor_b32_e32 v57, 0x80000000, v57
	s_wait_loadcnt 0x0
	ds_store_2addr_b64 v2, v[56:57], v[58:59] offset1:26
	s_wait_storecnt_dscnt 0x0
	s_barrier_signal -1
	s_barrier_wait -1
	s_wait_xcnt 0x0
	s_and_saveexec_b32 s1, s0
	s_cbranch_execz .LBB89_15
; %bb.14:
	scratch_load_b64 v[56:57], v3, off
	ds_load_b64 v[58:59], v1
	s_wait_loadcnt_dscnt 0x0
	v_fma_f64 v[56:57], v[56:57], v[58:59], 0
	v_mov_b32_e32 v9, 0
	ds_load_b64 v[60:61], v9 offset:8
	s_wait_dscnt 0x0
	v_mul_f64_e32 v[56:57], v[56:57], v[60:61]
	scratch_store_b64 off, v[56:57], off offset:8
.LBB89_15:
	s_wait_xcnt 0x0
	s_or_b32 exec_lo, exec_lo, s1
	s_wait_storecnt 0x0
	s_barrier_signal -1
	s_barrier_wait -1
	scratch_load_b64 v[56:57], off, off offset:16
	s_mov_b32 s1, exec_lo
	s_wait_loadcnt 0x0
	ds_store_b64 v1, v[56:57]
	s_wait_dscnt 0x0
	s_barrier_signal -1
	s_barrier_wait -1
	v_cmpx_gt_u32_e32 2, v0
	s_cbranch_execz .LBB89_19
; %bb.16:
	scratch_load_b64 v[56:57], v3, off
	ds_load_b64 v[58:59], v1
	s_wait_loadcnt_dscnt 0x0
	v_fma_f64 v[56:57], v[56:57], v[58:59], 0
	s_and_saveexec_b32 s4, s0
	s_cbranch_execz .LBB89_18
; %bb.17:
	scratch_load_b64 v[58:59], off, off offset:8
	v_mov_b32_e32 v3, 0
	ds_load_b64 v[60:61], v3 offset:216
	s_wait_loadcnt_dscnt 0x0
	v_fmac_f64_e32 v[56:57], v[58:59], v[60:61]
.LBB89_18:
	s_or_b32 exec_lo, exec_lo, s4
	v_mov_b32_e32 v3, 0
	ds_load_b64 v[58:59], v3 offset:16
	s_wait_dscnt 0x0
	v_mul_f64_e32 v[56:57], v[56:57], v[58:59]
	scratch_store_b64 off, v[56:57], off offset:16
.LBB89_19:
	s_wait_xcnt 0x0
	s_or_b32 exec_lo, exec_lo, s1
	s_wait_storecnt 0x0
	s_barrier_signal -1
	s_barrier_wait -1
	scratch_load_b64 v[56:57], off, off offset:24
	v_add_nc_u32_e32 v3, -1, v0
	s_mov_b32 s0, exec_lo
	s_wait_loadcnt 0x0
	ds_store_b64 v1, v[56:57]
	s_wait_dscnt 0x0
	s_barrier_signal -1
	s_barrier_wait -1
	v_cmpx_gt_u32_e32 3, v0
	s_cbranch_execz .LBB89_23
; %bb.20:
	v_mov_b64_e32 v[56:57], 0
	v_dual_add_nc_u32 v9, -1, v0 :: v_dual_mov_b32 v13, v2
	v_add_nc_u32_e32 v11, 0xd0, v2
	s_mov_b32 s1, 0
.LBB89_21:                              ; =>This Inner Loop Header: Depth=1
	scratch_load_b64 v[58:59], v13, off
	ds_load_b64 v[60:61], v11
	v_dual_add_nc_u32 v9, 1, v9 :: v_dual_add_nc_u32 v11, 8, v11
	s_wait_xcnt 0x0
	v_add_nc_u32_e32 v13, 8, v13
	s_delay_alu instid0(VALU_DEP_2)
	v_cmp_lt_u32_e32 vcc_lo, 1, v9
	s_or_b32 s1, vcc_lo, s1
	s_wait_loadcnt_dscnt 0x0
	v_fmac_f64_e32 v[56:57], v[58:59], v[60:61]
	s_and_not1_b32 exec_lo, exec_lo, s1
	s_cbranch_execnz .LBB89_21
; %bb.22:
	s_or_b32 exec_lo, exec_lo, s1
	v_mov_b32_e32 v9, 0
	ds_load_b64 v[58:59], v9 offset:24
	s_wait_dscnt 0x0
	v_mul_f64_e32 v[56:57], v[56:57], v[58:59]
	scratch_store_b64 off, v[56:57], off offset:24
.LBB89_23:
	s_wait_xcnt 0x0
	s_or_b32 exec_lo, exec_lo, s0
	s_wait_storecnt 0x0
	s_barrier_signal -1
	s_barrier_wait -1
	scratch_load_b64 v[56:57], off, off offset:32
	s_mov_b32 s0, exec_lo
	s_wait_loadcnt 0x0
	ds_store_b64 v1, v[56:57]
	s_wait_dscnt 0x0
	s_barrier_signal -1
	s_barrier_wait -1
	v_cmpx_gt_u32_e32 4, v0
	s_cbranch_execz .LBB89_27
; %bb.24:
	v_mov_b64_e32 v[56:57], 0
	v_dual_add_nc_u32 v9, -1, v0 :: v_dual_mov_b32 v13, v2
	v_add_nc_u32_e32 v11, 0xd0, v2
	s_mov_b32 s1, 0
.LBB89_25:                              ; =>This Inner Loop Header: Depth=1
	scratch_load_b64 v[58:59], v13, off
	ds_load_b64 v[60:61], v11
	v_dual_add_nc_u32 v9, 1, v9 :: v_dual_add_nc_u32 v11, 8, v11
	s_wait_xcnt 0x0
	v_add_nc_u32_e32 v13, 8, v13
	s_delay_alu instid0(VALU_DEP_2)
	v_cmp_lt_u32_e32 vcc_lo, 2, v9
	s_or_b32 s1, vcc_lo, s1
	s_wait_loadcnt_dscnt 0x0
	v_fmac_f64_e32 v[56:57], v[58:59], v[60:61]
	s_and_not1_b32 exec_lo, exec_lo, s1
	s_cbranch_execnz .LBB89_25
; %bb.26:
	s_or_b32 exec_lo, exec_lo, s1
	v_mov_b32_e32 v9, 0
	ds_load_b64 v[58:59], v9 offset:32
	s_wait_dscnt 0x0
	v_mul_f64_e32 v[56:57], v[56:57], v[58:59]
	scratch_store_b64 off, v[56:57], off offset:32
.LBB89_27:
	s_wait_xcnt 0x0
	s_or_b32 exec_lo, exec_lo, s0
	s_wait_storecnt 0x0
	s_barrier_signal -1
	s_barrier_wait -1
	scratch_load_b64 v[56:57], off, off offset:40
	;; [unrolled: 40-line block ×20, first 2 shown]
	s_mov_b32 s0, exec_lo
	s_wait_loadcnt 0x0
	ds_store_b64 v1, v[56:57]
	s_wait_dscnt 0x0
	s_barrier_signal -1
	s_barrier_wait -1
	v_cmpx_gt_u32_e32 23, v0
	s_cbranch_execz .LBB89_103
; %bb.100:
	v_mov_b64_e32 v[56:57], 0
	v_dual_add_nc_u32 v9, -1, v0 :: v_dual_mov_b32 v13, v2
	v_add_nc_u32_e32 v11, 0xd0, v2
	s_mov_b32 s1, 0
.LBB89_101:                             ; =>This Inner Loop Header: Depth=1
	scratch_load_b64 v[58:59], v13, off
	ds_load_b64 v[60:61], v11
	v_dual_add_nc_u32 v9, 1, v9 :: v_dual_add_nc_u32 v11, 8, v11
	s_wait_xcnt 0x0
	v_add_nc_u32_e32 v13, 8, v13
	s_delay_alu instid0(VALU_DEP_2)
	v_cmp_lt_u32_e32 vcc_lo, 21, v9
	s_or_b32 s1, vcc_lo, s1
	s_wait_loadcnt_dscnt 0x0
	v_fmac_f64_e32 v[56:57], v[58:59], v[60:61]
	s_and_not1_b32 exec_lo, exec_lo, s1
	s_cbranch_execnz .LBB89_101
; %bb.102:
	s_or_b32 exec_lo, exec_lo, s1
	v_mov_b32_e32 v9, 0
	ds_load_b64 v[58:59], v9 offset:184
	s_wait_dscnt 0x0
	v_mul_f64_e32 v[56:57], v[56:57], v[58:59]
	scratch_store_b64 off, v[56:57], off offset:184
.LBB89_103:
	s_wait_xcnt 0x0
	s_or_b32 exec_lo, exec_lo, s0
	s_wait_storecnt 0x0
	s_barrier_signal -1
	s_barrier_wait -1
	scratch_load_b64 v[56:57], off, off offset:192
	s_mov_b32 s0, exec_lo
	s_wait_loadcnt 0x0
	ds_store_b64 v1, v[56:57]
	s_wait_dscnt 0x0
	s_barrier_signal -1
	s_barrier_wait -1
	v_cmpx_gt_u32_e32 24, v0
	s_cbranch_execz .LBB89_107
; %bb.104:
	v_mov_b64_e32 v[56:57], 0
	v_dual_add_nc_u32 v9, -1, v0 :: v_dual_mov_b32 v13, v2
	v_add_nc_u32_e32 v11, 0xd0, v2
	s_mov_b32 s1, 0
.LBB89_105:                             ; =>This Inner Loop Header: Depth=1
	scratch_load_b64 v[58:59], v13, off
	ds_load_b64 v[60:61], v11
	v_dual_add_nc_u32 v9, 1, v9 :: v_dual_add_nc_u32 v11, 8, v11
	s_wait_xcnt 0x0
	v_add_nc_u32_e32 v13, 8, v13
	s_delay_alu instid0(VALU_DEP_2)
	v_cmp_lt_u32_e32 vcc_lo, 22, v9
	s_or_b32 s1, vcc_lo, s1
	s_wait_loadcnt_dscnt 0x0
	v_fmac_f64_e32 v[56:57], v[58:59], v[60:61]
	s_and_not1_b32 exec_lo, exec_lo, s1
	s_cbranch_execnz .LBB89_105
; %bb.106:
	s_or_b32 exec_lo, exec_lo, s1
	v_mov_b32_e32 v9, 0
	ds_load_b64 v[58:59], v9 offset:192
	s_wait_dscnt 0x0
	v_mul_f64_e32 v[56:57], v[56:57], v[58:59]
	scratch_store_b64 off, v[56:57], off offset:192
.LBB89_107:
	s_wait_xcnt 0x0
	s_or_b32 exec_lo, exec_lo, s0
	s_wait_storecnt 0x0
	s_barrier_signal -1
	s_barrier_wait -1
	scratch_load_b64 v[56:57], off, off offset:200
	s_mov_b32 s0, exec_lo
	s_wait_loadcnt 0x0
	ds_store_b64 v1, v[56:57]
	s_wait_dscnt 0x0
	s_barrier_signal -1
	s_barrier_wait -1
	v_cmpx_ne_u32_e32 25, v0
	s_cbranch_execz .LBB89_111
; %bb.108:
	v_mov_b64_e32 v[56:57], 0
	s_mov_b32 s1, 0
.LBB89_109:                             ; =>This Inner Loop Header: Depth=1
	scratch_load_b64 v[58:59], v2, off
	ds_load_b64 v[60:61], v1
	v_dual_add_nc_u32 v3, 1, v3 :: v_dual_add_nc_u32 v1, 8, v1
	s_wait_xcnt 0x0
	v_add_nc_u32_e32 v2, 8, v2
	s_delay_alu instid0(VALU_DEP_2)
	v_cmp_lt_u32_e32 vcc_lo, 23, v3
	s_or_b32 s1, vcc_lo, s1
	s_wait_loadcnt_dscnt 0x0
	v_fmac_f64_e32 v[56:57], v[58:59], v[60:61]
	s_and_not1_b32 exec_lo, exec_lo, s1
	s_cbranch_execnz .LBB89_109
; %bb.110:
	s_or_b32 exec_lo, exec_lo, s1
	v_mov_b32_e32 v1, 0
	ds_load_b64 v[2:3], v1 offset:200
	s_wait_dscnt 0x0
	v_mul_f64_e32 v[2:3], v[56:57], v[2:3]
	scratch_store_b64 off, v[2:3], off offset:200
.LBB89_111:
	s_wait_xcnt 0x0
	s_or_b32 exec_lo, exec_lo, s0
	s_mov_b32 s1, -1
	s_wait_storecnt 0x0
	s_barrier_signal -1
	s_barrier_wait -1
.LBB89_112:
	s_and_b32 vcc_lo, exec_lo, s1
	s_cbranch_vccz .LBB89_114
; %bb.113:
	v_mov_b32_e32 v1, 0
	s_lshl_b64 s[0:1], s[10:11], 2
	s_delay_alu instid0(SALU_CYCLE_1)
	s_add_nc_u64 s[0:1], s[6:7], s[0:1]
	global_load_b32 v1, v1, s[0:1]
	s_wait_loadcnt 0x0
	v_cmp_ne_u32_e32 vcc_lo, 0, v1
	s_cbranch_vccz .LBB89_115
.LBB89_114:
	s_sendmsg sendmsg(MSG_DEALLOC_VGPRS)
	s_endpgm
.LBB89_115:
	s_wait_xcnt 0x0
	v_lshl_add_u32 v1, v0, 3, 0xd0
	s_mov_b32 s0, exec_lo
	v_cmpx_eq_u32_e32 25, v0
	s_cbranch_execz .LBB89_117
; %bb.116:
	scratch_load_b64 v[2:3], off, off offset:192
	v_mov_b64_e32 v[56:57], 0
	scratch_store_b64 off, v[56:57], off offset:192
	s_wait_loadcnt 0x0
	ds_store_b64 v1, v[2:3]
.LBB89_117:
	s_wait_xcnt 0x0
	s_or_b32 exec_lo, exec_lo, s0
	s_wait_storecnt_dscnt 0x0
	s_barrier_signal -1
	s_barrier_wait -1
	scratch_load_b128 v[56:59], off, off offset:192
	v_mov_b32_e32 v2, 0
	s_mov_b32 s0, exec_lo
	ds_load_b64 v[60:61], v2 offset:408
	s_wait_loadcnt_dscnt 0x0
	v_fma_f64 v[58:59], v[58:59], v[60:61], 0
	s_delay_alu instid0(VALU_DEP_1)
	v_add_f64_e64 v[56:57], v[56:57], -v[58:59]
	scratch_store_b64 off, v[56:57], off offset:192
	s_wait_xcnt 0x0
	v_cmpx_lt_u32_e32 23, v0
	s_cbranch_execz .LBB89_119
; %bb.118:
	scratch_load_b64 v[56:57], off, off offset:184
	v_mov_b64_e32 v[58:59], 0
	scratch_store_b64 off, v[58:59], off offset:184
	s_wait_loadcnt 0x0
	ds_store_b64 v1, v[56:57]
.LBB89_119:
	s_wait_xcnt 0x0
	s_or_b32 exec_lo, exec_lo, s0
	s_wait_storecnt_dscnt 0x0
	s_barrier_signal -1
	s_barrier_wait -1
	s_clause 0x1
	scratch_load_b128 v[56:59], off, off offset:184
	scratch_load_b64 v[64:65], off, off offset:200
	ds_load_b128 v[60:63], v2 offset:400
	s_mov_b32 s0, exec_lo
	s_wait_loadcnt_dscnt 0x100
	v_fma_f64 v[2:3], v[58:59], v[60:61], 0
	s_wait_loadcnt 0x0
	s_delay_alu instid0(VALU_DEP_1) | instskip(NEXT) | instid1(VALU_DEP_1)
	v_fmac_f64_e32 v[2:3], v[64:65], v[62:63]
	v_add_f64_e64 v[2:3], v[56:57], -v[2:3]
	scratch_store_b64 off, v[2:3], off offset:184
	s_wait_xcnt 0x0
	v_cmpx_lt_u32_e32 22, v0
	s_cbranch_execz .LBB89_121
; %bb.120:
	scratch_load_b64 v[2:3], off, off offset:176
	v_mov_b64_e32 v[56:57], 0
	scratch_store_b64 off, v[56:57], off offset:176
	s_wait_loadcnt 0x0
	ds_store_b64 v1, v[2:3]
.LBB89_121:
	s_wait_xcnt 0x0
	s_or_b32 exec_lo, exec_lo, s0
	s_wait_storecnt_dscnt 0x0
	s_barrier_signal -1
	s_barrier_wait -1
	s_clause 0x1
	scratch_load_b128 v[56:59], off, off offset:176
	scratch_load_b128 v[60:63], off, off offset:192
	v_mov_b32_e32 v2, 0
	ds_load_2addr_b64 v[64:67], v2 offset0:49 offset1:50
	ds_load_b64 v[68:69], v2 offset:408
	s_mov_b32 s0, exec_lo
	s_wait_loadcnt_dscnt 0x101
	v_fma_f64 v[58:59], v[58:59], v[64:65], 0
	s_wait_loadcnt 0x0
	s_delay_alu instid0(VALU_DEP_1) | instskip(SKIP_1) | instid1(VALU_DEP_1)
	v_fmac_f64_e32 v[58:59], v[60:61], v[66:67]
	s_wait_dscnt 0x0
	v_fmac_f64_e32 v[58:59], v[62:63], v[68:69]
	s_delay_alu instid0(VALU_DEP_1)
	v_add_f64_e64 v[56:57], v[56:57], -v[58:59]
	scratch_store_b64 off, v[56:57], off offset:176
	s_wait_xcnt 0x0
	v_cmpx_lt_u32_e32 21, v0
	s_cbranch_execz .LBB89_123
; %bb.122:
	scratch_load_b64 v[56:57], off, off offset:168
	v_mov_b64_e32 v[58:59], 0
	scratch_store_b64 off, v[58:59], off offset:168
	s_wait_loadcnt 0x0
	ds_store_b64 v1, v[56:57]
.LBB89_123:
	s_wait_xcnt 0x0
	s_or_b32 exec_lo, exec_lo, s0
	s_wait_storecnt_dscnt 0x0
	s_barrier_signal -1
	s_barrier_wait -1
	s_clause 0x2
	scratch_load_b128 v[56:59], off, off offset:168
	scratch_load_b128 v[60:63], off, off offset:184
	scratch_load_b64 v[72:73], off, off offset:200
	ds_load_b128 v[64:67], v2 offset:384
	ds_load_b128 v[68:71], v2 offset:400
	s_mov_b32 s0, exec_lo
	s_wait_loadcnt_dscnt 0x201
	v_fma_f64 v[2:3], v[58:59], v[64:65], 0
	s_wait_loadcnt 0x1
	s_delay_alu instid0(VALU_DEP_1) | instskip(SKIP_1) | instid1(VALU_DEP_1)
	v_fmac_f64_e32 v[2:3], v[60:61], v[66:67]
	s_wait_dscnt 0x0
	v_fmac_f64_e32 v[2:3], v[62:63], v[68:69]
	s_wait_loadcnt 0x0
	s_delay_alu instid0(VALU_DEP_1) | instskip(NEXT) | instid1(VALU_DEP_1)
	v_fmac_f64_e32 v[2:3], v[72:73], v[70:71]
	v_add_f64_e64 v[2:3], v[56:57], -v[2:3]
	scratch_store_b64 off, v[2:3], off offset:168
	s_wait_xcnt 0x0
	v_cmpx_lt_u32_e32 20, v0
	s_cbranch_execz .LBB89_125
; %bb.124:
	scratch_load_b64 v[2:3], off, off offset:160
	v_mov_b64_e32 v[56:57], 0
	scratch_store_b64 off, v[56:57], off offset:160
	s_wait_loadcnt 0x0
	ds_store_b64 v1, v[2:3]
.LBB89_125:
	s_wait_xcnt 0x0
	s_or_b32 exec_lo, exec_lo, s0
	s_wait_storecnt_dscnt 0x0
	s_barrier_signal -1
	s_barrier_wait -1
	s_clause 0x2
	scratch_load_b128 v[56:59], off, off offset:160
	scratch_load_b128 v[60:63], off, off offset:176
	;; [unrolled: 1-line block ×3, first 2 shown]
	v_mov_b32_e32 v2, 0
	ds_load_2addr_b64 v[68:71], v2 offset0:47 offset1:48
	ds_load_2addr_b64 v[72:75], v2 offset0:49 offset1:50
	s_mov_b32 s0, exec_lo
	s_wait_loadcnt_dscnt 0x201
	v_fma_f64 v[58:59], v[58:59], v[68:69], 0
	s_wait_loadcnt 0x1
	s_delay_alu instid0(VALU_DEP_1) | instskip(SKIP_4) | instid1(VALU_DEP_1)
	v_fmac_f64_e32 v[58:59], v[60:61], v[70:71]
	ds_load_b64 v[60:61], v2 offset:408
	s_wait_dscnt 0x1
	v_fmac_f64_e32 v[58:59], v[62:63], v[72:73]
	s_wait_loadcnt 0x0
	v_fmac_f64_e32 v[58:59], v[64:65], v[74:75]
	s_wait_dscnt 0x0
	s_delay_alu instid0(VALU_DEP_1) | instskip(NEXT) | instid1(VALU_DEP_1)
	v_fmac_f64_e32 v[58:59], v[66:67], v[60:61]
	v_add_f64_e64 v[56:57], v[56:57], -v[58:59]
	scratch_store_b64 off, v[56:57], off offset:160
	s_wait_xcnt 0x0
	v_cmpx_lt_u32_e32 19, v0
	s_cbranch_execz .LBB89_127
; %bb.126:
	scratch_load_b64 v[56:57], off, off offset:152
	v_mov_b64_e32 v[58:59], 0
	scratch_store_b64 off, v[58:59], off offset:152
	s_wait_loadcnt 0x0
	ds_store_b64 v1, v[56:57]
.LBB89_127:
	s_wait_xcnt 0x0
	s_or_b32 exec_lo, exec_lo, s0
	s_wait_storecnt_dscnt 0x0
	s_barrier_signal -1
	s_barrier_wait -1
	s_clause 0x3
	scratch_load_b128 v[56:59], off, off offset:152
	scratch_load_b128 v[60:63], off, off offset:168
	;; [unrolled: 1-line block ×3, first 2 shown]
	scratch_load_b64 v[76:77], off, off offset:200
	ds_load_b128 v[68:71], v2 offset:368
	ds_load_b128 v[72:75], v2 offset:384
	s_mov_b32 s0, exec_lo
	s_wait_loadcnt_dscnt 0x301
	v_fma_f64 v[68:69], v[58:59], v[68:69], 0
	s_wait_loadcnt 0x2
	s_delay_alu instid0(VALU_DEP_1) | instskip(SKIP_4) | instid1(VALU_DEP_1)
	v_fmac_f64_e32 v[68:69], v[60:61], v[70:71]
	ds_load_b128 v[58:61], v2 offset:400
	s_wait_dscnt 0x1
	v_fmac_f64_e32 v[68:69], v[62:63], v[72:73]
	s_wait_loadcnt 0x1
	v_fmac_f64_e32 v[68:69], v[64:65], v[74:75]
	s_wait_dscnt 0x0
	s_delay_alu instid0(VALU_DEP_1) | instskip(SKIP_1) | instid1(VALU_DEP_1)
	v_fmac_f64_e32 v[68:69], v[66:67], v[58:59]
	s_wait_loadcnt 0x0
	v_fmac_f64_e32 v[68:69], v[76:77], v[60:61]
	s_delay_alu instid0(VALU_DEP_1)
	v_add_f64_e64 v[2:3], v[56:57], -v[68:69]
	scratch_store_b64 off, v[2:3], off offset:152
	s_wait_xcnt 0x0
	v_cmpx_lt_u32_e32 18, v0
	s_cbranch_execz .LBB89_129
; %bb.128:
	scratch_load_b64 v[2:3], off, off offset:144
	v_mov_b64_e32 v[56:57], 0
	scratch_store_b64 off, v[56:57], off offset:144
	s_wait_loadcnt 0x0
	ds_store_b64 v1, v[2:3]
.LBB89_129:
	s_wait_xcnt 0x0
	s_or_b32 exec_lo, exec_lo, s0
	s_wait_storecnt_dscnt 0x0
	s_barrier_signal -1
	s_barrier_wait -1
	s_clause 0x3
	scratch_load_b128 v[56:59], off, off offset:144
	scratch_load_b128 v[60:63], off, off offset:160
	;; [unrolled: 1-line block ×4, first 2 shown]
	v_mov_b32_e32 v2, 0
	ds_load_2addr_b64 v[72:75], v2 offset0:45 offset1:46
	ds_load_2addr_b64 v[76:79], v2 offset0:47 offset1:48
	s_mov_b32 s0, exec_lo
	s_wait_loadcnt_dscnt 0x301
	v_fma_f64 v[72:73], v[58:59], v[72:73], 0
	s_wait_loadcnt 0x2
	s_delay_alu instid0(VALU_DEP_1) | instskip(SKIP_1) | instid1(VALU_DEP_1)
	v_fmac_f64_e32 v[72:73], v[60:61], v[74:75]
	s_wait_dscnt 0x0
	v_fmac_f64_e32 v[72:73], v[62:63], v[76:77]
	ds_load_2addr_b64 v[58:61], v2 offset0:49 offset1:50
	ds_load_b64 v[62:63], v2 offset:408
	s_wait_loadcnt 0x1
	v_fmac_f64_e32 v[72:73], v[64:65], v[78:79]
	s_wait_dscnt 0x1
	s_delay_alu instid0(VALU_DEP_1) | instskip(SKIP_1) | instid1(VALU_DEP_1)
	v_fmac_f64_e32 v[72:73], v[66:67], v[58:59]
	s_wait_loadcnt 0x0
	v_fmac_f64_e32 v[72:73], v[68:69], v[60:61]
	s_wait_dscnt 0x0
	s_delay_alu instid0(VALU_DEP_1) | instskip(NEXT) | instid1(VALU_DEP_1)
	v_fmac_f64_e32 v[72:73], v[70:71], v[62:63]
	v_add_f64_e64 v[56:57], v[56:57], -v[72:73]
	scratch_store_b64 off, v[56:57], off offset:144
	s_wait_xcnt 0x0
	v_cmpx_lt_u32_e32 17, v0
	s_cbranch_execz .LBB89_131
; %bb.130:
	scratch_load_b64 v[56:57], off, off offset:136
	v_mov_b64_e32 v[58:59], 0
	scratch_store_b64 off, v[58:59], off offset:136
	s_wait_loadcnt 0x0
	ds_store_b64 v1, v[56:57]
.LBB89_131:
	s_wait_xcnt 0x0
	s_or_b32 exec_lo, exec_lo, s0
	s_wait_storecnt_dscnt 0x0
	s_barrier_signal -1
	s_barrier_wait -1
	s_clause 0x4
	scratch_load_b128 v[56:59], off, off offset:136
	scratch_load_b128 v[60:63], off, off offset:152
	;; [unrolled: 1-line block ×4, first 2 shown]
	scratch_load_b64 v[80:81], off, off offset:200
	ds_load_b128 v[72:75], v2 offset:352
	ds_load_b128 v[76:79], v2 offset:368
	s_mov_b32 s0, exec_lo
	s_wait_loadcnt_dscnt 0x401
	v_fma_f64 v[72:73], v[58:59], v[72:73], 0
	s_wait_loadcnt 0x3
	s_delay_alu instid0(VALU_DEP_1) | instskip(SKIP_1) | instid1(VALU_DEP_1)
	v_fmac_f64_e32 v[72:73], v[60:61], v[74:75]
	s_wait_dscnt 0x0
	v_fmac_f64_e32 v[72:73], v[62:63], v[76:77]
	s_wait_loadcnt 0x2
	s_delay_alu instid0(VALU_DEP_1)
	v_fmac_f64_e32 v[72:73], v[64:65], v[78:79]
	ds_load_b128 v[58:61], v2 offset:384
	ds_load_b128 v[62:65], v2 offset:400
	s_wait_dscnt 0x1
	v_fmac_f64_e32 v[72:73], v[66:67], v[58:59]
	s_wait_loadcnt 0x1
	s_delay_alu instid0(VALU_DEP_1) | instskip(SKIP_1) | instid1(VALU_DEP_1)
	v_fmac_f64_e32 v[72:73], v[68:69], v[60:61]
	s_wait_dscnt 0x0
	v_fmac_f64_e32 v[72:73], v[70:71], v[62:63]
	s_wait_loadcnt 0x0
	s_delay_alu instid0(VALU_DEP_1) | instskip(NEXT) | instid1(VALU_DEP_1)
	v_fmac_f64_e32 v[72:73], v[80:81], v[64:65]
	v_add_f64_e64 v[2:3], v[56:57], -v[72:73]
	scratch_store_b64 off, v[2:3], off offset:136
	s_wait_xcnt 0x0
	v_cmpx_lt_u32_e32 16, v0
	s_cbranch_execz .LBB89_133
; %bb.132:
	scratch_load_b64 v[2:3], off, off offset:128
	v_mov_b64_e32 v[56:57], 0
	scratch_store_b64 off, v[56:57], off offset:128
	s_wait_loadcnt 0x0
	ds_store_b64 v1, v[2:3]
.LBB89_133:
	s_wait_xcnt 0x0
	s_or_b32 exec_lo, exec_lo, s0
	s_wait_storecnt_dscnt 0x0
	s_barrier_signal -1
	s_barrier_wait -1
	s_clause 0x4
	scratch_load_b128 v[56:59], off, off offset:128
	scratch_load_b128 v[60:63], off, off offset:144
	;; [unrolled: 1-line block ×5, first 2 shown]
	v_mov_b32_e32 v2, 0
	ds_load_2addr_b64 v[76:79], v2 offset0:43 offset1:44
	ds_load_2addr_b64 v[80:83], v2 offset0:45 offset1:46
	s_mov_b32 s0, exec_lo
	s_wait_loadcnt_dscnt 0x401
	v_fma_f64 v[76:77], v[58:59], v[76:77], 0
	s_wait_loadcnt 0x3
	s_delay_alu instid0(VALU_DEP_1) | instskip(SKIP_1) | instid1(VALU_DEP_1)
	v_fmac_f64_e32 v[76:77], v[60:61], v[78:79]
	s_wait_dscnt 0x0
	v_fmac_f64_e32 v[76:77], v[62:63], v[80:81]
	s_wait_loadcnt 0x2
	s_delay_alu instid0(VALU_DEP_1)
	v_fmac_f64_e32 v[76:77], v[64:65], v[82:83]
	ds_load_2addr_b64 v[58:61], v2 offset0:47 offset1:48
	ds_load_2addr_b64 v[62:65], v2 offset0:49 offset1:50
	s_wait_dscnt 0x1
	v_fmac_f64_e32 v[76:77], v[66:67], v[58:59]
	ds_load_b64 v[58:59], v2 offset:408
	s_wait_loadcnt 0x1
	v_fmac_f64_e32 v[76:77], v[68:69], v[60:61]
	s_wait_dscnt 0x1
	s_delay_alu instid0(VALU_DEP_1) | instskip(SKIP_1) | instid1(VALU_DEP_1)
	v_fmac_f64_e32 v[76:77], v[70:71], v[62:63]
	s_wait_loadcnt 0x0
	v_fmac_f64_e32 v[76:77], v[72:73], v[64:65]
	s_wait_dscnt 0x0
	s_delay_alu instid0(VALU_DEP_1) | instskip(NEXT) | instid1(VALU_DEP_1)
	v_fmac_f64_e32 v[76:77], v[74:75], v[58:59]
	v_add_f64_e64 v[56:57], v[56:57], -v[76:77]
	scratch_store_b64 off, v[56:57], off offset:128
	s_wait_xcnt 0x0
	v_cmpx_lt_u32_e32 15, v0
	s_cbranch_execz .LBB89_135
; %bb.134:
	scratch_load_b64 v[56:57], off, off offset:120
	v_mov_b64_e32 v[58:59], 0
	scratch_store_b64 off, v[58:59], off offset:120
	s_wait_loadcnt 0x0
	ds_store_b64 v1, v[56:57]
.LBB89_135:
	s_wait_xcnt 0x0
	s_or_b32 exec_lo, exec_lo, s0
	s_wait_storecnt_dscnt 0x0
	s_barrier_signal -1
	s_barrier_wait -1
	s_clause 0x5
	scratch_load_b128 v[56:59], off, off offset:120
	scratch_load_b128 v[60:63], off, off offset:136
	;; [unrolled: 1-line block ×5, first 2 shown]
	scratch_load_b64 v[84:85], off, off offset:200
	ds_load_b128 v[76:79], v2 offset:336
	ds_load_b128 v[80:83], v2 offset:352
	s_mov_b32 s0, exec_lo
	s_wait_loadcnt_dscnt 0x501
	v_fma_f64 v[76:77], v[58:59], v[76:77], 0
	s_wait_loadcnt 0x4
	s_delay_alu instid0(VALU_DEP_1) | instskip(SKIP_1) | instid1(VALU_DEP_1)
	v_fmac_f64_e32 v[76:77], v[60:61], v[78:79]
	s_wait_dscnt 0x0
	v_fmac_f64_e32 v[76:77], v[62:63], v[80:81]
	s_wait_loadcnt 0x3
	s_delay_alu instid0(VALU_DEP_1)
	v_fmac_f64_e32 v[76:77], v[64:65], v[82:83]
	ds_load_b128 v[58:61], v2 offset:368
	ds_load_b128 v[62:65], v2 offset:384
	s_wait_dscnt 0x1
	v_fmac_f64_e32 v[76:77], v[66:67], v[58:59]
	s_wait_loadcnt 0x2
	s_delay_alu instid0(VALU_DEP_1) | instskip(SKIP_4) | instid1(VALU_DEP_1)
	v_fmac_f64_e32 v[76:77], v[68:69], v[60:61]
	ds_load_b128 v[58:61], v2 offset:400
	s_wait_dscnt 0x1
	v_fmac_f64_e32 v[76:77], v[70:71], v[62:63]
	s_wait_loadcnt 0x1
	v_fmac_f64_e32 v[76:77], v[72:73], v[64:65]
	s_wait_dscnt 0x0
	s_delay_alu instid0(VALU_DEP_1) | instskip(SKIP_1) | instid1(VALU_DEP_1)
	v_fmac_f64_e32 v[76:77], v[74:75], v[58:59]
	s_wait_loadcnt 0x0
	v_fmac_f64_e32 v[76:77], v[84:85], v[60:61]
	s_delay_alu instid0(VALU_DEP_1)
	v_add_f64_e64 v[2:3], v[56:57], -v[76:77]
	scratch_store_b64 off, v[2:3], off offset:120
	s_wait_xcnt 0x0
	v_cmpx_lt_u32_e32 14, v0
	s_cbranch_execz .LBB89_137
; %bb.136:
	scratch_load_b64 v[2:3], off, off offset:112
	v_mov_b64_e32 v[56:57], 0
	scratch_store_b64 off, v[56:57], off offset:112
	s_wait_loadcnt 0x0
	ds_store_b64 v1, v[2:3]
.LBB89_137:
	s_wait_xcnt 0x0
	s_or_b32 exec_lo, exec_lo, s0
	s_wait_storecnt_dscnt 0x0
	s_barrier_signal -1
	s_barrier_wait -1
	s_clause 0x5
	scratch_load_b128 v[56:59], off, off offset:112
	scratch_load_b128 v[60:63], off, off offset:128
	;; [unrolled: 1-line block ×6, first 2 shown]
	v_mov_b32_e32 v2, 0
	ds_load_2addr_b64 v[80:83], v2 offset0:41 offset1:42
	ds_load_2addr_b64 v[84:87], v2 offset0:43 offset1:44
	s_mov_b32 s0, exec_lo
	s_wait_loadcnt_dscnt 0x501
	v_fma_f64 v[80:81], v[58:59], v[80:81], 0
	s_wait_loadcnt 0x4
	s_delay_alu instid0(VALU_DEP_1) | instskip(SKIP_1) | instid1(VALU_DEP_1)
	v_fmac_f64_e32 v[80:81], v[60:61], v[82:83]
	s_wait_dscnt 0x0
	v_fmac_f64_e32 v[80:81], v[62:63], v[84:85]
	s_wait_loadcnt 0x3
	s_delay_alu instid0(VALU_DEP_1)
	v_fmac_f64_e32 v[80:81], v[64:65], v[86:87]
	ds_load_2addr_b64 v[58:61], v2 offset0:45 offset1:46
	ds_load_2addr_b64 v[62:65], v2 offset0:47 offset1:48
	s_wait_dscnt 0x1
	v_fmac_f64_e32 v[80:81], v[66:67], v[58:59]
	s_wait_loadcnt 0x2
	s_delay_alu instid0(VALU_DEP_1) | instskip(SKIP_1) | instid1(VALU_DEP_1)
	v_fmac_f64_e32 v[80:81], v[68:69], v[60:61]
	s_wait_dscnt 0x0
	v_fmac_f64_e32 v[80:81], v[70:71], v[62:63]
	ds_load_2addr_b64 v[58:61], v2 offset0:49 offset1:50
	ds_load_b64 v[62:63], v2 offset:408
	s_wait_loadcnt 0x1
	v_fmac_f64_e32 v[80:81], v[72:73], v[64:65]
	s_wait_dscnt 0x1
	s_delay_alu instid0(VALU_DEP_1) | instskip(SKIP_1) | instid1(VALU_DEP_1)
	v_fmac_f64_e32 v[80:81], v[74:75], v[58:59]
	s_wait_loadcnt 0x0
	v_fmac_f64_e32 v[80:81], v[76:77], v[60:61]
	s_wait_dscnt 0x0
	s_delay_alu instid0(VALU_DEP_1) | instskip(NEXT) | instid1(VALU_DEP_1)
	v_fmac_f64_e32 v[80:81], v[78:79], v[62:63]
	v_add_f64_e64 v[56:57], v[56:57], -v[80:81]
	scratch_store_b64 off, v[56:57], off offset:112
	s_wait_xcnt 0x0
	v_cmpx_lt_u32_e32 13, v0
	s_cbranch_execz .LBB89_139
; %bb.138:
	scratch_load_b64 v[56:57], off, off offset:104
	v_mov_b64_e32 v[58:59], 0
	scratch_store_b64 off, v[58:59], off offset:104
	s_wait_loadcnt 0x0
	ds_store_b64 v1, v[56:57]
.LBB89_139:
	s_wait_xcnt 0x0
	s_or_b32 exec_lo, exec_lo, s0
	s_wait_storecnt_dscnt 0x0
	s_barrier_signal -1
	s_barrier_wait -1
	s_clause 0x5
	scratch_load_b128 v[56:59], off, off offset:104
	scratch_load_b128 v[60:63], off, off offset:120
	;; [unrolled: 1-line block ×6, first 2 shown]
	ds_load_b128 v[80:83], v2 offset:320
	ds_load_b128 v[84:87], v2 offset:336
	s_mov_b32 s0, exec_lo
	s_wait_loadcnt_dscnt 0x501
	v_fma_f64 v[80:81], v[58:59], v[80:81], 0
	s_wait_loadcnt 0x4
	s_delay_alu instid0(VALU_DEP_1) | instskip(SKIP_4) | instid1(VALU_DEP_1)
	v_fmac_f64_e32 v[80:81], v[60:61], v[82:83]
	scratch_load_b64 v[82:83], off, off offset:200
	s_wait_dscnt 0x0
	v_fmac_f64_e32 v[80:81], v[62:63], v[84:85]
	s_wait_loadcnt 0x4
	v_fmac_f64_e32 v[80:81], v[64:65], v[86:87]
	ds_load_b128 v[58:61], v2 offset:352
	ds_load_b128 v[62:65], v2 offset:368
	s_wait_dscnt 0x1
	v_fmac_f64_e32 v[80:81], v[66:67], v[58:59]
	s_wait_loadcnt 0x3
	s_delay_alu instid0(VALU_DEP_1) | instskip(SKIP_1) | instid1(VALU_DEP_1)
	v_fmac_f64_e32 v[80:81], v[68:69], v[60:61]
	s_wait_dscnt 0x0
	v_fmac_f64_e32 v[80:81], v[70:71], v[62:63]
	s_wait_loadcnt 0x2
	s_delay_alu instid0(VALU_DEP_1)
	v_fmac_f64_e32 v[80:81], v[72:73], v[64:65]
	ds_load_b128 v[58:61], v2 offset:384
	ds_load_b128 v[62:65], v2 offset:400
	s_wait_dscnt 0x1
	v_fmac_f64_e32 v[80:81], v[74:75], v[58:59]
	s_wait_loadcnt 0x1
	s_delay_alu instid0(VALU_DEP_1) | instskip(SKIP_1) | instid1(VALU_DEP_1)
	v_fmac_f64_e32 v[80:81], v[76:77], v[60:61]
	s_wait_dscnt 0x0
	v_fmac_f64_e32 v[80:81], v[78:79], v[62:63]
	s_wait_loadcnt 0x0
	s_delay_alu instid0(VALU_DEP_1) | instskip(NEXT) | instid1(VALU_DEP_1)
	v_fmac_f64_e32 v[80:81], v[82:83], v[64:65]
	v_add_f64_e64 v[2:3], v[56:57], -v[80:81]
	scratch_store_b64 off, v[2:3], off offset:104
	s_wait_xcnt 0x0
	v_cmpx_lt_u32_e32 12, v0
	s_cbranch_execz .LBB89_141
; %bb.140:
	scratch_load_b64 v[2:3], off, off offset:96
	v_mov_b64_e32 v[56:57], 0
	scratch_store_b64 off, v[56:57], off offset:96
	s_wait_loadcnt 0x0
	ds_store_b64 v1, v[2:3]
.LBB89_141:
	s_wait_xcnt 0x0
	s_or_b32 exec_lo, exec_lo, s0
	s_wait_storecnt_dscnt 0x0
	s_barrier_signal -1
	s_barrier_wait -1
	s_clause 0x5
	scratch_load_b128 v[56:59], off, off offset:96
	scratch_load_b128 v[60:63], off, off offset:112
	;; [unrolled: 1-line block ×6, first 2 shown]
	v_mov_b32_e32 v2, 0
	ds_load_2addr_b64 v[80:83], v2 offset0:39 offset1:40
	ds_load_2addr_b64 v[84:87], v2 offset0:41 offset1:42
	s_mov_b32 s0, exec_lo
	s_wait_loadcnt_dscnt 0x501
	v_fma_f64 v[88:89], v[58:59], v[80:81], 0
	s_wait_loadcnt 0x4
	s_delay_alu instid0(VALU_DEP_1) | instskip(SKIP_4) | instid1(VALU_DEP_1)
	v_fmac_f64_e32 v[88:89], v[60:61], v[82:83]
	scratch_load_b128 v[58:61], off, off offset:192
	s_wait_dscnt 0x0
	v_fmac_f64_e32 v[88:89], v[62:63], v[84:85]
	s_wait_loadcnt 0x4
	v_fmac_f64_e32 v[88:89], v[64:65], v[86:87]
	ds_load_2addr_b64 v[62:65], v2 offset0:43 offset1:44
	ds_load_2addr_b64 v[80:83], v2 offset0:45 offset1:46
	s_wait_dscnt 0x1
	v_fmac_f64_e32 v[88:89], v[66:67], v[62:63]
	s_wait_loadcnt 0x3
	s_delay_alu instid0(VALU_DEP_1)
	v_fmac_f64_e32 v[88:89], v[68:69], v[64:65]
	ds_load_2addr_b64 v[62:65], v2 offset0:47 offset1:48
	ds_load_2addr_b64 v[66:69], v2 offset0:49 offset1:50
	s_wait_dscnt 0x2
	v_fmac_f64_e32 v[88:89], v[70:71], v[80:81]
	s_wait_loadcnt 0x2
	s_delay_alu instid0(VALU_DEP_1) | instskip(SKIP_1) | instid1(VALU_DEP_1)
	v_fmac_f64_e32 v[88:89], v[72:73], v[82:83]
	s_wait_dscnt 0x1
	v_fmac_f64_e32 v[88:89], v[74:75], v[62:63]
	s_wait_loadcnt 0x1
	s_delay_alu instid0(VALU_DEP_1) | instskip(SKIP_1) | instid1(VALU_DEP_1)
	v_fmac_f64_e32 v[88:89], v[76:77], v[64:65]
	s_wait_dscnt 0x0
	v_fmac_f64_e32 v[88:89], v[78:79], v[66:67]
	s_wait_loadcnt 0x0
	s_delay_alu instid0(VALU_DEP_1) | instskip(SKIP_3) | instid1(VALU_DEP_1)
	v_fmac_f64_e32 v[88:89], v[58:59], v[68:69]
	ds_load_b64 v[58:59], v2 offset:408
	s_wait_dscnt 0x0
	v_fmac_f64_e32 v[88:89], v[60:61], v[58:59]
	v_add_f64_e64 v[56:57], v[56:57], -v[88:89]
	scratch_store_b64 off, v[56:57], off offset:96
	s_wait_xcnt 0x0
	v_cmpx_lt_u32_e32 11, v0
	s_cbranch_execz .LBB89_143
; %bb.142:
	scratch_load_b64 v[56:57], off, off offset:88
	v_mov_b64_e32 v[58:59], 0
	scratch_store_b64 off, v[58:59], off offset:88
	s_wait_loadcnt 0x0
	ds_store_b64 v1, v[56:57]
.LBB89_143:
	s_wait_xcnt 0x0
	s_or_b32 exec_lo, exec_lo, s0
	s_wait_storecnt_dscnt 0x0
	s_barrier_signal -1
	s_barrier_wait -1
	s_clause 0x5
	scratch_load_b128 v[56:59], off, off offset:88
	scratch_load_b128 v[60:63], off, off offset:104
	;; [unrolled: 1-line block ×6, first 2 shown]
	ds_load_b128 v[80:83], v2 offset:304
	ds_load_b128 v[84:87], v2 offset:320
	s_mov_b32 s0, exec_lo
	s_wait_loadcnt_dscnt 0x501
	v_fma_f64 v[88:89], v[58:59], v[80:81], 0
	s_wait_loadcnt 0x4
	s_delay_alu instid0(VALU_DEP_1)
	v_fmac_f64_e32 v[88:89], v[60:61], v[82:83]
	scratch_load_b128 v[58:61], off, off offset:184
	s_wait_dscnt 0x0
	v_fmac_f64_e32 v[88:89], v[62:63], v[84:85]
	scratch_load_b64 v[84:85], off, off offset:200
	s_wait_loadcnt 0x5
	v_fmac_f64_e32 v[88:89], v[64:65], v[86:87]
	ds_load_b128 v[62:65], v2 offset:336
	ds_load_b128 v[80:83], v2 offset:352
	s_wait_dscnt 0x1
	v_fmac_f64_e32 v[88:89], v[66:67], v[62:63]
	s_wait_loadcnt 0x4
	s_delay_alu instid0(VALU_DEP_1)
	v_fmac_f64_e32 v[88:89], v[68:69], v[64:65]
	ds_load_b128 v[62:65], v2 offset:368
	ds_load_b128 v[66:69], v2 offset:384
	s_wait_dscnt 0x2
	v_fmac_f64_e32 v[88:89], v[70:71], v[80:81]
	s_wait_loadcnt 0x3
	s_delay_alu instid0(VALU_DEP_1) | instskip(SKIP_1) | instid1(VALU_DEP_1)
	v_fmac_f64_e32 v[88:89], v[72:73], v[82:83]
	s_wait_dscnt 0x1
	v_fmac_f64_e32 v[88:89], v[74:75], v[62:63]
	s_wait_loadcnt 0x2
	s_delay_alu instid0(VALU_DEP_1) | instskip(SKIP_4) | instid1(VALU_DEP_1)
	v_fmac_f64_e32 v[88:89], v[76:77], v[64:65]
	ds_load_b128 v[62:65], v2 offset:400
	s_wait_dscnt 0x1
	v_fmac_f64_e32 v[88:89], v[78:79], v[66:67]
	s_wait_loadcnt 0x1
	v_fmac_f64_e32 v[88:89], v[58:59], v[68:69]
	s_wait_dscnt 0x0
	s_delay_alu instid0(VALU_DEP_1) | instskip(SKIP_1) | instid1(VALU_DEP_1)
	v_fmac_f64_e32 v[88:89], v[60:61], v[62:63]
	s_wait_loadcnt 0x0
	v_fmac_f64_e32 v[88:89], v[84:85], v[64:65]
	s_delay_alu instid0(VALU_DEP_1)
	v_add_f64_e64 v[2:3], v[56:57], -v[88:89]
	scratch_store_b64 off, v[2:3], off offset:88
	s_wait_xcnt 0x0
	v_cmpx_lt_u32_e32 10, v0
	s_cbranch_execz .LBB89_145
; %bb.144:
	scratch_load_b64 v[2:3], off, off offset:80
	v_mov_b64_e32 v[56:57], 0
	scratch_store_b64 off, v[56:57], off offset:80
	s_wait_loadcnt 0x0
	ds_store_b64 v1, v[2:3]
.LBB89_145:
	s_wait_xcnt 0x0
	s_or_b32 exec_lo, exec_lo, s0
	s_wait_storecnt_dscnt 0x0
	s_barrier_signal -1
	s_barrier_wait -1
	s_clause 0x5
	scratch_load_b128 v[56:59], off, off offset:80
	scratch_load_b128 v[60:63], off, off offset:96
	;; [unrolled: 1-line block ×6, first 2 shown]
	v_mov_b32_e32 v2, 0
	ds_load_2addr_b64 v[80:83], v2 offset0:37 offset1:38
	ds_load_2addr_b64 v[84:87], v2 offset0:39 offset1:40
	s_mov_b32 s0, exec_lo
	s_wait_loadcnt_dscnt 0x501
	v_fma_f64 v[88:89], v[58:59], v[80:81], 0
	s_wait_loadcnt 0x4
	s_delay_alu instid0(VALU_DEP_1) | instskip(SKIP_4) | instid1(VALU_DEP_1)
	v_fmac_f64_e32 v[88:89], v[60:61], v[82:83]
	scratch_load_b128 v[58:61], off, off offset:176
	s_wait_dscnt 0x0
	v_fmac_f64_e32 v[88:89], v[62:63], v[84:85]
	s_wait_loadcnt 0x4
	v_fmac_f64_e32 v[88:89], v[64:65], v[86:87]
	scratch_load_b128 v[62:65], off, off offset:192
	ds_load_2addr_b64 v[80:83], v2 offset0:41 offset1:42
	ds_load_2addr_b64 v[84:87], v2 offset0:43 offset1:44
	s_wait_dscnt 0x1
	v_fmac_f64_e32 v[88:89], v[66:67], v[80:81]
	s_wait_loadcnt 0x4
	s_delay_alu instid0(VALU_DEP_1) | instskip(SKIP_1) | instid1(VALU_DEP_1)
	v_fmac_f64_e32 v[88:89], v[68:69], v[82:83]
	s_wait_dscnt 0x0
	v_fmac_f64_e32 v[88:89], v[70:71], v[84:85]
	s_wait_loadcnt 0x3
	s_delay_alu instid0(VALU_DEP_1)
	v_fmac_f64_e32 v[88:89], v[72:73], v[86:87]
	ds_load_2addr_b64 v[66:69], v2 offset0:45 offset1:46
	ds_load_2addr_b64 v[70:73], v2 offset0:47 offset1:48
	s_wait_dscnt 0x1
	v_fmac_f64_e32 v[88:89], v[74:75], v[66:67]
	s_wait_loadcnt 0x2
	s_delay_alu instid0(VALU_DEP_1) | instskip(SKIP_1) | instid1(VALU_DEP_1)
	v_fmac_f64_e32 v[88:89], v[76:77], v[68:69]
	s_wait_dscnt 0x0
	v_fmac_f64_e32 v[88:89], v[78:79], v[70:71]
	s_wait_loadcnt 0x1
	s_delay_alu instid0(VALU_DEP_1)
	v_fmac_f64_e32 v[88:89], v[58:59], v[72:73]
	ds_load_2addr_b64 v[66:69], v2 offset0:49 offset1:50
	ds_load_b64 v[58:59], v2 offset:408
	s_wait_dscnt 0x1
	v_fmac_f64_e32 v[88:89], v[60:61], v[66:67]
	s_wait_loadcnt 0x0
	s_delay_alu instid0(VALU_DEP_1) | instskip(SKIP_1) | instid1(VALU_DEP_1)
	v_fmac_f64_e32 v[88:89], v[62:63], v[68:69]
	s_wait_dscnt 0x0
	v_fmac_f64_e32 v[88:89], v[64:65], v[58:59]
	s_delay_alu instid0(VALU_DEP_1)
	v_add_f64_e64 v[56:57], v[56:57], -v[88:89]
	scratch_store_b64 off, v[56:57], off offset:80
	s_wait_xcnt 0x0
	v_cmpx_lt_u32_e32 9, v0
	s_cbranch_execz .LBB89_147
; %bb.146:
	scratch_load_b64 v[56:57], off, off offset:72
	v_mov_b64_e32 v[58:59], 0
	scratch_store_b64 off, v[58:59], off offset:72
	s_wait_loadcnt 0x0
	ds_store_b64 v1, v[56:57]
.LBB89_147:
	s_wait_xcnt 0x0
	s_or_b32 exec_lo, exec_lo, s0
	s_wait_storecnt_dscnt 0x0
	s_barrier_signal -1
	s_barrier_wait -1
	s_clause 0x5
	scratch_load_b128 v[56:59], off, off offset:72
	scratch_load_b128 v[60:63], off, off offset:88
	;; [unrolled: 1-line block ×6, first 2 shown]
	ds_load_b128 v[80:83], v2 offset:288
	ds_load_b128 v[84:87], v2 offset:304
	s_mov_b32 s0, exec_lo
	s_wait_loadcnt_dscnt 0x501
	v_fma_f64 v[88:89], v[58:59], v[80:81], 0
	s_wait_loadcnt 0x4
	s_delay_alu instid0(VALU_DEP_1) | instskip(SKIP_4) | instid1(VALU_DEP_1)
	v_fmac_f64_e32 v[88:89], v[60:61], v[82:83]
	scratch_load_b128 v[58:61], off, off offset:168
	s_wait_dscnt 0x0
	v_fmac_f64_e32 v[88:89], v[62:63], v[84:85]
	s_wait_loadcnt 0x4
	v_fmac_f64_e32 v[88:89], v[64:65], v[86:87]
	scratch_load_b128 v[62:65], off, off offset:184
	ds_load_b128 v[80:83], v2 offset:320
	ds_load_b128 v[84:87], v2 offset:336
	s_wait_dscnt 0x1
	v_fmac_f64_e32 v[88:89], v[66:67], v[80:81]
	scratch_load_b64 v[80:81], off, off offset:200
	s_wait_loadcnt 0x5
	v_fmac_f64_e32 v[88:89], v[68:69], v[82:83]
	s_wait_dscnt 0x0
	s_delay_alu instid0(VALU_DEP_1) | instskip(SKIP_1) | instid1(VALU_DEP_1)
	v_fmac_f64_e32 v[88:89], v[70:71], v[84:85]
	s_wait_loadcnt 0x4
	v_fmac_f64_e32 v[88:89], v[72:73], v[86:87]
	ds_load_b128 v[66:69], v2 offset:352
	ds_load_b128 v[70:73], v2 offset:368
	s_wait_dscnt 0x1
	v_fmac_f64_e32 v[88:89], v[74:75], v[66:67]
	s_wait_loadcnt 0x3
	s_delay_alu instid0(VALU_DEP_1) | instskip(SKIP_1) | instid1(VALU_DEP_1)
	v_fmac_f64_e32 v[88:89], v[76:77], v[68:69]
	s_wait_dscnt 0x0
	v_fmac_f64_e32 v[88:89], v[78:79], v[70:71]
	s_wait_loadcnt 0x2
	s_delay_alu instid0(VALU_DEP_1)
	v_fmac_f64_e32 v[88:89], v[58:59], v[72:73]
	ds_load_b128 v[66:69], v2 offset:384
	ds_load_b128 v[70:73], v2 offset:400
	s_wait_dscnt 0x1
	v_fmac_f64_e32 v[88:89], v[60:61], v[66:67]
	s_wait_loadcnt 0x1
	s_delay_alu instid0(VALU_DEP_1) | instskip(SKIP_1) | instid1(VALU_DEP_1)
	v_fmac_f64_e32 v[88:89], v[62:63], v[68:69]
	s_wait_dscnt 0x0
	v_fmac_f64_e32 v[88:89], v[64:65], v[70:71]
	s_wait_loadcnt 0x0
	s_delay_alu instid0(VALU_DEP_1) | instskip(NEXT) | instid1(VALU_DEP_1)
	v_fmac_f64_e32 v[88:89], v[80:81], v[72:73]
	v_add_f64_e64 v[2:3], v[56:57], -v[88:89]
	scratch_store_b64 off, v[2:3], off offset:72
	s_wait_xcnt 0x0
	v_cmpx_lt_u32_e32 8, v0
	s_cbranch_execz .LBB89_149
; %bb.148:
	scratch_load_b64 v[2:3], off, off offset:64
	v_mov_b64_e32 v[56:57], 0
	scratch_store_b64 off, v[56:57], off offset:64
	s_wait_loadcnt 0x0
	ds_store_b64 v1, v[2:3]
.LBB89_149:
	s_wait_xcnt 0x0
	s_or_b32 exec_lo, exec_lo, s0
	s_wait_storecnt_dscnt 0x0
	s_barrier_signal -1
	s_barrier_wait -1
	s_clause 0x5
	scratch_load_b128 v[56:59], off, off offset:64
	scratch_load_b128 v[60:63], off, off offset:80
	;; [unrolled: 1-line block ×6, first 2 shown]
	v_mov_b32_e32 v2, 0
	ds_load_2addr_b64 v[80:83], v2 offset0:35 offset1:36
	ds_load_2addr_b64 v[84:87], v2 offset0:37 offset1:38
	s_mov_b32 s0, exec_lo
	s_wait_loadcnt_dscnt 0x501
	v_fma_f64 v[88:89], v[58:59], v[80:81], 0
	s_wait_loadcnt 0x4
	s_delay_alu instid0(VALU_DEP_1) | instskip(SKIP_4) | instid1(VALU_DEP_1)
	v_fmac_f64_e32 v[88:89], v[60:61], v[82:83]
	scratch_load_b128 v[58:61], off, off offset:160
	s_wait_dscnt 0x0
	v_fmac_f64_e32 v[88:89], v[62:63], v[84:85]
	s_wait_loadcnt 0x4
	v_fmac_f64_e32 v[88:89], v[64:65], v[86:87]
	scratch_load_b128 v[62:65], off, off offset:176
	ds_load_2addr_b64 v[80:83], v2 offset0:39 offset1:40
	ds_load_2addr_b64 v[84:87], v2 offset0:41 offset1:42
	s_wait_dscnt 0x1
	v_fmac_f64_e32 v[88:89], v[66:67], v[80:81]
	s_wait_loadcnt 0x4
	s_delay_alu instid0(VALU_DEP_1) | instskip(SKIP_4) | instid1(VALU_DEP_1)
	v_fmac_f64_e32 v[88:89], v[68:69], v[82:83]
	scratch_load_b128 v[66:69], off, off offset:192
	s_wait_dscnt 0x0
	v_fmac_f64_e32 v[88:89], v[70:71], v[84:85]
	s_wait_loadcnt 0x4
	v_fmac_f64_e32 v[88:89], v[72:73], v[86:87]
	ds_load_2addr_b64 v[70:73], v2 offset0:43 offset1:44
	ds_load_2addr_b64 v[80:83], v2 offset0:45 offset1:46
	s_wait_dscnt 0x1
	v_fmac_f64_e32 v[88:89], v[74:75], v[70:71]
	s_wait_loadcnt 0x3
	s_delay_alu instid0(VALU_DEP_1)
	v_fmac_f64_e32 v[88:89], v[76:77], v[72:73]
	ds_load_2addr_b64 v[70:73], v2 offset0:47 offset1:48
	ds_load_2addr_b64 v[74:77], v2 offset0:49 offset1:50
	s_wait_dscnt 0x2
	v_fmac_f64_e32 v[88:89], v[78:79], v[80:81]
	s_wait_loadcnt 0x2
	s_delay_alu instid0(VALU_DEP_1) | instskip(SKIP_4) | instid1(VALU_DEP_1)
	v_fmac_f64_e32 v[88:89], v[58:59], v[82:83]
	ds_load_b64 v[58:59], v2 offset:408
	s_wait_dscnt 0x2
	v_fmac_f64_e32 v[88:89], v[60:61], v[70:71]
	s_wait_loadcnt 0x1
	v_fmac_f64_e32 v[88:89], v[62:63], v[72:73]
	s_wait_dscnt 0x1
	s_delay_alu instid0(VALU_DEP_1) | instskip(SKIP_1) | instid1(VALU_DEP_1)
	v_fmac_f64_e32 v[88:89], v[64:65], v[74:75]
	s_wait_loadcnt 0x0
	v_fmac_f64_e32 v[88:89], v[66:67], v[76:77]
	s_wait_dscnt 0x0
	s_delay_alu instid0(VALU_DEP_1) | instskip(NEXT) | instid1(VALU_DEP_1)
	v_fmac_f64_e32 v[88:89], v[68:69], v[58:59]
	v_add_f64_e64 v[56:57], v[56:57], -v[88:89]
	scratch_store_b64 off, v[56:57], off offset:64
	s_wait_xcnt 0x0
	v_cmpx_lt_u32_e32 7, v0
	s_cbranch_execz .LBB89_151
; %bb.150:
	scratch_load_b64 v[56:57], off, off offset:56
	v_mov_b64_e32 v[58:59], 0
	scratch_store_b64 off, v[58:59], off offset:56
	s_wait_loadcnt 0x0
	ds_store_b64 v1, v[56:57]
.LBB89_151:
	s_wait_xcnt 0x0
	s_or_b32 exec_lo, exec_lo, s0
	s_wait_storecnt_dscnt 0x0
	s_barrier_signal -1
	s_barrier_wait -1
	s_clause 0x5
	scratch_load_b128 v[56:59], off, off offset:56
	scratch_load_b128 v[60:63], off, off offset:72
	;; [unrolled: 1-line block ×6, first 2 shown]
	ds_load_b128 v[80:83], v2 offset:272
	ds_load_b128 v[84:87], v2 offset:288
	s_mov_b32 s0, exec_lo
	s_wait_loadcnt_dscnt 0x501
	v_fma_f64 v[88:89], v[58:59], v[80:81], 0
	s_wait_loadcnt 0x4
	s_delay_alu instid0(VALU_DEP_1) | instskip(SKIP_4) | instid1(VALU_DEP_1)
	v_fmac_f64_e32 v[88:89], v[60:61], v[82:83]
	scratch_load_b128 v[58:61], off, off offset:152
	s_wait_dscnt 0x0
	v_fmac_f64_e32 v[88:89], v[62:63], v[84:85]
	s_wait_loadcnt 0x4
	v_fmac_f64_e32 v[88:89], v[64:65], v[86:87]
	scratch_load_b128 v[62:65], off, off offset:168
	ds_load_b128 v[80:83], v2 offset:304
	ds_load_b128 v[84:87], v2 offset:320
	s_wait_dscnt 0x1
	v_fmac_f64_e32 v[88:89], v[66:67], v[80:81]
	s_wait_loadcnt 0x4
	s_delay_alu instid0(VALU_DEP_1)
	v_fmac_f64_e32 v[88:89], v[68:69], v[82:83]
	scratch_load_b128 v[66:69], off, off offset:184
	s_wait_dscnt 0x0
	v_fmac_f64_e32 v[88:89], v[70:71], v[84:85]
	scratch_load_b64 v[84:85], off, off offset:200
	s_wait_loadcnt 0x5
	v_fmac_f64_e32 v[88:89], v[72:73], v[86:87]
	ds_load_b128 v[70:73], v2 offset:336
	ds_load_b128 v[80:83], v2 offset:352
	s_wait_dscnt 0x1
	v_fmac_f64_e32 v[88:89], v[74:75], v[70:71]
	s_wait_loadcnt 0x4
	s_delay_alu instid0(VALU_DEP_1)
	v_fmac_f64_e32 v[88:89], v[76:77], v[72:73]
	ds_load_b128 v[70:73], v2 offset:368
	ds_load_b128 v[74:77], v2 offset:384
	s_wait_dscnt 0x2
	v_fmac_f64_e32 v[88:89], v[78:79], v[80:81]
	s_wait_loadcnt 0x3
	s_delay_alu instid0(VALU_DEP_1) | instskip(SKIP_1) | instid1(VALU_DEP_1)
	v_fmac_f64_e32 v[88:89], v[58:59], v[82:83]
	s_wait_dscnt 0x1
	v_fmac_f64_e32 v[88:89], v[60:61], v[70:71]
	ds_load_b128 v[58:61], v2 offset:400
	s_wait_loadcnt 0x2
	v_fmac_f64_e32 v[88:89], v[62:63], v[72:73]
	s_wait_dscnt 0x1
	s_delay_alu instid0(VALU_DEP_1) | instskip(SKIP_1) | instid1(VALU_DEP_1)
	v_fmac_f64_e32 v[88:89], v[64:65], v[74:75]
	s_wait_loadcnt 0x1
	v_fmac_f64_e32 v[88:89], v[66:67], v[76:77]
	s_wait_dscnt 0x0
	s_delay_alu instid0(VALU_DEP_1) | instskip(SKIP_1) | instid1(VALU_DEP_1)
	v_fmac_f64_e32 v[88:89], v[68:69], v[58:59]
	s_wait_loadcnt 0x0
	v_fmac_f64_e32 v[88:89], v[84:85], v[60:61]
	s_delay_alu instid0(VALU_DEP_1)
	v_add_f64_e64 v[2:3], v[56:57], -v[88:89]
	scratch_store_b64 off, v[2:3], off offset:56
	s_wait_xcnt 0x0
	v_cmpx_lt_u32_e32 6, v0
	s_cbranch_execz .LBB89_153
; %bb.152:
	scratch_load_b64 v[2:3], off, off offset:48
	v_mov_b64_e32 v[56:57], 0
	scratch_store_b64 off, v[56:57], off offset:48
	s_wait_loadcnt 0x0
	ds_store_b64 v1, v[2:3]
.LBB89_153:
	s_wait_xcnt 0x0
	s_or_b32 exec_lo, exec_lo, s0
	s_wait_storecnt_dscnt 0x0
	s_barrier_signal -1
	s_barrier_wait -1
	s_clause 0x5
	scratch_load_b128 v[56:59], off, off offset:48
	scratch_load_b128 v[60:63], off, off offset:64
	;; [unrolled: 1-line block ×6, first 2 shown]
	v_mov_b32_e32 v2, 0
	ds_load_2addr_b64 v[80:83], v2 offset0:33 offset1:34
	ds_load_2addr_b64 v[84:87], v2 offset0:35 offset1:36
	s_mov_b32 s0, exec_lo
	s_wait_loadcnt_dscnt 0x501
	v_fma_f64 v[88:89], v[58:59], v[80:81], 0
	s_wait_loadcnt 0x4
	s_delay_alu instid0(VALU_DEP_1) | instskip(SKIP_4) | instid1(VALU_DEP_1)
	v_fmac_f64_e32 v[88:89], v[60:61], v[82:83]
	scratch_load_b128 v[58:61], off, off offset:144
	s_wait_dscnt 0x0
	v_fmac_f64_e32 v[88:89], v[62:63], v[84:85]
	s_wait_loadcnt 0x4
	v_fmac_f64_e32 v[88:89], v[64:65], v[86:87]
	scratch_load_b128 v[62:65], off, off offset:160
	ds_load_2addr_b64 v[80:83], v2 offset0:37 offset1:38
	ds_load_2addr_b64 v[84:87], v2 offset0:39 offset1:40
	s_wait_dscnt 0x1
	v_fmac_f64_e32 v[88:89], v[66:67], v[80:81]
	s_wait_loadcnt 0x4
	s_delay_alu instid0(VALU_DEP_1) | instskip(SKIP_4) | instid1(VALU_DEP_1)
	v_fmac_f64_e32 v[88:89], v[68:69], v[82:83]
	scratch_load_b128 v[66:69], off, off offset:176
	s_wait_dscnt 0x0
	v_fmac_f64_e32 v[88:89], v[70:71], v[84:85]
	s_wait_loadcnt 0x4
	v_fmac_f64_e32 v[88:89], v[72:73], v[86:87]
	scratch_load_b128 v[70:73], off, off offset:192
	ds_load_2addr_b64 v[80:83], v2 offset0:41 offset1:42
	ds_load_2addr_b64 v[84:87], v2 offset0:43 offset1:44
	s_wait_dscnt 0x1
	v_fmac_f64_e32 v[88:89], v[74:75], v[80:81]
	s_wait_loadcnt 0x4
	s_delay_alu instid0(VALU_DEP_1) | instskip(SKIP_1) | instid1(VALU_DEP_1)
	v_fmac_f64_e32 v[88:89], v[76:77], v[82:83]
	s_wait_dscnt 0x0
	v_fmac_f64_e32 v[88:89], v[78:79], v[84:85]
	ds_load_2addr_b64 v[74:77], v2 offset0:45 offset1:46
	ds_load_2addr_b64 v[78:81], v2 offset0:47 offset1:48
	s_wait_loadcnt 0x3
	v_fmac_f64_e32 v[88:89], v[58:59], v[86:87]
	s_wait_dscnt 0x1
	s_delay_alu instid0(VALU_DEP_1) | instskip(SKIP_1) | instid1(VALU_DEP_1)
	v_fmac_f64_e32 v[88:89], v[60:61], v[74:75]
	s_wait_loadcnt 0x2
	v_fmac_f64_e32 v[88:89], v[62:63], v[76:77]
	ds_load_2addr_b64 v[58:61], v2 offset0:49 offset1:50
	ds_load_b64 v[62:63], v2 offset:408
	s_wait_dscnt 0x2
	v_fmac_f64_e32 v[88:89], v[64:65], v[78:79]
	s_wait_loadcnt 0x1
	s_delay_alu instid0(VALU_DEP_1) | instskip(SKIP_1) | instid1(VALU_DEP_1)
	v_fmac_f64_e32 v[88:89], v[66:67], v[80:81]
	s_wait_dscnt 0x1
	v_fmac_f64_e32 v[88:89], v[68:69], v[58:59]
	s_wait_loadcnt 0x0
	s_delay_alu instid0(VALU_DEP_1) | instskip(SKIP_1) | instid1(VALU_DEP_1)
	v_fmac_f64_e32 v[88:89], v[70:71], v[60:61]
	s_wait_dscnt 0x0
	v_fmac_f64_e32 v[88:89], v[72:73], v[62:63]
	s_delay_alu instid0(VALU_DEP_1)
	v_add_f64_e64 v[56:57], v[56:57], -v[88:89]
	scratch_store_b64 off, v[56:57], off offset:48
	s_wait_xcnt 0x0
	v_cmpx_lt_u32_e32 5, v0
	s_cbranch_execz .LBB89_155
; %bb.154:
	scratch_load_b64 v[56:57], off, off offset:40
	v_mov_b64_e32 v[58:59], 0
	scratch_store_b64 off, v[58:59], off offset:40
	s_wait_loadcnt 0x0
	ds_store_b64 v1, v[56:57]
.LBB89_155:
	s_wait_xcnt 0x0
	s_or_b32 exec_lo, exec_lo, s0
	s_wait_storecnt_dscnt 0x0
	s_barrier_signal -1
	s_barrier_wait -1
	s_clause 0x5
	scratch_load_b128 v[56:59], off, off offset:40
	scratch_load_b128 v[60:63], off, off offset:56
	;; [unrolled: 1-line block ×6, first 2 shown]
	ds_load_b128 v[80:83], v2 offset:256
	ds_load_b128 v[84:87], v2 offset:272
	s_mov_b32 s0, exec_lo
	s_wait_loadcnt_dscnt 0x501
	v_fma_f64 v[88:89], v[58:59], v[80:81], 0
	s_wait_loadcnt 0x4
	s_delay_alu instid0(VALU_DEP_1) | instskip(SKIP_4) | instid1(VALU_DEP_1)
	v_fmac_f64_e32 v[88:89], v[60:61], v[82:83]
	scratch_load_b128 v[58:61], off, off offset:136
	s_wait_dscnt 0x0
	v_fmac_f64_e32 v[88:89], v[62:63], v[84:85]
	s_wait_loadcnt 0x4
	v_fmac_f64_e32 v[88:89], v[64:65], v[86:87]
	scratch_load_b128 v[62:65], off, off offset:152
	ds_load_b128 v[80:83], v2 offset:288
	ds_load_b128 v[84:87], v2 offset:304
	s_wait_dscnt 0x1
	v_fmac_f64_e32 v[88:89], v[66:67], v[80:81]
	s_wait_loadcnt 0x4
	s_delay_alu instid0(VALU_DEP_1) | instskip(SKIP_4) | instid1(VALU_DEP_1)
	v_fmac_f64_e32 v[88:89], v[68:69], v[82:83]
	scratch_load_b128 v[66:69], off, off offset:168
	s_wait_dscnt 0x0
	v_fmac_f64_e32 v[88:89], v[70:71], v[84:85]
	s_wait_loadcnt 0x4
	v_fmac_f64_e32 v[88:89], v[72:73], v[86:87]
	scratch_load_b128 v[70:73], off, off offset:184
	ds_load_b128 v[80:83], v2 offset:320
	ds_load_b128 v[84:87], v2 offset:336
	s_wait_dscnt 0x1
	v_fmac_f64_e32 v[88:89], v[74:75], v[80:81]
	s_wait_loadcnt 0x4
	s_delay_alu instid0(VALU_DEP_1)
	v_fmac_f64_e32 v[88:89], v[76:77], v[82:83]
	scratch_load_b64 v[82:83], off, off offset:200
	s_wait_dscnt 0x0
	v_fmac_f64_e32 v[88:89], v[78:79], v[84:85]
	ds_load_b128 v[74:77], v2 offset:352
	ds_load_b128 v[78:81], v2 offset:368
	s_wait_loadcnt 0x4
	v_fmac_f64_e32 v[88:89], v[58:59], v[86:87]
	s_wait_dscnt 0x1
	s_delay_alu instid0(VALU_DEP_1) | instskip(SKIP_1) | instid1(VALU_DEP_1)
	v_fmac_f64_e32 v[88:89], v[60:61], v[74:75]
	s_wait_loadcnt 0x3
	v_fmac_f64_e32 v[88:89], v[62:63], v[76:77]
	s_wait_dscnt 0x0
	s_delay_alu instid0(VALU_DEP_1)
	v_fmac_f64_e32 v[88:89], v[64:65], v[78:79]
	ds_load_b128 v[58:61], v2 offset:384
	ds_load_b128 v[62:65], v2 offset:400
	s_wait_loadcnt 0x2
	v_fmac_f64_e32 v[88:89], v[66:67], v[80:81]
	s_wait_dscnt 0x1
	s_delay_alu instid0(VALU_DEP_1) | instskip(SKIP_1) | instid1(VALU_DEP_1)
	v_fmac_f64_e32 v[88:89], v[68:69], v[58:59]
	s_wait_loadcnt 0x1
	v_fmac_f64_e32 v[88:89], v[70:71], v[60:61]
	s_wait_dscnt 0x0
	s_delay_alu instid0(VALU_DEP_1) | instskip(SKIP_1) | instid1(VALU_DEP_1)
	v_fmac_f64_e32 v[88:89], v[72:73], v[62:63]
	s_wait_loadcnt 0x0
	v_fmac_f64_e32 v[88:89], v[82:83], v[64:65]
	s_delay_alu instid0(VALU_DEP_1)
	v_add_f64_e64 v[2:3], v[56:57], -v[88:89]
	scratch_store_b64 off, v[2:3], off offset:40
	s_wait_xcnt 0x0
	v_cmpx_lt_u32_e32 4, v0
	s_cbranch_execz .LBB89_157
; %bb.156:
	scratch_load_b64 v[2:3], off, off offset:32
	v_mov_b64_e32 v[56:57], 0
	scratch_store_b64 off, v[56:57], off offset:32
	s_wait_loadcnt 0x0
	ds_store_b64 v1, v[2:3]
.LBB89_157:
	s_wait_xcnt 0x0
	s_or_b32 exec_lo, exec_lo, s0
	s_wait_storecnt_dscnt 0x0
	s_barrier_signal -1
	s_barrier_wait -1
	s_clause 0x5
	scratch_load_b128 v[56:59], off, off offset:32
	scratch_load_b128 v[60:63], off, off offset:48
	;; [unrolled: 1-line block ×6, first 2 shown]
	v_mov_b32_e32 v2, 0
	ds_load_2addr_b64 v[80:83], v2 offset0:31 offset1:32
	ds_load_2addr_b64 v[84:87], v2 offset0:33 offset1:34
	s_mov_b32 s0, exec_lo
	s_wait_loadcnt_dscnt 0x501
	v_fma_f64 v[88:89], v[58:59], v[80:81], 0
	s_wait_loadcnt 0x4
	s_delay_alu instid0(VALU_DEP_1) | instskip(SKIP_4) | instid1(VALU_DEP_1)
	v_fmac_f64_e32 v[88:89], v[60:61], v[82:83]
	scratch_load_b128 v[58:61], off, off offset:128
	s_wait_dscnt 0x0
	v_fmac_f64_e32 v[88:89], v[62:63], v[84:85]
	s_wait_loadcnt 0x4
	v_fmac_f64_e32 v[88:89], v[64:65], v[86:87]
	scratch_load_b128 v[62:65], off, off offset:144
	ds_load_2addr_b64 v[80:83], v2 offset0:35 offset1:36
	ds_load_2addr_b64 v[84:87], v2 offset0:37 offset1:38
	s_wait_dscnt 0x1
	v_fmac_f64_e32 v[88:89], v[66:67], v[80:81]
	s_wait_loadcnt 0x4
	s_delay_alu instid0(VALU_DEP_1) | instskip(SKIP_4) | instid1(VALU_DEP_1)
	v_fmac_f64_e32 v[88:89], v[68:69], v[82:83]
	scratch_load_b128 v[66:69], off, off offset:160
	s_wait_dscnt 0x0
	v_fmac_f64_e32 v[88:89], v[70:71], v[84:85]
	s_wait_loadcnt 0x4
	v_fmac_f64_e32 v[88:89], v[72:73], v[86:87]
	scratch_load_b128 v[70:73], off, off offset:176
	ds_load_2addr_b64 v[80:83], v2 offset0:39 offset1:40
	ds_load_2addr_b64 v[84:87], v2 offset0:41 offset1:42
	s_wait_dscnt 0x1
	v_fmac_f64_e32 v[88:89], v[74:75], v[80:81]
	s_wait_loadcnt 0x4
	s_delay_alu instid0(VALU_DEP_1)
	v_fmac_f64_e32 v[88:89], v[76:77], v[82:83]
	scratch_load_b128 v[74:77], off, off offset:192
	s_wait_dscnt 0x0
	v_fmac_f64_e32 v[88:89], v[78:79], v[84:85]
	ds_load_2addr_b64 v[78:81], v2 offset0:43 offset1:44
	ds_load_2addr_b64 v[82:85], v2 offset0:45 offset1:46
	s_wait_loadcnt 0x4
	v_fmac_f64_e32 v[88:89], v[58:59], v[86:87]
	s_wait_dscnt 0x1
	s_delay_alu instid0(VALU_DEP_1) | instskip(SKIP_1) | instid1(VALU_DEP_1)
	v_fmac_f64_e32 v[88:89], v[60:61], v[78:79]
	s_wait_loadcnt 0x3
	v_fmac_f64_e32 v[88:89], v[62:63], v[80:81]
	s_wait_dscnt 0x0
	s_delay_alu instid0(VALU_DEP_1)
	v_fmac_f64_e32 v[88:89], v[64:65], v[82:83]
	ds_load_2addr_b64 v[58:61], v2 offset0:47 offset1:48
	ds_load_2addr_b64 v[62:65], v2 offset0:49 offset1:50
	s_wait_loadcnt 0x2
	v_fmac_f64_e32 v[88:89], v[66:67], v[84:85]
	s_wait_dscnt 0x1
	s_delay_alu instid0(VALU_DEP_1) | instskip(SKIP_4) | instid1(VALU_DEP_1)
	v_fmac_f64_e32 v[88:89], v[68:69], v[58:59]
	ds_load_b64 v[58:59], v2 offset:408
	s_wait_loadcnt 0x1
	v_fmac_f64_e32 v[88:89], v[70:71], v[60:61]
	s_wait_dscnt 0x1
	v_fmac_f64_e32 v[88:89], v[72:73], v[62:63]
	s_wait_loadcnt 0x0
	s_delay_alu instid0(VALU_DEP_1) | instskip(SKIP_1) | instid1(VALU_DEP_1)
	v_fmac_f64_e32 v[88:89], v[74:75], v[64:65]
	s_wait_dscnt 0x0
	v_fmac_f64_e32 v[88:89], v[76:77], v[58:59]
	s_delay_alu instid0(VALU_DEP_1)
	v_add_f64_e64 v[56:57], v[56:57], -v[88:89]
	scratch_store_b64 off, v[56:57], off offset:32
	s_wait_xcnt 0x0
	v_cmpx_lt_u32_e32 3, v0
	s_cbranch_execz .LBB89_159
; %bb.158:
	scratch_load_b64 v[56:57], off, off offset:24
	v_mov_b64_e32 v[58:59], 0
	scratch_store_b64 off, v[58:59], off offset:24
	s_wait_loadcnt 0x0
	ds_store_b64 v1, v[56:57]
.LBB89_159:
	s_wait_xcnt 0x0
	s_or_b32 exec_lo, exec_lo, s0
	s_wait_storecnt_dscnt 0x0
	s_barrier_signal -1
	s_barrier_wait -1
	s_clause 0x5
	scratch_load_b128 v[56:59], off, off offset:24
	scratch_load_b128 v[60:63], off, off offset:40
	;; [unrolled: 1-line block ×6, first 2 shown]
	ds_load_b128 v[80:83], v2 offset:240
	ds_load_b128 v[84:87], v2 offset:256
	scratch_load_b128 v[88:91], off, off offset:120
	s_mov_b32 s0, exec_lo
	s_wait_loadcnt_dscnt 0x601
	v_fma_f64 v[92:93], v[58:59], v[80:81], 0
	s_wait_loadcnt 0x5
	s_delay_alu instid0(VALU_DEP_1) | instskip(SKIP_4) | instid1(VALU_DEP_1)
	v_fmac_f64_e32 v[92:93], v[60:61], v[82:83]
	scratch_load_b128 v[58:61], off, off offset:136
	s_wait_dscnt 0x0
	v_fmac_f64_e32 v[92:93], v[62:63], v[84:85]
	s_wait_loadcnt 0x5
	v_fmac_f64_e32 v[92:93], v[64:65], v[86:87]
	ds_load_b128 v[62:65], v2 offset:272
	ds_load_b128 v[80:83], v2 offset:288
	s_wait_dscnt 0x1
	v_fmac_f64_e32 v[92:93], v[66:67], v[62:63]
	s_wait_loadcnt 0x4
	s_delay_alu instid0(VALU_DEP_1)
	v_fmac_f64_e32 v[92:93], v[68:69], v[64:65]
	s_clause 0x1
	scratch_load_b128 v[62:65], off, off offset:152
	scratch_load_b128 v[66:69], off, off offset:168
	s_wait_dscnt 0x0
	v_fmac_f64_e32 v[92:93], v[70:71], v[80:81]
	s_wait_loadcnt 0x5
	s_delay_alu instid0(VALU_DEP_1)
	v_fmac_f64_e32 v[92:93], v[72:73], v[82:83]
	ds_load_b128 v[70:73], v2 offset:304
	ds_load_b128 v[80:83], v2 offset:320
	s_wait_dscnt 0x1
	v_fmac_f64_e32 v[92:93], v[74:75], v[70:71]
	s_wait_loadcnt 0x4
	s_delay_alu instid0(VALU_DEP_1) | instskip(SKIP_4) | instid1(VALU_DEP_1)
	v_fmac_f64_e32 v[92:93], v[76:77], v[72:73]
	scratch_load_b128 v[70:73], off, off offset:184
	s_wait_dscnt 0x0
	v_fmac_f64_e32 v[92:93], v[78:79], v[80:81]
	s_wait_loadcnt 0x4
	v_fmac_f64_e32 v[92:93], v[88:89], v[82:83]
	scratch_load_b64 v[82:83], off, off offset:200
	ds_load_b128 v[74:77], v2 offset:336
	ds_load_b128 v[78:81], v2 offset:352
	s_wait_dscnt 0x1
	v_fmac_f64_e32 v[92:93], v[90:91], v[74:75]
	s_wait_loadcnt 0x4
	s_delay_alu instid0(VALU_DEP_1) | instskip(SKIP_1) | instid1(VALU_DEP_1)
	v_fmac_f64_e32 v[92:93], v[58:59], v[76:77]
	s_wait_dscnt 0x0
	v_fmac_f64_e32 v[92:93], v[60:61], v[78:79]
	ds_load_b128 v[58:61], v2 offset:368
	ds_load_b128 v[74:77], v2 offset:384
	s_wait_loadcnt 0x3
	v_fmac_f64_e32 v[92:93], v[62:63], v[80:81]
	s_wait_dscnt 0x1
	s_delay_alu instid0(VALU_DEP_1) | instskip(SKIP_1) | instid1(VALU_DEP_1)
	v_fmac_f64_e32 v[92:93], v[64:65], v[58:59]
	s_wait_loadcnt 0x2
	v_fmac_f64_e32 v[92:93], v[66:67], v[60:61]
	ds_load_b128 v[58:61], v2 offset:400
	s_wait_dscnt 0x1
	v_fmac_f64_e32 v[92:93], v[68:69], v[74:75]
	s_wait_loadcnt 0x1
	s_delay_alu instid0(VALU_DEP_1) | instskip(SKIP_1) | instid1(VALU_DEP_1)
	v_fmac_f64_e32 v[92:93], v[70:71], v[76:77]
	s_wait_dscnt 0x0
	v_fmac_f64_e32 v[92:93], v[72:73], v[58:59]
	s_wait_loadcnt 0x0
	s_delay_alu instid0(VALU_DEP_1) | instskip(NEXT) | instid1(VALU_DEP_1)
	v_fmac_f64_e32 v[92:93], v[82:83], v[60:61]
	v_add_f64_e64 v[2:3], v[56:57], -v[92:93]
	scratch_store_b64 off, v[2:3], off offset:24
	s_wait_xcnt 0x0
	v_cmpx_lt_u32_e32 2, v0
	s_cbranch_execz .LBB89_161
; %bb.160:
	scratch_load_b64 v[2:3], off, off offset:16
	v_mov_b64_e32 v[56:57], 0
	scratch_store_b64 off, v[56:57], off offset:16
	s_wait_loadcnt 0x0
	ds_store_b64 v1, v[2:3]
.LBB89_161:
	s_wait_xcnt 0x0
	s_or_b32 exec_lo, exec_lo, s0
	s_wait_storecnt_dscnt 0x0
	s_barrier_signal -1
	s_barrier_wait -1
	s_clause 0x5
	scratch_load_b128 v[56:59], off, off offset:16
	scratch_load_b128 v[60:63], off, off offset:32
	;; [unrolled: 1-line block ×6, first 2 shown]
	v_mov_b32_e32 v2, 0
	ds_load_2addr_b64 v[80:83], v2 offset0:29 offset1:30
	ds_load_2addr_b64 v[84:87], v2 offset0:31 offset1:32
	scratch_load_b128 v[88:91], off, off offset:112
	s_mov_b32 s0, exec_lo
	s_wait_loadcnt_dscnt 0x601
	v_fma_f64 v[92:93], v[58:59], v[80:81], 0
	s_wait_loadcnt 0x5
	s_delay_alu instid0(VALU_DEP_1) | instskip(SKIP_4) | instid1(VALU_DEP_1)
	v_fmac_f64_e32 v[92:93], v[60:61], v[82:83]
	scratch_load_b128 v[58:61], off, off offset:128
	s_wait_dscnt 0x0
	v_fmac_f64_e32 v[92:93], v[62:63], v[84:85]
	s_wait_loadcnt 0x5
	v_fmac_f64_e32 v[92:93], v[64:65], v[86:87]
	ds_load_2addr_b64 v[62:65], v2 offset0:33 offset1:34
	ds_load_2addr_b64 v[80:83], v2 offset0:35 offset1:36
	s_wait_dscnt 0x1
	v_fmac_f64_e32 v[92:93], v[66:67], v[62:63]
	s_wait_loadcnt 0x4
	s_delay_alu instid0(VALU_DEP_1)
	v_fmac_f64_e32 v[92:93], v[68:69], v[64:65]
	s_clause 0x1
	scratch_load_b128 v[62:65], off, off offset:144
	scratch_load_b128 v[66:69], off, off offset:160
	s_wait_dscnt 0x0
	v_fmac_f64_e32 v[92:93], v[70:71], v[80:81]
	s_wait_loadcnt 0x5
	s_delay_alu instid0(VALU_DEP_1)
	v_fmac_f64_e32 v[92:93], v[72:73], v[82:83]
	ds_load_2addr_b64 v[70:73], v2 offset0:37 offset1:38
	ds_load_2addr_b64 v[80:83], v2 offset0:39 offset1:40
	s_wait_dscnt 0x1
	v_fmac_f64_e32 v[92:93], v[74:75], v[70:71]
	s_wait_loadcnt 0x4
	s_delay_alu instid0(VALU_DEP_1)
	v_fmac_f64_e32 v[92:93], v[76:77], v[72:73]
	s_clause 0x1
	scratch_load_b128 v[70:73], off, off offset:176
	scratch_load_b128 v[74:77], off, off offset:192
	s_wait_dscnt 0x0
	v_fmac_f64_e32 v[92:93], v[78:79], v[80:81]
	s_wait_loadcnt 0x5
	s_delay_alu instid0(VALU_DEP_1)
	v_fmac_f64_e32 v[92:93], v[88:89], v[82:83]
	ds_load_2addr_b64 v[78:81], v2 offset0:41 offset1:42
	ds_load_2addr_b64 v[82:85], v2 offset0:43 offset1:44
	s_wait_dscnt 0x1
	v_fmac_f64_e32 v[92:93], v[90:91], v[78:79]
	s_wait_loadcnt 0x4
	s_delay_alu instid0(VALU_DEP_1) | instskip(SKIP_1) | instid1(VALU_DEP_1)
	v_fmac_f64_e32 v[92:93], v[58:59], v[80:81]
	s_wait_dscnt 0x0
	v_fmac_f64_e32 v[92:93], v[60:61], v[82:83]
	ds_load_2addr_b64 v[58:61], v2 offset0:45 offset1:46
	ds_load_2addr_b64 v[78:81], v2 offset0:47 offset1:48
	s_wait_loadcnt 0x3
	v_fmac_f64_e32 v[92:93], v[62:63], v[84:85]
	s_wait_dscnt 0x1
	s_delay_alu instid0(VALU_DEP_1) | instskip(SKIP_1) | instid1(VALU_DEP_1)
	v_fmac_f64_e32 v[92:93], v[64:65], v[58:59]
	s_wait_loadcnt 0x2
	v_fmac_f64_e32 v[92:93], v[66:67], v[60:61]
	ds_load_2addr_b64 v[58:61], v2 offset0:49 offset1:50
	ds_load_b64 v[62:63], v2 offset:408
	s_wait_dscnt 0x2
	v_fmac_f64_e32 v[92:93], v[68:69], v[78:79]
	s_wait_loadcnt 0x1
	s_delay_alu instid0(VALU_DEP_1) | instskip(SKIP_1) | instid1(VALU_DEP_1)
	v_fmac_f64_e32 v[92:93], v[70:71], v[80:81]
	s_wait_dscnt 0x1
	v_fmac_f64_e32 v[92:93], v[72:73], v[58:59]
	s_wait_loadcnt 0x0
	s_delay_alu instid0(VALU_DEP_1) | instskip(SKIP_1) | instid1(VALU_DEP_1)
	v_fmac_f64_e32 v[92:93], v[74:75], v[60:61]
	s_wait_dscnt 0x0
	v_fmac_f64_e32 v[92:93], v[76:77], v[62:63]
	s_delay_alu instid0(VALU_DEP_1)
	v_add_f64_e64 v[56:57], v[56:57], -v[92:93]
	scratch_store_b64 off, v[56:57], off offset:16
	s_wait_xcnt 0x0
	v_cmpx_lt_u32_e32 1, v0
	s_cbranch_execz .LBB89_163
; %bb.162:
	scratch_load_b64 v[56:57], off, off offset:8
	v_mov_b64_e32 v[58:59], 0
	scratch_store_b64 off, v[58:59], off offset:8
	s_wait_loadcnt 0x0
	ds_store_b64 v1, v[56:57]
.LBB89_163:
	s_wait_xcnt 0x0
	s_or_b32 exec_lo, exec_lo, s0
	s_wait_storecnt_dscnt 0x0
	s_barrier_signal -1
	s_barrier_wait -1
	s_clause 0x5
	scratch_load_b128 v[56:59], off, off offset:8
	scratch_load_b128 v[60:63], off, off offset:24
	;; [unrolled: 1-line block ×6, first 2 shown]
	ds_load_b128 v[80:83], v2 offset:224
	ds_load_b128 v[84:87], v2 offset:240
	scratch_load_b128 v[88:91], off, off offset:104
	v_dual_ashrrev_i32 v9, 31, v8 :: v_dual_ashrrev_i32 v15, 31, v14
	v_dual_ashrrev_i32 v13, 31, v12 :: v_dual_ashrrev_i32 v19, 31, v18
	;; [unrolled: 1-line block ×11, first 2 shown]
	v_ashrrev_i32_e32 v53, 31, v52
	s_mov_b32 s0, exec_lo
	v_ashrrev_i32_e32 v11, 31, v10
	s_wait_loadcnt_dscnt 0x601
	v_fma_f64 v[92:93], v[58:59], v[80:81], 0
	s_wait_loadcnt 0x5
	s_delay_alu instid0(VALU_DEP_1) | instskip(SKIP_4) | instid1(VALU_DEP_1)
	v_fmac_f64_e32 v[92:93], v[60:61], v[82:83]
	scratch_load_b128 v[58:61], off, off offset:120
	s_wait_dscnt 0x0
	v_fmac_f64_e32 v[92:93], v[62:63], v[84:85]
	s_wait_loadcnt 0x5
	v_fmac_f64_e32 v[92:93], v[64:65], v[86:87]
	ds_load_b128 v[62:65], v2 offset:256
	ds_load_b128 v[80:83], v2 offset:272
	s_wait_dscnt 0x1
	v_fmac_f64_e32 v[92:93], v[66:67], v[62:63]
	s_wait_loadcnt 0x4
	s_delay_alu instid0(VALU_DEP_1)
	v_fmac_f64_e32 v[92:93], v[68:69], v[64:65]
	s_clause 0x1
	scratch_load_b128 v[62:65], off, off offset:136
	scratch_load_b128 v[66:69], off, off offset:152
	s_wait_dscnt 0x0
	v_fmac_f64_e32 v[92:93], v[70:71], v[80:81]
	s_wait_loadcnt 0x5
	s_delay_alu instid0(VALU_DEP_1)
	v_fmac_f64_e32 v[92:93], v[72:73], v[82:83]
	ds_load_b128 v[70:73], v2 offset:288
	ds_load_b128 v[80:83], v2 offset:304
	s_wait_dscnt 0x1
	v_fmac_f64_e32 v[92:93], v[74:75], v[70:71]
	s_wait_loadcnt 0x4
	s_delay_alu instid0(VALU_DEP_1)
	v_fmac_f64_e32 v[92:93], v[76:77], v[72:73]
	s_clause 0x1
	scratch_load_b128 v[70:73], off, off offset:168
	scratch_load_b128 v[74:77], off, off offset:184
	s_wait_dscnt 0x0
	v_fmac_f64_e32 v[92:93], v[78:79], v[80:81]
	s_wait_loadcnt 0x5
	s_delay_alu instid0(VALU_DEP_1)
	v_fmac_f64_e32 v[92:93], v[88:89], v[82:83]
	ds_load_b128 v[78:81], v2 offset:320
	ds_load_b128 v[82:85], v2 offset:336
	scratch_load_b64 v[86:87], off, off offset:200
	s_wait_dscnt 0x1
	v_fmac_f64_e32 v[92:93], v[90:91], v[78:79]
	s_wait_loadcnt 0x5
	s_delay_alu instid0(VALU_DEP_1) | instskip(SKIP_1) | instid1(VALU_DEP_1)
	v_fmac_f64_e32 v[92:93], v[58:59], v[80:81]
	s_wait_dscnt 0x0
	v_fmac_f64_e32 v[92:93], v[60:61], v[82:83]
	ds_load_b128 v[58:61], v2 offset:352
	ds_load_b128 v[78:81], v2 offset:368
	s_wait_loadcnt 0x4
	v_fmac_f64_e32 v[92:93], v[62:63], v[84:85]
	s_wait_dscnt 0x1
	s_delay_alu instid0(VALU_DEP_1) | instskip(SKIP_1) | instid1(VALU_DEP_1)
	v_fmac_f64_e32 v[92:93], v[64:65], v[58:59]
	s_wait_loadcnt 0x3
	v_fmac_f64_e32 v[92:93], v[66:67], v[60:61]
	ds_load_b128 v[58:61], v2 offset:384
	ds_load_b128 v[62:65], v2 offset:400
	s_wait_dscnt 0x2
	v_fmac_f64_e32 v[92:93], v[68:69], v[78:79]
	s_wait_loadcnt 0x2
	s_delay_alu instid0(VALU_DEP_1) | instskip(SKIP_1) | instid1(VALU_DEP_1)
	v_fmac_f64_e32 v[92:93], v[70:71], v[80:81]
	s_wait_dscnt 0x1
	v_fmac_f64_e32 v[92:93], v[72:73], v[58:59]
	s_wait_loadcnt 0x1
	s_delay_alu instid0(VALU_DEP_1) | instskip(SKIP_1) | instid1(VALU_DEP_1)
	v_fmac_f64_e32 v[92:93], v[74:75], v[60:61]
	s_wait_dscnt 0x0
	v_fmac_f64_e32 v[92:93], v[76:77], v[62:63]
	s_wait_loadcnt 0x0
	s_delay_alu instid0(VALU_DEP_1) | instskip(NEXT) | instid1(VALU_DEP_1)
	v_fmac_f64_e32 v[92:93], v[86:87], v[64:65]
	v_add_f64_e64 v[2:3], v[56:57], -v[92:93]
	scratch_store_b64 off, v[2:3], off offset:8
	s_wait_xcnt 0x0
	v_cmpx_ne_u32_e32 0, v0
	s_cbranch_execz .LBB89_165
; %bb.164:
	scratch_load_b64 v[2:3], off, off
	v_mov_b64_e32 v[56:57], 0
	scratch_store_b64 off, v[56:57], off
	s_wait_loadcnt 0x0
	ds_store_b64 v1, v[2:3]
.LBB89_165:
	s_wait_xcnt 0x0
	s_or_b32 exec_lo, exec_lo, s0
	s_wait_storecnt_dscnt 0x0
	s_barrier_signal -1
	s_barrier_wait -1
	s_clause 0x5
	scratch_load_b128 v[58:61], off, off
	scratch_load_b128 v[0:3], off, off offset:16
	scratch_load_b128 v[62:65], off, off offset:32
	;; [unrolled: 1-line block ×5, first 2 shown]
	v_mov_b32_e32 v56, 0
	s_clause 0x1
	scratch_load_b128 v[82:85], off, off offset:96
	scratch_load_b128 v[86:89], off, off offset:112
	s_and_b32 vcc_lo, exec_lo, s12
	ds_load_2addr_b64 v[78:81], v56 offset0:27 offset1:28
	s_wait_loadcnt_dscnt 0x700
	v_fma_f64 v[90:91], v[60:61], v[78:79], 0
	s_wait_loadcnt 0x6
	s_delay_alu instid0(VALU_DEP_1)
	v_fmac_f64_e32 v[90:91], v[0:1], v[80:81]
	ds_load_2addr_b64 v[78:81], v56 offset0:29 offset1:30
	s_wait_dscnt 0x0
	v_fmac_f64_e32 v[90:91], v[2:3], v[78:79]
	ds_load_2addr_b64 v[0:3], v56 offset0:31 offset1:32
	s_wait_loadcnt 0x5
	v_fmac_f64_e32 v[90:91], v[62:63], v[80:81]
	scratch_load_b128 v[60:63], off, off offset:128
	s_wait_dscnt 0x0
	v_fmac_f64_e32 v[90:91], v[64:65], v[0:1]
	s_wait_loadcnt 0x5
	s_delay_alu instid0(VALU_DEP_1)
	v_fmac_f64_e32 v[90:91], v[66:67], v[2:3]
	ds_load_2addr_b64 v[0:3], v56 offset0:33 offset1:34
	scratch_load_b128 v[64:67], off, off offset:144
	s_wait_dscnt 0x0
	v_fmac_f64_e32 v[90:91], v[68:69], v[0:1]
	s_wait_loadcnt 0x5
	s_delay_alu instid0(VALU_DEP_1)
	v_fmac_f64_e32 v[90:91], v[70:71], v[2:3]
	ds_load_2addr_b64 v[0:3], v56 offset0:35 offset1:36
	;; [unrolled: 7-line block ×3, first 2 shown]
	scratch_load_b128 v[72:75], off, off offset:176
	s_wait_dscnt 0x0
	v_fmac_f64_e32 v[90:91], v[76:77], v[0:1]
	ds_load_2addr_b64 v[76:79], v56 offset0:39 offset1:40
	s_wait_loadcnt 0x5
	v_fmac_f64_e32 v[90:91], v[82:83], v[2:3]
	scratch_load_b128 v[0:3], off, off offset:192
	s_wait_dscnt 0x0
	v_fmac_f64_e32 v[90:91], v[84:85], v[76:77]
	s_wait_loadcnt 0x5
	s_delay_alu instid0(VALU_DEP_1) | instskip(SKIP_4) | instid1(VALU_DEP_1)
	v_fmac_f64_e32 v[90:91], v[86:87], v[78:79]
	ds_load_2addr_b64 v[76:79], v56 offset0:41 offset1:42
	s_wait_dscnt 0x0
	v_fmac_f64_e32 v[90:91], v[88:89], v[76:77]
	s_wait_loadcnt 0x4
	v_fmac_f64_e32 v[90:91], v[60:61], v[78:79]
	ds_load_2addr_b64 v[76:79], v56 offset0:43 offset1:44
	s_wait_dscnt 0x0
	v_fmac_f64_e32 v[90:91], v[62:63], v[76:77]
	ds_load_2addr_b64 v[60:63], v56 offset0:45 offset1:46
	s_wait_loadcnt 0x3
	v_fmac_f64_e32 v[90:91], v[64:65], v[78:79]
	s_wait_dscnt 0x0
	s_delay_alu instid0(VALU_DEP_1) | instskip(SKIP_1) | instid1(VALU_DEP_1)
	v_fmac_f64_e32 v[90:91], v[66:67], v[60:61]
	s_wait_loadcnt 0x2
	v_fmac_f64_e32 v[90:91], v[68:69], v[62:63]
	ds_load_2addr_b64 v[60:63], v56 offset0:47 offset1:48
	s_wait_dscnt 0x0
	v_fmac_f64_e32 v[90:91], v[70:71], v[60:61]
	s_wait_loadcnt 0x1
	s_delay_alu instid0(VALU_DEP_1)
	v_fmac_f64_e32 v[90:91], v[72:73], v[62:63]
	ds_load_2addr_b64 v[60:63], v56 offset0:49 offset1:50
	s_wait_dscnt 0x0
	v_fmac_f64_e32 v[90:91], v[74:75], v[60:61]
	ds_load_b64 v[60:61], v56 offset:408
	s_wait_loadcnt 0x0
	v_fmac_f64_e32 v[90:91], v[0:1], v[62:63]
	s_wait_dscnt 0x0
	s_delay_alu instid0(VALU_DEP_1) | instskip(NEXT) | instid1(VALU_DEP_1)
	v_fmac_f64_e32 v[90:91], v[2:3], v[60:61]
	v_add_f64_e64 v[2:3], v[58:59], -v[90:91]
	scratch_store_b64 off, v[2:3], off
	s_cbranch_vccz .LBB89_216
; %bb.166:
	global_load_b32 v2, v56, s[8:9] offset:96
	s_wait_loadcnt 0x0
	v_cmp_ne_u32_e32 vcc_lo, 25, v2
	s_cbranch_vccz .LBB89_168
; %bb.167:
	v_lshlrev_b32_e32 v2, 3, v2
	s_wait_xcnt 0x0
	s_delay_alu instid0(VALU_DEP_1)
	v_mov_b32_e32 v56, v2
	scratch_load_b64 v[2:3], v56, off offset:-8
	s_wait_loadcnt 0x0
	scratch_store_b64 off, v[2:3], off offset:192
	scratch_store_b64 v56, v[0:1], off offset:-8
.LBB89_168:
	s_wait_xcnt 0x0
	v_mov_b32_e32 v0, 0
	global_load_b32 v1, v0, s[8:9] offset:92
	s_wait_loadcnt 0x0
	v_cmp_eq_u32_e32 vcc_lo, 24, v1
	s_cbranch_vccnz .LBB89_170
; %bb.169:
	v_lshlrev_b32_e32 v1, 3, v1
	scratch_load_b64 v[2:3], v1, off offset:-8
	scratch_load_b64 v[56:57], off, off offset:184
	s_wait_loadcnt 0x1
	scratch_store_b64 off, v[2:3], off offset:184
	s_wait_loadcnt 0x0
	scratch_store_b64 v1, v[56:57], off offset:-8
.LBB89_170:
	global_load_b32 v0, v0, s[8:9] offset:88
	s_wait_loadcnt 0x0
	v_cmp_eq_u32_e32 vcc_lo, 23, v0
	s_cbranch_vccnz .LBB89_172
; %bb.171:
	s_wait_xcnt 0x0
	v_lshlrev_b32_e32 v0, 3, v0
	s_delay_alu instid0(VALU_DEP_1)
	v_mov_b32_e32 v56, v0
	scratch_load_b64 v[0:1], v56, off offset:-8
	scratch_load_b64 v[2:3], off, off offset:176
	s_wait_loadcnt 0x1
	scratch_store_b64 off, v[0:1], off offset:176
	s_wait_loadcnt 0x0
	scratch_store_b64 v56, v[2:3], off offset:-8
.LBB89_172:
	s_wait_xcnt 0x0
	v_mov_b32_e32 v0, 0
	global_load_b32 v1, v0, s[8:9] offset:84
	s_wait_loadcnt 0x0
	v_cmp_eq_u32_e32 vcc_lo, 22, v1
	s_cbranch_vccnz .LBB89_174
; %bb.173:
	v_lshlrev_b32_e32 v1, 3, v1
	scratch_load_b64 v[2:3], v1, off offset:-8
	scratch_load_b64 v[56:57], off, off offset:168
	s_wait_loadcnt 0x1
	scratch_store_b64 off, v[2:3], off offset:168
	s_wait_loadcnt 0x0
	scratch_store_b64 v1, v[56:57], off offset:-8
.LBB89_174:
	global_load_b32 v0, v0, s[8:9] offset:80
	s_wait_loadcnt 0x0
	v_cmp_eq_u32_e32 vcc_lo, 21, v0
	s_cbranch_vccnz .LBB89_176
; %bb.175:
	s_wait_xcnt 0x0
	v_lshlrev_b32_e32 v0, 3, v0
	s_delay_alu instid0(VALU_DEP_1)
	v_mov_b32_e32 v56, v0
	scratch_load_b64 v[0:1], v56, off offset:-8
	scratch_load_b64 v[2:3], off, off offset:160
	s_wait_loadcnt 0x1
	scratch_store_b64 off, v[0:1], off offset:160
	s_wait_loadcnt 0x0
	scratch_store_b64 v56, v[2:3], off offset:-8
.LBB89_176:
	;; [unrolled: 31-line block ×11, first 2 shown]
	s_wait_xcnt 0x0
	v_mov_b32_e32 v0, 0
	global_load_b32 v1, v0, s[8:9] offset:4
	s_wait_loadcnt 0x0
	v_cmp_eq_u32_e32 vcc_lo, 2, v1
	s_cbranch_vccnz .LBB89_214
; %bb.213:
	v_lshlrev_b32_e32 v1, 3, v1
	scratch_load_b64 v[2:3], v1, off offset:-8
	scratch_load_b64 v[56:57], off, off offset:8
	s_wait_loadcnt 0x1
	scratch_store_b64 off, v[2:3], off offset:8
	s_wait_loadcnt 0x0
	scratch_store_b64 v1, v[56:57], off offset:-8
.LBB89_214:
	global_load_b32 v0, v0, s[8:9]
	scratch_load_b64 v[2:3], off, off
	s_wait_loadcnt 0x1
	v_cmp_eq_u32_e32 vcc_lo, 1, v0
	s_cbranch_vccnz .LBB89_216
; %bb.215:
	s_wait_xcnt 0x1
	v_lshlrev_b32_e32 v0, 3, v0
	s_delay_alu instid0(VALU_DEP_1)
	v_mov_b32_e32 v56, v0
	scratch_load_b64 v[0:1], v56, off offset:-8
	s_wait_loadcnt 0x0
	scratch_store_b64 off, v[0:1], off
	scratch_store_b64 v56, v[2:3], off offset:-8
	scratch_load_b64 v[2:3], off, off
.LBB89_216:
	s_wait_loadcnt 0x0
	flat_store_b64 v[4:5], v[2:3]
	scratch_load_b64 v[2:3], off, off offset:8
	v_lshl_add_u64 v[76:77], v[8:9], 3, s[2:3]
	v_lshl_add_u64 v[74:75], v[10:11], 3, s[2:3]
	;; [unrolled: 1-line block ×24, first 2 shown]
	s_wait_loadcnt 0x0
	flat_store_b64 v[6:7], v[2:3]
	scratch_load_b64 v[2:3], off, off offset:16
	s_wait_loadcnt 0x0
	flat_store_b64 v[76:77], v[2:3]
	scratch_load_b64 v[2:3], off, off offset:24
	;; [unrolled: 3-line block ×24, first 2 shown]
	s_wait_loadcnt 0x0
	flat_store_b64 v[0:1], v[2:3]
	s_sendmsg sendmsg(MSG_DEALLOC_VGPRS)
	s_endpgm
	.section	.rodata,"a",@progbits
	.p2align	6, 0x0
	.amdhsa_kernel _ZN9rocsolver6v33100L18getri_kernel_smallILi26EdPKPdEEvT1_iilPiilS6_bb
		.amdhsa_group_segment_fixed_size 424
		.amdhsa_private_segment_fixed_size 224
		.amdhsa_kernarg_size 60
		.amdhsa_user_sgpr_count 2
		.amdhsa_user_sgpr_dispatch_ptr 0
		.amdhsa_user_sgpr_queue_ptr 0
		.amdhsa_user_sgpr_kernarg_segment_ptr 1
		.amdhsa_user_sgpr_dispatch_id 0
		.amdhsa_user_sgpr_kernarg_preload_length 0
		.amdhsa_user_sgpr_kernarg_preload_offset 0
		.amdhsa_user_sgpr_private_segment_size 0
		.amdhsa_wavefront_size32 1
		.amdhsa_uses_dynamic_stack 0
		.amdhsa_enable_private_segment 1
		.amdhsa_system_sgpr_workgroup_id_x 1
		.amdhsa_system_sgpr_workgroup_id_y 0
		.amdhsa_system_sgpr_workgroup_id_z 0
		.amdhsa_system_sgpr_workgroup_info 0
		.amdhsa_system_vgpr_workitem_id 0
		.amdhsa_next_free_vgpr 94
		.amdhsa_next_free_sgpr 19
		.amdhsa_named_barrier_count 0
		.amdhsa_reserve_vcc 1
		.amdhsa_float_round_mode_32 0
		.amdhsa_float_round_mode_16_64 0
		.amdhsa_float_denorm_mode_32 3
		.amdhsa_float_denorm_mode_16_64 3
		.amdhsa_fp16_overflow 0
		.amdhsa_memory_ordered 1
		.amdhsa_forward_progress 1
		.amdhsa_inst_pref_size 151
		.amdhsa_round_robin_scheduling 0
		.amdhsa_exception_fp_ieee_invalid_op 0
		.amdhsa_exception_fp_denorm_src 0
		.amdhsa_exception_fp_ieee_div_zero 0
		.amdhsa_exception_fp_ieee_overflow 0
		.amdhsa_exception_fp_ieee_underflow 0
		.amdhsa_exception_fp_ieee_inexact 0
		.amdhsa_exception_int_div_zero 0
	.end_amdhsa_kernel
	.section	.text._ZN9rocsolver6v33100L18getri_kernel_smallILi26EdPKPdEEvT1_iilPiilS6_bb,"axG",@progbits,_ZN9rocsolver6v33100L18getri_kernel_smallILi26EdPKPdEEvT1_iilPiilS6_bb,comdat
.Lfunc_end89:
	.size	_ZN9rocsolver6v33100L18getri_kernel_smallILi26EdPKPdEEvT1_iilPiilS6_bb, .Lfunc_end89-_ZN9rocsolver6v33100L18getri_kernel_smallILi26EdPKPdEEvT1_iilPiilS6_bb
                                        ; -- End function
	.set _ZN9rocsolver6v33100L18getri_kernel_smallILi26EdPKPdEEvT1_iilPiilS6_bb.num_vgpr, 94
	.set _ZN9rocsolver6v33100L18getri_kernel_smallILi26EdPKPdEEvT1_iilPiilS6_bb.num_agpr, 0
	.set _ZN9rocsolver6v33100L18getri_kernel_smallILi26EdPKPdEEvT1_iilPiilS6_bb.numbered_sgpr, 19
	.set _ZN9rocsolver6v33100L18getri_kernel_smallILi26EdPKPdEEvT1_iilPiilS6_bb.num_named_barrier, 0
	.set _ZN9rocsolver6v33100L18getri_kernel_smallILi26EdPKPdEEvT1_iilPiilS6_bb.private_seg_size, 224
	.set _ZN9rocsolver6v33100L18getri_kernel_smallILi26EdPKPdEEvT1_iilPiilS6_bb.uses_vcc, 1
	.set _ZN9rocsolver6v33100L18getri_kernel_smallILi26EdPKPdEEvT1_iilPiilS6_bb.uses_flat_scratch, 1
	.set _ZN9rocsolver6v33100L18getri_kernel_smallILi26EdPKPdEEvT1_iilPiilS6_bb.has_dyn_sized_stack, 0
	.set _ZN9rocsolver6v33100L18getri_kernel_smallILi26EdPKPdEEvT1_iilPiilS6_bb.has_recursion, 0
	.set _ZN9rocsolver6v33100L18getri_kernel_smallILi26EdPKPdEEvT1_iilPiilS6_bb.has_indirect_call, 0
	.section	.AMDGPU.csdata,"",@progbits
; Kernel info:
; codeLenInByte = 19316
; TotalNumSgprs: 21
; NumVgprs: 94
; ScratchSize: 224
; MemoryBound: 0
; FloatMode: 240
; IeeeMode: 1
; LDSByteSize: 424 bytes/workgroup (compile time only)
; SGPRBlocks: 0
; VGPRBlocks: 5
; NumSGPRsForWavesPerEU: 21
; NumVGPRsForWavesPerEU: 94
; NamedBarCnt: 0
; Occupancy: 10
; WaveLimiterHint : 1
; COMPUTE_PGM_RSRC2:SCRATCH_EN: 1
; COMPUTE_PGM_RSRC2:USER_SGPR: 2
; COMPUTE_PGM_RSRC2:TRAP_HANDLER: 0
; COMPUTE_PGM_RSRC2:TGID_X_EN: 1
; COMPUTE_PGM_RSRC2:TGID_Y_EN: 0
; COMPUTE_PGM_RSRC2:TGID_Z_EN: 0
; COMPUTE_PGM_RSRC2:TIDIG_COMP_CNT: 0
	.section	.text._ZN9rocsolver6v33100L18getri_kernel_smallILi27EdPKPdEEvT1_iilPiilS6_bb,"axG",@progbits,_ZN9rocsolver6v33100L18getri_kernel_smallILi27EdPKPdEEvT1_iilPiilS6_bb,comdat
	.globl	_ZN9rocsolver6v33100L18getri_kernel_smallILi27EdPKPdEEvT1_iilPiilS6_bb ; -- Begin function _ZN9rocsolver6v33100L18getri_kernel_smallILi27EdPKPdEEvT1_iilPiilS6_bb
	.p2align	8
	.type	_ZN9rocsolver6v33100L18getri_kernel_smallILi27EdPKPdEEvT1_iilPiilS6_bb,@function
_ZN9rocsolver6v33100L18getri_kernel_smallILi27EdPKPdEEvT1_iilPiilS6_bb: ; @_ZN9rocsolver6v33100L18getri_kernel_smallILi27EdPKPdEEvT1_iilPiilS6_bb
; %bb.0:
	s_mov_b32 s2, exec_lo
	v_cmpx_gt_u32_e32 27, v0
	s_cbranch_execz .LBB90_118
; %bb.1:
	s_clause 0x1
	s_load_b32 s13, s[0:1], 0x38
	s_load_b64 s[2:3], s[0:1], 0x0
	s_getreg_b32 s6, hwreg(HW_REG_IB_STS2, 6, 4)
	s_wait_kmcnt 0x0
	s_bitcmp1_b32 s13, 8
	s_cselect_b32 s12, -1, 0
	s_bfe_u32 s4, ttmp6, 0x4000c
	s_and_b32 s5, ttmp6, 15
	s_add_co_i32 s4, s4, 1
	s_delay_alu instid0(SALU_CYCLE_1) | instskip(NEXT) | instid1(SALU_CYCLE_1)
	s_mul_i32 s4, ttmp9, s4
	s_add_co_i32 s5, s5, s4
	s_cmp_eq_u32 s6, 0
	s_cselect_b32 s10, ttmp9, s5
	s_load_b128 s[4:7], s[0:1], 0x28
	s_ashr_i32 s11, s10, 31
	s_delay_alu instid0(SALU_CYCLE_1) | instskip(NEXT) | instid1(SALU_CYCLE_1)
	s_lshl_b64 s[8:9], s[10:11], 3
	s_add_nc_u64 s[2:3], s[2:3], s[8:9]
	s_bfe_u32 s8, s13, 0x10008
	s_load_b64 s[2:3], s[2:3], 0x0
	s_cmp_eq_u32 s8, 0
                                        ; implicit-def: $sgpr8_sgpr9
	s_cbranch_scc1 .LBB90_3
; %bb.2:
	s_load_b96 s[16:18], s[0:1], 0x18
	s_wait_kmcnt 0x0
	s_mul_u64 s[4:5], s[4:5], s[10:11]
	s_delay_alu instid0(SALU_CYCLE_1) | instskip(SKIP_4) | instid1(SALU_CYCLE_1)
	s_lshl_b64 s[4:5], s[4:5], 2
	s_ashr_i32 s9, s18, 31
	s_mov_b32 s8, s18
	s_add_nc_u64 s[4:5], s[16:17], s[4:5]
	s_lshl_b64 s[8:9], s[8:9], 2
	s_add_nc_u64 s[8:9], s[4:5], s[8:9]
.LBB90_3:
	s_wait_kmcnt 0x0
	s_clause 0x1
	s_load_b64 s[4:5], s[0:1], 0x8
	s_load_b32 s13, s[0:1], 0x38
	v_dual_mov_b32 v3, 0 :: v_dual_lshlrev_b32 v2, 3, v0
	s_wait_kmcnt 0x0
	s_ashr_i32 s1, s4, 31
	s_mov_b32 s0, s4
	s_delay_alu instid0(SALU_CYCLE_1) | instskip(NEXT) | instid1(SALU_CYCLE_1)
	s_lshl_b64 s[0:1], s[0:1], 3
	s_add_nc_u64 s[2:3], s[2:3], s[0:1]
	s_ashr_i32 s1, s5, 31
	flat_load_b64 v[8:9], v0, s[2:3] scale_offset
	v_add_nc_u64_e32 v[4:5], s[2:3], v[2:3]
	s_mov_b32 s0, s5
	s_bitcmp0_b32 s13, 0
	s_delay_alu instid0(VALU_DEP_1)
	v_lshl_add_u64 v[6:7], s[0:1], 3, v[4:5]
	s_mov_b32 s1, -1
	s_wait_loadcnt_dscnt 0x0
	scratch_store_b64 off, v[8:9], off
	flat_load_b64 v[10:11], v[6:7]
	s_wait_xcnt 0x1
	v_add3_u32 v8, s5, s5, v0
	s_wait_loadcnt_dscnt 0x0
	scratch_store_b64 off, v[10:11], off offset:8
	flat_load_b64 v[12:13], v8, s[2:3] scale_offset
	s_wait_xcnt 0x1
	v_add_nc_u32_e32 v10, s5, v8
	s_wait_loadcnt_dscnt 0x0
	scratch_store_b64 off, v[12:13], off offset:16
	flat_load_b64 v[14:15], v10, s[2:3] scale_offset
	s_wait_xcnt 0x1
	v_add_nc_u32_e32 v12, s5, v10
	;; [unrolled: 5-line block ×24, first 2 shown]
	s_wait_loadcnt_dscnt 0x0
	scratch_store_b64 off, v[58:59], off offset:200
	flat_load_b64 v[58:59], v56, s[2:3] scale_offset
	s_wait_loadcnt_dscnt 0x0
	scratch_store_b64 off, v[58:59], off offset:208
	s_cbranch_scc1 .LBB90_116
; %bb.4:
	v_cmp_eq_u32_e64 s0, 0, v0
	s_wait_xcnt 0x0
	s_and_saveexec_b32 s1, s0
; %bb.5:
	v_mov_b32_e32 v1, 0
	ds_store_b32 v1, v1 offset:216
; %bb.6:
	s_or_b32 exec_lo, exec_lo, s1
	s_wait_storecnt_dscnt 0x0
	s_barrier_signal -1
	s_barrier_wait -1
	scratch_load_b64 v[58:59], v0, off scale_offset
	s_mov_b32 s4, exec_lo
	s_wait_loadcnt 0x0
	v_cmpx_eq_f64_e32 0, v[58:59]
	s_cbranch_execz .LBB90_10
; %bb.7:
	v_mov_b32_e32 v1, 0
	s_mov_b32 s5, 0
	ds_load_b32 v3, v1 offset:216
	s_wait_dscnt 0x0
	v_readfirstlane_b32 s1, v3
	v_add_nc_u32_e32 v3, 1, v0
	s_cmp_eq_u32 s1, 0
	s_delay_alu instid0(VALU_DEP_1) | instskip(SKIP_1) | instid1(SALU_CYCLE_1)
	v_cmp_gt_i32_e32 vcc_lo, s1, v3
	s_cselect_b32 s13, -1, 0
	s_or_b32 s13, s13, vcc_lo
	s_delay_alu instid0(SALU_CYCLE_1)
	s_and_b32 exec_lo, exec_lo, s13
	s_cbranch_execz .LBB90_10
; %bb.8:
	v_mov_b32_e32 v9, s1
.LBB90_9:                               ; =>This Inner Loop Header: Depth=1
	ds_cmpstore_rtn_b32 v9, v1, v3, v9 offset:216
	s_wait_dscnt 0x0
	v_cmp_ne_u32_e32 vcc_lo, 0, v9
	v_cmp_le_i32_e64 s1, v9, v3
	s_and_b32 s1, vcc_lo, s1
	s_delay_alu instid0(SALU_CYCLE_1) | instskip(NEXT) | instid1(SALU_CYCLE_1)
	s_and_b32 s1, exec_lo, s1
	s_or_b32 s5, s1, s5
	s_delay_alu instid0(SALU_CYCLE_1)
	s_and_not1_b32 exec_lo, exec_lo, s5
	s_cbranch_execnz .LBB90_9
.LBB90_10:
	s_or_b32 exec_lo, exec_lo, s4
	v_mov_b32_e32 v1, 0
	s_barrier_signal -1
	s_barrier_wait -1
	ds_load_b32 v3, v1 offset:216
	s_and_saveexec_b32 s1, s0
	s_cbranch_execz .LBB90_12
; %bb.11:
	s_lshl_b64 s[4:5], s[10:11], 2
	s_delay_alu instid0(SALU_CYCLE_1)
	s_add_nc_u64 s[4:5], s[6:7], s[4:5]
	s_wait_dscnt 0x0
	global_store_b32 v1, v3, s[4:5]
.LBB90_12:
	s_wait_xcnt 0x0
	s_or_b32 exec_lo, exec_lo, s1
	s_wait_dscnt 0x0
	v_cmp_ne_u32_e32 vcc_lo, 0, v3
	s_mov_b32 s1, 0
	s_cbranch_vccnz .LBB90_116
; %bb.13:
	v_lshl_add_u32 v3, v0, 3, 0
	v_add_nc_u32_e32 v1, 0xe0, v2
	scratch_load_b64 v[58:59], v3, off
	s_wait_loadcnt 0x0
	v_div_scale_f64 v[60:61], null, v[58:59], v[58:59], 1.0
	v_div_scale_f64 v[66:67], vcc_lo, 1.0, v[58:59], 1.0
	s_delay_alu instid0(VALU_DEP_2) | instskip(SKIP_1) | instid1(TRANS32_DEP_1)
	v_rcp_f64_e32 v[62:63], v[60:61]
	v_nop
	v_fma_f64 v[64:65], -v[60:61], v[62:63], 1.0
	s_delay_alu instid0(VALU_DEP_1) | instskip(NEXT) | instid1(VALU_DEP_1)
	v_fmac_f64_e32 v[62:63], v[62:63], v[64:65]
	v_fma_f64 v[64:65], -v[60:61], v[62:63], 1.0
	s_delay_alu instid0(VALU_DEP_1) | instskip(NEXT) | instid1(VALU_DEP_1)
	v_fmac_f64_e32 v[62:63], v[62:63], v[64:65]
	v_mul_f64_e32 v[64:65], v[66:67], v[62:63]
	s_delay_alu instid0(VALU_DEP_1) | instskip(NEXT) | instid1(VALU_DEP_1)
	v_fma_f64 v[60:61], -v[60:61], v[64:65], v[66:67]
	v_div_fmas_f64 v[60:61], v[60:61], v[62:63], v[64:65]
	s_delay_alu instid0(VALU_DEP_1)
	v_div_fixup_f64 v[58:59], v[60:61], v[58:59], 1.0
	scratch_store_b64 v3, v[58:59], off
	scratch_load_b64 v[60:61], off, off offset:8
	s_wait_xcnt 0x1
	v_xor_b32_e32 v59, 0x80000000, v59
	s_wait_loadcnt 0x0
	ds_store_2addr_b64 v2, v[58:59], v[60:61] offset1:28
	s_wait_storecnt_dscnt 0x0
	s_barrier_signal -1
	s_barrier_wait -1
	s_wait_xcnt 0x0
	s_and_saveexec_b32 s1, s0
	s_cbranch_execz .LBB90_15
; %bb.14:
	scratch_load_b64 v[58:59], v3, off
	ds_load_b64 v[60:61], v1
	s_wait_loadcnt_dscnt 0x0
	v_fma_f64 v[58:59], v[58:59], v[60:61], 0
	v_mov_b32_e32 v9, 0
	ds_load_b64 v[62:63], v9 offset:8
	s_wait_dscnt 0x0
	v_mul_f64_e32 v[58:59], v[58:59], v[62:63]
	scratch_store_b64 off, v[58:59], off offset:8
.LBB90_15:
	s_wait_xcnt 0x0
	s_or_b32 exec_lo, exec_lo, s1
	s_wait_storecnt 0x0
	s_barrier_signal -1
	s_barrier_wait -1
	scratch_load_b64 v[58:59], off, off offset:16
	s_mov_b32 s1, exec_lo
	s_wait_loadcnt 0x0
	ds_store_b64 v1, v[58:59]
	s_wait_dscnt 0x0
	s_barrier_signal -1
	s_barrier_wait -1
	v_cmpx_gt_u32_e32 2, v0
	s_cbranch_execz .LBB90_19
; %bb.16:
	scratch_load_b64 v[58:59], v3, off
	ds_load_b64 v[60:61], v1
	s_wait_loadcnt_dscnt 0x0
	v_fma_f64 v[58:59], v[58:59], v[60:61], 0
	s_and_saveexec_b32 s4, s0
	s_cbranch_execz .LBB90_18
; %bb.17:
	scratch_load_b64 v[60:61], off, off offset:8
	v_mov_b32_e32 v3, 0
	ds_load_b64 v[62:63], v3 offset:232
	s_wait_loadcnt_dscnt 0x0
	v_fmac_f64_e32 v[58:59], v[60:61], v[62:63]
.LBB90_18:
	s_or_b32 exec_lo, exec_lo, s4
	v_mov_b32_e32 v3, 0
	ds_load_b64 v[60:61], v3 offset:16
	s_wait_dscnt 0x0
	v_mul_f64_e32 v[58:59], v[58:59], v[60:61]
	scratch_store_b64 off, v[58:59], off offset:16
.LBB90_19:
	s_wait_xcnt 0x0
	s_or_b32 exec_lo, exec_lo, s1
	s_wait_storecnt 0x0
	s_barrier_signal -1
	s_barrier_wait -1
	scratch_load_b64 v[58:59], off, off offset:24
	v_add_nc_u32_e32 v3, -1, v0
	s_mov_b32 s0, exec_lo
	s_wait_loadcnt 0x0
	ds_store_b64 v1, v[58:59]
	s_wait_dscnt 0x0
	s_barrier_signal -1
	s_barrier_wait -1
	v_cmpx_gt_u32_e32 3, v0
	s_cbranch_execz .LBB90_23
; %bb.20:
	v_mov_b64_e32 v[58:59], 0
	v_dual_add_nc_u32 v9, -1, v0 :: v_dual_mov_b32 v13, v2
	v_add_nc_u32_e32 v11, 0xe0, v2
	s_mov_b32 s1, 0
.LBB90_21:                              ; =>This Inner Loop Header: Depth=1
	scratch_load_b64 v[60:61], v13, off
	ds_load_b64 v[62:63], v11
	v_dual_add_nc_u32 v9, 1, v9 :: v_dual_add_nc_u32 v11, 8, v11
	s_wait_xcnt 0x0
	v_add_nc_u32_e32 v13, 8, v13
	s_delay_alu instid0(VALU_DEP_2)
	v_cmp_lt_u32_e32 vcc_lo, 1, v9
	s_or_b32 s1, vcc_lo, s1
	s_wait_loadcnt_dscnt 0x0
	v_fmac_f64_e32 v[58:59], v[60:61], v[62:63]
	s_and_not1_b32 exec_lo, exec_lo, s1
	s_cbranch_execnz .LBB90_21
; %bb.22:
	s_or_b32 exec_lo, exec_lo, s1
	v_mov_b32_e32 v9, 0
	ds_load_b64 v[60:61], v9 offset:24
	s_wait_dscnt 0x0
	v_mul_f64_e32 v[58:59], v[58:59], v[60:61]
	scratch_store_b64 off, v[58:59], off offset:24
.LBB90_23:
	s_wait_xcnt 0x0
	s_or_b32 exec_lo, exec_lo, s0
	s_wait_storecnt 0x0
	s_barrier_signal -1
	s_barrier_wait -1
	scratch_load_b64 v[58:59], off, off offset:32
	s_mov_b32 s0, exec_lo
	s_wait_loadcnt 0x0
	ds_store_b64 v1, v[58:59]
	s_wait_dscnt 0x0
	s_barrier_signal -1
	s_barrier_wait -1
	v_cmpx_gt_u32_e32 4, v0
	s_cbranch_execz .LBB90_27
; %bb.24:
	v_mov_b64_e32 v[58:59], 0
	v_dual_add_nc_u32 v9, -1, v0 :: v_dual_mov_b32 v13, v2
	v_add_nc_u32_e32 v11, 0xe0, v2
	s_mov_b32 s1, 0
.LBB90_25:                              ; =>This Inner Loop Header: Depth=1
	scratch_load_b64 v[60:61], v13, off
	ds_load_b64 v[62:63], v11
	v_dual_add_nc_u32 v9, 1, v9 :: v_dual_add_nc_u32 v11, 8, v11
	s_wait_xcnt 0x0
	v_add_nc_u32_e32 v13, 8, v13
	s_delay_alu instid0(VALU_DEP_2)
	v_cmp_lt_u32_e32 vcc_lo, 2, v9
	s_or_b32 s1, vcc_lo, s1
	s_wait_loadcnt_dscnt 0x0
	v_fmac_f64_e32 v[58:59], v[60:61], v[62:63]
	s_and_not1_b32 exec_lo, exec_lo, s1
	s_cbranch_execnz .LBB90_25
; %bb.26:
	s_or_b32 exec_lo, exec_lo, s1
	v_mov_b32_e32 v9, 0
	ds_load_b64 v[60:61], v9 offset:32
	s_wait_dscnt 0x0
	v_mul_f64_e32 v[58:59], v[58:59], v[60:61]
	scratch_store_b64 off, v[58:59], off offset:32
.LBB90_27:
	s_wait_xcnt 0x0
	s_or_b32 exec_lo, exec_lo, s0
	s_wait_storecnt 0x0
	s_barrier_signal -1
	s_barrier_wait -1
	scratch_load_b64 v[58:59], off, off offset:40
	;; [unrolled: 40-line block ×20, first 2 shown]
	s_mov_b32 s0, exec_lo
	s_wait_loadcnt 0x0
	ds_store_b64 v1, v[58:59]
	s_wait_dscnt 0x0
	s_barrier_signal -1
	s_barrier_wait -1
	v_cmpx_gt_u32_e32 23, v0
	s_cbranch_execz .LBB90_103
; %bb.100:
	v_mov_b64_e32 v[58:59], 0
	v_dual_add_nc_u32 v9, -1, v0 :: v_dual_mov_b32 v13, v2
	v_add_nc_u32_e32 v11, 0xe0, v2
	s_mov_b32 s1, 0
.LBB90_101:                             ; =>This Inner Loop Header: Depth=1
	scratch_load_b64 v[60:61], v13, off
	ds_load_b64 v[62:63], v11
	v_dual_add_nc_u32 v9, 1, v9 :: v_dual_add_nc_u32 v11, 8, v11
	s_wait_xcnt 0x0
	v_add_nc_u32_e32 v13, 8, v13
	s_delay_alu instid0(VALU_DEP_2)
	v_cmp_lt_u32_e32 vcc_lo, 21, v9
	s_or_b32 s1, vcc_lo, s1
	s_wait_loadcnt_dscnt 0x0
	v_fmac_f64_e32 v[58:59], v[60:61], v[62:63]
	s_and_not1_b32 exec_lo, exec_lo, s1
	s_cbranch_execnz .LBB90_101
; %bb.102:
	s_or_b32 exec_lo, exec_lo, s1
	v_mov_b32_e32 v9, 0
	ds_load_b64 v[60:61], v9 offset:184
	s_wait_dscnt 0x0
	v_mul_f64_e32 v[58:59], v[58:59], v[60:61]
	scratch_store_b64 off, v[58:59], off offset:184
.LBB90_103:
	s_wait_xcnt 0x0
	s_or_b32 exec_lo, exec_lo, s0
	s_wait_storecnt 0x0
	s_barrier_signal -1
	s_barrier_wait -1
	scratch_load_b64 v[58:59], off, off offset:192
	s_mov_b32 s0, exec_lo
	s_wait_loadcnt 0x0
	ds_store_b64 v1, v[58:59]
	s_wait_dscnt 0x0
	s_barrier_signal -1
	s_barrier_wait -1
	v_cmpx_gt_u32_e32 24, v0
	s_cbranch_execz .LBB90_107
; %bb.104:
	v_mov_b64_e32 v[58:59], 0
	v_dual_add_nc_u32 v9, -1, v0 :: v_dual_mov_b32 v13, v2
	v_add_nc_u32_e32 v11, 0xe0, v2
	s_mov_b32 s1, 0
.LBB90_105:                             ; =>This Inner Loop Header: Depth=1
	scratch_load_b64 v[60:61], v13, off
	ds_load_b64 v[62:63], v11
	v_dual_add_nc_u32 v9, 1, v9 :: v_dual_add_nc_u32 v11, 8, v11
	s_wait_xcnt 0x0
	v_add_nc_u32_e32 v13, 8, v13
	s_delay_alu instid0(VALU_DEP_2)
	v_cmp_lt_u32_e32 vcc_lo, 22, v9
	s_or_b32 s1, vcc_lo, s1
	s_wait_loadcnt_dscnt 0x0
	v_fmac_f64_e32 v[58:59], v[60:61], v[62:63]
	s_and_not1_b32 exec_lo, exec_lo, s1
	s_cbranch_execnz .LBB90_105
; %bb.106:
	s_or_b32 exec_lo, exec_lo, s1
	v_mov_b32_e32 v9, 0
	ds_load_b64 v[60:61], v9 offset:192
	s_wait_dscnt 0x0
	v_mul_f64_e32 v[58:59], v[58:59], v[60:61]
	scratch_store_b64 off, v[58:59], off offset:192
.LBB90_107:
	s_wait_xcnt 0x0
	s_or_b32 exec_lo, exec_lo, s0
	s_wait_storecnt 0x0
	s_barrier_signal -1
	s_barrier_wait -1
	scratch_load_b64 v[58:59], off, off offset:200
	;; [unrolled: 40-line block ×3, first 2 shown]
	s_mov_b32 s0, exec_lo
	s_wait_loadcnt 0x0
	ds_store_b64 v1, v[58:59]
	s_wait_dscnt 0x0
	s_barrier_signal -1
	s_barrier_wait -1
	v_cmpx_ne_u32_e32 26, v0
	s_cbranch_execz .LBB90_115
; %bb.112:
	v_mov_b64_e32 v[58:59], 0
	s_mov_b32 s1, 0
.LBB90_113:                             ; =>This Inner Loop Header: Depth=1
	scratch_load_b64 v[60:61], v2, off
	ds_load_b64 v[62:63], v1
	v_dual_add_nc_u32 v3, 1, v3 :: v_dual_add_nc_u32 v1, 8, v1
	s_wait_xcnt 0x0
	v_add_nc_u32_e32 v2, 8, v2
	s_delay_alu instid0(VALU_DEP_2)
	v_cmp_lt_u32_e32 vcc_lo, 24, v3
	s_or_b32 s1, vcc_lo, s1
	s_wait_loadcnt_dscnt 0x0
	v_fmac_f64_e32 v[58:59], v[60:61], v[62:63]
	s_and_not1_b32 exec_lo, exec_lo, s1
	s_cbranch_execnz .LBB90_113
; %bb.114:
	s_or_b32 exec_lo, exec_lo, s1
	v_mov_b32_e32 v1, 0
	ds_load_b64 v[2:3], v1 offset:208
	s_wait_dscnt 0x0
	v_mul_f64_e32 v[2:3], v[58:59], v[2:3]
	scratch_store_b64 off, v[2:3], off offset:208
.LBB90_115:
	s_wait_xcnt 0x0
	s_or_b32 exec_lo, exec_lo, s0
	s_mov_b32 s1, -1
	s_wait_storecnt 0x0
	s_barrier_signal -1
	s_barrier_wait -1
.LBB90_116:
	s_and_b32 vcc_lo, exec_lo, s1
	s_cbranch_vccz .LBB90_118
; %bb.117:
	v_mov_b32_e32 v1, 0
	s_lshl_b64 s[0:1], s[10:11], 2
	s_delay_alu instid0(SALU_CYCLE_1)
	s_add_nc_u64 s[0:1], s[6:7], s[0:1]
	global_load_b32 v1, v1, s[0:1]
	s_wait_loadcnt 0x0
	v_cmp_ne_u32_e32 vcc_lo, 0, v1
	s_cbranch_vccz .LBB90_119
.LBB90_118:
	s_sendmsg sendmsg(MSG_DEALLOC_VGPRS)
	s_endpgm
.LBB90_119:
	s_wait_xcnt 0x0
	v_lshl_add_u32 v1, v0, 3, 0xe0
	s_mov_b32 s0, exec_lo
	v_cmpx_eq_u32_e32 26, v0
	s_cbranch_execz .LBB90_121
; %bb.120:
	scratch_load_b64 v[2:3], off, off offset:200
	v_mov_b64_e32 v[58:59], 0
	scratch_store_b64 off, v[58:59], off offset:200
	s_wait_loadcnt 0x0
	ds_store_b64 v1, v[2:3]
.LBB90_121:
	s_wait_xcnt 0x0
	s_or_b32 exec_lo, exec_lo, s0
	s_wait_storecnt_dscnt 0x0
	s_barrier_signal -1
	s_barrier_wait -1
	scratch_load_b128 v[58:61], off, off offset:200
	v_mov_b32_e32 v2, 0
	s_mov_b32 s0, exec_lo
	ds_load_b64 v[62:63], v2 offset:432
	s_wait_loadcnt_dscnt 0x0
	v_fma_f64 v[60:61], v[60:61], v[62:63], 0
	s_delay_alu instid0(VALU_DEP_1)
	v_add_f64_e64 v[58:59], v[58:59], -v[60:61]
	scratch_store_b64 off, v[58:59], off offset:200
	s_wait_xcnt 0x0
	v_cmpx_lt_u32_e32 24, v0
	s_cbranch_execz .LBB90_123
; %bb.122:
	scratch_load_b64 v[58:59], off, off offset:192
	v_mov_b64_e32 v[60:61], 0
	scratch_store_b64 off, v[60:61], off offset:192
	s_wait_loadcnt 0x0
	ds_store_b64 v1, v[58:59]
.LBB90_123:
	s_wait_xcnt 0x0
	s_or_b32 exec_lo, exec_lo, s0
	s_wait_storecnt_dscnt 0x0
	s_barrier_signal -1
	s_barrier_wait -1
	s_clause 0x1
	scratch_load_b128 v[58:61], off, off offset:192
	scratch_load_b64 v[66:67], off, off offset:208
	ds_load_2addr_b64 v[62:65], v2 offset0:53 offset1:54
	s_mov_b32 s0, exec_lo
	s_wait_loadcnt_dscnt 0x100
	v_fma_f64 v[2:3], v[60:61], v[62:63], 0
	s_wait_loadcnt 0x0
	s_delay_alu instid0(VALU_DEP_1) | instskip(NEXT) | instid1(VALU_DEP_1)
	v_fmac_f64_e32 v[2:3], v[66:67], v[64:65]
	v_add_f64_e64 v[2:3], v[58:59], -v[2:3]
	scratch_store_b64 off, v[2:3], off offset:192
	s_wait_xcnt 0x0
	v_cmpx_lt_u32_e32 23, v0
	s_cbranch_execz .LBB90_125
; %bb.124:
	scratch_load_b64 v[2:3], off, off offset:184
	v_mov_b64_e32 v[58:59], 0
	scratch_store_b64 off, v[58:59], off offset:184
	s_wait_loadcnt 0x0
	ds_store_b64 v1, v[2:3]
.LBB90_125:
	s_wait_xcnt 0x0
	s_or_b32 exec_lo, exec_lo, s0
	s_wait_storecnt_dscnt 0x0
	s_barrier_signal -1
	s_barrier_wait -1
	s_clause 0x1
	scratch_load_b128 v[58:61], off, off offset:184
	scratch_load_b128 v[62:65], off, off offset:200
	v_mov_b32_e32 v2, 0
	ds_load_b128 v[66:69], v2 offset:416
	ds_load_b64 v[70:71], v2 offset:432
	s_mov_b32 s0, exec_lo
	s_wait_loadcnt_dscnt 0x101
	v_fma_f64 v[60:61], v[60:61], v[66:67], 0
	s_wait_loadcnt 0x0
	s_delay_alu instid0(VALU_DEP_1) | instskip(SKIP_1) | instid1(VALU_DEP_1)
	v_fmac_f64_e32 v[60:61], v[62:63], v[68:69]
	s_wait_dscnt 0x0
	v_fmac_f64_e32 v[60:61], v[64:65], v[70:71]
	s_delay_alu instid0(VALU_DEP_1)
	v_add_f64_e64 v[58:59], v[58:59], -v[60:61]
	scratch_store_b64 off, v[58:59], off offset:184
	s_wait_xcnt 0x0
	v_cmpx_lt_u32_e32 22, v0
	s_cbranch_execz .LBB90_127
; %bb.126:
	scratch_load_b64 v[58:59], off, off offset:176
	v_mov_b64_e32 v[60:61], 0
	scratch_store_b64 off, v[60:61], off offset:176
	s_wait_loadcnt 0x0
	ds_store_b64 v1, v[58:59]
.LBB90_127:
	s_wait_xcnt 0x0
	s_or_b32 exec_lo, exec_lo, s0
	s_wait_storecnt_dscnt 0x0
	s_barrier_signal -1
	s_barrier_wait -1
	s_clause 0x2
	scratch_load_b128 v[58:61], off, off offset:176
	scratch_load_b128 v[62:65], off, off offset:192
	scratch_load_b64 v[74:75], off, off offset:208
	ds_load_2addr_b64 v[66:69], v2 offset0:51 offset1:52
	ds_load_2addr_b64 v[70:73], v2 offset0:53 offset1:54
	s_mov_b32 s0, exec_lo
	s_wait_loadcnt_dscnt 0x201
	v_fma_f64 v[2:3], v[60:61], v[66:67], 0
	s_wait_loadcnt 0x1
	s_delay_alu instid0(VALU_DEP_1) | instskip(SKIP_1) | instid1(VALU_DEP_1)
	v_fmac_f64_e32 v[2:3], v[62:63], v[68:69]
	s_wait_dscnt 0x0
	v_fmac_f64_e32 v[2:3], v[64:65], v[70:71]
	s_wait_loadcnt 0x0
	s_delay_alu instid0(VALU_DEP_1) | instskip(NEXT) | instid1(VALU_DEP_1)
	v_fmac_f64_e32 v[2:3], v[74:75], v[72:73]
	v_add_f64_e64 v[2:3], v[58:59], -v[2:3]
	scratch_store_b64 off, v[2:3], off offset:176
	s_wait_xcnt 0x0
	v_cmpx_lt_u32_e32 21, v0
	s_cbranch_execz .LBB90_129
; %bb.128:
	scratch_load_b64 v[2:3], off, off offset:168
	v_mov_b64_e32 v[58:59], 0
	scratch_store_b64 off, v[58:59], off offset:168
	s_wait_loadcnt 0x0
	ds_store_b64 v1, v[2:3]
.LBB90_129:
	s_wait_xcnt 0x0
	s_or_b32 exec_lo, exec_lo, s0
	s_wait_storecnt_dscnt 0x0
	s_barrier_signal -1
	s_barrier_wait -1
	s_clause 0x2
	scratch_load_b128 v[58:61], off, off offset:168
	scratch_load_b128 v[62:65], off, off offset:184
	;; [unrolled: 1-line block ×3, first 2 shown]
	v_mov_b32_e32 v2, 0
	ds_load_b128 v[70:73], v2 offset:400
	ds_load_b128 v[74:77], v2 offset:416
	s_mov_b32 s0, exec_lo
	s_wait_loadcnt_dscnt 0x201
	v_fma_f64 v[60:61], v[60:61], v[70:71], 0
	s_wait_loadcnt 0x1
	s_delay_alu instid0(VALU_DEP_1) | instskip(SKIP_4) | instid1(VALU_DEP_1)
	v_fmac_f64_e32 v[60:61], v[62:63], v[72:73]
	ds_load_b64 v[62:63], v2 offset:432
	s_wait_dscnt 0x1
	v_fmac_f64_e32 v[60:61], v[64:65], v[74:75]
	s_wait_loadcnt 0x0
	v_fmac_f64_e32 v[60:61], v[66:67], v[76:77]
	s_wait_dscnt 0x0
	s_delay_alu instid0(VALU_DEP_1) | instskip(NEXT) | instid1(VALU_DEP_1)
	v_fmac_f64_e32 v[60:61], v[68:69], v[62:63]
	v_add_f64_e64 v[58:59], v[58:59], -v[60:61]
	scratch_store_b64 off, v[58:59], off offset:168
	s_wait_xcnt 0x0
	v_cmpx_lt_u32_e32 20, v0
	s_cbranch_execz .LBB90_131
; %bb.130:
	scratch_load_b64 v[58:59], off, off offset:160
	v_mov_b64_e32 v[60:61], 0
	scratch_store_b64 off, v[60:61], off offset:160
	s_wait_loadcnt 0x0
	ds_store_b64 v1, v[58:59]
.LBB90_131:
	s_wait_xcnt 0x0
	s_or_b32 exec_lo, exec_lo, s0
	s_wait_storecnt_dscnt 0x0
	s_barrier_signal -1
	s_barrier_wait -1
	s_clause 0x3
	scratch_load_b128 v[58:61], off, off offset:160
	scratch_load_b128 v[62:65], off, off offset:176
	;; [unrolled: 1-line block ×3, first 2 shown]
	scratch_load_b64 v[78:79], off, off offset:208
	ds_load_2addr_b64 v[70:73], v2 offset0:49 offset1:50
	ds_load_2addr_b64 v[74:77], v2 offset0:51 offset1:52
	s_mov_b32 s0, exec_lo
	s_wait_loadcnt_dscnt 0x301
	v_fma_f64 v[70:71], v[60:61], v[70:71], 0
	s_wait_loadcnt 0x2
	s_delay_alu instid0(VALU_DEP_1) | instskip(SKIP_4) | instid1(VALU_DEP_1)
	v_fmac_f64_e32 v[70:71], v[62:63], v[72:73]
	ds_load_2addr_b64 v[60:63], v2 offset0:53 offset1:54
	s_wait_dscnt 0x1
	v_fmac_f64_e32 v[70:71], v[64:65], v[74:75]
	s_wait_loadcnt 0x1
	v_fmac_f64_e32 v[70:71], v[66:67], v[76:77]
	s_wait_dscnt 0x0
	s_delay_alu instid0(VALU_DEP_1) | instskip(SKIP_1) | instid1(VALU_DEP_1)
	v_fmac_f64_e32 v[70:71], v[68:69], v[60:61]
	s_wait_loadcnt 0x0
	v_fmac_f64_e32 v[70:71], v[78:79], v[62:63]
	s_delay_alu instid0(VALU_DEP_1)
	v_add_f64_e64 v[2:3], v[58:59], -v[70:71]
	scratch_store_b64 off, v[2:3], off offset:160
	s_wait_xcnt 0x0
	v_cmpx_lt_u32_e32 19, v0
	s_cbranch_execz .LBB90_133
; %bb.132:
	scratch_load_b64 v[2:3], off, off offset:152
	v_mov_b64_e32 v[58:59], 0
	scratch_store_b64 off, v[58:59], off offset:152
	s_wait_loadcnt 0x0
	ds_store_b64 v1, v[2:3]
.LBB90_133:
	s_wait_xcnt 0x0
	s_or_b32 exec_lo, exec_lo, s0
	s_wait_storecnt_dscnt 0x0
	s_barrier_signal -1
	s_barrier_wait -1
	s_clause 0x3
	scratch_load_b128 v[58:61], off, off offset:152
	scratch_load_b128 v[62:65], off, off offset:168
	scratch_load_b128 v[66:69], off, off offset:184
	scratch_load_b128 v[70:73], off, off offset:200
	v_mov_b32_e32 v2, 0
	ds_load_b128 v[74:77], v2 offset:384
	ds_load_b128 v[78:81], v2 offset:400
	s_mov_b32 s0, exec_lo
	s_wait_loadcnt_dscnt 0x301
	v_fma_f64 v[74:75], v[60:61], v[74:75], 0
	s_wait_loadcnt 0x2
	s_delay_alu instid0(VALU_DEP_1) | instskip(SKIP_1) | instid1(VALU_DEP_1)
	v_fmac_f64_e32 v[74:75], v[62:63], v[76:77]
	s_wait_dscnt 0x0
	v_fmac_f64_e32 v[74:75], v[64:65], v[78:79]
	ds_load_b128 v[60:63], v2 offset:416
	ds_load_b64 v[64:65], v2 offset:432
	s_wait_loadcnt 0x1
	v_fmac_f64_e32 v[74:75], v[66:67], v[80:81]
	s_wait_dscnt 0x1
	s_delay_alu instid0(VALU_DEP_1) | instskip(SKIP_1) | instid1(VALU_DEP_1)
	v_fmac_f64_e32 v[74:75], v[68:69], v[60:61]
	s_wait_loadcnt 0x0
	v_fmac_f64_e32 v[74:75], v[70:71], v[62:63]
	s_wait_dscnt 0x0
	s_delay_alu instid0(VALU_DEP_1) | instskip(NEXT) | instid1(VALU_DEP_1)
	v_fmac_f64_e32 v[74:75], v[72:73], v[64:65]
	v_add_f64_e64 v[58:59], v[58:59], -v[74:75]
	scratch_store_b64 off, v[58:59], off offset:152
	s_wait_xcnt 0x0
	v_cmpx_lt_u32_e32 18, v0
	s_cbranch_execz .LBB90_135
; %bb.134:
	scratch_load_b64 v[58:59], off, off offset:144
	v_mov_b64_e32 v[60:61], 0
	scratch_store_b64 off, v[60:61], off offset:144
	s_wait_loadcnt 0x0
	ds_store_b64 v1, v[58:59]
.LBB90_135:
	s_wait_xcnt 0x0
	s_or_b32 exec_lo, exec_lo, s0
	s_wait_storecnt_dscnt 0x0
	s_barrier_signal -1
	s_barrier_wait -1
	s_clause 0x4
	scratch_load_b128 v[58:61], off, off offset:144
	scratch_load_b128 v[62:65], off, off offset:160
	;; [unrolled: 1-line block ×4, first 2 shown]
	scratch_load_b64 v[82:83], off, off offset:208
	ds_load_2addr_b64 v[74:77], v2 offset0:47 offset1:48
	ds_load_2addr_b64 v[78:81], v2 offset0:49 offset1:50
	s_mov_b32 s0, exec_lo
	s_wait_loadcnt_dscnt 0x401
	v_fma_f64 v[74:75], v[60:61], v[74:75], 0
	s_wait_loadcnt 0x3
	s_delay_alu instid0(VALU_DEP_1) | instskip(SKIP_1) | instid1(VALU_DEP_1)
	v_fmac_f64_e32 v[74:75], v[62:63], v[76:77]
	s_wait_dscnt 0x0
	v_fmac_f64_e32 v[74:75], v[64:65], v[78:79]
	s_wait_loadcnt 0x2
	s_delay_alu instid0(VALU_DEP_1)
	v_fmac_f64_e32 v[74:75], v[66:67], v[80:81]
	ds_load_2addr_b64 v[60:63], v2 offset0:51 offset1:52
	ds_load_2addr_b64 v[64:67], v2 offset0:53 offset1:54
	s_wait_dscnt 0x1
	v_fmac_f64_e32 v[74:75], v[68:69], v[60:61]
	s_wait_loadcnt 0x1
	s_delay_alu instid0(VALU_DEP_1) | instskip(SKIP_1) | instid1(VALU_DEP_1)
	v_fmac_f64_e32 v[74:75], v[70:71], v[62:63]
	s_wait_dscnt 0x0
	v_fmac_f64_e32 v[74:75], v[72:73], v[64:65]
	s_wait_loadcnt 0x0
	s_delay_alu instid0(VALU_DEP_1) | instskip(NEXT) | instid1(VALU_DEP_1)
	v_fmac_f64_e32 v[74:75], v[82:83], v[66:67]
	v_add_f64_e64 v[2:3], v[58:59], -v[74:75]
	scratch_store_b64 off, v[2:3], off offset:144
	s_wait_xcnt 0x0
	v_cmpx_lt_u32_e32 17, v0
	s_cbranch_execz .LBB90_137
; %bb.136:
	scratch_load_b64 v[2:3], off, off offset:136
	v_mov_b64_e32 v[58:59], 0
	scratch_store_b64 off, v[58:59], off offset:136
	s_wait_loadcnt 0x0
	ds_store_b64 v1, v[2:3]
.LBB90_137:
	s_wait_xcnt 0x0
	s_or_b32 exec_lo, exec_lo, s0
	s_wait_storecnt_dscnt 0x0
	s_barrier_signal -1
	s_barrier_wait -1
	s_clause 0x4
	scratch_load_b128 v[58:61], off, off offset:136
	scratch_load_b128 v[62:65], off, off offset:152
	;; [unrolled: 1-line block ×5, first 2 shown]
	v_mov_b32_e32 v2, 0
	ds_load_b128 v[78:81], v2 offset:368
	ds_load_b128 v[82:85], v2 offset:384
	s_mov_b32 s0, exec_lo
	s_wait_loadcnt_dscnt 0x401
	v_fma_f64 v[78:79], v[60:61], v[78:79], 0
	s_wait_loadcnt 0x3
	s_delay_alu instid0(VALU_DEP_1) | instskip(SKIP_1) | instid1(VALU_DEP_1)
	v_fmac_f64_e32 v[78:79], v[62:63], v[80:81]
	s_wait_dscnt 0x0
	v_fmac_f64_e32 v[78:79], v[64:65], v[82:83]
	s_wait_loadcnt 0x2
	s_delay_alu instid0(VALU_DEP_1)
	v_fmac_f64_e32 v[78:79], v[66:67], v[84:85]
	ds_load_b128 v[60:63], v2 offset:400
	ds_load_b128 v[64:67], v2 offset:416
	s_wait_dscnt 0x1
	v_fmac_f64_e32 v[78:79], v[68:69], v[60:61]
	ds_load_b64 v[60:61], v2 offset:432
	s_wait_loadcnt 0x1
	v_fmac_f64_e32 v[78:79], v[70:71], v[62:63]
	s_wait_dscnt 0x1
	s_delay_alu instid0(VALU_DEP_1) | instskip(SKIP_1) | instid1(VALU_DEP_1)
	v_fmac_f64_e32 v[78:79], v[72:73], v[64:65]
	s_wait_loadcnt 0x0
	v_fmac_f64_e32 v[78:79], v[74:75], v[66:67]
	s_wait_dscnt 0x0
	s_delay_alu instid0(VALU_DEP_1) | instskip(NEXT) | instid1(VALU_DEP_1)
	v_fmac_f64_e32 v[78:79], v[76:77], v[60:61]
	v_add_f64_e64 v[58:59], v[58:59], -v[78:79]
	scratch_store_b64 off, v[58:59], off offset:136
	s_wait_xcnt 0x0
	v_cmpx_lt_u32_e32 16, v0
	s_cbranch_execz .LBB90_139
; %bb.138:
	scratch_load_b64 v[58:59], off, off offset:128
	v_mov_b64_e32 v[60:61], 0
	scratch_store_b64 off, v[60:61], off offset:128
	s_wait_loadcnt 0x0
	ds_store_b64 v1, v[58:59]
.LBB90_139:
	s_wait_xcnt 0x0
	s_or_b32 exec_lo, exec_lo, s0
	s_wait_storecnt_dscnt 0x0
	s_barrier_signal -1
	s_barrier_wait -1
	s_clause 0x5
	scratch_load_b128 v[58:61], off, off offset:128
	scratch_load_b128 v[62:65], off, off offset:144
	scratch_load_b128 v[66:69], off, off offset:160
	scratch_load_b128 v[70:73], off, off offset:176
	scratch_load_b128 v[74:77], off, off offset:192
	scratch_load_b64 v[86:87], off, off offset:208
	ds_load_2addr_b64 v[78:81], v2 offset0:45 offset1:46
	ds_load_2addr_b64 v[82:85], v2 offset0:47 offset1:48
	s_mov_b32 s0, exec_lo
	s_wait_loadcnt_dscnt 0x501
	v_fma_f64 v[78:79], v[60:61], v[78:79], 0
	s_wait_loadcnt 0x4
	s_delay_alu instid0(VALU_DEP_1) | instskip(SKIP_1) | instid1(VALU_DEP_1)
	v_fmac_f64_e32 v[78:79], v[62:63], v[80:81]
	s_wait_dscnt 0x0
	v_fmac_f64_e32 v[78:79], v[64:65], v[82:83]
	s_wait_loadcnt 0x3
	s_delay_alu instid0(VALU_DEP_1)
	v_fmac_f64_e32 v[78:79], v[66:67], v[84:85]
	ds_load_2addr_b64 v[60:63], v2 offset0:49 offset1:50
	ds_load_2addr_b64 v[64:67], v2 offset0:51 offset1:52
	s_wait_dscnt 0x1
	v_fmac_f64_e32 v[78:79], v[68:69], v[60:61]
	s_wait_loadcnt 0x2
	s_delay_alu instid0(VALU_DEP_1) | instskip(SKIP_4) | instid1(VALU_DEP_1)
	v_fmac_f64_e32 v[78:79], v[70:71], v[62:63]
	ds_load_2addr_b64 v[60:63], v2 offset0:53 offset1:54
	s_wait_dscnt 0x1
	v_fmac_f64_e32 v[78:79], v[72:73], v[64:65]
	s_wait_loadcnt 0x1
	v_fmac_f64_e32 v[78:79], v[74:75], v[66:67]
	s_wait_dscnt 0x0
	s_delay_alu instid0(VALU_DEP_1) | instskip(SKIP_1) | instid1(VALU_DEP_1)
	v_fmac_f64_e32 v[78:79], v[76:77], v[60:61]
	s_wait_loadcnt 0x0
	v_fmac_f64_e32 v[78:79], v[86:87], v[62:63]
	s_delay_alu instid0(VALU_DEP_1)
	v_add_f64_e64 v[2:3], v[58:59], -v[78:79]
	scratch_store_b64 off, v[2:3], off offset:128
	s_wait_xcnt 0x0
	v_cmpx_lt_u32_e32 15, v0
	s_cbranch_execz .LBB90_141
; %bb.140:
	scratch_load_b64 v[2:3], off, off offset:120
	v_mov_b64_e32 v[58:59], 0
	scratch_store_b64 off, v[58:59], off offset:120
	s_wait_loadcnt 0x0
	ds_store_b64 v1, v[2:3]
.LBB90_141:
	s_wait_xcnt 0x0
	s_or_b32 exec_lo, exec_lo, s0
	s_wait_storecnt_dscnt 0x0
	s_barrier_signal -1
	s_barrier_wait -1
	s_clause 0x5
	scratch_load_b128 v[58:61], off, off offset:120
	scratch_load_b128 v[62:65], off, off offset:136
	;; [unrolled: 1-line block ×6, first 2 shown]
	v_mov_b32_e32 v2, 0
	ds_load_b128 v[82:85], v2 offset:352
	ds_load_b128 v[86:89], v2 offset:368
	s_mov_b32 s0, exec_lo
	s_wait_loadcnt_dscnt 0x501
	v_fma_f64 v[82:83], v[60:61], v[82:83], 0
	s_wait_loadcnt 0x4
	s_delay_alu instid0(VALU_DEP_1) | instskip(SKIP_1) | instid1(VALU_DEP_1)
	v_fmac_f64_e32 v[82:83], v[62:63], v[84:85]
	s_wait_dscnt 0x0
	v_fmac_f64_e32 v[82:83], v[64:65], v[86:87]
	s_wait_loadcnt 0x3
	s_delay_alu instid0(VALU_DEP_1)
	v_fmac_f64_e32 v[82:83], v[66:67], v[88:89]
	ds_load_b128 v[60:63], v2 offset:384
	ds_load_b128 v[64:67], v2 offset:400
	s_wait_dscnt 0x1
	v_fmac_f64_e32 v[82:83], v[68:69], v[60:61]
	s_wait_loadcnt 0x2
	s_delay_alu instid0(VALU_DEP_1) | instskip(SKIP_1) | instid1(VALU_DEP_1)
	v_fmac_f64_e32 v[82:83], v[70:71], v[62:63]
	s_wait_dscnt 0x0
	v_fmac_f64_e32 v[82:83], v[72:73], v[64:65]
	ds_load_b128 v[60:63], v2 offset:416
	ds_load_b64 v[64:65], v2 offset:432
	s_wait_loadcnt 0x1
	v_fmac_f64_e32 v[82:83], v[74:75], v[66:67]
	s_wait_dscnt 0x1
	s_delay_alu instid0(VALU_DEP_1) | instskip(SKIP_1) | instid1(VALU_DEP_1)
	v_fmac_f64_e32 v[82:83], v[76:77], v[60:61]
	s_wait_loadcnt 0x0
	v_fmac_f64_e32 v[82:83], v[78:79], v[62:63]
	s_wait_dscnt 0x0
	s_delay_alu instid0(VALU_DEP_1) | instskip(NEXT) | instid1(VALU_DEP_1)
	v_fmac_f64_e32 v[82:83], v[80:81], v[64:65]
	v_add_f64_e64 v[58:59], v[58:59], -v[82:83]
	scratch_store_b64 off, v[58:59], off offset:120
	s_wait_xcnt 0x0
	v_cmpx_lt_u32_e32 14, v0
	s_cbranch_execz .LBB90_143
; %bb.142:
	scratch_load_b64 v[58:59], off, off offset:112
	v_mov_b64_e32 v[60:61], 0
	scratch_store_b64 off, v[60:61], off offset:112
	s_wait_loadcnt 0x0
	ds_store_b64 v1, v[58:59]
.LBB90_143:
	s_wait_xcnt 0x0
	s_or_b32 exec_lo, exec_lo, s0
	s_wait_storecnt_dscnt 0x0
	s_barrier_signal -1
	s_barrier_wait -1
	s_clause 0x5
	scratch_load_b128 v[58:61], off, off offset:112
	scratch_load_b128 v[62:65], off, off offset:128
	;; [unrolled: 1-line block ×6, first 2 shown]
	ds_load_2addr_b64 v[82:85], v2 offset0:43 offset1:44
	ds_load_2addr_b64 v[86:89], v2 offset0:45 offset1:46
	s_mov_b32 s0, exec_lo
	s_wait_loadcnt_dscnt 0x501
	v_fma_f64 v[82:83], v[60:61], v[82:83], 0
	s_wait_loadcnt 0x4
	s_delay_alu instid0(VALU_DEP_1) | instskip(SKIP_4) | instid1(VALU_DEP_1)
	v_fmac_f64_e32 v[82:83], v[62:63], v[84:85]
	scratch_load_b64 v[84:85], off, off offset:208
	s_wait_dscnt 0x0
	v_fmac_f64_e32 v[82:83], v[64:65], v[86:87]
	s_wait_loadcnt 0x4
	v_fmac_f64_e32 v[82:83], v[66:67], v[88:89]
	ds_load_2addr_b64 v[60:63], v2 offset0:47 offset1:48
	ds_load_2addr_b64 v[64:67], v2 offset0:49 offset1:50
	s_wait_dscnt 0x1
	v_fmac_f64_e32 v[82:83], v[68:69], v[60:61]
	s_wait_loadcnt 0x3
	s_delay_alu instid0(VALU_DEP_1) | instskip(SKIP_1) | instid1(VALU_DEP_1)
	v_fmac_f64_e32 v[82:83], v[70:71], v[62:63]
	s_wait_dscnt 0x0
	v_fmac_f64_e32 v[82:83], v[72:73], v[64:65]
	s_wait_loadcnt 0x2
	s_delay_alu instid0(VALU_DEP_1)
	v_fmac_f64_e32 v[82:83], v[74:75], v[66:67]
	ds_load_2addr_b64 v[60:63], v2 offset0:51 offset1:52
	ds_load_2addr_b64 v[64:67], v2 offset0:53 offset1:54
	s_wait_dscnt 0x1
	v_fmac_f64_e32 v[82:83], v[76:77], v[60:61]
	s_wait_loadcnt 0x1
	s_delay_alu instid0(VALU_DEP_1) | instskip(SKIP_1) | instid1(VALU_DEP_1)
	v_fmac_f64_e32 v[82:83], v[78:79], v[62:63]
	s_wait_dscnt 0x0
	v_fmac_f64_e32 v[82:83], v[80:81], v[64:65]
	s_wait_loadcnt 0x0
	s_delay_alu instid0(VALU_DEP_1) | instskip(NEXT) | instid1(VALU_DEP_1)
	v_fmac_f64_e32 v[82:83], v[84:85], v[66:67]
	v_add_f64_e64 v[2:3], v[58:59], -v[82:83]
	scratch_store_b64 off, v[2:3], off offset:112
	s_wait_xcnt 0x0
	v_cmpx_lt_u32_e32 13, v0
	s_cbranch_execz .LBB90_145
; %bb.144:
	scratch_load_b64 v[2:3], off, off offset:104
	v_mov_b64_e32 v[58:59], 0
	scratch_store_b64 off, v[58:59], off offset:104
	s_wait_loadcnt 0x0
	ds_store_b64 v1, v[2:3]
.LBB90_145:
	s_wait_xcnt 0x0
	s_or_b32 exec_lo, exec_lo, s0
	s_wait_storecnt_dscnt 0x0
	s_barrier_signal -1
	s_barrier_wait -1
	s_clause 0x5
	scratch_load_b128 v[58:61], off, off offset:104
	scratch_load_b128 v[62:65], off, off offset:120
	;; [unrolled: 1-line block ×6, first 2 shown]
	v_mov_b32_e32 v2, 0
	ds_load_b128 v[82:85], v2 offset:336
	ds_load_b128 v[86:89], v2 offset:352
	s_mov_b32 s0, exec_lo
	s_wait_loadcnt_dscnt 0x501
	v_fma_f64 v[90:91], v[60:61], v[82:83], 0
	s_wait_loadcnt 0x4
	s_delay_alu instid0(VALU_DEP_1) | instskip(SKIP_4) | instid1(VALU_DEP_1)
	v_fmac_f64_e32 v[90:91], v[62:63], v[84:85]
	scratch_load_b128 v[60:63], off, off offset:200
	s_wait_dscnt 0x0
	v_fmac_f64_e32 v[90:91], v[64:65], v[86:87]
	s_wait_loadcnt 0x4
	v_fmac_f64_e32 v[90:91], v[66:67], v[88:89]
	ds_load_b128 v[64:67], v2 offset:368
	ds_load_b128 v[82:85], v2 offset:384
	s_wait_dscnt 0x1
	v_fmac_f64_e32 v[90:91], v[68:69], v[64:65]
	s_wait_loadcnt 0x3
	s_delay_alu instid0(VALU_DEP_1)
	v_fmac_f64_e32 v[90:91], v[70:71], v[66:67]
	ds_load_b128 v[64:67], v2 offset:400
	ds_load_b128 v[68:71], v2 offset:416
	s_wait_dscnt 0x2
	v_fmac_f64_e32 v[90:91], v[72:73], v[82:83]
	s_wait_loadcnt 0x2
	s_delay_alu instid0(VALU_DEP_1) | instskip(SKIP_1) | instid1(VALU_DEP_1)
	v_fmac_f64_e32 v[90:91], v[74:75], v[84:85]
	s_wait_dscnt 0x1
	v_fmac_f64_e32 v[90:91], v[76:77], v[64:65]
	s_wait_loadcnt 0x1
	s_delay_alu instid0(VALU_DEP_1) | instskip(SKIP_1) | instid1(VALU_DEP_1)
	v_fmac_f64_e32 v[90:91], v[78:79], v[66:67]
	s_wait_dscnt 0x0
	v_fmac_f64_e32 v[90:91], v[80:81], v[68:69]
	s_wait_loadcnt 0x0
	s_delay_alu instid0(VALU_DEP_1) | instskip(SKIP_3) | instid1(VALU_DEP_1)
	v_fmac_f64_e32 v[90:91], v[60:61], v[70:71]
	ds_load_b64 v[60:61], v2 offset:432
	s_wait_dscnt 0x0
	v_fmac_f64_e32 v[90:91], v[62:63], v[60:61]
	v_add_f64_e64 v[58:59], v[58:59], -v[90:91]
	scratch_store_b64 off, v[58:59], off offset:104
	s_wait_xcnt 0x0
	v_cmpx_lt_u32_e32 12, v0
	s_cbranch_execz .LBB90_147
; %bb.146:
	scratch_load_b64 v[58:59], off, off offset:96
	v_mov_b64_e32 v[60:61], 0
	scratch_store_b64 off, v[60:61], off offset:96
	s_wait_loadcnt 0x0
	ds_store_b64 v1, v[58:59]
.LBB90_147:
	s_wait_xcnt 0x0
	s_or_b32 exec_lo, exec_lo, s0
	s_wait_storecnt_dscnt 0x0
	s_barrier_signal -1
	s_barrier_wait -1
	s_clause 0x5
	scratch_load_b128 v[58:61], off, off offset:96
	scratch_load_b128 v[62:65], off, off offset:112
	;; [unrolled: 1-line block ×6, first 2 shown]
	ds_load_2addr_b64 v[82:85], v2 offset0:41 offset1:42
	ds_load_2addr_b64 v[86:89], v2 offset0:43 offset1:44
	s_mov_b32 s0, exec_lo
	s_wait_loadcnt_dscnt 0x501
	v_fma_f64 v[90:91], v[60:61], v[82:83], 0
	s_wait_loadcnt 0x4
	s_delay_alu instid0(VALU_DEP_1)
	v_fmac_f64_e32 v[90:91], v[62:63], v[84:85]
	scratch_load_b128 v[60:63], off, off offset:192
	s_wait_dscnt 0x0
	v_fmac_f64_e32 v[90:91], v[64:65], v[86:87]
	scratch_load_b64 v[86:87], off, off offset:208
	s_wait_loadcnt 0x5
	v_fmac_f64_e32 v[90:91], v[66:67], v[88:89]
	ds_load_2addr_b64 v[64:67], v2 offset0:45 offset1:46
	ds_load_2addr_b64 v[82:85], v2 offset0:47 offset1:48
	s_wait_dscnt 0x1
	v_fmac_f64_e32 v[90:91], v[68:69], v[64:65]
	s_wait_loadcnt 0x4
	s_delay_alu instid0(VALU_DEP_1)
	v_fmac_f64_e32 v[90:91], v[70:71], v[66:67]
	ds_load_2addr_b64 v[64:67], v2 offset0:49 offset1:50
	ds_load_2addr_b64 v[68:71], v2 offset0:51 offset1:52
	s_wait_dscnt 0x2
	v_fmac_f64_e32 v[90:91], v[72:73], v[82:83]
	s_wait_loadcnt 0x3
	s_delay_alu instid0(VALU_DEP_1) | instskip(SKIP_1) | instid1(VALU_DEP_1)
	v_fmac_f64_e32 v[90:91], v[74:75], v[84:85]
	s_wait_dscnt 0x1
	v_fmac_f64_e32 v[90:91], v[76:77], v[64:65]
	s_wait_loadcnt 0x2
	s_delay_alu instid0(VALU_DEP_1) | instskip(SKIP_4) | instid1(VALU_DEP_1)
	v_fmac_f64_e32 v[90:91], v[78:79], v[66:67]
	ds_load_2addr_b64 v[64:67], v2 offset0:53 offset1:54
	s_wait_dscnt 0x1
	v_fmac_f64_e32 v[90:91], v[80:81], v[68:69]
	s_wait_loadcnt 0x1
	v_fmac_f64_e32 v[90:91], v[60:61], v[70:71]
	s_wait_dscnt 0x0
	s_delay_alu instid0(VALU_DEP_1) | instskip(SKIP_1) | instid1(VALU_DEP_1)
	v_fmac_f64_e32 v[90:91], v[62:63], v[64:65]
	s_wait_loadcnt 0x0
	v_fmac_f64_e32 v[90:91], v[86:87], v[66:67]
	s_delay_alu instid0(VALU_DEP_1)
	v_add_f64_e64 v[2:3], v[58:59], -v[90:91]
	scratch_store_b64 off, v[2:3], off offset:96
	s_wait_xcnt 0x0
	v_cmpx_lt_u32_e32 11, v0
	s_cbranch_execz .LBB90_149
; %bb.148:
	scratch_load_b64 v[2:3], off, off offset:88
	v_mov_b64_e32 v[58:59], 0
	scratch_store_b64 off, v[58:59], off offset:88
	s_wait_loadcnt 0x0
	ds_store_b64 v1, v[2:3]
.LBB90_149:
	s_wait_xcnt 0x0
	s_or_b32 exec_lo, exec_lo, s0
	s_wait_storecnt_dscnt 0x0
	s_barrier_signal -1
	s_barrier_wait -1
	s_clause 0x5
	scratch_load_b128 v[58:61], off, off offset:88
	scratch_load_b128 v[62:65], off, off offset:104
	;; [unrolled: 1-line block ×6, first 2 shown]
	v_mov_b32_e32 v2, 0
	ds_load_b128 v[82:85], v2 offset:320
	ds_load_b128 v[86:89], v2 offset:336
	s_mov_b32 s0, exec_lo
	s_wait_loadcnt_dscnt 0x501
	v_fma_f64 v[90:91], v[60:61], v[82:83], 0
	s_wait_loadcnt 0x4
	s_delay_alu instid0(VALU_DEP_1) | instskip(SKIP_4) | instid1(VALU_DEP_1)
	v_fmac_f64_e32 v[90:91], v[62:63], v[84:85]
	scratch_load_b128 v[60:63], off, off offset:184
	s_wait_dscnt 0x0
	v_fmac_f64_e32 v[90:91], v[64:65], v[86:87]
	s_wait_loadcnt 0x4
	v_fmac_f64_e32 v[90:91], v[66:67], v[88:89]
	scratch_load_b128 v[64:67], off, off offset:200
	ds_load_b128 v[82:85], v2 offset:352
	ds_load_b128 v[86:89], v2 offset:368
	s_wait_dscnt 0x1
	v_fmac_f64_e32 v[90:91], v[68:69], v[82:83]
	s_wait_loadcnt 0x4
	s_delay_alu instid0(VALU_DEP_1) | instskip(SKIP_1) | instid1(VALU_DEP_1)
	v_fmac_f64_e32 v[90:91], v[70:71], v[84:85]
	s_wait_dscnt 0x0
	v_fmac_f64_e32 v[90:91], v[72:73], v[86:87]
	s_wait_loadcnt 0x3
	s_delay_alu instid0(VALU_DEP_1)
	v_fmac_f64_e32 v[90:91], v[74:75], v[88:89]
	ds_load_b128 v[68:71], v2 offset:384
	ds_load_b128 v[72:75], v2 offset:400
	s_wait_dscnt 0x1
	v_fmac_f64_e32 v[90:91], v[76:77], v[68:69]
	s_wait_loadcnt 0x2
	s_delay_alu instid0(VALU_DEP_1) | instskip(SKIP_1) | instid1(VALU_DEP_1)
	v_fmac_f64_e32 v[90:91], v[78:79], v[70:71]
	s_wait_dscnt 0x0
	v_fmac_f64_e32 v[90:91], v[80:81], v[72:73]
	s_wait_loadcnt 0x1
	s_delay_alu instid0(VALU_DEP_1)
	v_fmac_f64_e32 v[90:91], v[60:61], v[74:75]
	ds_load_b128 v[68:71], v2 offset:416
	ds_load_b64 v[60:61], v2 offset:432
	s_wait_dscnt 0x1
	v_fmac_f64_e32 v[90:91], v[62:63], v[68:69]
	s_wait_loadcnt 0x0
	s_delay_alu instid0(VALU_DEP_1) | instskip(SKIP_1) | instid1(VALU_DEP_1)
	v_fmac_f64_e32 v[90:91], v[64:65], v[70:71]
	s_wait_dscnt 0x0
	v_fmac_f64_e32 v[90:91], v[66:67], v[60:61]
	s_delay_alu instid0(VALU_DEP_1)
	v_add_f64_e64 v[58:59], v[58:59], -v[90:91]
	scratch_store_b64 off, v[58:59], off offset:88
	s_wait_xcnt 0x0
	v_cmpx_lt_u32_e32 10, v0
	s_cbranch_execz .LBB90_151
; %bb.150:
	scratch_load_b64 v[58:59], off, off offset:80
	v_mov_b64_e32 v[60:61], 0
	scratch_store_b64 off, v[60:61], off offset:80
	s_wait_loadcnt 0x0
	ds_store_b64 v1, v[58:59]
.LBB90_151:
	s_wait_xcnt 0x0
	s_or_b32 exec_lo, exec_lo, s0
	s_wait_storecnt_dscnt 0x0
	s_barrier_signal -1
	s_barrier_wait -1
	s_clause 0x5
	scratch_load_b128 v[58:61], off, off offset:80
	scratch_load_b128 v[62:65], off, off offset:96
	;; [unrolled: 1-line block ×6, first 2 shown]
	ds_load_2addr_b64 v[82:85], v2 offset0:39 offset1:40
	ds_load_2addr_b64 v[86:89], v2 offset0:41 offset1:42
	s_mov_b32 s0, exec_lo
	s_wait_loadcnt_dscnt 0x501
	v_fma_f64 v[90:91], v[60:61], v[82:83], 0
	s_wait_loadcnt 0x4
	s_delay_alu instid0(VALU_DEP_1) | instskip(SKIP_4) | instid1(VALU_DEP_1)
	v_fmac_f64_e32 v[90:91], v[62:63], v[84:85]
	scratch_load_b128 v[60:63], off, off offset:176
	s_wait_dscnt 0x0
	v_fmac_f64_e32 v[90:91], v[64:65], v[86:87]
	s_wait_loadcnt 0x4
	v_fmac_f64_e32 v[90:91], v[66:67], v[88:89]
	scratch_load_b128 v[64:67], off, off offset:192
	ds_load_2addr_b64 v[82:85], v2 offset0:43 offset1:44
	ds_load_2addr_b64 v[86:89], v2 offset0:45 offset1:46
	s_wait_dscnt 0x1
	v_fmac_f64_e32 v[90:91], v[68:69], v[82:83]
	scratch_load_b64 v[82:83], off, off offset:208
	s_wait_loadcnt 0x5
	v_fmac_f64_e32 v[90:91], v[70:71], v[84:85]
	s_wait_dscnt 0x0
	s_delay_alu instid0(VALU_DEP_1) | instskip(SKIP_1) | instid1(VALU_DEP_1)
	v_fmac_f64_e32 v[90:91], v[72:73], v[86:87]
	s_wait_loadcnt 0x4
	v_fmac_f64_e32 v[90:91], v[74:75], v[88:89]
	ds_load_2addr_b64 v[68:71], v2 offset0:47 offset1:48
	ds_load_2addr_b64 v[72:75], v2 offset0:49 offset1:50
	s_wait_dscnt 0x1
	v_fmac_f64_e32 v[90:91], v[76:77], v[68:69]
	s_wait_loadcnt 0x3
	s_delay_alu instid0(VALU_DEP_1) | instskip(SKIP_1) | instid1(VALU_DEP_1)
	v_fmac_f64_e32 v[90:91], v[78:79], v[70:71]
	s_wait_dscnt 0x0
	v_fmac_f64_e32 v[90:91], v[80:81], v[72:73]
	s_wait_loadcnt 0x2
	s_delay_alu instid0(VALU_DEP_1)
	v_fmac_f64_e32 v[90:91], v[60:61], v[74:75]
	ds_load_2addr_b64 v[68:71], v2 offset0:51 offset1:52
	ds_load_2addr_b64 v[72:75], v2 offset0:53 offset1:54
	s_wait_dscnt 0x1
	v_fmac_f64_e32 v[90:91], v[62:63], v[68:69]
	s_wait_loadcnt 0x1
	s_delay_alu instid0(VALU_DEP_1) | instskip(SKIP_1) | instid1(VALU_DEP_1)
	v_fmac_f64_e32 v[90:91], v[64:65], v[70:71]
	s_wait_dscnt 0x0
	v_fmac_f64_e32 v[90:91], v[66:67], v[72:73]
	s_wait_loadcnt 0x0
	s_delay_alu instid0(VALU_DEP_1) | instskip(NEXT) | instid1(VALU_DEP_1)
	v_fmac_f64_e32 v[90:91], v[82:83], v[74:75]
	v_add_f64_e64 v[2:3], v[58:59], -v[90:91]
	scratch_store_b64 off, v[2:3], off offset:80
	s_wait_xcnt 0x0
	v_cmpx_lt_u32_e32 9, v0
	s_cbranch_execz .LBB90_153
; %bb.152:
	scratch_load_b64 v[2:3], off, off offset:72
	v_mov_b64_e32 v[58:59], 0
	scratch_store_b64 off, v[58:59], off offset:72
	s_wait_loadcnt 0x0
	ds_store_b64 v1, v[2:3]
.LBB90_153:
	s_wait_xcnt 0x0
	s_or_b32 exec_lo, exec_lo, s0
	s_wait_storecnt_dscnt 0x0
	s_barrier_signal -1
	s_barrier_wait -1
	s_clause 0x5
	scratch_load_b128 v[58:61], off, off offset:72
	scratch_load_b128 v[62:65], off, off offset:88
	;; [unrolled: 1-line block ×6, first 2 shown]
	v_mov_b32_e32 v2, 0
	ds_load_b128 v[82:85], v2 offset:304
	ds_load_b128 v[86:89], v2 offset:320
	s_mov_b32 s0, exec_lo
	s_wait_loadcnt_dscnt 0x501
	v_fma_f64 v[90:91], v[60:61], v[82:83], 0
	s_wait_loadcnt 0x4
	s_delay_alu instid0(VALU_DEP_1) | instskip(SKIP_4) | instid1(VALU_DEP_1)
	v_fmac_f64_e32 v[90:91], v[62:63], v[84:85]
	scratch_load_b128 v[60:63], off, off offset:168
	s_wait_dscnt 0x0
	v_fmac_f64_e32 v[90:91], v[64:65], v[86:87]
	s_wait_loadcnt 0x4
	v_fmac_f64_e32 v[90:91], v[66:67], v[88:89]
	scratch_load_b128 v[64:67], off, off offset:184
	ds_load_b128 v[82:85], v2 offset:336
	ds_load_b128 v[86:89], v2 offset:352
	s_wait_dscnt 0x1
	v_fmac_f64_e32 v[90:91], v[68:69], v[82:83]
	s_wait_loadcnt 0x4
	s_delay_alu instid0(VALU_DEP_1) | instskip(SKIP_4) | instid1(VALU_DEP_1)
	v_fmac_f64_e32 v[90:91], v[70:71], v[84:85]
	scratch_load_b128 v[68:71], off, off offset:200
	s_wait_dscnt 0x0
	v_fmac_f64_e32 v[90:91], v[72:73], v[86:87]
	s_wait_loadcnt 0x4
	v_fmac_f64_e32 v[90:91], v[74:75], v[88:89]
	ds_load_b128 v[72:75], v2 offset:368
	ds_load_b128 v[82:85], v2 offset:384
	s_wait_dscnt 0x1
	v_fmac_f64_e32 v[90:91], v[76:77], v[72:73]
	s_wait_loadcnt 0x3
	s_delay_alu instid0(VALU_DEP_1)
	v_fmac_f64_e32 v[90:91], v[78:79], v[74:75]
	ds_load_b128 v[72:75], v2 offset:400
	ds_load_b128 v[76:79], v2 offset:416
	s_wait_dscnt 0x2
	v_fmac_f64_e32 v[90:91], v[80:81], v[82:83]
	s_wait_loadcnt 0x2
	s_delay_alu instid0(VALU_DEP_1) | instskip(SKIP_4) | instid1(VALU_DEP_1)
	v_fmac_f64_e32 v[90:91], v[60:61], v[84:85]
	ds_load_b64 v[60:61], v2 offset:432
	s_wait_dscnt 0x2
	v_fmac_f64_e32 v[90:91], v[62:63], v[72:73]
	s_wait_loadcnt 0x1
	v_fmac_f64_e32 v[90:91], v[64:65], v[74:75]
	s_wait_dscnt 0x1
	s_delay_alu instid0(VALU_DEP_1) | instskip(SKIP_1) | instid1(VALU_DEP_1)
	v_fmac_f64_e32 v[90:91], v[66:67], v[76:77]
	s_wait_loadcnt 0x0
	v_fmac_f64_e32 v[90:91], v[68:69], v[78:79]
	s_wait_dscnt 0x0
	s_delay_alu instid0(VALU_DEP_1) | instskip(NEXT) | instid1(VALU_DEP_1)
	v_fmac_f64_e32 v[90:91], v[70:71], v[60:61]
	v_add_f64_e64 v[58:59], v[58:59], -v[90:91]
	scratch_store_b64 off, v[58:59], off offset:72
	s_wait_xcnt 0x0
	v_cmpx_lt_u32_e32 8, v0
	s_cbranch_execz .LBB90_155
; %bb.154:
	scratch_load_b64 v[58:59], off, off offset:64
	v_mov_b64_e32 v[60:61], 0
	scratch_store_b64 off, v[60:61], off offset:64
	s_wait_loadcnt 0x0
	ds_store_b64 v1, v[58:59]
.LBB90_155:
	s_wait_xcnt 0x0
	s_or_b32 exec_lo, exec_lo, s0
	s_wait_storecnt_dscnt 0x0
	s_barrier_signal -1
	s_barrier_wait -1
	s_clause 0x5
	scratch_load_b128 v[58:61], off, off offset:64
	scratch_load_b128 v[62:65], off, off offset:80
	scratch_load_b128 v[66:69], off, off offset:96
	scratch_load_b128 v[70:73], off, off offset:112
	scratch_load_b128 v[74:77], off, off offset:128
	scratch_load_b128 v[78:81], off, off offset:144
	ds_load_2addr_b64 v[82:85], v2 offset0:37 offset1:38
	ds_load_2addr_b64 v[86:89], v2 offset0:39 offset1:40
	s_mov_b32 s0, exec_lo
	s_wait_loadcnt_dscnt 0x501
	v_fma_f64 v[90:91], v[60:61], v[82:83], 0
	s_wait_loadcnt 0x4
	s_delay_alu instid0(VALU_DEP_1) | instskip(SKIP_4) | instid1(VALU_DEP_1)
	v_fmac_f64_e32 v[90:91], v[62:63], v[84:85]
	scratch_load_b128 v[60:63], off, off offset:160
	s_wait_dscnt 0x0
	v_fmac_f64_e32 v[90:91], v[64:65], v[86:87]
	s_wait_loadcnt 0x4
	v_fmac_f64_e32 v[90:91], v[66:67], v[88:89]
	scratch_load_b128 v[64:67], off, off offset:176
	ds_load_2addr_b64 v[82:85], v2 offset0:41 offset1:42
	ds_load_2addr_b64 v[86:89], v2 offset0:43 offset1:44
	s_wait_dscnt 0x1
	v_fmac_f64_e32 v[90:91], v[68:69], v[82:83]
	s_wait_loadcnt 0x4
	s_delay_alu instid0(VALU_DEP_1)
	v_fmac_f64_e32 v[90:91], v[70:71], v[84:85]
	scratch_load_b128 v[68:71], off, off offset:192
	s_wait_dscnt 0x0
	v_fmac_f64_e32 v[90:91], v[72:73], v[86:87]
	scratch_load_b64 v[86:87], off, off offset:208
	s_wait_loadcnt 0x5
	v_fmac_f64_e32 v[90:91], v[74:75], v[88:89]
	ds_load_2addr_b64 v[72:75], v2 offset0:45 offset1:46
	ds_load_2addr_b64 v[82:85], v2 offset0:47 offset1:48
	s_wait_dscnt 0x1
	v_fmac_f64_e32 v[90:91], v[76:77], v[72:73]
	s_wait_loadcnt 0x4
	s_delay_alu instid0(VALU_DEP_1)
	v_fmac_f64_e32 v[90:91], v[78:79], v[74:75]
	ds_load_2addr_b64 v[72:75], v2 offset0:49 offset1:50
	ds_load_2addr_b64 v[76:79], v2 offset0:51 offset1:52
	s_wait_dscnt 0x2
	v_fmac_f64_e32 v[90:91], v[80:81], v[82:83]
	s_wait_loadcnt 0x3
	s_delay_alu instid0(VALU_DEP_1) | instskip(SKIP_1) | instid1(VALU_DEP_1)
	v_fmac_f64_e32 v[90:91], v[60:61], v[84:85]
	s_wait_dscnt 0x1
	v_fmac_f64_e32 v[90:91], v[62:63], v[72:73]
	ds_load_2addr_b64 v[60:63], v2 offset0:53 offset1:54
	s_wait_loadcnt 0x2
	v_fmac_f64_e32 v[90:91], v[64:65], v[74:75]
	s_wait_dscnt 0x1
	s_delay_alu instid0(VALU_DEP_1) | instskip(SKIP_1) | instid1(VALU_DEP_1)
	v_fmac_f64_e32 v[90:91], v[66:67], v[76:77]
	s_wait_loadcnt 0x1
	v_fmac_f64_e32 v[90:91], v[68:69], v[78:79]
	s_wait_dscnt 0x0
	s_delay_alu instid0(VALU_DEP_1) | instskip(SKIP_1) | instid1(VALU_DEP_1)
	v_fmac_f64_e32 v[90:91], v[70:71], v[60:61]
	s_wait_loadcnt 0x0
	v_fmac_f64_e32 v[90:91], v[86:87], v[62:63]
	s_delay_alu instid0(VALU_DEP_1)
	v_add_f64_e64 v[2:3], v[58:59], -v[90:91]
	scratch_store_b64 off, v[2:3], off offset:64
	s_wait_xcnt 0x0
	v_cmpx_lt_u32_e32 7, v0
	s_cbranch_execz .LBB90_157
; %bb.156:
	scratch_load_b64 v[2:3], off, off offset:56
	v_mov_b64_e32 v[58:59], 0
	scratch_store_b64 off, v[58:59], off offset:56
	s_wait_loadcnt 0x0
	ds_store_b64 v1, v[2:3]
.LBB90_157:
	s_wait_xcnt 0x0
	s_or_b32 exec_lo, exec_lo, s0
	s_wait_storecnt_dscnt 0x0
	s_barrier_signal -1
	s_barrier_wait -1
	s_clause 0x5
	scratch_load_b128 v[58:61], off, off offset:56
	scratch_load_b128 v[62:65], off, off offset:72
	;; [unrolled: 1-line block ×6, first 2 shown]
	v_mov_b32_e32 v2, 0
	ds_load_b128 v[82:85], v2 offset:288
	ds_load_b128 v[86:89], v2 offset:304
	s_mov_b32 s0, exec_lo
	s_wait_loadcnt_dscnt 0x501
	v_fma_f64 v[90:91], v[60:61], v[82:83], 0
	s_wait_loadcnt 0x4
	s_delay_alu instid0(VALU_DEP_1) | instskip(SKIP_4) | instid1(VALU_DEP_1)
	v_fmac_f64_e32 v[90:91], v[62:63], v[84:85]
	scratch_load_b128 v[60:63], off, off offset:152
	s_wait_dscnt 0x0
	v_fmac_f64_e32 v[90:91], v[64:65], v[86:87]
	s_wait_loadcnt 0x4
	v_fmac_f64_e32 v[90:91], v[66:67], v[88:89]
	scratch_load_b128 v[64:67], off, off offset:168
	ds_load_b128 v[82:85], v2 offset:320
	ds_load_b128 v[86:89], v2 offset:336
	s_wait_dscnt 0x1
	v_fmac_f64_e32 v[90:91], v[68:69], v[82:83]
	s_wait_loadcnt 0x4
	s_delay_alu instid0(VALU_DEP_1) | instskip(SKIP_4) | instid1(VALU_DEP_1)
	v_fmac_f64_e32 v[90:91], v[70:71], v[84:85]
	scratch_load_b128 v[68:71], off, off offset:184
	s_wait_dscnt 0x0
	v_fmac_f64_e32 v[90:91], v[72:73], v[86:87]
	s_wait_loadcnt 0x4
	v_fmac_f64_e32 v[90:91], v[74:75], v[88:89]
	scratch_load_b128 v[72:75], off, off offset:200
	ds_load_b128 v[82:85], v2 offset:352
	ds_load_b128 v[86:89], v2 offset:368
	s_wait_dscnt 0x1
	v_fmac_f64_e32 v[90:91], v[76:77], v[82:83]
	s_wait_loadcnt 0x4
	s_delay_alu instid0(VALU_DEP_1) | instskip(SKIP_1) | instid1(VALU_DEP_1)
	v_fmac_f64_e32 v[90:91], v[78:79], v[84:85]
	s_wait_dscnt 0x0
	v_fmac_f64_e32 v[90:91], v[80:81], v[86:87]
	ds_load_b128 v[76:79], v2 offset:384
	ds_load_b128 v[80:83], v2 offset:400
	s_wait_loadcnt 0x3
	v_fmac_f64_e32 v[90:91], v[60:61], v[88:89]
	s_wait_dscnt 0x1
	s_delay_alu instid0(VALU_DEP_1) | instskip(SKIP_1) | instid1(VALU_DEP_1)
	v_fmac_f64_e32 v[90:91], v[62:63], v[76:77]
	s_wait_loadcnt 0x2
	v_fmac_f64_e32 v[90:91], v[64:65], v[78:79]
	ds_load_b128 v[60:63], v2 offset:416
	ds_load_b64 v[64:65], v2 offset:432
	s_wait_dscnt 0x2
	v_fmac_f64_e32 v[90:91], v[66:67], v[80:81]
	s_wait_loadcnt 0x1
	s_delay_alu instid0(VALU_DEP_1) | instskip(SKIP_1) | instid1(VALU_DEP_1)
	v_fmac_f64_e32 v[90:91], v[68:69], v[82:83]
	s_wait_dscnt 0x1
	v_fmac_f64_e32 v[90:91], v[70:71], v[60:61]
	s_wait_loadcnt 0x0
	s_delay_alu instid0(VALU_DEP_1) | instskip(SKIP_1) | instid1(VALU_DEP_1)
	v_fmac_f64_e32 v[90:91], v[72:73], v[62:63]
	s_wait_dscnt 0x0
	v_fmac_f64_e32 v[90:91], v[74:75], v[64:65]
	s_delay_alu instid0(VALU_DEP_1)
	v_add_f64_e64 v[58:59], v[58:59], -v[90:91]
	scratch_store_b64 off, v[58:59], off offset:56
	s_wait_xcnt 0x0
	v_cmpx_lt_u32_e32 6, v0
	s_cbranch_execz .LBB90_159
; %bb.158:
	scratch_load_b64 v[58:59], off, off offset:48
	v_mov_b64_e32 v[60:61], 0
	scratch_store_b64 off, v[60:61], off offset:48
	s_wait_loadcnt 0x0
	ds_store_b64 v1, v[58:59]
.LBB90_159:
	s_wait_xcnt 0x0
	s_or_b32 exec_lo, exec_lo, s0
	s_wait_storecnt_dscnt 0x0
	s_barrier_signal -1
	s_barrier_wait -1
	s_clause 0x5
	scratch_load_b128 v[58:61], off, off offset:48
	scratch_load_b128 v[62:65], off, off offset:64
	;; [unrolled: 1-line block ×6, first 2 shown]
	ds_load_2addr_b64 v[82:85], v2 offset0:35 offset1:36
	ds_load_2addr_b64 v[86:89], v2 offset0:37 offset1:38
	s_mov_b32 s0, exec_lo
	s_wait_loadcnt_dscnt 0x501
	v_fma_f64 v[90:91], v[60:61], v[82:83], 0
	s_wait_loadcnt 0x4
	s_delay_alu instid0(VALU_DEP_1) | instskip(SKIP_4) | instid1(VALU_DEP_1)
	v_fmac_f64_e32 v[90:91], v[62:63], v[84:85]
	scratch_load_b128 v[60:63], off, off offset:144
	s_wait_dscnt 0x0
	v_fmac_f64_e32 v[90:91], v[64:65], v[86:87]
	s_wait_loadcnt 0x4
	v_fmac_f64_e32 v[90:91], v[66:67], v[88:89]
	scratch_load_b128 v[64:67], off, off offset:160
	ds_load_2addr_b64 v[82:85], v2 offset0:39 offset1:40
	ds_load_2addr_b64 v[86:89], v2 offset0:41 offset1:42
	s_wait_dscnt 0x1
	v_fmac_f64_e32 v[90:91], v[68:69], v[82:83]
	s_wait_loadcnt 0x4
	s_delay_alu instid0(VALU_DEP_1) | instskip(SKIP_4) | instid1(VALU_DEP_1)
	v_fmac_f64_e32 v[90:91], v[70:71], v[84:85]
	scratch_load_b128 v[68:71], off, off offset:176
	s_wait_dscnt 0x0
	v_fmac_f64_e32 v[90:91], v[72:73], v[86:87]
	s_wait_loadcnt 0x4
	v_fmac_f64_e32 v[90:91], v[74:75], v[88:89]
	scratch_load_b128 v[72:75], off, off offset:192
	ds_load_2addr_b64 v[82:85], v2 offset0:43 offset1:44
	ds_load_2addr_b64 v[86:89], v2 offset0:45 offset1:46
	s_wait_dscnt 0x1
	v_fmac_f64_e32 v[90:91], v[76:77], v[82:83]
	s_wait_loadcnt 0x4
	s_delay_alu instid0(VALU_DEP_1)
	v_fmac_f64_e32 v[90:91], v[78:79], v[84:85]
	scratch_load_b64 v[84:85], off, off offset:208
	s_wait_dscnt 0x0
	v_fmac_f64_e32 v[90:91], v[80:81], v[86:87]
	ds_load_2addr_b64 v[76:79], v2 offset0:47 offset1:48
	ds_load_2addr_b64 v[80:83], v2 offset0:49 offset1:50
	s_wait_loadcnt 0x4
	v_fmac_f64_e32 v[90:91], v[60:61], v[88:89]
	s_wait_dscnt 0x1
	s_delay_alu instid0(VALU_DEP_1) | instskip(SKIP_1) | instid1(VALU_DEP_1)
	v_fmac_f64_e32 v[90:91], v[62:63], v[76:77]
	s_wait_loadcnt 0x3
	v_fmac_f64_e32 v[90:91], v[64:65], v[78:79]
	s_wait_dscnt 0x0
	s_delay_alu instid0(VALU_DEP_1)
	v_fmac_f64_e32 v[90:91], v[66:67], v[80:81]
	ds_load_2addr_b64 v[60:63], v2 offset0:51 offset1:52
	ds_load_2addr_b64 v[64:67], v2 offset0:53 offset1:54
	s_wait_loadcnt 0x2
	v_fmac_f64_e32 v[90:91], v[68:69], v[82:83]
	s_wait_dscnt 0x1
	s_delay_alu instid0(VALU_DEP_1) | instskip(SKIP_1) | instid1(VALU_DEP_1)
	v_fmac_f64_e32 v[90:91], v[70:71], v[60:61]
	s_wait_loadcnt 0x1
	v_fmac_f64_e32 v[90:91], v[72:73], v[62:63]
	s_wait_dscnt 0x0
	s_delay_alu instid0(VALU_DEP_1) | instskip(SKIP_1) | instid1(VALU_DEP_1)
	v_fmac_f64_e32 v[90:91], v[74:75], v[64:65]
	s_wait_loadcnt 0x0
	v_fmac_f64_e32 v[90:91], v[84:85], v[66:67]
	s_delay_alu instid0(VALU_DEP_1)
	v_add_f64_e64 v[2:3], v[58:59], -v[90:91]
	scratch_store_b64 off, v[2:3], off offset:48
	s_wait_xcnt 0x0
	v_cmpx_lt_u32_e32 5, v0
	s_cbranch_execz .LBB90_161
; %bb.160:
	scratch_load_b64 v[2:3], off, off offset:40
	v_mov_b64_e32 v[58:59], 0
	scratch_store_b64 off, v[58:59], off offset:40
	s_wait_loadcnt 0x0
	ds_store_b64 v1, v[2:3]
.LBB90_161:
	s_wait_xcnt 0x0
	s_or_b32 exec_lo, exec_lo, s0
	s_wait_storecnt_dscnt 0x0
	s_barrier_signal -1
	s_barrier_wait -1
	s_clause 0x5
	scratch_load_b128 v[58:61], off, off offset:40
	scratch_load_b128 v[62:65], off, off offset:56
	;; [unrolled: 1-line block ×6, first 2 shown]
	v_mov_b32_e32 v2, 0
	ds_load_b128 v[82:85], v2 offset:272
	ds_load_b128 v[86:89], v2 offset:288
	s_mov_b32 s0, exec_lo
	s_wait_loadcnt_dscnt 0x501
	v_fma_f64 v[90:91], v[60:61], v[82:83], 0
	s_wait_loadcnt 0x4
	s_delay_alu instid0(VALU_DEP_1) | instskip(SKIP_4) | instid1(VALU_DEP_1)
	v_fmac_f64_e32 v[90:91], v[62:63], v[84:85]
	scratch_load_b128 v[60:63], off, off offset:136
	s_wait_dscnt 0x0
	v_fmac_f64_e32 v[90:91], v[64:65], v[86:87]
	s_wait_loadcnt 0x4
	v_fmac_f64_e32 v[90:91], v[66:67], v[88:89]
	scratch_load_b128 v[64:67], off, off offset:152
	ds_load_b128 v[82:85], v2 offset:304
	ds_load_b128 v[86:89], v2 offset:320
	s_wait_dscnt 0x1
	v_fmac_f64_e32 v[90:91], v[68:69], v[82:83]
	s_wait_loadcnt 0x4
	s_delay_alu instid0(VALU_DEP_1) | instskip(SKIP_4) | instid1(VALU_DEP_1)
	v_fmac_f64_e32 v[90:91], v[70:71], v[84:85]
	scratch_load_b128 v[68:71], off, off offset:168
	s_wait_dscnt 0x0
	v_fmac_f64_e32 v[90:91], v[72:73], v[86:87]
	s_wait_loadcnt 0x4
	v_fmac_f64_e32 v[90:91], v[74:75], v[88:89]
	scratch_load_b128 v[72:75], off, off offset:184
	ds_load_b128 v[82:85], v2 offset:336
	ds_load_b128 v[86:89], v2 offset:352
	s_wait_dscnt 0x1
	v_fmac_f64_e32 v[90:91], v[76:77], v[82:83]
	s_wait_loadcnt 0x4
	s_delay_alu instid0(VALU_DEP_1)
	v_fmac_f64_e32 v[90:91], v[78:79], v[84:85]
	scratch_load_b128 v[76:79], off, off offset:200
	s_wait_dscnt 0x0
	v_fmac_f64_e32 v[90:91], v[80:81], v[86:87]
	ds_load_b128 v[80:83], v2 offset:368
	ds_load_b128 v[84:87], v2 offset:384
	s_wait_loadcnt 0x4
	v_fmac_f64_e32 v[90:91], v[60:61], v[88:89]
	s_wait_dscnt 0x1
	s_delay_alu instid0(VALU_DEP_1) | instskip(SKIP_1) | instid1(VALU_DEP_1)
	v_fmac_f64_e32 v[90:91], v[62:63], v[80:81]
	s_wait_loadcnt 0x3
	v_fmac_f64_e32 v[90:91], v[64:65], v[82:83]
	s_wait_dscnt 0x0
	s_delay_alu instid0(VALU_DEP_1)
	v_fmac_f64_e32 v[90:91], v[66:67], v[84:85]
	ds_load_b128 v[60:63], v2 offset:400
	ds_load_b128 v[64:67], v2 offset:416
	s_wait_loadcnt 0x2
	v_fmac_f64_e32 v[90:91], v[68:69], v[86:87]
	s_wait_dscnt 0x1
	s_delay_alu instid0(VALU_DEP_1) | instskip(SKIP_4) | instid1(VALU_DEP_1)
	v_fmac_f64_e32 v[90:91], v[70:71], v[60:61]
	ds_load_b64 v[60:61], v2 offset:432
	s_wait_loadcnt 0x1
	v_fmac_f64_e32 v[90:91], v[72:73], v[62:63]
	s_wait_dscnt 0x1
	v_fmac_f64_e32 v[90:91], v[74:75], v[64:65]
	s_wait_loadcnt 0x0
	s_delay_alu instid0(VALU_DEP_1) | instskip(SKIP_1) | instid1(VALU_DEP_1)
	v_fmac_f64_e32 v[90:91], v[76:77], v[66:67]
	s_wait_dscnt 0x0
	v_fmac_f64_e32 v[90:91], v[78:79], v[60:61]
	s_delay_alu instid0(VALU_DEP_1)
	v_add_f64_e64 v[58:59], v[58:59], -v[90:91]
	scratch_store_b64 off, v[58:59], off offset:40
	s_wait_xcnt 0x0
	v_cmpx_lt_u32_e32 4, v0
	s_cbranch_execz .LBB90_163
; %bb.162:
	scratch_load_b64 v[58:59], off, off offset:32
	v_mov_b64_e32 v[60:61], 0
	scratch_store_b64 off, v[60:61], off offset:32
	s_wait_loadcnt 0x0
	ds_store_b64 v1, v[58:59]
.LBB90_163:
	s_wait_xcnt 0x0
	s_or_b32 exec_lo, exec_lo, s0
	s_wait_storecnt_dscnt 0x0
	s_barrier_signal -1
	s_barrier_wait -1
	s_clause 0x5
	scratch_load_b128 v[58:61], off, off offset:32
	scratch_load_b128 v[62:65], off, off offset:48
	;; [unrolled: 1-line block ×6, first 2 shown]
	ds_load_2addr_b64 v[82:85], v2 offset0:33 offset1:34
	ds_load_2addr_b64 v[86:89], v2 offset0:35 offset1:36
	scratch_load_b128 v[90:93], off, off offset:128
	s_mov_b32 s0, exec_lo
	s_wait_loadcnt_dscnt 0x601
	v_fma_f64 v[94:95], v[60:61], v[82:83], 0
	s_wait_loadcnt 0x5
	s_delay_alu instid0(VALU_DEP_1) | instskip(SKIP_4) | instid1(VALU_DEP_1)
	v_fmac_f64_e32 v[94:95], v[62:63], v[84:85]
	scratch_load_b128 v[60:63], off, off offset:144
	s_wait_dscnt 0x0
	v_fmac_f64_e32 v[94:95], v[64:65], v[86:87]
	s_wait_loadcnt 0x5
	v_fmac_f64_e32 v[94:95], v[66:67], v[88:89]
	ds_load_2addr_b64 v[64:67], v2 offset0:37 offset1:38
	ds_load_2addr_b64 v[82:85], v2 offset0:39 offset1:40
	s_wait_dscnt 0x1
	v_fmac_f64_e32 v[94:95], v[68:69], v[64:65]
	s_wait_loadcnt 0x4
	s_delay_alu instid0(VALU_DEP_1)
	v_fmac_f64_e32 v[94:95], v[70:71], v[66:67]
	s_clause 0x1
	scratch_load_b128 v[64:67], off, off offset:160
	scratch_load_b128 v[68:71], off, off offset:176
	s_wait_dscnt 0x0
	v_fmac_f64_e32 v[94:95], v[72:73], v[82:83]
	s_wait_loadcnt 0x5
	s_delay_alu instid0(VALU_DEP_1)
	v_fmac_f64_e32 v[94:95], v[74:75], v[84:85]
	ds_load_2addr_b64 v[72:75], v2 offset0:41 offset1:42
	ds_load_2addr_b64 v[82:85], v2 offset0:43 offset1:44
	s_wait_dscnt 0x1
	v_fmac_f64_e32 v[94:95], v[76:77], v[72:73]
	s_wait_loadcnt 0x4
	s_delay_alu instid0(VALU_DEP_1) | instskip(SKIP_4) | instid1(VALU_DEP_1)
	v_fmac_f64_e32 v[94:95], v[78:79], v[74:75]
	scratch_load_b128 v[72:75], off, off offset:192
	s_wait_dscnt 0x0
	v_fmac_f64_e32 v[94:95], v[80:81], v[82:83]
	s_wait_loadcnt 0x4
	v_fmac_f64_e32 v[94:95], v[90:91], v[84:85]
	scratch_load_b64 v[84:85], off, off offset:208
	ds_load_2addr_b64 v[76:79], v2 offset0:45 offset1:46
	ds_load_2addr_b64 v[80:83], v2 offset0:47 offset1:48
	s_wait_dscnt 0x1
	v_fmac_f64_e32 v[94:95], v[92:93], v[76:77]
	s_wait_loadcnt 0x4
	s_delay_alu instid0(VALU_DEP_1) | instskip(SKIP_1) | instid1(VALU_DEP_1)
	v_fmac_f64_e32 v[94:95], v[60:61], v[78:79]
	s_wait_dscnt 0x0
	v_fmac_f64_e32 v[94:95], v[62:63], v[80:81]
	ds_load_2addr_b64 v[60:63], v2 offset0:49 offset1:50
	ds_load_2addr_b64 v[76:79], v2 offset0:51 offset1:52
	s_wait_loadcnt 0x3
	v_fmac_f64_e32 v[94:95], v[64:65], v[82:83]
	s_wait_dscnt 0x1
	s_delay_alu instid0(VALU_DEP_1) | instskip(SKIP_1) | instid1(VALU_DEP_1)
	v_fmac_f64_e32 v[94:95], v[66:67], v[60:61]
	s_wait_loadcnt 0x2
	v_fmac_f64_e32 v[94:95], v[68:69], v[62:63]
	ds_load_2addr_b64 v[60:63], v2 offset0:53 offset1:54
	s_wait_dscnt 0x1
	v_fmac_f64_e32 v[94:95], v[70:71], v[76:77]
	s_wait_loadcnt 0x1
	s_delay_alu instid0(VALU_DEP_1) | instskip(SKIP_1) | instid1(VALU_DEP_1)
	v_fmac_f64_e32 v[94:95], v[72:73], v[78:79]
	s_wait_dscnt 0x0
	v_fmac_f64_e32 v[94:95], v[74:75], v[60:61]
	s_wait_loadcnt 0x0
	s_delay_alu instid0(VALU_DEP_1) | instskip(NEXT) | instid1(VALU_DEP_1)
	v_fmac_f64_e32 v[94:95], v[84:85], v[62:63]
	v_add_f64_e64 v[2:3], v[58:59], -v[94:95]
	scratch_store_b64 off, v[2:3], off offset:32
	s_wait_xcnt 0x0
	v_cmpx_lt_u32_e32 3, v0
	s_cbranch_execz .LBB90_165
; %bb.164:
	scratch_load_b64 v[2:3], off, off offset:24
	v_mov_b64_e32 v[58:59], 0
	scratch_store_b64 off, v[58:59], off offset:24
	s_wait_loadcnt 0x0
	ds_store_b64 v1, v[2:3]
.LBB90_165:
	s_wait_xcnt 0x0
	s_or_b32 exec_lo, exec_lo, s0
	s_wait_storecnt_dscnt 0x0
	s_barrier_signal -1
	s_barrier_wait -1
	s_clause 0x5
	scratch_load_b128 v[58:61], off, off offset:24
	scratch_load_b128 v[62:65], off, off offset:40
	;; [unrolled: 1-line block ×6, first 2 shown]
	v_mov_b32_e32 v2, 0
	ds_load_b128 v[82:85], v2 offset:256
	ds_load_b128 v[86:89], v2 offset:272
	scratch_load_b128 v[90:93], off, off offset:120
	s_mov_b32 s0, exec_lo
	s_wait_loadcnt_dscnt 0x601
	v_fma_f64 v[94:95], v[60:61], v[82:83], 0
	s_wait_loadcnt 0x5
	s_delay_alu instid0(VALU_DEP_1) | instskip(SKIP_4) | instid1(VALU_DEP_1)
	v_fmac_f64_e32 v[94:95], v[62:63], v[84:85]
	scratch_load_b128 v[60:63], off, off offset:136
	s_wait_dscnt 0x0
	v_fmac_f64_e32 v[94:95], v[64:65], v[86:87]
	s_wait_loadcnt 0x5
	v_fmac_f64_e32 v[94:95], v[66:67], v[88:89]
	ds_load_b128 v[64:67], v2 offset:288
	ds_load_b128 v[82:85], v2 offset:304
	s_wait_dscnt 0x1
	v_fmac_f64_e32 v[94:95], v[68:69], v[64:65]
	s_wait_loadcnt 0x4
	s_delay_alu instid0(VALU_DEP_1)
	v_fmac_f64_e32 v[94:95], v[70:71], v[66:67]
	s_clause 0x1
	scratch_load_b128 v[64:67], off, off offset:152
	scratch_load_b128 v[68:71], off, off offset:168
	s_wait_dscnt 0x0
	v_fmac_f64_e32 v[94:95], v[72:73], v[82:83]
	s_wait_loadcnt 0x5
	s_delay_alu instid0(VALU_DEP_1)
	v_fmac_f64_e32 v[94:95], v[74:75], v[84:85]
	ds_load_b128 v[72:75], v2 offset:320
	ds_load_b128 v[82:85], v2 offset:336
	s_wait_dscnt 0x1
	v_fmac_f64_e32 v[94:95], v[76:77], v[72:73]
	s_wait_loadcnt 0x4
	s_delay_alu instid0(VALU_DEP_1)
	v_fmac_f64_e32 v[94:95], v[78:79], v[74:75]
	s_clause 0x1
	scratch_load_b128 v[72:75], off, off offset:184
	scratch_load_b128 v[76:79], off, off offset:200
	s_wait_dscnt 0x0
	v_fmac_f64_e32 v[94:95], v[80:81], v[82:83]
	s_wait_loadcnt 0x5
	s_delay_alu instid0(VALU_DEP_1)
	v_fmac_f64_e32 v[94:95], v[90:91], v[84:85]
	ds_load_b128 v[80:83], v2 offset:352
	ds_load_b128 v[84:87], v2 offset:368
	s_wait_dscnt 0x1
	v_fmac_f64_e32 v[94:95], v[92:93], v[80:81]
	s_wait_loadcnt 0x4
	s_delay_alu instid0(VALU_DEP_1) | instskip(SKIP_1) | instid1(VALU_DEP_1)
	v_fmac_f64_e32 v[94:95], v[60:61], v[82:83]
	s_wait_dscnt 0x0
	v_fmac_f64_e32 v[94:95], v[62:63], v[84:85]
	ds_load_b128 v[60:63], v2 offset:384
	ds_load_b128 v[80:83], v2 offset:400
	s_wait_loadcnt 0x3
	v_fmac_f64_e32 v[94:95], v[64:65], v[86:87]
	s_wait_dscnt 0x1
	s_delay_alu instid0(VALU_DEP_1) | instskip(SKIP_1) | instid1(VALU_DEP_1)
	v_fmac_f64_e32 v[94:95], v[66:67], v[60:61]
	s_wait_loadcnt 0x2
	v_fmac_f64_e32 v[94:95], v[68:69], v[62:63]
	ds_load_b128 v[60:63], v2 offset:416
	ds_load_b64 v[64:65], v2 offset:432
	s_wait_dscnt 0x2
	v_fmac_f64_e32 v[94:95], v[70:71], v[80:81]
	s_wait_loadcnt 0x1
	s_delay_alu instid0(VALU_DEP_1) | instskip(SKIP_1) | instid1(VALU_DEP_1)
	v_fmac_f64_e32 v[94:95], v[72:73], v[82:83]
	s_wait_dscnt 0x1
	v_fmac_f64_e32 v[94:95], v[74:75], v[60:61]
	s_wait_loadcnt 0x0
	s_delay_alu instid0(VALU_DEP_1) | instskip(SKIP_1) | instid1(VALU_DEP_1)
	v_fmac_f64_e32 v[94:95], v[76:77], v[62:63]
	s_wait_dscnt 0x0
	v_fmac_f64_e32 v[94:95], v[78:79], v[64:65]
	s_delay_alu instid0(VALU_DEP_1)
	v_add_f64_e64 v[58:59], v[58:59], -v[94:95]
	scratch_store_b64 off, v[58:59], off offset:24
	s_wait_xcnt 0x0
	v_cmpx_lt_u32_e32 2, v0
	s_cbranch_execz .LBB90_167
; %bb.166:
	scratch_load_b64 v[58:59], off, off offset:16
	v_mov_b64_e32 v[60:61], 0
	scratch_store_b64 off, v[60:61], off offset:16
	s_wait_loadcnt 0x0
	ds_store_b64 v1, v[58:59]
.LBB90_167:
	s_wait_xcnt 0x0
	s_or_b32 exec_lo, exec_lo, s0
	s_wait_storecnt_dscnt 0x0
	s_barrier_signal -1
	s_barrier_wait -1
	s_clause 0x5
	scratch_load_b128 v[58:61], off, off offset:16
	scratch_load_b128 v[62:65], off, off offset:32
	;; [unrolled: 1-line block ×6, first 2 shown]
	ds_load_2addr_b64 v[82:85], v2 offset0:31 offset1:32
	ds_load_2addr_b64 v[86:89], v2 offset0:33 offset1:34
	scratch_load_b128 v[90:93], off, off offset:112
	s_mov_b32 s0, exec_lo
	s_wait_loadcnt_dscnt 0x601
	v_fma_f64 v[94:95], v[60:61], v[82:83], 0
	s_wait_loadcnt 0x5
	s_delay_alu instid0(VALU_DEP_1) | instskip(SKIP_4) | instid1(VALU_DEP_1)
	v_fmac_f64_e32 v[94:95], v[62:63], v[84:85]
	scratch_load_b128 v[60:63], off, off offset:128
	s_wait_dscnt 0x0
	v_fmac_f64_e32 v[94:95], v[64:65], v[86:87]
	s_wait_loadcnt 0x5
	v_fmac_f64_e32 v[94:95], v[66:67], v[88:89]
	ds_load_2addr_b64 v[64:67], v2 offset0:35 offset1:36
	ds_load_2addr_b64 v[82:85], v2 offset0:37 offset1:38
	s_wait_dscnt 0x1
	v_fmac_f64_e32 v[94:95], v[68:69], v[64:65]
	s_wait_loadcnt 0x4
	s_delay_alu instid0(VALU_DEP_1)
	v_fmac_f64_e32 v[94:95], v[70:71], v[66:67]
	s_clause 0x1
	scratch_load_b128 v[64:67], off, off offset:144
	scratch_load_b128 v[68:71], off, off offset:160
	s_wait_dscnt 0x0
	v_fmac_f64_e32 v[94:95], v[72:73], v[82:83]
	s_wait_loadcnt 0x5
	s_delay_alu instid0(VALU_DEP_1)
	v_fmac_f64_e32 v[94:95], v[74:75], v[84:85]
	ds_load_2addr_b64 v[72:75], v2 offset0:39 offset1:40
	ds_load_2addr_b64 v[82:85], v2 offset0:41 offset1:42
	s_wait_dscnt 0x1
	v_fmac_f64_e32 v[94:95], v[76:77], v[72:73]
	s_wait_loadcnt 0x4
	s_delay_alu instid0(VALU_DEP_1)
	v_fmac_f64_e32 v[94:95], v[78:79], v[74:75]
	s_clause 0x1
	scratch_load_b128 v[72:75], off, off offset:176
	scratch_load_b128 v[76:79], off, off offset:192
	s_wait_dscnt 0x0
	v_fmac_f64_e32 v[94:95], v[80:81], v[82:83]
	s_wait_loadcnt 0x5
	s_delay_alu instid0(VALU_DEP_1)
	v_fmac_f64_e32 v[94:95], v[90:91], v[84:85]
	ds_load_2addr_b64 v[80:83], v2 offset0:43 offset1:44
	ds_load_2addr_b64 v[84:87], v2 offset0:45 offset1:46
	scratch_load_b64 v[88:89], off, off offset:208
	s_wait_dscnt 0x1
	v_fmac_f64_e32 v[94:95], v[92:93], v[80:81]
	s_wait_loadcnt 0x5
	s_delay_alu instid0(VALU_DEP_1) | instskip(SKIP_1) | instid1(VALU_DEP_1)
	v_fmac_f64_e32 v[94:95], v[60:61], v[82:83]
	s_wait_dscnt 0x0
	v_fmac_f64_e32 v[94:95], v[62:63], v[84:85]
	ds_load_2addr_b64 v[60:63], v2 offset0:47 offset1:48
	ds_load_2addr_b64 v[80:83], v2 offset0:49 offset1:50
	s_wait_loadcnt 0x4
	v_fmac_f64_e32 v[94:95], v[64:65], v[86:87]
	s_wait_dscnt 0x1
	s_delay_alu instid0(VALU_DEP_1) | instskip(SKIP_1) | instid1(VALU_DEP_1)
	v_fmac_f64_e32 v[94:95], v[66:67], v[60:61]
	s_wait_loadcnt 0x3
	v_fmac_f64_e32 v[94:95], v[68:69], v[62:63]
	ds_load_2addr_b64 v[60:63], v2 offset0:51 offset1:52
	ds_load_2addr_b64 v[64:67], v2 offset0:53 offset1:54
	s_wait_dscnt 0x2
	v_fmac_f64_e32 v[94:95], v[70:71], v[80:81]
	s_wait_loadcnt 0x2
	s_delay_alu instid0(VALU_DEP_1) | instskip(SKIP_1) | instid1(VALU_DEP_1)
	v_fmac_f64_e32 v[94:95], v[72:73], v[82:83]
	s_wait_dscnt 0x1
	v_fmac_f64_e32 v[94:95], v[74:75], v[60:61]
	s_wait_loadcnt 0x1
	s_delay_alu instid0(VALU_DEP_1) | instskip(SKIP_1) | instid1(VALU_DEP_1)
	v_fmac_f64_e32 v[94:95], v[76:77], v[62:63]
	s_wait_dscnt 0x0
	v_fmac_f64_e32 v[94:95], v[78:79], v[64:65]
	s_wait_loadcnt 0x0
	s_delay_alu instid0(VALU_DEP_1) | instskip(NEXT) | instid1(VALU_DEP_1)
	v_fmac_f64_e32 v[94:95], v[88:89], v[66:67]
	v_add_f64_e64 v[2:3], v[58:59], -v[94:95]
	scratch_store_b64 off, v[2:3], off offset:16
	s_wait_xcnt 0x0
	v_cmpx_lt_u32_e32 1, v0
	s_cbranch_execz .LBB90_169
; %bb.168:
	scratch_load_b64 v[2:3], off, off offset:8
	v_mov_b64_e32 v[58:59], 0
	scratch_store_b64 off, v[58:59], off offset:8
	s_wait_loadcnt 0x0
	ds_store_b64 v1, v[2:3]
.LBB90_169:
	s_wait_xcnt 0x0
	s_or_b32 exec_lo, exec_lo, s0
	s_wait_storecnt_dscnt 0x0
	s_barrier_signal -1
	s_barrier_wait -1
	s_clause 0x5
	scratch_load_b128 v[60:63], off, off offset:8
	scratch_load_b128 v[64:67], off, off offset:24
	;; [unrolled: 1-line block ×6, first 2 shown]
	v_mov_b32_e32 v58, 0
	ds_load_b128 v[84:87], v58 offset:240
	ds_load_b128 v[88:91], v58 offset:256
	scratch_load_b128 v[92:95], off, off offset:104
	v_dual_ashrrev_i32 v9, 31, v8 :: v_dual_ashrrev_i32 v11, 31, v10
	v_dual_ashrrev_i32 v13, 31, v12 :: v_dual_ashrrev_i32 v15, 31, v14
	;; [unrolled: 1-line block ×12, first 2 shown]
	v_ashrrev_i32_e32 v57, 31, v56
	s_mov_b32 s0, exec_lo
	s_wait_loadcnt_dscnt 0x601
	v_fma_f64 v[2:3], v[62:63], v[84:85], 0
	s_wait_loadcnt 0x5
	s_delay_alu instid0(VALU_DEP_1) | instskip(SKIP_4) | instid1(VALU_DEP_1)
	v_fmac_f64_e32 v[2:3], v[64:65], v[86:87]
	scratch_load_b128 v[62:65], off, off offset:120
	s_wait_dscnt 0x0
	v_fmac_f64_e32 v[2:3], v[66:67], v[88:89]
	s_wait_loadcnt 0x5
	v_fmac_f64_e32 v[2:3], v[68:69], v[90:91]
	ds_load_b128 v[66:69], v58 offset:272
	ds_load_b128 v[84:87], v58 offset:288
	s_wait_dscnt 0x1
	v_fmac_f64_e32 v[2:3], v[70:71], v[66:67]
	s_wait_loadcnt 0x4
	s_delay_alu instid0(VALU_DEP_1)
	v_fmac_f64_e32 v[2:3], v[72:73], v[68:69]
	s_clause 0x1
	scratch_load_b128 v[66:69], off, off offset:136
	scratch_load_b128 v[70:73], off, off offset:152
	s_wait_dscnt 0x0
	v_fmac_f64_e32 v[2:3], v[74:75], v[84:85]
	s_wait_loadcnt 0x5
	s_delay_alu instid0(VALU_DEP_1)
	v_fmac_f64_e32 v[2:3], v[76:77], v[86:87]
	ds_load_b128 v[74:77], v58 offset:304
	ds_load_b128 v[84:87], v58 offset:320
	s_wait_dscnt 0x1
	v_fmac_f64_e32 v[2:3], v[78:79], v[74:75]
	s_wait_loadcnt 0x4
	s_delay_alu instid0(VALU_DEP_1)
	v_fmac_f64_e32 v[2:3], v[80:81], v[76:77]
	s_clause 0x1
	scratch_load_b128 v[74:77], off, off offset:168
	scratch_load_b128 v[78:81], off, off offset:184
	s_wait_dscnt 0x0
	v_fmac_f64_e32 v[2:3], v[82:83], v[84:85]
	s_wait_loadcnt 0x5
	s_delay_alu instid0(VALU_DEP_1)
	v_fmac_f64_e32 v[2:3], v[92:93], v[86:87]
	ds_load_b128 v[82:85], v58 offset:336
	ds_load_b128 v[86:89], v58 offset:352
	s_wait_dscnt 0x1
	v_fmac_f64_e32 v[2:3], v[94:95], v[82:83]
	s_wait_loadcnt 0x4
	s_delay_alu instid0(VALU_DEP_1) | instskip(SKIP_4) | instid1(VALU_DEP_1)
	v_fmac_f64_e32 v[2:3], v[62:63], v[84:85]
	scratch_load_b128 v[82:85], off, off offset:200
	s_wait_dscnt 0x0
	v_fmac_f64_e32 v[2:3], v[64:65], v[86:87]
	s_wait_loadcnt 0x4
	v_fmac_f64_e32 v[2:3], v[66:67], v[88:89]
	ds_load_b128 v[62:65], v58 offset:368
	ds_load_b128 v[86:89], v58 offset:384
	s_wait_dscnt 0x1
	v_fmac_f64_e32 v[2:3], v[68:69], v[62:63]
	s_wait_loadcnt 0x3
	s_delay_alu instid0(VALU_DEP_1)
	v_fmac_f64_e32 v[2:3], v[70:71], v[64:65]
	ds_load_b128 v[62:65], v58 offset:400
	ds_load_b128 v[66:69], v58 offset:416
	s_wait_dscnt 0x2
	v_fmac_f64_e32 v[2:3], v[72:73], v[86:87]
	s_wait_loadcnt 0x2
	s_delay_alu instid0(VALU_DEP_1) | instskip(SKIP_1) | instid1(VALU_DEP_1)
	v_fmac_f64_e32 v[2:3], v[74:75], v[88:89]
	s_wait_dscnt 0x1
	v_fmac_f64_e32 v[2:3], v[76:77], v[62:63]
	ds_load_b64 v[62:63], v58 offset:432
	s_wait_loadcnt 0x1
	v_fmac_f64_e32 v[2:3], v[78:79], v[64:65]
	s_wait_dscnt 0x1
	s_delay_alu instid0(VALU_DEP_1) | instskip(SKIP_1) | instid1(VALU_DEP_1)
	v_fmac_f64_e32 v[2:3], v[80:81], v[66:67]
	s_wait_loadcnt 0x0
	v_fmac_f64_e32 v[2:3], v[82:83], v[68:69]
	s_wait_dscnt 0x0
	s_delay_alu instid0(VALU_DEP_1) | instskip(NEXT) | instid1(VALU_DEP_1)
	v_fmac_f64_e32 v[2:3], v[84:85], v[62:63]
	v_add_f64_e64 v[2:3], v[60:61], -v[2:3]
	scratch_store_b64 off, v[2:3], off offset:8
	s_wait_xcnt 0x0
	v_cmpx_ne_u32_e32 0, v0
	s_cbranch_execz .LBB90_171
; %bb.170:
	scratch_load_b64 v[2:3], off, off
	v_mov_b64_e32 v[60:61], 0
	scratch_store_b64 off, v[60:61], off
	s_wait_loadcnt 0x0
	ds_store_b64 v1, v[2:3]
.LBB90_171:
	s_wait_xcnt 0x0
	s_or_b32 exec_lo, exec_lo, s0
	s_wait_storecnt_dscnt 0x0
	s_barrier_signal -1
	s_barrier_wait -1
	s_clause 0x5
	scratch_load_b128 v[60:63], off, off
	scratch_load_b128 v[0:3], off, off offset:16
	scratch_load_b128 v[64:67], off, off offset:32
	scratch_load_b128 v[68:71], off, off offset:48
	scratch_load_b128 v[72:75], off, off offset:64
	scratch_load_b128 v[76:79], off, off offset:80
	ds_load_2addr_b64 v[80:83], v58 offset0:29 offset1:30
	s_clause 0x1
	scratch_load_b128 v[84:87], off, off offset:96
	scratch_load_b128 v[88:91], off, off offset:112
	s_and_b32 vcc_lo, exec_lo, s12
	s_wait_loadcnt_dscnt 0x700
	v_fma_f64 v[92:93], v[62:63], v[80:81], 0
	s_wait_loadcnt 0x6
	s_delay_alu instid0(VALU_DEP_1)
	v_fmac_f64_e32 v[92:93], v[0:1], v[82:83]
	ds_load_2addr_b64 v[80:83], v58 offset0:31 offset1:32
	s_wait_dscnt 0x0
	v_fmac_f64_e32 v[92:93], v[2:3], v[80:81]
	ds_load_2addr_b64 v[0:3], v58 offset0:33 offset1:34
	s_wait_loadcnt 0x5
	v_fmac_f64_e32 v[92:93], v[64:65], v[82:83]
	s_clause 0x1
	scratch_load_b128 v[62:65], off, off offset:128
	scratch_load_b64 v[82:83], off, off offset:208
	s_wait_dscnt 0x0
	v_fmac_f64_e32 v[92:93], v[66:67], v[0:1]
	s_wait_loadcnt 0x6
	s_delay_alu instid0(VALU_DEP_1)
	v_fmac_f64_e32 v[92:93], v[68:69], v[2:3]
	ds_load_2addr_b64 v[0:3], v58 offset0:35 offset1:36
	scratch_load_b128 v[66:69], off, off offset:144
	s_wait_dscnt 0x0
	v_fmac_f64_e32 v[92:93], v[70:71], v[0:1]
	s_wait_loadcnt 0x6
	s_delay_alu instid0(VALU_DEP_1)
	v_fmac_f64_e32 v[92:93], v[72:73], v[2:3]
	ds_load_2addr_b64 v[0:3], v58 offset0:37 offset1:38
	scratch_load_b128 v[70:73], off, off offset:160
	;; [unrolled: 7-line block ×3, first 2 shown]
	s_wait_dscnt 0x0
	v_fmac_f64_e32 v[92:93], v[78:79], v[0:1]
	ds_load_2addr_b64 v[78:81], v58 offset0:41 offset1:42
	s_wait_loadcnt 0x6
	v_fmac_f64_e32 v[92:93], v[84:85], v[2:3]
	scratch_load_b128 v[0:3], off, off offset:192
	s_wait_dscnt 0x0
	v_fmac_f64_e32 v[92:93], v[86:87], v[78:79]
	s_wait_loadcnt 0x6
	s_delay_alu instid0(VALU_DEP_1) | instskip(SKIP_4) | instid1(VALU_DEP_1)
	v_fmac_f64_e32 v[92:93], v[88:89], v[80:81]
	ds_load_2addr_b64 v[78:81], v58 offset0:43 offset1:44
	s_wait_dscnt 0x0
	v_fmac_f64_e32 v[92:93], v[90:91], v[78:79]
	s_wait_loadcnt 0x5
	v_fmac_f64_e32 v[92:93], v[62:63], v[80:81]
	ds_load_2addr_b64 v[78:81], v58 offset0:45 offset1:46
	s_wait_dscnt 0x0
	v_fmac_f64_e32 v[92:93], v[64:65], v[78:79]
	ds_load_2addr_b64 v[62:65], v58 offset0:47 offset1:48
	s_wait_loadcnt 0x3
	v_fmac_f64_e32 v[92:93], v[66:67], v[80:81]
	s_wait_dscnt 0x0
	s_delay_alu instid0(VALU_DEP_1) | instskip(SKIP_1) | instid1(VALU_DEP_1)
	v_fmac_f64_e32 v[92:93], v[68:69], v[62:63]
	s_wait_loadcnt 0x2
	v_fmac_f64_e32 v[92:93], v[70:71], v[64:65]
	ds_load_2addr_b64 v[62:65], v58 offset0:49 offset1:50
	s_wait_dscnt 0x0
	v_fmac_f64_e32 v[92:93], v[72:73], v[62:63]
	s_wait_loadcnt 0x1
	s_delay_alu instid0(VALU_DEP_1) | instskip(SKIP_4) | instid1(VALU_DEP_1)
	v_fmac_f64_e32 v[92:93], v[74:75], v[64:65]
	ds_load_2addr_b64 v[62:65], v58 offset0:51 offset1:52
	s_wait_dscnt 0x0
	v_fmac_f64_e32 v[92:93], v[76:77], v[62:63]
	s_wait_loadcnt 0x0
	v_fmac_f64_e32 v[92:93], v[0:1], v[64:65]
	ds_load_2addr_b64 v[62:65], v58 offset0:53 offset1:54
	s_wait_dscnt 0x0
	v_fmac_f64_e32 v[92:93], v[2:3], v[62:63]
	s_delay_alu instid0(VALU_DEP_1) | instskip(NEXT) | instid1(VALU_DEP_1)
	v_fmac_f64_e32 v[92:93], v[82:83], v[64:65]
	v_add_f64_e64 v[58:59], v[60:61], -v[92:93]
	scratch_store_b64 off, v[58:59], off
	s_cbranch_vccz .LBB90_224
; %bb.172:
	v_mov_b32_e32 v0, 0
	global_load_b32 v1, v0, s[8:9] offset:100
	s_wait_loadcnt 0x0
	v_cmp_ne_u32_e32 vcc_lo, 26, v1
	s_cbranch_vccz .LBB90_174
; %bb.173:
	v_lshlrev_b32_e32 v1, 3, v1
	scratch_load_b64 v[58:59], v1, off offset:-8
	s_wait_loadcnt 0x0
	scratch_store_b64 off, v[58:59], off offset:200
	scratch_store_b64 v1, v[2:3], off offset:-8
.LBB90_174:
	global_load_b32 v0, v0, s[8:9] offset:96
	s_wait_loadcnt 0x0
	v_cmp_eq_u32_e32 vcc_lo, 25, v0
	s_cbranch_vccnz .LBB90_176
; %bb.175:
	s_wait_xcnt 0x0
	v_lshlrev_b32_e32 v0, 3, v0
	s_delay_alu instid0(VALU_DEP_1)
	v_mov_b32_e32 v58, v0
	scratch_load_b64 v[0:1], v58, off offset:-8
	scratch_load_b64 v[2:3], off, off offset:192
	s_wait_loadcnt 0x1
	scratch_store_b64 off, v[0:1], off offset:192
	s_wait_loadcnt 0x0
	scratch_store_b64 v58, v[2:3], off offset:-8
.LBB90_176:
	s_wait_xcnt 0x0
	v_mov_b32_e32 v0, 0
	global_load_b32 v1, v0, s[8:9] offset:92
	s_wait_loadcnt 0x0
	v_cmp_eq_u32_e32 vcc_lo, 24, v1
	s_cbranch_vccnz .LBB90_178
; %bb.177:
	v_lshlrev_b32_e32 v1, 3, v1
	scratch_load_b64 v[2:3], v1, off offset:-8
	scratch_load_b64 v[58:59], off, off offset:184
	s_wait_loadcnt 0x1
	scratch_store_b64 off, v[2:3], off offset:184
	s_wait_loadcnt 0x0
	scratch_store_b64 v1, v[58:59], off offset:-8
.LBB90_178:
	global_load_b32 v0, v0, s[8:9] offset:88
	s_wait_loadcnt 0x0
	v_cmp_eq_u32_e32 vcc_lo, 23, v0
	s_cbranch_vccnz .LBB90_180
; %bb.179:
	s_wait_xcnt 0x0
	v_lshlrev_b32_e32 v0, 3, v0
	s_delay_alu instid0(VALU_DEP_1)
	v_mov_b32_e32 v58, v0
	scratch_load_b64 v[0:1], v58, off offset:-8
	scratch_load_b64 v[2:3], off, off offset:176
	s_wait_loadcnt 0x1
	scratch_store_b64 off, v[0:1], off offset:176
	s_wait_loadcnt 0x0
	scratch_store_b64 v58, v[2:3], off offset:-8
.LBB90_180:
	s_wait_xcnt 0x0
	v_mov_b32_e32 v0, 0
	global_load_b32 v1, v0, s[8:9] offset:84
	s_wait_loadcnt 0x0
	v_cmp_eq_u32_e32 vcc_lo, 22, v1
	s_cbranch_vccnz .LBB90_182
; %bb.181:
	v_lshlrev_b32_e32 v1, 3, v1
	scratch_load_b64 v[2:3], v1, off offset:-8
	scratch_load_b64 v[58:59], off, off offset:168
	s_wait_loadcnt 0x1
	scratch_store_b64 off, v[2:3], off offset:168
	s_wait_loadcnt 0x0
	scratch_store_b64 v1, v[58:59], off offset:-8
.LBB90_182:
	;; [unrolled: 31-line block ×12, first 2 shown]
	global_load_b32 v0, v0, s[8:9]
	scratch_load_b64 v[58:59], off, off
	s_wait_loadcnt 0x1
	v_cmp_eq_u32_e32 vcc_lo, 1, v0
	s_cbranch_vccnz .LBB90_224
; %bb.223:
	s_wait_xcnt 0x1
	v_lshlrev_b32_e32 v0, 3, v0
	s_delay_alu instid0(VALU_DEP_1)
	v_mov_b32_e32 v2, v0
	scratch_load_b64 v[0:1], v2, off offset:-8
	s_wait_loadcnt 0x0
	scratch_store_b64 off, v[0:1], off
	scratch_store_b64 v2, v[58:59], off offset:-8
	scratch_load_b64 v[58:59], off, off
.LBB90_224:
	s_wait_loadcnt 0x0
	flat_store_b64 v[4:5], v[58:59]
	scratch_load_b64 v[4:5], off, off offset:8
	v_lshl_add_u64 v[80:81], v[8:9], 3, s[2:3]
	v_lshl_add_u64 v[78:79], v[10:11], 3, s[2:3]
	;; [unrolled: 1-line block ×25, first 2 shown]
	s_wait_loadcnt 0x0
	flat_store_b64 v[6:7], v[4:5]
	scratch_load_b64 v[4:5], off, off offset:16
	s_wait_loadcnt 0x0
	flat_store_b64 v[80:81], v[4:5]
	scratch_load_b64 v[4:5], off, off offset:24
	;; [unrolled: 3-line block ×25, first 2 shown]
	s_wait_loadcnt 0x0
	flat_store_b64 v[0:1], v[2:3]
	s_sendmsg sendmsg(MSG_DEALLOC_VGPRS)
	s_endpgm
	.section	.rodata,"a",@progbits
	.p2align	6, 0x0
	.amdhsa_kernel _ZN9rocsolver6v33100L18getri_kernel_smallILi27EdPKPdEEvT1_iilPiilS6_bb
		.amdhsa_group_segment_fixed_size 440
		.amdhsa_private_segment_fixed_size 224
		.amdhsa_kernarg_size 60
		.amdhsa_user_sgpr_count 2
		.amdhsa_user_sgpr_dispatch_ptr 0
		.amdhsa_user_sgpr_queue_ptr 0
		.amdhsa_user_sgpr_kernarg_segment_ptr 1
		.amdhsa_user_sgpr_dispatch_id 0
		.amdhsa_user_sgpr_kernarg_preload_length 0
		.amdhsa_user_sgpr_kernarg_preload_offset 0
		.amdhsa_user_sgpr_private_segment_size 0
		.amdhsa_wavefront_size32 1
		.amdhsa_uses_dynamic_stack 0
		.amdhsa_enable_private_segment 1
		.amdhsa_system_sgpr_workgroup_id_x 1
		.amdhsa_system_sgpr_workgroup_id_y 0
		.amdhsa_system_sgpr_workgroup_id_z 0
		.amdhsa_system_sgpr_workgroup_info 0
		.amdhsa_system_vgpr_workitem_id 0
		.amdhsa_next_free_vgpr 96
		.amdhsa_next_free_sgpr 19
		.amdhsa_named_barrier_count 0
		.amdhsa_reserve_vcc 1
		.amdhsa_float_round_mode_32 0
		.amdhsa_float_round_mode_16_64 0
		.amdhsa_float_denorm_mode_32 3
		.amdhsa_float_denorm_mode_16_64 3
		.amdhsa_fp16_overflow 0
		.amdhsa_memory_ordered 1
		.amdhsa_forward_progress 1
		.amdhsa_inst_pref_size 159
		.amdhsa_round_robin_scheduling 0
		.amdhsa_exception_fp_ieee_invalid_op 0
		.amdhsa_exception_fp_denorm_src 0
		.amdhsa_exception_fp_ieee_div_zero 0
		.amdhsa_exception_fp_ieee_overflow 0
		.amdhsa_exception_fp_ieee_underflow 0
		.amdhsa_exception_fp_ieee_inexact 0
		.amdhsa_exception_int_div_zero 0
	.end_amdhsa_kernel
	.section	.text._ZN9rocsolver6v33100L18getri_kernel_smallILi27EdPKPdEEvT1_iilPiilS6_bb,"axG",@progbits,_ZN9rocsolver6v33100L18getri_kernel_smallILi27EdPKPdEEvT1_iilPiilS6_bb,comdat
.Lfunc_end90:
	.size	_ZN9rocsolver6v33100L18getri_kernel_smallILi27EdPKPdEEvT1_iilPiilS6_bb, .Lfunc_end90-_ZN9rocsolver6v33100L18getri_kernel_smallILi27EdPKPdEEvT1_iilPiilS6_bb
                                        ; -- End function
	.set _ZN9rocsolver6v33100L18getri_kernel_smallILi27EdPKPdEEvT1_iilPiilS6_bb.num_vgpr, 96
	.set _ZN9rocsolver6v33100L18getri_kernel_smallILi27EdPKPdEEvT1_iilPiilS6_bb.num_agpr, 0
	.set _ZN9rocsolver6v33100L18getri_kernel_smallILi27EdPKPdEEvT1_iilPiilS6_bb.numbered_sgpr, 19
	.set _ZN9rocsolver6v33100L18getri_kernel_smallILi27EdPKPdEEvT1_iilPiilS6_bb.num_named_barrier, 0
	.set _ZN9rocsolver6v33100L18getri_kernel_smallILi27EdPKPdEEvT1_iilPiilS6_bb.private_seg_size, 224
	.set _ZN9rocsolver6v33100L18getri_kernel_smallILi27EdPKPdEEvT1_iilPiilS6_bb.uses_vcc, 1
	.set _ZN9rocsolver6v33100L18getri_kernel_smallILi27EdPKPdEEvT1_iilPiilS6_bb.uses_flat_scratch, 1
	.set _ZN9rocsolver6v33100L18getri_kernel_smallILi27EdPKPdEEvT1_iilPiilS6_bb.has_dyn_sized_stack, 0
	.set _ZN9rocsolver6v33100L18getri_kernel_smallILi27EdPKPdEEvT1_iilPiilS6_bb.has_recursion, 0
	.set _ZN9rocsolver6v33100L18getri_kernel_smallILi27EdPKPdEEvT1_iilPiilS6_bb.has_indirect_call, 0
	.section	.AMDGPU.csdata,"",@progbits
; Kernel info:
; codeLenInByte = 20316
; TotalNumSgprs: 21
; NumVgprs: 96
; ScratchSize: 224
; MemoryBound: 0
; FloatMode: 240
; IeeeMode: 1
; LDSByteSize: 440 bytes/workgroup (compile time only)
; SGPRBlocks: 0
; VGPRBlocks: 5
; NumSGPRsForWavesPerEU: 21
; NumVGPRsForWavesPerEU: 96
; NamedBarCnt: 0
; Occupancy: 10
; WaveLimiterHint : 1
; COMPUTE_PGM_RSRC2:SCRATCH_EN: 1
; COMPUTE_PGM_RSRC2:USER_SGPR: 2
; COMPUTE_PGM_RSRC2:TRAP_HANDLER: 0
; COMPUTE_PGM_RSRC2:TGID_X_EN: 1
; COMPUTE_PGM_RSRC2:TGID_Y_EN: 0
; COMPUTE_PGM_RSRC2:TGID_Z_EN: 0
; COMPUTE_PGM_RSRC2:TIDIG_COMP_CNT: 0
	.section	.text._ZN9rocsolver6v33100L18getri_kernel_smallILi28EdPKPdEEvT1_iilPiilS6_bb,"axG",@progbits,_ZN9rocsolver6v33100L18getri_kernel_smallILi28EdPKPdEEvT1_iilPiilS6_bb,comdat
	.globl	_ZN9rocsolver6v33100L18getri_kernel_smallILi28EdPKPdEEvT1_iilPiilS6_bb ; -- Begin function _ZN9rocsolver6v33100L18getri_kernel_smallILi28EdPKPdEEvT1_iilPiilS6_bb
	.p2align	8
	.type	_ZN9rocsolver6v33100L18getri_kernel_smallILi28EdPKPdEEvT1_iilPiilS6_bb,@function
_ZN9rocsolver6v33100L18getri_kernel_smallILi28EdPKPdEEvT1_iilPiilS6_bb: ; @_ZN9rocsolver6v33100L18getri_kernel_smallILi28EdPKPdEEvT1_iilPiilS6_bb
; %bb.0:
	s_mov_b32 s2, exec_lo
	v_cmpx_gt_u32_e32 28, v0
	s_cbranch_execz .LBB91_122
; %bb.1:
	s_clause 0x1
	s_load_b32 s13, s[0:1], 0x38
	s_load_b64 s[2:3], s[0:1], 0x0
	s_getreg_b32 s6, hwreg(HW_REG_IB_STS2, 6, 4)
	s_wait_kmcnt 0x0
	s_bitcmp1_b32 s13, 8
	s_cselect_b32 s12, -1, 0
	s_bfe_u32 s4, ttmp6, 0x4000c
	s_and_b32 s5, ttmp6, 15
	s_add_co_i32 s4, s4, 1
	s_delay_alu instid0(SALU_CYCLE_1) | instskip(NEXT) | instid1(SALU_CYCLE_1)
	s_mul_i32 s4, ttmp9, s4
	s_add_co_i32 s5, s5, s4
	s_cmp_eq_u32 s6, 0
	s_cselect_b32 s10, ttmp9, s5
	s_load_b128 s[4:7], s[0:1], 0x28
	s_ashr_i32 s11, s10, 31
	s_delay_alu instid0(SALU_CYCLE_1) | instskip(NEXT) | instid1(SALU_CYCLE_1)
	s_lshl_b64 s[8:9], s[10:11], 3
	s_add_nc_u64 s[2:3], s[2:3], s[8:9]
	s_bfe_u32 s8, s13, 0x10008
	s_load_b64 s[2:3], s[2:3], 0x0
	s_cmp_eq_u32 s8, 0
                                        ; implicit-def: $sgpr8_sgpr9
	s_cbranch_scc1 .LBB91_3
; %bb.2:
	s_load_b96 s[16:18], s[0:1], 0x18
	s_wait_kmcnt 0x0
	s_mul_u64 s[4:5], s[4:5], s[10:11]
	s_delay_alu instid0(SALU_CYCLE_1) | instskip(SKIP_4) | instid1(SALU_CYCLE_1)
	s_lshl_b64 s[4:5], s[4:5], 2
	s_ashr_i32 s9, s18, 31
	s_mov_b32 s8, s18
	s_add_nc_u64 s[4:5], s[16:17], s[4:5]
	s_lshl_b64 s[8:9], s[8:9], 2
	s_add_nc_u64 s[8:9], s[4:5], s[8:9]
.LBB91_3:
	s_wait_kmcnt 0x0
	s_clause 0x1
	s_load_b64 s[4:5], s[0:1], 0x8
	s_load_b32 s13, s[0:1], 0x38
	v_dual_mov_b32 v3, 0 :: v_dual_lshlrev_b32 v2, 3, v0
	s_wait_kmcnt 0x0
	s_ashr_i32 s1, s4, 31
	s_mov_b32 s0, s4
	s_delay_alu instid0(SALU_CYCLE_1) | instskip(NEXT) | instid1(SALU_CYCLE_1)
	s_lshl_b64 s[0:1], s[0:1], 3
	s_add_nc_u64 s[2:3], s[2:3], s[0:1]
	s_ashr_i32 s1, s5, 31
	flat_load_b64 v[8:9], v0, s[2:3] scale_offset
	v_add_nc_u64_e32 v[4:5], s[2:3], v[2:3]
	s_mov_b32 s0, s5
	s_bitcmp0_b32 s13, 0
	s_delay_alu instid0(VALU_DEP_1)
	v_lshl_add_u64 v[6:7], s[0:1], 3, v[4:5]
	s_mov_b32 s1, -1
	s_wait_loadcnt_dscnt 0x0
	scratch_store_b64 off, v[8:9], off
	flat_load_b64 v[10:11], v[6:7]
	s_wait_xcnt 0x1
	v_add3_u32 v8, s5, s5, v0
	s_wait_loadcnt_dscnt 0x0
	scratch_store_b64 off, v[10:11], off offset:8
	flat_load_b64 v[12:13], v8, s[2:3] scale_offset
	s_wait_xcnt 0x1
	v_add_nc_u32_e32 v10, s5, v8
	s_wait_loadcnt_dscnt 0x0
	scratch_store_b64 off, v[12:13], off offset:16
	flat_load_b64 v[14:15], v10, s[2:3] scale_offset
	s_wait_xcnt 0x1
	v_add_nc_u32_e32 v12, s5, v10
	;; [unrolled: 5-line block ×25, first 2 shown]
	s_wait_loadcnt_dscnt 0x0
	scratch_store_b64 off, v[60:61], off offset:208
	flat_load_b64 v[60:61], v58, s[2:3] scale_offset
	s_wait_loadcnt_dscnt 0x0
	scratch_store_b64 off, v[60:61], off offset:216
	s_cbranch_scc1 .LBB91_120
; %bb.4:
	v_cmp_eq_u32_e64 s0, 0, v0
	s_wait_xcnt 0x0
	s_and_saveexec_b32 s1, s0
; %bb.5:
	v_mov_b32_e32 v1, 0
	ds_store_b32 v1, v1 offset:448
; %bb.6:
	s_or_b32 exec_lo, exec_lo, s1
	s_wait_storecnt_dscnt 0x0
	s_barrier_signal -1
	s_barrier_wait -1
	scratch_load_b64 v[60:61], v0, off scale_offset
	s_mov_b32 s4, exec_lo
	s_wait_loadcnt 0x0
	v_cmpx_eq_f64_e32 0, v[60:61]
	s_cbranch_execz .LBB91_10
; %bb.7:
	v_mov_b32_e32 v1, 0
	s_mov_b32 s5, 0
	ds_load_b32 v3, v1 offset:448
	s_wait_dscnt 0x0
	v_readfirstlane_b32 s1, v3
	v_add_nc_u32_e32 v3, 1, v0
	s_cmp_eq_u32 s1, 0
	s_delay_alu instid0(VALU_DEP_1) | instskip(SKIP_1) | instid1(SALU_CYCLE_1)
	v_cmp_gt_i32_e32 vcc_lo, s1, v3
	s_cselect_b32 s13, -1, 0
	s_or_b32 s13, s13, vcc_lo
	s_delay_alu instid0(SALU_CYCLE_1)
	s_and_b32 exec_lo, exec_lo, s13
	s_cbranch_execz .LBB91_10
; %bb.8:
	v_mov_b32_e32 v9, s1
.LBB91_9:                               ; =>This Inner Loop Header: Depth=1
	ds_cmpstore_rtn_b32 v9, v1, v3, v9 offset:448
	s_wait_dscnt 0x0
	v_cmp_ne_u32_e32 vcc_lo, 0, v9
	v_cmp_le_i32_e64 s1, v9, v3
	s_and_b32 s1, vcc_lo, s1
	s_delay_alu instid0(SALU_CYCLE_1) | instskip(NEXT) | instid1(SALU_CYCLE_1)
	s_and_b32 s1, exec_lo, s1
	s_or_b32 s5, s1, s5
	s_delay_alu instid0(SALU_CYCLE_1)
	s_and_not1_b32 exec_lo, exec_lo, s5
	s_cbranch_execnz .LBB91_9
.LBB91_10:
	s_or_b32 exec_lo, exec_lo, s4
	v_mov_b32_e32 v1, 0
	s_barrier_signal -1
	s_barrier_wait -1
	ds_load_b32 v3, v1 offset:448
	s_and_saveexec_b32 s1, s0
	s_cbranch_execz .LBB91_12
; %bb.11:
	s_lshl_b64 s[4:5], s[10:11], 2
	s_delay_alu instid0(SALU_CYCLE_1)
	s_add_nc_u64 s[4:5], s[6:7], s[4:5]
	s_wait_dscnt 0x0
	global_store_b32 v1, v3, s[4:5]
.LBB91_12:
	s_wait_xcnt 0x0
	s_or_b32 exec_lo, exec_lo, s1
	s_wait_dscnt 0x0
	v_cmp_ne_u32_e32 vcc_lo, 0, v3
	s_mov_b32 s1, 0
	s_cbranch_vccnz .LBB91_120
; %bb.13:
	v_lshl_add_u32 v3, v0, 3, 0
	v_add_nc_u32_e32 v1, 0xe0, v2
	scratch_load_b64 v[60:61], v3, off
	s_wait_loadcnt 0x0
	v_div_scale_f64 v[62:63], null, v[60:61], v[60:61], 1.0
	v_div_scale_f64 v[68:69], vcc_lo, 1.0, v[60:61], 1.0
	s_delay_alu instid0(VALU_DEP_2) | instskip(SKIP_1) | instid1(TRANS32_DEP_1)
	v_rcp_f64_e32 v[64:65], v[62:63]
	v_nop
	v_fma_f64 v[66:67], -v[62:63], v[64:65], 1.0
	s_delay_alu instid0(VALU_DEP_1) | instskip(NEXT) | instid1(VALU_DEP_1)
	v_fmac_f64_e32 v[64:65], v[64:65], v[66:67]
	v_fma_f64 v[66:67], -v[62:63], v[64:65], 1.0
	s_delay_alu instid0(VALU_DEP_1) | instskip(NEXT) | instid1(VALU_DEP_1)
	v_fmac_f64_e32 v[64:65], v[64:65], v[66:67]
	v_mul_f64_e32 v[66:67], v[68:69], v[64:65]
	s_delay_alu instid0(VALU_DEP_1) | instskip(NEXT) | instid1(VALU_DEP_1)
	v_fma_f64 v[62:63], -v[62:63], v[66:67], v[68:69]
	v_div_fmas_f64 v[62:63], v[62:63], v[64:65], v[66:67]
	s_delay_alu instid0(VALU_DEP_1)
	v_div_fixup_f64 v[60:61], v[62:63], v[60:61], 1.0
	scratch_store_b64 v3, v[60:61], off
	scratch_load_b64 v[62:63], off, off offset:8
	s_wait_xcnt 0x1
	v_xor_b32_e32 v61, 0x80000000, v61
	s_wait_loadcnt 0x0
	ds_store_2addr_b64 v2, v[60:61], v[62:63] offset1:28
	s_wait_storecnt_dscnt 0x0
	s_barrier_signal -1
	s_barrier_wait -1
	s_wait_xcnt 0x0
	s_and_saveexec_b32 s1, s0
	s_cbranch_execz .LBB91_15
; %bb.14:
	scratch_load_b64 v[60:61], v3, off
	ds_load_b64 v[62:63], v1
	s_wait_loadcnt_dscnt 0x0
	v_fma_f64 v[60:61], v[60:61], v[62:63], 0
	v_mov_b32_e32 v9, 0
	ds_load_b64 v[64:65], v9 offset:8
	s_wait_dscnt 0x0
	v_mul_f64_e32 v[60:61], v[60:61], v[64:65]
	scratch_store_b64 off, v[60:61], off offset:8
.LBB91_15:
	s_wait_xcnt 0x0
	s_or_b32 exec_lo, exec_lo, s1
	s_wait_storecnt 0x0
	s_barrier_signal -1
	s_barrier_wait -1
	scratch_load_b64 v[60:61], off, off offset:16
	s_mov_b32 s1, exec_lo
	s_wait_loadcnt 0x0
	ds_store_b64 v1, v[60:61]
	s_wait_dscnt 0x0
	s_barrier_signal -1
	s_barrier_wait -1
	v_cmpx_gt_u32_e32 2, v0
	s_cbranch_execz .LBB91_19
; %bb.16:
	scratch_load_b64 v[60:61], v3, off
	ds_load_b64 v[62:63], v1
	s_wait_loadcnt_dscnt 0x0
	v_fma_f64 v[60:61], v[60:61], v[62:63], 0
	s_and_saveexec_b32 s4, s0
	s_cbranch_execz .LBB91_18
; %bb.17:
	scratch_load_b64 v[62:63], off, off offset:8
	v_mov_b32_e32 v3, 0
	ds_load_b64 v[64:65], v3 offset:232
	s_wait_loadcnt_dscnt 0x0
	v_fmac_f64_e32 v[60:61], v[62:63], v[64:65]
.LBB91_18:
	s_or_b32 exec_lo, exec_lo, s4
	v_mov_b32_e32 v3, 0
	ds_load_b64 v[62:63], v3 offset:16
	s_wait_dscnt 0x0
	v_mul_f64_e32 v[60:61], v[60:61], v[62:63]
	scratch_store_b64 off, v[60:61], off offset:16
.LBB91_19:
	s_wait_xcnt 0x0
	s_or_b32 exec_lo, exec_lo, s1
	s_wait_storecnt 0x0
	s_barrier_signal -1
	s_barrier_wait -1
	scratch_load_b64 v[60:61], off, off offset:24
	v_add_nc_u32_e32 v3, -1, v0
	s_mov_b32 s0, exec_lo
	s_wait_loadcnt 0x0
	ds_store_b64 v1, v[60:61]
	s_wait_dscnt 0x0
	s_barrier_signal -1
	s_barrier_wait -1
	v_cmpx_gt_u32_e32 3, v0
	s_cbranch_execz .LBB91_23
; %bb.20:
	v_mov_b64_e32 v[60:61], 0
	v_dual_add_nc_u32 v9, -1, v0 :: v_dual_mov_b32 v13, v2
	v_add_nc_u32_e32 v11, 0xe0, v2
	s_mov_b32 s1, 0
.LBB91_21:                              ; =>This Inner Loop Header: Depth=1
	scratch_load_b64 v[62:63], v13, off
	ds_load_b64 v[64:65], v11
	v_dual_add_nc_u32 v9, 1, v9 :: v_dual_add_nc_u32 v11, 8, v11
	s_wait_xcnt 0x0
	v_add_nc_u32_e32 v13, 8, v13
	s_delay_alu instid0(VALU_DEP_2)
	v_cmp_lt_u32_e32 vcc_lo, 1, v9
	s_or_b32 s1, vcc_lo, s1
	s_wait_loadcnt_dscnt 0x0
	v_fmac_f64_e32 v[60:61], v[62:63], v[64:65]
	s_and_not1_b32 exec_lo, exec_lo, s1
	s_cbranch_execnz .LBB91_21
; %bb.22:
	s_or_b32 exec_lo, exec_lo, s1
	v_mov_b32_e32 v9, 0
	ds_load_b64 v[62:63], v9 offset:24
	s_wait_dscnt 0x0
	v_mul_f64_e32 v[60:61], v[60:61], v[62:63]
	scratch_store_b64 off, v[60:61], off offset:24
.LBB91_23:
	s_wait_xcnt 0x0
	s_or_b32 exec_lo, exec_lo, s0
	s_wait_storecnt 0x0
	s_barrier_signal -1
	s_barrier_wait -1
	scratch_load_b64 v[60:61], off, off offset:32
	s_mov_b32 s0, exec_lo
	s_wait_loadcnt 0x0
	ds_store_b64 v1, v[60:61]
	s_wait_dscnt 0x0
	s_barrier_signal -1
	s_barrier_wait -1
	v_cmpx_gt_u32_e32 4, v0
	s_cbranch_execz .LBB91_27
; %bb.24:
	v_mov_b64_e32 v[60:61], 0
	v_dual_add_nc_u32 v9, -1, v0 :: v_dual_mov_b32 v13, v2
	v_add_nc_u32_e32 v11, 0xe0, v2
	s_mov_b32 s1, 0
.LBB91_25:                              ; =>This Inner Loop Header: Depth=1
	scratch_load_b64 v[62:63], v13, off
	ds_load_b64 v[64:65], v11
	v_dual_add_nc_u32 v9, 1, v9 :: v_dual_add_nc_u32 v11, 8, v11
	s_wait_xcnt 0x0
	v_add_nc_u32_e32 v13, 8, v13
	s_delay_alu instid0(VALU_DEP_2)
	v_cmp_lt_u32_e32 vcc_lo, 2, v9
	s_or_b32 s1, vcc_lo, s1
	s_wait_loadcnt_dscnt 0x0
	v_fmac_f64_e32 v[60:61], v[62:63], v[64:65]
	s_and_not1_b32 exec_lo, exec_lo, s1
	s_cbranch_execnz .LBB91_25
; %bb.26:
	s_or_b32 exec_lo, exec_lo, s1
	v_mov_b32_e32 v9, 0
	ds_load_b64 v[62:63], v9 offset:32
	s_wait_dscnt 0x0
	v_mul_f64_e32 v[60:61], v[60:61], v[62:63]
	scratch_store_b64 off, v[60:61], off offset:32
.LBB91_27:
	s_wait_xcnt 0x0
	s_or_b32 exec_lo, exec_lo, s0
	s_wait_storecnt 0x0
	s_barrier_signal -1
	s_barrier_wait -1
	scratch_load_b64 v[60:61], off, off offset:40
	;; [unrolled: 40-line block ×20, first 2 shown]
	s_mov_b32 s0, exec_lo
	s_wait_loadcnt 0x0
	ds_store_b64 v1, v[60:61]
	s_wait_dscnt 0x0
	s_barrier_signal -1
	s_barrier_wait -1
	v_cmpx_gt_u32_e32 23, v0
	s_cbranch_execz .LBB91_103
; %bb.100:
	v_mov_b64_e32 v[60:61], 0
	v_dual_add_nc_u32 v9, -1, v0 :: v_dual_mov_b32 v13, v2
	v_add_nc_u32_e32 v11, 0xe0, v2
	s_mov_b32 s1, 0
.LBB91_101:                             ; =>This Inner Loop Header: Depth=1
	scratch_load_b64 v[62:63], v13, off
	ds_load_b64 v[64:65], v11
	v_dual_add_nc_u32 v9, 1, v9 :: v_dual_add_nc_u32 v11, 8, v11
	s_wait_xcnt 0x0
	v_add_nc_u32_e32 v13, 8, v13
	s_delay_alu instid0(VALU_DEP_2)
	v_cmp_lt_u32_e32 vcc_lo, 21, v9
	s_or_b32 s1, vcc_lo, s1
	s_wait_loadcnt_dscnt 0x0
	v_fmac_f64_e32 v[60:61], v[62:63], v[64:65]
	s_and_not1_b32 exec_lo, exec_lo, s1
	s_cbranch_execnz .LBB91_101
; %bb.102:
	s_or_b32 exec_lo, exec_lo, s1
	v_mov_b32_e32 v9, 0
	ds_load_b64 v[62:63], v9 offset:184
	s_wait_dscnt 0x0
	v_mul_f64_e32 v[60:61], v[60:61], v[62:63]
	scratch_store_b64 off, v[60:61], off offset:184
.LBB91_103:
	s_wait_xcnt 0x0
	s_or_b32 exec_lo, exec_lo, s0
	s_wait_storecnt 0x0
	s_barrier_signal -1
	s_barrier_wait -1
	scratch_load_b64 v[60:61], off, off offset:192
	s_mov_b32 s0, exec_lo
	s_wait_loadcnt 0x0
	ds_store_b64 v1, v[60:61]
	s_wait_dscnt 0x0
	s_barrier_signal -1
	s_barrier_wait -1
	v_cmpx_gt_u32_e32 24, v0
	s_cbranch_execz .LBB91_107
; %bb.104:
	v_mov_b64_e32 v[60:61], 0
	v_dual_add_nc_u32 v9, -1, v0 :: v_dual_mov_b32 v13, v2
	v_add_nc_u32_e32 v11, 0xe0, v2
	s_mov_b32 s1, 0
.LBB91_105:                             ; =>This Inner Loop Header: Depth=1
	scratch_load_b64 v[62:63], v13, off
	ds_load_b64 v[64:65], v11
	v_dual_add_nc_u32 v9, 1, v9 :: v_dual_add_nc_u32 v11, 8, v11
	s_wait_xcnt 0x0
	v_add_nc_u32_e32 v13, 8, v13
	s_delay_alu instid0(VALU_DEP_2)
	v_cmp_lt_u32_e32 vcc_lo, 22, v9
	s_or_b32 s1, vcc_lo, s1
	s_wait_loadcnt_dscnt 0x0
	v_fmac_f64_e32 v[60:61], v[62:63], v[64:65]
	s_and_not1_b32 exec_lo, exec_lo, s1
	s_cbranch_execnz .LBB91_105
; %bb.106:
	s_or_b32 exec_lo, exec_lo, s1
	v_mov_b32_e32 v9, 0
	ds_load_b64 v[62:63], v9 offset:192
	s_wait_dscnt 0x0
	v_mul_f64_e32 v[60:61], v[60:61], v[62:63]
	scratch_store_b64 off, v[60:61], off offset:192
.LBB91_107:
	s_wait_xcnt 0x0
	s_or_b32 exec_lo, exec_lo, s0
	s_wait_storecnt 0x0
	s_barrier_signal -1
	s_barrier_wait -1
	scratch_load_b64 v[60:61], off, off offset:200
	;; [unrolled: 40-line block ×4, first 2 shown]
	s_mov_b32 s0, exec_lo
	s_wait_loadcnt 0x0
	ds_store_b64 v1, v[60:61]
	s_wait_dscnt 0x0
	s_barrier_signal -1
	s_barrier_wait -1
	v_cmpx_ne_u32_e32 27, v0
	s_cbranch_execz .LBB91_119
; %bb.116:
	v_mov_b64_e32 v[60:61], 0
	s_mov_b32 s1, 0
.LBB91_117:                             ; =>This Inner Loop Header: Depth=1
	scratch_load_b64 v[62:63], v2, off
	ds_load_b64 v[64:65], v1
	v_dual_add_nc_u32 v3, 1, v3 :: v_dual_add_nc_u32 v1, 8, v1
	s_wait_xcnt 0x0
	v_add_nc_u32_e32 v2, 8, v2
	s_delay_alu instid0(VALU_DEP_2)
	v_cmp_lt_u32_e32 vcc_lo, 25, v3
	s_or_b32 s1, vcc_lo, s1
	s_wait_loadcnt_dscnt 0x0
	v_fmac_f64_e32 v[60:61], v[62:63], v[64:65]
	s_and_not1_b32 exec_lo, exec_lo, s1
	s_cbranch_execnz .LBB91_117
; %bb.118:
	s_or_b32 exec_lo, exec_lo, s1
	v_mov_b32_e32 v1, 0
	ds_load_b64 v[2:3], v1 offset:216
	s_wait_dscnt 0x0
	v_mul_f64_e32 v[2:3], v[60:61], v[2:3]
	scratch_store_b64 off, v[2:3], off offset:216
.LBB91_119:
	s_wait_xcnt 0x0
	s_or_b32 exec_lo, exec_lo, s0
	s_mov_b32 s1, -1
	s_wait_storecnt 0x0
	s_barrier_signal -1
	s_barrier_wait -1
.LBB91_120:
	s_and_b32 vcc_lo, exec_lo, s1
	s_cbranch_vccz .LBB91_122
; %bb.121:
	v_mov_b32_e32 v1, 0
	s_lshl_b64 s[0:1], s[10:11], 2
	s_delay_alu instid0(SALU_CYCLE_1)
	s_add_nc_u64 s[0:1], s[6:7], s[0:1]
	global_load_b32 v1, v1, s[0:1]
	s_wait_loadcnt 0x0
	v_cmp_ne_u32_e32 vcc_lo, 0, v1
	s_cbranch_vccz .LBB91_123
.LBB91_122:
	s_sendmsg sendmsg(MSG_DEALLOC_VGPRS)
	s_endpgm
.LBB91_123:
	s_wait_xcnt 0x0
	v_lshl_add_u32 v1, v0, 3, 0xe0
	s_mov_b32 s0, exec_lo
	v_cmpx_eq_u32_e32 27, v0
	s_cbranch_execz .LBB91_125
; %bb.124:
	scratch_load_b64 v[2:3], off, off offset:208
	v_mov_b64_e32 v[60:61], 0
	scratch_store_b64 off, v[60:61], off offset:208
	s_wait_loadcnt 0x0
	ds_store_b64 v1, v[2:3]
.LBB91_125:
	s_wait_xcnt 0x0
	s_or_b32 exec_lo, exec_lo, s0
	s_wait_storecnt_dscnt 0x0
	s_barrier_signal -1
	s_barrier_wait -1
	scratch_load_b128 v[60:63], off, off offset:208
	v_mov_b32_e32 v2, 0
	s_mov_b32 s0, exec_lo
	ds_load_b64 v[64:65], v2 offset:440
	s_wait_loadcnt_dscnt 0x0
	v_fma_f64 v[62:63], v[62:63], v[64:65], 0
	s_delay_alu instid0(VALU_DEP_1)
	v_add_f64_e64 v[60:61], v[60:61], -v[62:63]
	scratch_store_b64 off, v[60:61], off offset:208
	s_wait_xcnt 0x0
	v_cmpx_lt_u32_e32 25, v0
	s_cbranch_execz .LBB91_127
; %bb.126:
	scratch_load_b64 v[60:61], off, off offset:200
	v_mov_b64_e32 v[62:63], 0
	scratch_store_b64 off, v[62:63], off offset:200
	s_wait_loadcnt 0x0
	ds_store_b64 v1, v[60:61]
.LBB91_127:
	s_wait_xcnt 0x0
	s_or_b32 exec_lo, exec_lo, s0
	s_wait_storecnt_dscnt 0x0
	s_barrier_signal -1
	s_barrier_wait -1
	s_clause 0x1
	scratch_load_b128 v[60:63], off, off offset:200
	scratch_load_b64 v[68:69], off, off offset:216
	ds_load_b128 v[64:67], v2 offset:432
	s_mov_b32 s0, exec_lo
	s_wait_loadcnt_dscnt 0x100
	v_fma_f64 v[2:3], v[62:63], v[64:65], 0
	s_wait_loadcnt 0x0
	s_delay_alu instid0(VALU_DEP_1) | instskip(NEXT) | instid1(VALU_DEP_1)
	v_fmac_f64_e32 v[2:3], v[68:69], v[66:67]
	v_add_f64_e64 v[2:3], v[60:61], -v[2:3]
	scratch_store_b64 off, v[2:3], off offset:200
	s_wait_xcnt 0x0
	v_cmpx_lt_u32_e32 24, v0
	s_cbranch_execz .LBB91_129
; %bb.128:
	scratch_load_b64 v[2:3], off, off offset:192
	v_mov_b64_e32 v[60:61], 0
	scratch_store_b64 off, v[60:61], off offset:192
	s_wait_loadcnt 0x0
	ds_store_b64 v1, v[2:3]
.LBB91_129:
	s_wait_xcnt 0x0
	s_or_b32 exec_lo, exec_lo, s0
	s_wait_storecnt_dscnt 0x0
	s_barrier_signal -1
	s_barrier_wait -1
	s_clause 0x1
	scratch_load_b128 v[60:63], off, off offset:192
	scratch_load_b128 v[64:67], off, off offset:208
	v_mov_b32_e32 v2, 0
	ds_load_2addr_b64 v[68:71], v2 offset0:53 offset1:54
	ds_load_b64 v[72:73], v2 offset:440
	s_mov_b32 s0, exec_lo
	s_wait_loadcnt_dscnt 0x101
	v_fma_f64 v[62:63], v[62:63], v[68:69], 0
	s_wait_loadcnt 0x0
	s_delay_alu instid0(VALU_DEP_1) | instskip(SKIP_1) | instid1(VALU_DEP_1)
	v_fmac_f64_e32 v[62:63], v[64:65], v[70:71]
	s_wait_dscnt 0x0
	v_fmac_f64_e32 v[62:63], v[66:67], v[72:73]
	s_delay_alu instid0(VALU_DEP_1)
	v_add_f64_e64 v[60:61], v[60:61], -v[62:63]
	scratch_store_b64 off, v[60:61], off offset:192
	s_wait_xcnt 0x0
	v_cmpx_lt_u32_e32 23, v0
	s_cbranch_execz .LBB91_131
; %bb.130:
	scratch_load_b64 v[60:61], off, off offset:184
	v_mov_b64_e32 v[62:63], 0
	scratch_store_b64 off, v[62:63], off offset:184
	s_wait_loadcnt 0x0
	ds_store_b64 v1, v[60:61]
.LBB91_131:
	s_wait_xcnt 0x0
	s_or_b32 exec_lo, exec_lo, s0
	s_wait_storecnt_dscnt 0x0
	s_barrier_signal -1
	s_barrier_wait -1
	s_clause 0x2
	scratch_load_b128 v[60:63], off, off offset:184
	scratch_load_b128 v[64:67], off, off offset:200
	scratch_load_b64 v[76:77], off, off offset:216
	ds_load_b128 v[68:71], v2 offset:416
	ds_load_b128 v[72:75], v2 offset:432
	s_mov_b32 s0, exec_lo
	s_wait_loadcnt_dscnt 0x201
	v_fma_f64 v[2:3], v[62:63], v[68:69], 0
	s_wait_loadcnt 0x1
	s_delay_alu instid0(VALU_DEP_1) | instskip(SKIP_1) | instid1(VALU_DEP_1)
	v_fmac_f64_e32 v[2:3], v[64:65], v[70:71]
	s_wait_dscnt 0x0
	v_fmac_f64_e32 v[2:3], v[66:67], v[72:73]
	s_wait_loadcnt 0x0
	s_delay_alu instid0(VALU_DEP_1) | instskip(NEXT) | instid1(VALU_DEP_1)
	v_fmac_f64_e32 v[2:3], v[76:77], v[74:75]
	v_add_f64_e64 v[2:3], v[60:61], -v[2:3]
	scratch_store_b64 off, v[2:3], off offset:184
	s_wait_xcnt 0x0
	v_cmpx_lt_u32_e32 22, v0
	s_cbranch_execz .LBB91_133
; %bb.132:
	scratch_load_b64 v[2:3], off, off offset:176
	v_mov_b64_e32 v[60:61], 0
	scratch_store_b64 off, v[60:61], off offset:176
	s_wait_loadcnt 0x0
	ds_store_b64 v1, v[2:3]
.LBB91_133:
	s_wait_xcnt 0x0
	s_or_b32 exec_lo, exec_lo, s0
	s_wait_storecnt_dscnt 0x0
	s_barrier_signal -1
	s_barrier_wait -1
	s_clause 0x2
	scratch_load_b128 v[60:63], off, off offset:176
	scratch_load_b128 v[64:67], off, off offset:192
	scratch_load_b128 v[68:71], off, off offset:208
	v_mov_b32_e32 v2, 0
	ds_load_2addr_b64 v[72:75], v2 offset0:51 offset1:52
	ds_load_2addr_b64 v[76:79], v2 offset0:53 offset1:54
	s_mov_b32 s0, exec_lo
	s_wait_loadcnt_dscnt 0x201
	v_fma_f64 v[62:63], v[62:63], v[72:73], 0
	s_wait_loadcnt 0x1
	s_delay_alu instid0(VALU_DEP_1) | instskip(SKIP_4) | instid1(VALU_DEP_1)
	v_fmac_f64_e32 v[62:63], v[64:65], v[74:75]
	ds_load_b64 v[64:65], v2 offset:440
	s_wait_dscnt 0x1
	v_fmac_f64_e32 v[62:63], v[66:67], v[76:77]
	s_wait_loadcnt 0x0
	v_fmac_f64_e32 v[62:63], v[68:69], v[78:79]
	s_wait_dscnt 0x0
	s_delay_alu instid0(VALU_DEP_1) | instskip(NEXT) | instid1(VALU_DEP_1)
	v_fmac_f64_e32 v[62:63], v[70:71], v[64:65]
	v_add_f64_e64 v[60:61], v[60:61], -v[62:63]
	scratch_store_b64 off, v[60:61], off offset:176
	s_wait_xcnt 0x0
	v_cmpx_lt_u32_e32 21, v0
	s_cbranch_execz .LBB91_135
; %bb.134:
	scratch_load_b64 v[60:61], off, off offset:168
	v_mov_b64_e32 v[62:63], 0
	scratch_store_b64 off, v[62:63], off offset:168
	s_wait_loadcnt 0x0
	ds_store_b64 v1, v[60:61]
.LBB91_135:
	s_wait_xcnt 0x0
	s_or_b32 exec_lo, exec_lo, s0
	s_wait_storecnt_dscnt 0x0
	s_barrier_signal -1
	s_barrier_wait -1
	s_clause 0x3
	scratch_load_b128 v[60:63], off, off offset:168
	scratch_load_b128 v[64:67], off, off offset:184
	;; [unrolled: 1-line block ×3, first 2 shown]
	scratch_load_b64 v[80:81], off, off offset:216
	ds_load_b128 v[72:75], v2 offset:400
	ds_load_b128 v[76:79], v2 offset:416
	s_mov_b32 s0, exec_lo
	s_wait_loadcnt_dscnt 0x301
	v_fma_f64 v[72:73], v[62:63], v[72:73], 0
	s_wait_loadcnt 0x2
	s_delay_alu instid0(VALU_DEP_1) | instskip(SKIP_4) | instid1(VALU_DEP_1)
	v_fmac_f64_e32 v[72:73], v[64:65], v[74:75]
	ds_load_b128 v[62:65], v2 offset:432
	s_wait_dscnt 0x1
	v_fmac_f64_e32 v[72:73], v[66:67], v[76:77]
	s_wait_loadcnt 0x1
	v_fmac_f64_e32 v[72:73], v[68:69], v[78:79]
	s_wait_dscnt 0x0
	s_delay_alu instid0(VALU_DEP_1) | instskip(SKIP_1) | instid1(VALU_DEP_1)
	v_fmac_f64_e32 v[72:73], v[70:71], v[62:63]
	s_wait_loadcnt 0x0
	v_fmac_f64_e32 v[72:73], v[80:81], v[64:65]
	s_delay_alu instid0(VALU_DEP_1)
	v_add_f64_e64 v[2:3], v[60:61], -v[72:73]
	scratch_store_b64 off, v[2:3], off offset:168
	s_wait_xcnt 0x0
	v_cmpx_lt_u32_e32 20, v0
	s_cbranch_execz .LBB91_137
; %bb.136:
	scratch_load_b64 v[2:3], off, off offset:160
	v_mov_b64_e32 v[60:61], 0
	scratch_store_b64 off, v[60:61], off offset:160
	s_wait_loadcnt 0x0
	ds_store_b64 v1, v[2:3]
.LBB91_137:
	s_wait_xcnt 0x0
	s_or_b32 exec_lo, exec_lo, s0
	s_wait_storecnt_dscnt 0x0
	s_barrier_signal -1
	s_barrier_wait -1
	s_clause 0x3
	scratch_load_b128 v[60:63], off, off offset:160
	scratch_load_b128 v[64:67], off, off offset:176
	;; [unrolled: 1-line block ×4, first 2 shown]
	v_mov_b32_e32 v2, 0
	ds_load_2addr_b64 v[76:79], v2 offset0:49 offset1:50
	ds_load_2addr_b64 v[80:83], v2 offset0:51 offset1:52
	s_mov_b32 s0, exec_lo
	s_wait_loadcnt_dscnt 0x301
	v_fma_f64 v[76:77], v[62:63], v[76:77], 0
	s_wait_loadcnt 0x2
	s_delay_alu instid0(VALU_DEP_1) | instskip(SKIP_1) | instid1(VALU_DEP_1)
	v_fmac_f64_e32 v[76:77], v[64:65], v[78:79]
	s_wait_dscnt 0x0
	v_fmac_f64_e32 v[76:77], v[66:67], v[80:81]
	ds_load_2addr_b64 v[62:65], v2 offset0:53 offset1:54
	ds_load_b64 v[66:67], v2 offset:440
	s_wait_loadcnt 0x1
	v_fmac_f64_e32 v[76:77], v[68:69], v[82:83]
	s_wait_dscnt 0x1
	s_delay_alu instid0(VALU_DEP_1) | instskip(SKIP_1) | instid1(VALU_DEP_1)
	v_fmac_f64_e32 v[76:77], v[70:71], v[62:63]
	s_wait_loadcnt 0x0
	v_fmac_f64_e32 v[76:77], v[72:73], v[64:65]
	s_wait_dscnt 0x0
	s_delay_alu instid0(VALU_DEP_1) | instskip(NEXT) | instid1(VALU_DEP_1)
	v_fmac_f64_e32 v[76:77], v[74:75], v[66:67]
	v_add_f64_e64 v[60:61], v[60:61], -v[76:77]
	scratch_store_b64 off, v[60:61], off offset:160
	s_wait_xcnt 0x0
	v_cmpx_lt_u32_e32 19, v0
	s_cbranch_execz .LBB91_139
; %bb.138:
	scratch_load_b64 v[60:61], off, off offset:152
	v_mov_b64_e32 v[62:63], 0
	scratch_store_b64 off, v[62:63], off offset:152
	s_wait_loadcnt 0x0
	ds_store_b64 v1, v[60:61]
.LBB91_139:
	s_wait_xcnt 0x0
	s_or_b32 exec_lo, exec_lo, s0
	s_wait_storecnt_dscnt 0x0
	s_barrier_signal -1
	s_barrier_wait -1
	s_clause 0x4
	scratch_load_b128 v[60:63], off, off offset:152
	scratch_load_b128 v[64:67], off, off offset:168
	;; [unrolled: 1-line block ×4, first 2 shown]
	scratch_load_b64 v[84:85], off, off offset:216
	ds_load_b128 v[76:79], v2 offset:384
	ds_load_b128 v[80:83], v2 offset:400
	s_mov_b32 s0, exec_lo
	s_wait_loadcnt_dscnt 0x401
	v_fma_f64 v[76:77], v[62:63], v[76:77], 0
	s_wait_loadcnt 0x3
	s_delay_alu instid0(VALU_DEP_1) | instskip(SKIP_1) | instid1(VALU_DEP_1)
	v_fmac_f64_e32 v[76:77], v[64:65], v[78:79]
	s_wait_dscnt 0x0
	v_fmac_f64_e32 v[76:77], v[66:67], v[80:81]
	s_wait_loadcnt 0x2
	s_delay_alu instid0(VALU_DEP_1)
	v_fmac_f64_e32 v[76:77], v[68:69], v[82:83]
	ds_load_b128 v[62:65], v2 offset:416
	ds_load_b128 v[66:69], v2 offset:432
	s_wait_dscnt 0x1
	v_fmac_f64_e32 v[76:77], v[70:71], v[62:63]
	s_wait_loadcnt 0x1
	s_delay_alu instid0(VALU_DEP_1) | instskip(SKIP_1) | instid1(VALU_DEP_1)
	v_fmac_f64_e32 v[76:77], v[72:73], v[64:65]
	s_wait_dscnt 0x0
	v_fmac_f64_e32 v[76:77], v[74:75], v[66:67]
	s_wait_loadcnt 0x0
	s_delay_alu instid0(VALU_DEP_1) | instskip(NEXT) | instid1(VALU_DEP_1)
	v_fmac_f64_e32 v[76:77], v[84:85], v[68:69]
	v_add_f64_e64 v[2:3], v[60:61], -v[76:77]
	scratch_store_b64 off, v[2:3], off offset:152
	s_wait_xcnt 0x0
	v_cmpx_lt_u32_e32 18, v0
	s_cbranch_execz .LBB91_141
; %bb.140:
	scratch_load_b64 v[2:3], off, off offset:144
	v_mov_b64_e32 v[60:61], 0
	scratch_store_b64 off, v[60:61], off offset:144
	s_wait_loadcnt 0x0
	ds_store_b64 v1, v[2:3]
.LBB91_141:
	s_wait_xcnt 0x0
	s_or_b32 exec_lo, exec_lo, s0
	s_wait_storecnt_dscnt 0x0
	s_barrier_signal -1
	s_barrier_wait -1
	s_clause 0x4
	scratch_load_b128 v[60:63], off, off offset:144
	scratch_load_b128 v[64:67], off, off offset:160
	;; [unrolled: 1-line block ×5, first 2 shown]
	v_mov_b32_e32 v2, 0
	ds_load_2addr_b64 v[80:83], v2 offset0:47 offset1:48
	ds_load_2addr_b64 v[84:87], v2 offset0:49 offset1:50
	s_mov_b32 s0, exec_lo
	s_wait_loadcnt_dscnt 0x401
	v_fma_f64 v[80:81], v[62:63], v[80:81], 0
	s_wait_loadcnt 0x3
	s_delay_alu instid0(VALU_DEP_1) | instskip(SKIP_1) | instid1(VALU_DEP_1)
	v_fmac_f64_e32 v[80:81], v[64:65], v[82:83]
	s_wait_dscnt 0x0
	v_fmac_f64_e32 v[80:81], v[66:67], v[84:85]
	s_wait_loadcnt 0x2
	s_delay_alu instid0(VALU_DEP_1)
	v_fmac_f64_e32 v[80:81], v[68:69], v[86:87]
	ds_load_2addr_b64 v[62:65], v2 offset0:51 offset1:52
	ds_load_2addr_b64 v[66:69], v2 offset0:53 offset1:54
	s_wait_dscnt 0x1
	v_fmac_f64_e32 v[80:81], v[70:71], v[62:63]
	ds_load_b64 v[62:63], v2 offset:440
	s_wait_loadcnt 0x1
	v_fmac_f64_e32 v[80:81], v[72:73], v[64:65]
	s_wait_dscnt 0x1
	s_delay_alu instid0(VALU_DEP_1) | instskip(SKIP_1) | instid1(VALU_DEP_1)
	v_fmac_f64_e32 v[80:81], v[74:75], v[66:67]
	s_wait_loadcnt 0x0
	v_fmac_f64_e32 v[80:81], v[76:77], v[68:69]
	s_wait_dscnt 0x0
	s_delay_alu instid0(VALU_DEP_1) | instskip(NEXT) | instid1(VALU_DEP_1)
	v_fmac_f64_e32 v[80:81], v[78:79], v[62:63]
	v_add_f64_e64 v[60:61], v[60:61], -v[80:81]
	scratch_store_b64 off, v[60:61], off offset:144
	s_wait_xcnt 0x0
	v_cmpx_lt_u32_e32 17, v0
	s_cbranch_execz .LBB91_143
; %bb.142:
	scratch_load_b64 v[60:61], off, off offset:136
	v_mov_b64_e32 v[62:63], 0
	scratch_store_b64 off, v[62:63], off offset:136
	s_wait_loadcnt 0x0
	ds_store_b64 v1, v[60:61]
.LBB91_143:
	s_wait_xcnt 0x0
	s_or_b32 exec_lo, exec_lo, s0
	s_wait_storecnt_dscnt 0x0
	s_barrier_signal -1
	s_barrier_wait -1
	s_clause 0x5
	scratch_load_b128 v[60:63], off, off offset:136
	scratch_load_b128 v[64:67], off, off offset:152
	scratch_load_b128 v[68:71], off, off offset:168
	scratch_load_b128 v[72:75], off, off offset:184
	scratch_load_b128 v[76:79], off, off offset:200
	scratch_load_b64 v[88:89], off, off offset:216
	ds_load_b128 v[80:83], v2 offset:368
	ds_load_b128 v[84:87], v2 offset:384
	s_mov_b32 s0, exec_lo
	s_wait_loadcnt_dscnt 0x501
	v_fma_f64 v[80:81], v[62:63], v[80:81], 0
	s_wait_loadcnt 0x4
	s_delay_alu instid0(VALU_DEP_1) | instskip(SKIP_1) | instid1(VALU_DEP_1)
	v_fmac_f64_e32 v[80:81], v[64:65], v[82:83]
	s_wait_dscnt 0x0
	v_fmac_f64_e32 v[80:81], v[66:67], v[84:85]
	s_wait_loadcnt 0x3
	s_delay_alu instid0(VALU_DEP_1)
	v_fmac_f64_e32 v[80:81], v[68:69], v[86:87]
	ds_load_b128 v[62:65], v2 offset:400
	ds_load_b128 v[66:69], v2 offset:416
	s_wait_dscnt 0x1
	v_fmac_f64_e32 v[80:81], v[70:71], v[62:63]
	s_wait_loadcnt 0x2
	s_delay_alu instid0(VALU_DEP_1) | instskip(SKIP_4) | instid1(VALU_DEP_1)
	v_fmac_f64_e32 v[80:81], v[72:73], v[64:65]
	ds_load_b128 v[62:65], v2 offset:432
	s_wait_dscnt 0x1
	v_fmac_f64_e32 v[80:81], v[74:75], v[66:67]
	s_wait_loadcnt 0x1
	v_fmac_f64_e32 v[80:81], v[76:77], v[68:69]
	s_wait_dscnt 0x0
	s_delay_alu instid0(VALU_DEP_1) | instskip(SKIP_1) | instid1(VALU_DEP_1)
	v_fmac_f64_e32 v[80:81], v[78:79], v[62:63]
	s_wait_loadcnt 0x0
	v_fmac_f64_e32 v[80:81], v[88:89], v[64:65]
	s_delay_alu instid0(VALU_DEP_1)
	v_add_f64_e64 v[2:3], v[60:61], -v[80:81]
	scratch_store_b64 off, v[2:3], off offset:136
	s_wait_xcnt 0x0
	v_cmpx_lt_u32_e32 16, v0
	s_cbranch_execz .LBB91_145
; %bb.144:
	scratch_load_b64 v[2:3], off, off offset:128
	v_mov_b64_e32 v[60:61], 0
	scratch_store_b64 off, v[60:61], off offset:128
	s_wait_loadcnt 0x0
	ds_store_b64 v1, v[2:3]
.LBB91_145:
	s_wait_xcnt 0x0
	s_or_b32 exec_lo, exec_lo, s0
	s_wait_storecnt_dscnt 0x0
	s_barrier_signal -1
	s_barrier_wait -1
	s_clause 0x5
	scratch_load_b128 v[60:63], off, off offset:128
	scratch_load_b128 v[64:67], off, off offset:144
	;; [unrolled: 1-line block ×6, first 2 shown]
	v_mov_b32_e32 v2, 0
	ds_load_2addr_b64 v[84:87], v2 offset0:45 offset1:46
	ds_load_2addr_b64 v[88:91], v2 offset0:47 offset1:48
	s_mov_b32 s0, exec_lo
	s_wait_loadcnt_dscnt 0x501
	v_fma_f64 v[84:85], v[62:63], v[84:85], 0
	s_wait_loadcnt 0x4
	s_delay_alu instid0(VALU_DEP_1) | instskip(SKIP_1) | instid1(VALU_DEP_1)
	v_fmac_f64_e32 v[84:85], v[64:65], v[86:87]
	s_wait_dscnt 0x0
	v_fmac_f64_e32 v[84:85], v[66:67], v[88:89]
	s_wait_loadcnt 0x3
	s_delay_alu instid0(VALU_DEP_1)
	v_fmac_f64_e32 v[84:85], v[68:69], v[90:91]
	ds_load_2addr_b64 v[62:65], v2 offset0:49 offset1:50
	ds_load_2addr_b64 v[66:69], v2 offset0:51 offset1:52
	s_wait_dscnt 0x1
	v_fmac_f64_e32 v[84:85], v[70:71], v[62:63]
	s_wait_loadcnt 0x2
	s_delay_alu instid0(VALU_DEP_1) | instskip(SKIP_1) | instid1(VALU_DEP_1)
	v_fmac_f64_e32 v[84:85], v[72:73], v[64:65]
	s_wait_dscnt 0x0
	v_fmac_f64_e32 v[84:85], v[74:75], v[66:67]
	ds_load_2addr_b64 v[62:65], v2 offset0:53 offset1:54
	ds_load_b64 v[66:67], v2 offset:440
	s_wait_loadcnt 0x1
	v_fmac_f64_e32 v[84:85], v[76:77], v[68:69]
	s_wait_dscnt 0x1
	s_delay_alu instid0(VALU_DEP_1) | instskip(SKIP_1) | instid1(VALU_DEP_1)
	v_fmac_f64_e32 v[84:85], v[78:79], v[62:63]
	s_wait_loadcnt 0x0
	v_fmac_f64_e32 v[84:85], v[80:81], v[64:65]
	s_wait_dscnt 0x0
	s_delay_alu instid0(VALU_DEP_1) | instskip(NEXT) | instid1(VALU_DEP_1)
	v_fmac_f64_e32 v[84:85], v[82:83], v[66:67]
	v_add_f64_e64 v[60:61], v[60:61], -v[84:85]
	scratch_store_b64 off, v[60:61], off offset:128
	s_wait_xcnt 0x0
	v_cmpx_lt_u32_e32 15, v0
	s_cbranch_execz .LBB91_147
; %bb.146:
	scratch_load_b64 v[60:61], off, off offset:120
	v_mov_b64_e32 v[62:63], 0
	scratch_store_b64 off, v[62:63], off offset:120
	s_wait_loadcnt 0x0
	ds_store_b64 v1, v[60:61]
.LBB91_147:
	s_wait_xcnt 0x0
	s_or_b32 exec_lo, exec_lo, s0
	s_wait_storecnt_dscnt 0x0
	s_barrier_signal -1
	s_barrier_wait -1
	s_clause 0x5
	scratch_load_b128 v[60:63], off, off offset:120
	scratch_load_b128 v[64:67], off, off offset:136
	;; [unrolled: 1-line block ×6, first 2 shown]
	ds_load_b128 v[84:87], v2 offset:352
	ds_load_b128 v[88:91], v2 offset:368
	s_mov_b32 s0, exec_lo
	s_wait_loadcnt_dscnt 0x501
	v_fma_f64 v[84:85], v[62:63], v[84:85], 0
	s_wait_loadcnt 0x4
	s_delay_alu instid0(VALU_DEP_1) | instskip(SKIP_4) | instid1(VALU_DEP_1)
	v_fmac_f64_e32 v[84:85], v[64:65], v[86:87]
	scratch_load_b64 v[86:87], off, off offset:216
	s_wait_dscnt 0x0
	v_fmac_f64_e32 v[84:85], v[66:67], v[88:89]
	s_wait_loadcnt 0x4
	v_fmac_f64_e32 v[84:85], v[68:69], v[90:91]
	ds_load_b128 v[62:65], v2 offset:384
	ds_load_b128 v[66:69], v2 offset:400
	s_wait_dscnt 0x1
	v_fmac_f64_e32 v[84:85], v[70:71], v[62:63]
	s_wait_loadcnt 0x3
	s_delay_alu instid0(VALU_DEP_1) | instskip(SKIP_1) | instid1(VALU_DEP_1)
	v_fmac_f64_e32 v[84:85], v[72:73], v[64:65]
	s_wait_dscnt 0x0
	v_fmac_f64_e32 v[84:85], v[74:75], v[66:67]
	s_wait_loadcnt 0x2
	s_delay_alu instid0(VALU_DEP_1)
	v_fmac_f64_e32 v[84:85], v[76:77], v[68:69]
	ds_load_b128 v[62:65], v2 offset:416
	ds_load_b128 v[66:69], v2 offset:432
	s_wait_dscnt 0x1
	v_fmac_f64_e32 v[84:85], v[78:79], v[62:63]
	s_wait_loadcnt 0x1
	s_delay_alu instid0(VALU_DEP_1) | instskip(SKIP_1) | instid1(VALU_DEP_1)
	v_fmac_f64_e32 v[84:85], v[80:81], v[64:65]
	s_wait_dscnt 0x0
	v_fmac_f64_e32 v[84:85], v[82:83], v[66:67]
	s_wait_loadcnt 0x0
	s_delay_alu instid0(VALU_DEP_1) | instskip(NEXT) | instid1(VALU_DEP_1)
	v_fmac_f64_e32 v[84:85], v[86:87], v[68:69]
	v_add_f64_e64 v[2:3], v[60:61], -v[84:85]
	scratch_store_b64 off, v[2:3], off offset:120
	s_wait_xcnt 0x0
	v_cmpx_lt_u32_e32 14, v0
	s_cbranch_execz .LBB91_149
; %bb.148:
	scratch_load_b64 v[2:3], off, off offset:112
	v_mov_b64_e32 v[60:61], 0
	scratch_store_b64 off, v[60:61], off offset:112
	s_wait_loadcnt 0x0
	ds_store_b64 v1, v[2:3]
.LBB91_149:
	s_wait_xcnt 0x0
	s_or_b32 exec_lo, exec_lo, s0
	s_wait_storecnt_dscnt 0x0
	s_barrier_signal -1
	s_barrier_wait -1
	s_clause 0x5
	scratch_load_b128 v[60:63], off, off offset:112
	scratch_load_b128 v[64:67], off, off offset:128
	;; [unrolled: 1-line block ×6, first 2 shown]
	v_mov_b32_e32 v2, 0
	ds_load_2addr_b64 v[84:87], v2 offset0:43 offset1:44
	ds_load_2addr_b64 v[88:91], v2 offset0:45 offset1:46
	s_mov_b32 s0, exec_lo
	s_wait_loadcnt_dscnt 0x501
	v_fma_f64 v[92:93], v[62:63], v[84:85], 0
	s_wait_loadcnt 0x4
	s_delay_alu instid0(VALU_DEP_1) | instskip(SKIP_4) | instid1(VALU_DEP_1)
	v_fmac_f64_e32 v[92:93], v[64:65], v[86:87]
	scratch_load_b128 v[62:65], off, off offset:208
	s_wait_dscnt 0x0
	v_fmac_f64_e32 v[92:93], v[66:67], v[88:89]
	s_wait_loadcnt 0x4
	v_fmac_f64_e32 v[92:93], v[68:69], v[90:91]
	ds_load_2addr_b64 v[66:69], v2 offset0:47 offset1:48
	ds_load_2addr_b64 v[84:87], v2 offset0:49 offset1:50
	s_wait_dscnt 0x1
	v_fmac_f64_e32 v[92:93], v[70:71], v[66:67]
	s_wait_loadcnt 0x3
	s_delay_alu instid0(VALU_DEP_1)
	v_fmac_f64_e32 v[92:93], v[72:73], v[68:69]
	ds_load_2addr_b64 v[66:69], v2 offset0:51 offset1:52
	ds_load_2addr_b64 v[70:73], v2 offset0:53 offset1:54
	s_wait_dscnt 0x2
	v_fmac_f64_e32 v[92:93], v[74:75], v[84:85]
	s_wait_loadcnt 0x2
	s_delay_alu instid0(VALU_DEP_1) | instskip(SKIP_1) | instid1(VALU_DEP_1)
	v_fmac_f64_e32 v[92:93], v[76:77], v[86:87]
	s_wait_dscnt 0x1
	v_fmac_f64_e32 v[92:93], v[78:79], v[66:67]
	s_wait_loadcnt 0x1
	s_delay_alu instid0(VALU_DEP_1) | instskip(SKIP_1) | instid1(VALU_DEP_1)
	v_fmac_f64_e32 v[92:93], v[80:81], v[68:69]
	s_wait_dscnt 0x0
	v_fmac_f64_e32 v[92:93], v[82:83], v[70:71]
	s_wait_loadcnt 0x0
	s_delay_alu instid0(VALU_DEP_1) | instskip(SKIP_3) | instid1(VALU_DEP_1)
	v_fmac_f64_e32 v[92:93], v[62:63], v[72:73]
	ds_load_b64 v[62:63], v2 offset:440
	s_wait_dscnt 0x0
	v_fmac_f64_e32 v[92:93], v[64:65], v[62:63]
	v_add_f64_e64 v[60:61], v[60:61], -v[92:93]
	scratch_store_b64 off, v[60:61], off offset:112
	s_wait_xcnt 0x0
	v_cmpx_lt_u32_e32 13, v0
	s_cbranch_execz .LBB91_151
; %bb.150:
	scratch_load_b64 v[60:61], off, off offset:104
	v_mov_b64_e32 v[62:63], 0
	scratch_store_b64 off, v[62:63], off offset:104
	s_wait_loadcnt 0x0
	ds_store_b64 v1, v[60:61]
.LBB91_151:
	s_wait_xcnt 0x0
	s_or_b32 exec_lo, exec_lo, s0
	s_wait_storecnt_dscnt 0x0
	s_barrier_signal -1
	s_barrier_wait -1
	s_clause 0x5
	scratch_load_b128 v[60:63], off, off offset:104
	scratch_load_b128 v[64:67], off, off offset:120
	;; [unrolled: 1-line block ×6, first 2 shown]
	ds_load_b128 v[84:87], v2 offset:336
	ds_load_b128 v[88:91], v2 offset:352
	s_mov_b32 s0, exec_lo
	s_wait_loadcnt_dscnt 0x501
	v_fma_f64 v[92:93], v[62:63], v[84:85], 0
	s_wait_loadcnt 0x4
	s_delay_alu instid0(VALU_DEP_1)
	v_fmac_f64_e32 v[92:93], v[64:65], v[86:87]
	scratch_load_b128 v[62:65], off, off offset:200
	s_wait_dscnt 0x0
	v_fmac_f64_e32 v[92:93], v[66:67], v[88:89]
	scratch_load_b64 v[88:89], off, off offset:216
	s_wait_loadcnt 0x5
	v_fmac_f64_e32 v[92:93], v[68:69], v[90:91]
	ds_load_b128 v[66:69], v2 offset:368
	ds_load_b128 v[84:87], v2 offset:384
	s_wait_dscnt 0x1
	v_fmac_f64_e32 v[92:93], v[70:71], v[66:67]
	s_wait_loadcnt 0x4
	s_delay_alu instid0(VALU_DEP_1)
	v_fmac_f64_e32 v[92:93], v[72:73], v[68:69]
	ds_load_b128 v[66:69], v2 offset:400
	ds_load_b128 v[70:73], v2 offset:416
	s_wait_dscnt 0x2
	v_fmac_f64_e32 v[92:93], v[74:75], v[84:85]
	s_wait_loadcnt 0x3
	s_delay_alu instid0(VALU_DEP_1) | instskip(SKIP_1) | instid1(VALU_DEP_1)
	v_fmac_f64_e32 v[92:93], v[76:77], v[86:87]
	s_wait_dscnt 0x1
	v_fmac_f64_e32 v[92:93], v[78:79], v[66:67]
	s_wait_loadcnt 0x2
	s_delay_alu instid0(VALU_DEP_1) | instskip(SKIP_4) | instid1(VALU_DEP_1)
	v_fmac_f64_e32 v[92:93], v[80:81], v[68:69]
	ds_load_b128 v[66:69], v2 offset:432
	s_wait_dscnt 0x1
	v_fmac_f64_e32 v[92:93], v[82:83], v[70:71]
	s_wait_loadcnt 0x1
	v_fmac_f64_e32 v[92:93], v[62:63], v[72:73]
	s_wait_dscnt 0x0
	s_delay_alu instid0(VALU_DEP_1) | instskip(SKIP_1) | instid1(VALU_DEP_1)
	v_fmac_f64_e32 v[92:93], v[64:65], v[66:67]
	s_wait_loadcnt 0x0
	v_fmac_f64_e32 v[92:93], v[88:89], v[68:69]
	s_delay_alu instid0(VALU_DEP_1)
	v_add_f64_e64 v[2:3], v[60:61], -v[92:93]
	scratch_store_b64 off, v[2:3], off offset:104
	s_wait_xcnt 0x0
	v_cmpx_lt_u32_e32 12, v0
	s_cbranch_execz .LBB91_153
; %bb.152:
	scratch_load_b64 v[2:3], off, off offset:96
	v_mov_b64_e32 v[60:61], 0
	scratch_store_b64 off, v[60:61], off offset:96
	s_wait_loadcnt 0x0
	ds_store_b64 v1, v[2:3]
.LBB91_153:
	s_wait_xcnt 0x0
	s_or_b32 exec_lo, exec_lo, s0
	s_wait_storecnt_dscnt 0x0
	s_barrier_signal -1
	s_barrier_wait -1
	s_clause 0x5
	scratch_load_b128 v[60:63], off, off offset:96
	scratch_load_b128 v[64:67], off, off offset:112
	;; [unrolled: 1-line block ×6, first 2 shown]
	v_mov_b32_e32 v2, 0
	ds_load_2addr_b64 v[84:87], v2 offset0:41 offset1:42
	ds_load_2addr_b64 v[88:91], v2 offset0:43 offset1:44
	s_mov_b32 s0, exec_lo
	s_wait_loadcnt_dscnt 0x501
	v_fma_f64 v[92:93], v[62:63], v[84:85], 0
	s_wait_loadcnt 0x4
	s_delay_alu instid0(VALU_DEP_1) | instskip(SKIP_4) | instid1(VALU_DEP_1)
	v_fmac_f64_e32 v[92:93], v[64:65], v[86:87]
	scratch_load_b128 v[62:65], off, off offset:192
	s_wait_dscnt 0x0
	v_fmac_f64_e32 v[92:93], v[66:67], v[88:89]
	s_wait_loadcnt 0x4
	v_fmac_f64_e32 v[92:93], v[68:69], v[90:91]
	scratch_load_b128 v[66:69], off, off offset:208
	ds_load_2addr_b64 v[84:87], v2 offset0:45 offset1:46
	ds_load_2addr_b64 v[88:91], v2 offset0:47 offset1:48
	s_wait_dscnt 0x1
	v_fmac_f64_e32 v[92:93], v[70:71], v[84:85]
	s_wait_loadcnt 0x4
	s_delay_alu instid0(VALU_DEP_1) | instskip(SKIP_1) | instid1(VALU_DEP_1)
	v_fmac_f64_e32 v[92:93], v[72:73], v[86:87]
	s_wait_dscnt 0x0
	v_fmac_f64_e32 v[92:93], v[74:75], v[88:89]
	s_wait_loadcnt 0x3
	s_delay_alu instid0(VALU_DEP_1)
	v_fmac_f64_e32 v[92:93], v[76:77], v[90:91]
	ds_load_2addr_b64 v[70:73], v2 offset0:49 offset1:50
	ds_load_2addr_b64 v[74:77], v2 offset0:51 offset1:52
	s_wait_dscnt 0x1
	v_fmac_f64_e32 v[92:93], v[78:79], v[70:71]
	s_wait_loadcnt 0x2
	s_delay_alu instid0(VALU_DEP_1) | instskip(SKIP_1) | instid1(VALU_DEP_1)
	v_fmac_f64_e32 v[92:93], v[80:81], v[72:73]
	s_wait_dscnt 0x0
	v_fmac_f64_e32 v[92:93], v[82:83], v[74:75]
	s_wait_loadcnt 0x1
	s_delay_alu instid0(VALU_DEP_1)
	v_fmac_f64_e32 v[92:93], v[62:63], v[76:77]
	ds_load_2addr_b64 v[70:73], v2 offset0:53 offset1:54
	ds_load_b64 v[62:63], v2 offset:440
	s_wait_dscnt 0x1
	v_fmac_f64_e32 v[92:93], v[64:65], v[70:71]
	s_wait_loadcnt 0x0
	s_delay_alu instid0(VALU_DEP_1) | instskip(SKIP_1) | instid1(VALU_DEP_1)
	v_fmac_f64_e32 v[92:93], v[66:67], v[72:73]
	s_wait_dscnt 0x0
	v_fmac_f64_e32 v[92:93], v[68:69], v[62:63]
	s_delay_alu instid0(VALU_DEP_1)
	v_add_f64_e64 v[60:61], v[60:61], -v[92:93]
	scratch_store_b64 off, v[60:61], off offset:96
	s_wait_xcnt 0x0
	v_cmpx_lt_u32_e32 11, v0
	s_cbranch_execz .LBB91_155
; %bb.154:
	scratch_load_b64 v[60:61], off, off offset:88
	v_mov_b64_e32 v[62:63], 0
	scratch_store_b64 off, v[62:63], off offset:88
	s_wait_loadcnt 0x0
	ds_store_b64 v1, v[60:61]
.LBB91_155:
	s_wait_xcnt 0x0
	s_or_b32 exec_lo, exec_lo, s0
	s_wait_storecnt_dscnt 0x0
	s_barrier_signal -1
	s_barrier_wait -1
	s_clause 0x5
	scratch_load_b128 v[60:63], off, off offset:88
	scratch_load_b128 v[64:67], off, off offset:104
	;; [unrolled: 1-line block ×6, first 2 shown]
	ds_load_b128 v[84:87], v2 offset:320
	ds_load_b128 v[88:91], v2 offset:336
	s_mov_b32 s0, exec_lo
	s_wait_loadcnt_dscnt 0x501
	v_fma_f64 v[92:93], v[62:63], v[84:85], 0
	s_wait_loadcnt 0x4
	s_delay_alu instid0(VALU_DEP_1) | instskip(SKIP_4) | instid1(VALU_DEP_1)
	v_fmac_f64_e32 v[92:93], v[64:65], v[86:87]
	scratch_load_b128 v[62:65], off, off offset:184
	s_wait_dscnt 0x0
	v_fmac_f64_e32 v[92:93], v[66:67], v[88:89]
	s_wait_loadcnt 0x4
	v_fmac_f64_e32 v[92:93], v[68:69], v[90:91]
	scratch_load_b128 v[66:69], off, off offset:200
	ds_load_b128 v[84:87], v2 offset:352
	ds_load_b128 v[88:91], v2 offset:368
	s_wait_dscnt 0x1
	v_fmac_f64_e32 v[92:93], v[70:71], v[84:85]
	scratch_load_b64 v[84:85], off, off offset:216
	s_wait_loadcnt 0x5
	v_fmac_f64_e32 v[92:93], v[72:73], v[86:87]
	s_wait_dscnt 0x0
	s_delay_alu instid0(VALU_DEP_1) | instskip(SKIP_1) | instid1(VALU_DEP_1)
	v_fmac_f64_e32 v[92:93], v[74:75], v[88:89]
	s_wait_loadcnt 0x4
	v_fmac_f64_e32 v[92:93], v[76:77], v[90:91]
	ds_load_b128 v[70:73], v2 offset:384
	ds_load_b128 v[74:77], v2 offset:400
	s_wait_dscnt 0x1
	v_fmac_f64_e32 v[92:93], v[78:79], v[70:71]
	s_wait_loadcnt 0x3
	s_delay_alu instid0(VALU_DEP_1) | instskip(SKIP_1) | instid1(VALU_DEP_1)
	v_fmac_f64_e32 v[92:93], v[80:81], v[72:73]
	s_wait_dscnt 0x0
	v_fmac_f64_e32 v[92:93], v[82:83], v[74:75]
	s_wait_loadcnt 0x2
	s_delay_alu instid0(VALU_DEP_1)
	v_fmac_f64_e32 v[92:93], v[62:63], v[76:77]
	ds_load_b128 v[70:73], v2 offset:416
	ds_load_b128 v[74:77], v2 offset:432
	s_wait_dscnt 0x1
	v_fmac_f64_e32 v[92:93], v[64:65], v[70:71]
	s_wait_loadcnt 0x1
	s_delay_alu instid0(VALU_DEP_1) | instskip(SKIP_1) | instid1(VALU_DEP_1)
	v_fmac_f64_e32 v[92:93], v[66:67], v[72:73]
	s_wait_dscnt 0x0
	v_fmac_f64_e32 v[92:93], v[68:69], v[74:75]
	s_wait_loadcnt 0x0
	s_delay_alu instid0(VALU_DEP_1) | instskip(NEXT) | instid1(VALU_DEP_1)
	v_fmac_f64_e32 v[92:93], v[84:85], v[76:77]
	v_add_f64_e64 v[2:3], v[60:61], -v[92:93]
	scratch_store_b64 off, v[2:3], off offset:88
	s_wait_xcnt 0x0
	v_cmpx_lt_u32_e32 10, v0
	s_cbranch_execz .LBB91_157
; %bb.156:
	scratch_load_b64 v[2:3], off, off offset:80
	v_mov_b64_e32 v[60:61], 0
	scratch_store_b64 off, v[60:61], off offset:80
	s_wait_loadcnt 0x0
	ds_store_b64 v1, v[2:3]
.LBB91_157:
	s_wait_xcnt 0x0
	s_or_b32 exec_lo, exec_lo, s0
	s_wait_storecnt_dscnt 0x0
	s_barrier_signal -1
	s_barrier_wait -1
	s_clause 0x5
	scratch_load_b128 v[60:63], off, off offset:80
	scratch_load_b128 v[64:67], off, off offset:96
	;; [unrolled: 1-line block ×6, first 2 shown]
	v_mov_b32_e32 v2, 0
	ds_load_2addr_b64 v[84:87], v2 offset0:39 offset1:40
	ds_load_2addr_b64 v[88:91], v2 offset0:41 offset1:42
	s_mov_b32 s0, exec_lo
	s_wait_loadcnt_dscnt 0x501
	v_fma_f64 v[92:93], v[62:63], v[84:85], 0
	s_wait_loadcnt 0x4
	s_delay_alu instid0(VALU_DEP_1) | instskip(SKIP_4) | instid1(VALU_DEP_1)
	v_fmac_f64_e32 v[92:93], v[64:65], v[86:87]
	scratch_load_b128 v[62:65], off, off offset:176
	s_wait_dscnt 0x0
	v_fmac_f64_e32 v[92:93], v[66:67], v[88:89]
	s_wait_loadcnt 0x4
	v_fmac_f64_e32 v[92:93], v[68:69], v[90:91]
	scratch_load_b128 v[66:69], off, off offset:192
	ds_load_2addr_b64 v[84:87], v2 offset0:43 offset1:44
	ds_load_2addr_b64 v[88:91], v2 offset0:45 offset1:46
	s_wait_dscnt 0x1
	v_fmac_f64_e32 v[92:93], v[70:71], v[84:85]
	s_wait_loadcnt 0x4
	s_delay_alu instid0(VALU_DEP_1) | instskip(SKIP_4) | instid1(VALU_DEP_1)
	v_fmac_f64_e32 v[92:93], v[72:73], v[86:87]
	scratch_load_b128 v[70:73], off, off offset:208
	s_wait_dscnt 0x0
	v_fmac_f64_e32 v[92:93], v[74:75], v[88:89]
	s_wait_loadcnt 0x4
	v_fmac_f64_e32 v[92:93], v[76:77], v[90:91]
	ds_load_2addr_b64 v[74:77], v2 offset0:47 offset1:48
	ds_load_2addr_b64 v[84:87], v2 offset0:49 offset1:50
	s_wait_dscnt 0x1
	v_fmac_f64_e32 v[92:93], v[78:79], v[74:75]
	s_wait_loadcnt 0x3
	s_delay_alu instid0(VALU_DEP_1)
	v_fmac_f64_e32 v[92:93], v[80:81], v[76:77]
	ds_load_2addr_b64 v[74:77], v2 offset0:51 offset1:52
	ds_load_2addr_b64 v[78:81], v2 offset0:53 offset1:54
	s_wait_dscnt 0x2
	v_fmac_f64_e32 v[92:93], v[82:83], v[84:85]
	s_wait_loadcnt 0x2
	s_delay_alu instid0(VALU_DEP_1) | instskip(SKIP_4) | instid1(VALU_DEP_1)
	v_fmac_f64_e32 v[92:93], v[62:63], v[86:87]
	ds_load_b64 v[62:63], v2 offset:440
	s_wait_dscnt 0x2
	v_fmac_f64_e32 v[92:93], v[64:65], v[74:75]
	s_wait_loadcnt 0x1
	v_fmac_f64_e32 v[92:93], v[66:67], v[76:77]
	s_wait_dscnt 0x1
	s_delay_alu instid0(VALU_DEP_1) | instskip(SKIP_1) | instid1(VALU_DEP_1)
	v_fmac_f64_e32 v[92:93], v[68:69], v[78:79]
	s_wait_loadcnt 0x0
	v_fmac_f64_e32 v[92:93], v[70:71], v[80:81]
	s_wait_dscnt 0x0
	s_delay_alu instid0(VALU_DEP_1) | instskip(NEXT) | instid1(VALU_DEP_1)
	v_fmac_f64_e32 v[92:93], v[72:73], v[62:63]
	v_add_f64_e64 v[60:61], v[60:61], -v[92:93]
	scratch_store_b64 off, v[60:61], off offset:80
	s_wait_xcnt 0x0
	v_cmpx_lt_u32_e32 9, v0
	s_cbranch_execz .LBB91_159
; %bb.158:
	scratch_load_b64 v[60:61], off, off offset:72
	v_mov_b64_e32 v[62:63], 0
	scratch_store_b64 off, v[62:63], off offset:72
	s_wait_loadcnt 0x0
	ds_store_b64 v1, v[60:61]
.LBB91_159:
	s_wait_xcnt 0x0
	s_or_b32 exec_lo, exec_lo, s0
	s_wait_storecnt_dscnt 0x0
	s_barrier_signal -1
	s_barrier_wait -1
	s_clause 0x5
	scratch_load_b128 v[60:63], off, off offset:72
	scratch_load_b128 v[64:67], off, off offset:88
	;; [unrolled: 1-line block ×6, first 2 shown]
	ds_load_b128 v[84:87], v2 offset:304
	ds_load_b128 v[88:91], v2 offset:320
	s_mov_b32 s0, exec_lo
	s_wait_loadcnt_dscnt 0x501
	v_fma_f64 v[92:93], v[62:63], v[84:85], 0
	s_wait_loadcnt 0x4
	s_delay_alu instid0(VALU_DEP_1) | instskip(SKIP_4) | instid1(VALU_DEP_1)
	v_fmac_f64_e32 v[92:93], v[64:65], v[86:87]
	scratch_load_b128 v[62:65], off, off offset:168
	s_wait_dscnt 0x0
	v_fmac_f64_e32 v[92:93], v[66:67], v[88:89]
	s_wait_loadcnt 0x4
	v_fmac_f64_e32 v[92:93], v[68:69], v[90:91]
	scratch_load_b128 v[66:69], off, off offset:184
	ds_load_b128 v[84:87], v2 offset:336
	ds_load_b128 v[88:91], v2 offset:352
	s_wait_dscnt 0x1
	v_fmac_f64_e32 v[92:93], v[70:71], v[84:85]
	s_wait_loadcnt 0x4
	s_delay_alu instid0(VALU_DEP_1)
	v_fmac_f64_e32 v[92:93], v[72:73], v[86:87]
	scratch_load_b128 v[70:73], off, off offset:200
	s_wait_dscnt 0x0
	v_fmac_f64_e32 v[92:93], v[74:75], v[88:89]
	scratch_load_b64 v[88:89], off, off offset:216
	s_wait_loadcnt 0x5
	v_fmac_f64_e32 v[92:93], v[76:77], v[90:91]
	ds_load_b128 v[74:77], v2 offset:368
	ds_load_b128 v[84:87], v2 offset:384
	s_wait_dscnt 0x1
	v_fmac_f64_e32 v[92:93], v[78:79], v[74:75]
	s_wait_loadcnt 0x4
	s_delay_alu instid0(VALU_DEP_1)
	v_fmac_f64_e32 v[92:93], v[80:81], v[76:77]
	ds_load_b128 v[74:77], v2 offset:400
	ds_load_b128 v[78:81], v2 offset:416
	s_wait_dscnt 0x2
	v_fmac_f64_e32 v[92:93], v[82:83], v[84:85]
	s_wait_loadcnt 0x3
	s_delay_alu instid0(VALU_DEP_1) | instskip(SKIP_1) | instid1(VALU_DEP_1)
	v_fmac_f64_e32 v[92:93], v[62:63], v[86:87]
	s_wait_dscnt 0x1
	v_fmac_f64_e32 v[92:93], v[64:65], v[74:75]
	ds_load_b128 v[62:65], v2 offset:432
	s_wait_loadcnt 0x2
	v_fmac_f64_e32 v[92:93], v[66:67], v[76:77]
	s_wait_dscnt 0x1
	s_delay_alu instid0(VALU_DEP_1) | instskip(SKIP_1) | instid1(VALU_DEP_1)
	v_fmac_f64_e32 v[92:93], v[68:69], v[78:79]
	s_wait_loadcnt 0x1
	v_fmac_f64_e32 v[92:93], v[70:71], v[80:81]
	s_wait_dscnt 0x0
	s_delay_alu instid0(VALU_DEP_1) | instskip(SKIP_1) | instid1(VALU_DEP_1)
	v_fmac_f64_e32 v[92:93], v[72:73], v[62:63]
	s_wait_loadcnt 0x0
	v_fmac_f64_e32 v[92:93], v[88:89], v[64:65]
	s_delay_alu instid0(VALU_DEP_1)
	v_add_f64_e64 v[2:3], v[60:61], -v[92:93]
	scratch_store_b64 off, v[2:3], off offset:72
	s_wait_xcnt 0x0
	v_cmpx_lt_u32_e32 8, v0
	s_cbranch_execz .LBB91_161
; %bb.160:
	scratch_load_b64 v[2:3], off, off offset:64
	v_mov_b64_e32 v[60:61], 0
	scratch_store_b64 off, v[60:61], off offset:64
	s_wait_loadcnt 0x0
	ds_store_b64 v1, v[2:3]
.LBB91_161:
	s_wait_xcnt 0x0
	s_or_b32 exec_lo, exec_lo, s0
	s_wait_storecnt_dscnt 0x0
	s_barrier_signal -1
	s_barrier_wait -1
	s_clause 0x5
	scratch_load_b128 v[60:63], off, off offset:64
	scratch_load_b128 v[64:67], off, off offset:80
	;; [unrolled: 1-line block ×6, first 2 shown]
	v_mov_b32_e32 v2, 0
	ds_load_2addr_b64 v[84:87], v2 offset0:37 offset1:38
	ds_load_2addr_b64 v[88:91], v2 offset0:39 offset1:40
	s_mov_b32 s0, exec_lo
	s_wait_loadcnt_dscnt 0x501
	v_fma_f64 v[92:93], v[62:63], v[84:85], 0
	s_wait_loadcnt 0x4
	s_delay_alu instid0(VALU_DEP_1) | instskip(SKIP_4) | instid1(VALU_DEP_1)
	v_fmac_f64_e32 v[92:93], v[64:65], v[86:87]
	scratch_load_b128 v[62:65], off, off offset:160
	s_wait_dscnt 0x0
	v_fmac_f64_e32 v[92:93], v[66:67], v[88:89]
	s_wait_loadcnt 0x4
	v_fmac_f64_e32 v[92:93], v[68:69], v[90:91]
	scratch_load_b128 v[66:69], off, off offset:176
	ds_load_2addr_b64 v[84:87], v2 offset0:41 offset1:42
	ds_load_2addr_b64 v[88:91], v2 offset0:43 offset1:44
	s_wait_dscnt 0x1
	v_fmac_f64_e32 v[92:93], v[70:71], v[84:85]
	s_wait_loadcnt 0x4
	s_delay_alu instid0(VALU_DEP_1) | instskip(SKIP_4) | instid1(VALU_DEP_1)
	v_fmac_f64_e32 v[92:93], v[72:73], v[86:87]
	scratch_load_b128 v[70:73], off, off offset:192
	s_wait_dscnt 0x0
	v_fmac_f64_e32 v[92:93], v[74:75], v[88:89]
	s_wait_loadcnt 0x4
	v_fmac_f64_e32 v[92:93], v[76:77], v[90:91]
	scratch_load_b128 v[74:77], off, off offset:208
	ds_load_2addr_b64 v[84:87], v2 offset0:45 offset1:46
	ds_load_2addr_b64 v[88:91], v2 offset0:47 offset1:48
	s_wait_dscnt 0x1
	v_fmac_f64_e32 v[92:93], v[78:79], v[84:85]
	s_wait_loadcnt 0x4
	s_delay_alu instid0(VALU_DEP_1) | instskip(SKIP_1) | instid1(VALU_DEP_1)
	v_fmac_f64_e32 v[92:93], v[80:81], v[86:87]
	s_wait_dscnt 0x0
	v_fmac_f64_e32 v[92:93], v[82:83], v[88:89]
	ds_load_2addr_b64 v[78:81], v2 offset0:49 offset1:50
	ds_load_2addr_b64 v[82:85], v2 offset0:51 offset1:52
	s_wait_loadcnt 0x3
	v_fmac_f64_e32 v[92:93], v[62:63], v[90:91]
	s_wait_dscnt 0x1
	s_delay_alu instid0(VALU_DEP_1) | instskip(SKIP_1) | instid1(VALU_DEP_1)
	v_fmac_f64_e32 v[92:93], v[64:65], v[78:79]
	s_wait_loadcnt 0x2
	v_fmac_f64_e32 v[92:93], v[66:67], v[80:81]
	ds_load_2addr_b64 v[62:65], v2 offset0:53 offset1:54
	ds_load_b64 v[66:67], v2 offset:440
	s_wait_dscnt 0x2
	v_fmac_f64_e32 v[92:93], v[68:69], v[82:83]
	s_wait_loadcnt 0x1
	s_delay_alu instid0(VALU_DEP_1) | instskip(SKIP_1) | instid1(VALU_DEP_1)
	v_fmac_f64_e32 v[92:93], v[70:71], v[84:85]
	s_wait_dscnt 0x1
	v_fmac_f64_e32 v[92:93], v[72:73], v[62:63]
	s_wait_loadcnt 0x0
	s_delay_alu instid0(VALU_DEP_1) | instskip(SKIP_1) | instid1(VALU_DEP_1)
	v_fmac_f64_e32 v[92:93], v[74:75], v[64:65]
	s_wait_dscnt 0x0
	v_fmac_f64_e32 v[92:93], v[76:77], v[66:67]
	s_delay_alu instid0(VALU_DEP_1)
	v_add_f64_e64 v[60:61], v[60:61], -v[92:93]
	scratch_store_b64 off, v[60:61], off offset:64
	s_wait_xcnt 0x0
	v_cmpx_lt_u32_e32 7, v0
	s_cbranch_execz .LBB91_163
; %bb.162:
	scratch_load_b64 v[60:61], off, off offset:56
	v_mov_b64_e32 v[62:63], 0
	scratch_store_b64 off, v[62:63], off offset:56
	s_wait_loadcnt 0x0
	ds_store_b64 v1, v[60:61]
.LBB91_163:
	s_wait_xcnt 0x0
	s_or_b32 exec_lo, exec_lo, s0
	s_wait_storecnt_dscnt 0x0
	s_barrier_signal -1
	s_barrier_wait -1
	s_clause 0x5
	scratch_load_b128 v[60:63], off, off offset:56
	scratch_load_b128 v[64:67], off, off offset:72
	;; [unrolled: 1-line block ×6, first 2 shown]
	ds_load_b128 v[84:87], v2 offset:288
	ds_load_b128 v[88:91], v2 offset:304
	s_mov_b32 s0, exec_lo
	s_wait_loadcnt_dscnt 0x501
	v_fma_f64 v[92:93], v[62:63], v[84:85], 0
	s_wait_loadcnt 0x4
	s_delay_alu instid0(VALU_DEP_1) | instskip(SKIP_4) | instid1(VALU_DEP_1)
	v_fmac_f64_e32 v[92:93], v[64:65], v[86:87]
	scratch_load_b128 v[62:65], off, off offset:152
	s_wait_dscnt 0x0
	v_fmac_f64_e32 v[92:93], v[66:67], v[88:89]
	s_wait_loadcnt 0x4
	v_fmac_f64_e32 v[92:93], v[68:69], v[90:91]
	scratch_load_b128 v[66:69], off, off offset:168
	ds_load_b128 v[84:87], v2 offset:320
	ds_load_b128 v[88:91], v2 offset:336
	s_wait_dscnt 0x1
	v_fmac_f64_e32 v[92:93], v[70:71], v[84:85]
	s_wait_loadcnt 0x4
	s_delay_alu instid0(VALU_DEP_1) | instskip(SKIP_4) | instid1(VALU_DEP_1)
	v_fmac_f64_e32 v[92:93], v[72:73], v[86:87]
	scratch_load_b128 v[70:73], off, off offset:184
	s_wait_dscnt 0x0
	v_fmac_f64_e32 v[92:93], v[74:75], v[88:89]
	s_wait_loadcnt 0x4
	v_fmac_f64_e32 v[92:93], v[76:77], v[90:91]
	scratch_load_b128 v[74:77], off, off offset:200
	ds_load_b128 v[84:87], v2 offset:352
	ds_load_b128 v[88:91], v2 offset:368
	s_wait_dscnt 0x1
	v_fmac_f64_e32 v[92:93], v[78:79], v[84:85]
	s_wait_loadcnt 0x4
	s_delay_alu instid0(VALU_DEP_1)
	v_fmac_f64_e32 v[92:93], v[80:81], v[86:87]
	scratch_load_b64 v[86:87], off, off offset:216
	s_wait_dscnt 0x0
	v_fmac_f64_e32 v[92:93], v[82:83], v[88:89]
	ds_load_b128 v[78:81], v2 offset:384
	ds_load_b128 v[82:85], v2 offset:400
	s_wait_loadcnt 0x4
	v_fmac_f64_e32 v[92:93], v[62:63], v[90:91]
	s_wait_dscnt 0x1
	s_delay_alu instid0(VALU_DEP_1) | instskip(SKIP_1) | instid1(VALU_DEP_1)
	v_fmac_f64_e32 v[92:93], v[64:65], v[78:79]
	s_wait_loadcnt 0x3
	v_fmac_f64_e32 v[92:93], v[66:67], v[80:81]
	s_wait_dscnt 0x0
	s_delay_alu instid0(VALU_DEP_1)
	v_fmac_f64_e32 v[92:93], v[68:69], v[82:83]
	ds_load_b128 v[62:65], v2 offset:416
	ds_load_b128 v[66:69], v2 offset:432
	s_wait_loadcnt 0x2
	v_fmac_f64_e32 v[92:93], v[70:71], v[84:85]
	s_wait_dscnt 0x1
	s_delay_alu instid0(VALU_DEP_1) | instskip(SKIP_1) | instid1(VALU_DEP_1)
	v_fmac_f64_e32 v[92:93], v[72:73], v[62:63]
	s_wait_loadcnt 0x1
	v_fmac_f64_e32 v[92:93], v[74:75], v[64:65]
	s_wait_dscnt 0x0
	s_delay_alu instid0(VALU_DEP_1) | instskip(SKIP_1) | instid1(VALU_DEP_1)
	v_fmac_f64_e32 v[92:93], v[76:77], v[66:67]
	s_wait_loadcnt 0x0
	v_fmac_f64_e32 v[92:93], v[86:87], v[68:69]
	s_delay_alu instid0(VALU_DEP_1)
	v_add_f64_e64 v[2:3], v[60:61], -v[92:93]
	scratch_store_b64 off, v[2:3], off offset:56
	s_wait_xcnt 0x0
	v_cmpx_lt_u32_e32 6, v0
	s_cbranch_execz .LBB91_165
; %bb.164:
	scratch_load_b64 v[2:3], off, off offset:48
	v_mov_b64_e32 v[60:61], 0
	scratch_store_b64 off, v[60:61], off offset:48
	s_wait_loadcnt 0x0
	ds_store_b64 v1, v[2:3]
.LBB91_165:
	s_wait_xcnt 0x0
	s_or_b32 exec_lo, exec_lo, s0
	s_wait_storecnt_dscnt 0x0
	s_barrier_signal -1
	s_barrier_wait -1
	s_clause 0x5
	scratch_load_b128 v[60:63], off, off offset:48
	scratch_load_b128 v[64:67], off, off offset:64
	;; [unrolled: 1-line block ×6, first 2 shown]
	v_mov_b32_e32 v2, 0
	ds_load_2addr_b64 v[84:87], v2 offset0:35 offset1:36
	ds_load_2addr_b64 v[88:91], v2 offset0:37 offset1:38
	s_mov_b32 s0, exec_lo
	s_wait_loadcnt_dscnt 0x501
	v_fma_f64 v[92:93], v[62:63], v[84:85], 0
	s_wait_loadcnt 0x4
	s_delay_alu instid0(VALU_DEP_1) | instskip(SKIP_4) | instid1(VALU_DEP_1)
	v_fmac_f64_e32 v[92:93], v[64:65], v[86:87]
	scratch_load_b128 v[62:65], off, off offset:144
	s_wait_dscnt 0x0
	v_fmac_f64_e32 v[92:93], v[66:67], v[88:89]
	s_wait_loadcnt 0x4
	v_fmac_f64_e32 v[92:93], v[68:69], v[90:91]
	scratch_load_b128 v[66:69], off, off offset:160
	ds_load_2addr_b64 v[84:87], v2 offset0:39 offset1:40
	ds_load_2addr_b64 v[88:91], v2 offset0:41 offset1:42
	s_wait_dscnt 0x1
	v_fmac_f64_e32 v[92:93], v[70:71], v[84:85]
	s_wait_loadcnt 0x4
	s_delay_alu instid0(VALU_DEP_1) | instskip(SKIP_4) | instid1(VALU_DEP_1)
	v_fmac_f64_e32 v[92:93], v[72:73], v[86:87]
	scratch_load_b128 v[70:73], off, off offset:176
	s_wait_dscnt 0x0
	v_fmac_f64_e32 v[92:93], v[74:75], v[88:89]
	s_wait_loadcnt 0x4
	v_fmac_f64_e32 v[92:93], v[76:77], v[90:91]
	scratch_load_b128 v[74:77], off, off offset:192
	ds_load_2addr_b64 v[84:87], v2 offset0:43 offset1:44
	ds_load_2addr_b64 v[88:91], v2 offset0:45 offset1:46
	s_wait_dscnt 0x1
	v_fmac_f64_e32 v[92:93], v[78:79], v[84:85]
	s_wait_loadcnt 0x4
	s_delay_alu instid0(VALU_DEP_1)
	v_fmac_f64_e32 v[92:93], v[80:81], v[86:87]
	scratch_load_b128 v[78:81], off, off offset:208
	s_wait_dscnt 0x0
	v_fmac_f64_e32 v[92:93], v[82:83], v[88:89]
	ds_load_2addr_b64 v[82:85], v2 offset0:47 offset1:48
	ds_load_2addr_b64 v[86:89], v2 offset0:49 offset1:50
	s_wait_loadcnt 0x4
	v_fmac_f64_e32 v[92:93], v[62:63], v[90:91]
	s_wait_dscnt 0x1
	s_delay_alu instid0(VALU_DEP_1) | instskip(SKIP_1) | instid1(VALU_DEP_1)
	v_fmac_f64_e32 v[92:93], v[64:65], v[82:83]
	s_wait_loadcnt 0x3
	v_fmac_f64_e32 v[92:93], v[66:67], v[84:85]
	s_wait_dscnt 0x0
	s_delay_alu instid0(VALU_DEP_1)
	v_fmac_f64_e32 v[92:93], v[68:69], v[86:87]
	ds_load_2addr_b64 v[62:65], v2 offset0:51 offset1:52
	ds_load_2addr_b64 v[66:69], v2 offset0:53 offset1:54
	s_wait_loadcnt 0x2
	v_fmac_f64_e32 v[92:93], v[70:71], v[88:89]
	s_wait_dscnt 0x1
	s_delay_alu instid0(VALU_DEP_1) | instskip(SKIP_4) | instid1(VALU_DEP_1)
	v_fmac_f64_e32 v[92:93], v[72:73], v[62:63]
	ds_load_b64 v[62:63], v2 offset:440
	s_wait_loadcnt 0x1
	v_fmac_f64_e32 v[92:93], v[74:75], v[64:65]
	s_wait_dscnt 0x1
	v_fmac_f64_e32 v[92:93], v[76:77], v[66:67]
	s_wait_loadcnt 0x0
	s_delay_alu instid0(VALU_DEP_1) | instskip(SKIP_1) | instid1(VALU_DEP_1)
	v_fmac_f64_e32 v[92:93], v[78:79], v[68:69]
	s_wait_dscnt 0x0
	v_fmac_f64_e32 v[92:93], v[80:81], v[62:63]
	s_delay_alu instid0(VALU_DEP_1)
	v_add_f64_e64 v[60:61], v[60:61], -v[92:93]
	scratch_store_b64 off, v[60:61], off offset:48
	s_wait_xcnt 0x0
	v_cmpx_lt_u32_e32 5, v0
	s_cbranch_execz .LBB91_167
; %bb.166:
	scratch_load_b64 v[60:61], off, off offset:40
	v_mov_b64_e32 v[62:63], 0
	scratch_store_b64 off, v[62:63], off offset:40
	s_wait_loadcnt 0x0
	ds_store_b64 v1, v[60:61]
.LBB91_167:
	s_wait_xcnt 0x0
	s_or_b32 exec_lo, exec_lo, s0
	s_wait_storecnt_dscnt 0x0
	s_barrier_signal -1
	s_barrier_wait -1
	s_clause 0x5
	scratch_load_b128 v[60:63], off, off offset:40
	scratch_load_b128 v[64:67], off, off offset:56
	;; [unrolled: 1-line block ×6, first 2 shown]
	ds_load_b128 v[84:87], v2 offset:272
	ds_load_b128 v[88:91], v2 offset:288
	scratch_load_b128 v[92:95], off, off offset:136
	s_mov_b32 s0, exec_lo
	s_wait_loadcnt_dscnt 0x601
	v_fma_f64 v[96:97], v[62:63], v[84:85], 0
	s_wait_loadcnt 0x5
	s_delay_alu instid0(VALU_DEP_1) | instskip(SKIP_4) | instid1(VALU_DEP_1)
	v_fmac_f64_e32 v[96:97], v[64:65], v[86:87]
	scratch_load_b128 v[62:65], off, off offset:152
	s_wait_dscnt 0x0
	v_fmac_f64_e32 v[96:97], v[66:67], v[88:89]
	s_wait_loadcnt 0x5
	v_fmac_f64_e32 v[96:97], v[68:69], v[90:91]
	ds_load_b128 v[66:69], v2 offset:304
	ds_load_b128 v[84:87], v2 offset:320
	s_wait_dscnt 0x1
	v_fmac_f64_e32 v[96:97], v[70:71], v[66:67]
	s_wait_loadcnt 0x4
	s_delay_alu instid0(VALU_DEP_1)
	v_fmac_f64_e32 v[96:97], v[72:73], v[68:69]
	s_clause 0x1
	scratch_load_b128 v[66:69], off, off offset:168
	scratch_load_b128 v[70:73], off, off offset:184
	s_wait_dscnt 0x0
	v_fmac_f64_e32 v[96:97], v[74:75], v[84:85]
	s_wait_loadcnt 0x5
	s_delay_alu instid0(VALU_DEP_1)
	v_fmac_f64_e32 v[96:97], v[76:77], v[86:87]
	ds_load_b128 v[74:77], v2 offset:336
	ds_load_b128 v[84:87], v2 offset:352
	s_wait_dscnt 0x1
	v_fmac_f64_e32 v[96:97], v[78:79], v[74:75]
	s_wait_loadcnt 0x4
	s_delay_alu instid0(VALU_DEP_1) | instskip(SKIP_4) | instid1(VALU_DEP_1)
	v_fmac_f64_e32 v[96:97], v[80:81], v[76:77]
	scratch_load_b128 v[74:77], off, off offset:200
	s_wait_dscnt 0x0
	v_fmac_f64_e32 v[96:97], v[82:83], v[84:85]
	s_wait_loadcnt 0x4
	v_fmac_f64_e32 v[96:97], v[92:93], v[86:87]
	scratch_load_b64 v[86:87], off, off offset:216
	ds_load_b128 v[78:81], v2 offset:368
	ds_load_b128 v[82:85], v2 offset:384
	s_wait_dscnt 0x1
	v_fmac_f64_e32 v[96:97], v[94:95], v[78:79]
	s_wait_loadcnt 0x4
	s_delay_alu instid0(VALU_DEP_1) | instskip(SKIP_1) | instid1(VALU_DEP_1)
	v_fmac_f64_e32 v[96:97], v[62:63], v[80:81]
	s_wait_dscnt 0x0
	v_fmac_f64_e32 v[96:97], v[64:65], v[82:83]
	ds_load_b128 v[62:65], v2 offset:400
	ds_load_b128 v[78:81], v2 offset:416
	s_wait_loadcnt 0x3
	v_fmac_f64_e32 v[96:97], v[66:67], v[84:85]
	s_wait_dscnt 0x1
	s_delay_alu instid0(VALU_DEP_1) | instskip(SKIP_1) | instid1(VALU_DEP_1)
	v_fmac_f64_e32 v[96:97], v[68:69], v[62:63]
	s_wait_loadcnt 0x2
	v_fmac_f64_e32 v[96:97], v[70:71], v[64:65]
	ds_load_b128 v[62:65], v2 offset:432
	s_wait_dscnt 0x1
	v_fmac_f64_e32 v[96:97], v[72:73], v[78:79]
	s_wait_loadcnt 0x1
	s_delay_alu instid0(VALU_DEP_1) | instskip(SKIP_1) | instid1(VALU_DEP_1)
	v_fmac_f64_e32 v[96:97], v[74:75], v[80:81]
	s_wait_dscnt 0x0
	v_fmac_f64_e32 v[96:97], v[76:77], v[62:63]
	s_wait_loadcnt 0x0
	s_delay_alu instid0(VALU_DEP_1) | instskip(NEXT) | instid1(VALU_DEP_1)
	v_fmac_f64_e32 v[96:97], v[86:87], v[64:65]
	v_add_f64_e64 v[2:3], v[60:61], -v[96:97]
	scratch_store_b64 off, v[2:3], off offset:40
	s_wait_xcnt 0x0
	v_cmpx_lt_u32_e32 4, v0
	s_cbranch_execz .LBB91_169
; %bb.168:
	scratch_load_b64 v[2:3], off, off offset:32
	v_mov_b64_e32 v[60:61], 0
	scratch_store_b64 off, v[60:61], off offset:32
	s_wait_loadcnt 0x0
	ds_store_b64 v1, v[2:3]
.LBB91_169:
	s_wait_xcnt 0x0
	s_or_b32 exec_lo, exec_lo, s0
	s_wait_storecnt_dscnt 0x0
	s_barrier_signal -1
	s_barrier_wait -1
	s_clause 0x5
	scratch_load_b128 v[60:63], off, off offset:32
	scratch_load_b128 v[64:67], off, off offset:48
	;; [unrolled: 1-line block ×6, first 2 shown]
	v_mov_b32_e32 v2, 0
	ds_load_2addr_b64 v[84:87], v2 offset0:33 offset1:34
	ds_load_2addr_b64 v[88:91], v2 offset0:35 offset1:36
	scratch_load_b128 v[92:95], off, off offset:128
	s_mov_b32 s0, exec_lo
	s_wait_loadcnt_dscnt 0x601
	v_fma_f64 v[96:97], v[62:63], v[84:85], 0
	s_wait_loadcnt 0x5
	s_delay_alu instid0(VALU_DEP_1) | instskip(SKIP_4) | instid1(VALU_DEP_1)
	v_fmac_f64_e32 v[96:97], v[64:65], v[86:87]
	scratch_load_b128 v[62:65], off, off offset:144
	s_wait_dscnt 0x0
	v_fmac_f64_e32 v[96:97], v[66:67], v[88:89]
	s_wait_loadcnt 0x5
	v_fmac_f64_e32 v[96:97], v[68:69], v[90:91]
	ds_load_2addr_b64 v[66:69], v2 offset0:37 offset1:38
	ds_load_2addr_b64 v[84:87], v2 offset0:39 offset1:40
	s_wait_dscnt 0x1
	v_fmac_f64_e32 v[96:97], v[70:71], v[66:67]
	s_wait_loadcnt 0x4
	s_delay_alu instid0(VALU_DEP_1)
	v_fmac_f64_e32 v[96:97], v[72:73], v[68:69]
	s_clause 0x1
	scratch_load_b128 v[66:69], off, off offset:160
	scratch_load_b128 v[70:73], off, off offset:176
	s_wait_dscnt 0x0
	v_fmac_f64_e32 v[96:97], v[74:75], v[84:85]
	s_wait_loadcnt 0x5
	s_delay_alu instid0(VALU_DEP_1)
	v_fmac_f64_e32 v[96:97], v[76:77], v[86:87]
	ds_load_2addr_b64 v[74:77], v2 offset0:41 offset1:42
	ds_load_2addr_b64 v[84:87], v2 offset0:43 offset1:44
	s_wait_dscnt 0x1
	v_fmac_f64_e32 v[96:97], v[78:79], v[74:75]
	s_wait_loadcnt 0x4
	s_delay_alu instid0(VALU_DEP_1)
	v_fmac_f64_e32 v[96:97], v[80:81], v[76:77]
	s_clause 0x1
	scratch_load_b128 v[74:77], off, off offset:192
	scratch_load_b128 v[78:81], off, off offset:208
	s_wait_dscnt 0x0
	v_fmac_f64_e32 v[96:97], v[82:83], v[84:85]
	s_wait_loadcnt 0x5
	s_delay_alu instid0(VALU_DEP_1)
	v_fmac_f64_e32 v[96:97], v[92:93], v[86:87]
	ds_load_2addr_b64 v[82:85], v2 offset0:45 offset1:46
	ds_load_2addr_b64 v[86:89], v2 offset0:47 offset1:48
	s_wait_dscnt 0x1
	v_fmac_f64_e32 v[96:97], v[94:95], v[82:83]
	s_wait_loadcnt 0x4
	s_delay_alu instid0(VALU_DEP_1) | instskip(SKIP_1) | instid1(VALU_DEP_1)
	v_fmac_f64_e32 v[96:97], v[62:63], v[84:85]
	s_wait_dscnt 0x0
	v_fmac_f64_e32 v[96:97], v[64:65], v[86:87]
	ds_load_2addr_b64 v[62:65], v2 offset0:49 offset1:50
	ds_load_2addr_b64 v[82:85], v2 offset0:51 offset1:52
	s_wait_loadcnt 0x3
	v_fmac_f64_e32 v[96:97], v[66:67], v[88:89]
	s_wait_dscnt 0x1
	s_delay_alu instid0(VALU_DEP_1) | instskip(SKIP_1) | instid1(VALU_DEP_1)
	v_fmac_f64_e32 v[96:97], v[68:69], v[62:63]
	s_wait_loadcnt 0x2
	v_fmac_f64_e32 v[96:97], v[70:71], v[64:65]
	ds_load_2addr_b64 v[62:65], v2 offset0:53 offset1:54
	ds_load_b64 v[66:67], v2 offset:440
	s_wait_dscnt 0x2
	v_fmac_f64_e32 v[96:97], v[72:73], v[82:83]
	s_wait_loadcnt 0x1
	s_delay_alu instid0(VALU_DEP_1) | instskip(SKIP_1) | instid1(VALU_DEP_1)
	v_fmac_f64_e32 v[96:97], v[74:75], v[84:85]
	s_wait_dscnt 0x1
	v_fmac_f64_e32 v[96:97], v[76:77], v[62:63]
	s_wait_loadcnt 0x0
	s_delay_alu instid0(VALU_DEP_1) | instskip(SKIP_1) | instid1(VALU_DEP_1)
	v_fmac_f64_e32 v[96:97], v[78:79], v[64:65]
	s_wait_dscnt 0x0
	v_fmac_f64_e32 v[96:97], v[80:81], v[66:67]
	s_delay_alu instid0(VALU_DEP_1)
	v_add_f64_e64 v[60:61], v[60:61], -v[96:97]
	scratch_store_b64 off, v[60:61], off offset:32
	s_wait_xcnt 0x0
	v_cmpx_lt_u32_e32 3, v0
	s_cbranch_execz .LBB91_171
; %bb.170:
	scratch_load_b64 v[60:61], off, off offset:24
	v_mov_b64_e32 v[62:63], 0
	scratch_store_b64 off, v[62:63], off offset:24
	s_wait_loadcnt 0x0
	ds_store_b64 v1, v[60:61]
.LBB91_171:
	s_wait_xcnt 0x0
	s_or_b32 exec_lo, exec_lo, s0
	s_wait_storecnt_dscnt 0x0
	s_barrier_signal -1
	s_barrier_wait -1
	s_clause 0x5
	scratch_load_b128 v[60:63], off, off offset:24
	scratch_load_b128 v[64:67], off, off offset:40
	;; [unrolled: 1-line block ×6, first 2 shown]
	ds_load_b128 v[84:87], v2 offset:256
	ds_load_b128 v[88:91], v2 offset:272
	scratch_load_b128 v[92:95], off, off offset:120
	s_mov_b32 s0, exec_lo
	s_wait_loadcnt_dscnt 0x601
	v_fma_f64 v[96:97], v[62:63], v[84:85], 0
	s_wait_loadcnt 0x5
	s_delay_alu instid0(VALU_DEP_1) | instskip(SKIP_4) | instid1(VALU_DEP_1)
	v_fmac_f64_e32 v[96:97], v[64:65], v[86:87]
	scratch_load_b128 v[62:65], off, off offset:136
	s_wait_dscnt 0x0
	v_fmac_f64_e32 v[96:97], v[66:67], v[88:89]
	s_wait_loadcnt 0x5
	v_fmac_f64_e32 v[96:97], v[68:69], v[90:91]
	ds_load_b128 v[66:69], v2 offset:288
	ds_load_b128 v[84:87], v2 offset:304
	s_wait_dscnt 0x1
	v_fmac_f64_e32 v[96:97], v[70:71], v[66:67]
	s_wait_loadcnt 0x4
	s_delay_alu instid0(VALU_DEP_1)
	v_fmac_f64_e32 v[96:97], v[72:73], v[68:69]
	s_clause 0x1
	scratch_load_b128 v[66:69], off, off offset:152
	scratch_load_b128 v[70:73], off, off offset:168
	s_wait_dscnt 0x0
	v_fmac_f64_e32 v[96:97], v[74:75], v[84:85]
	s_wait_loadcnt 0x5
	s_delay_alu instid0(VALU_DEP_1)
	v_fmac_f64_e32 v[96:97], v[76:77], v[86:87]
	ds_load_b128 v[74:77], v2 offset:320
	ds_load_b128 v[84:87], v2 offset:336
	s_wait_dscnt 0x1
	v_fmac_f64_e32 v[96:97], v[78:79], v[74:75]
	s_wait_loadcnt 0x4
	s_delay_alu instid0(VALU_DEP_1)
	v_fmac_f64_e32 v[96:97], v[80:81], v[76:77]
	s_clause 0x1
	scratch_load_b128 v[74:77], off, off offset:184
	scratch_load_b128 v[78:81], off, off offset:200
	s_wait_dscnt 0x0
	v_fmac_f64_e32 v[96:97], v[82:83], v[84:85]
	s_wait_loadcnt 0x5
	s_delay_alu instid0(VALU_DEP_1)
	v_fmac_f64_e32 v[96:97], v[92:93], v[86:87]
	ds_load_b128 v[82:85], v2 offset:352
	ds_load_b128 v[86:89], v2 offset:368
	scratch_load_b64 v[90:91], off, off offset:216
	s_wait_dscnt 0x1
	v_fmac_f64_e32 v[96:97], v[94:95], v[82:83]
	s_wait_loadcnt 0x5
	s_delay_alu instid0(VALU_DEP_1) | instskip(SKIP_1) | instid1(VALU_DEP_1)
	v_fmac_f64_e32 v[96:97], v[62:63], v[84:85]
	s_wait_dscnt 0x0
	v_fmac_f64_e32 v[96:97], v[64:65], v[86:87]
	ds_load_b128 v[62:65], v2 offset:384
	ds_load_b128 v[82:85], v2 offset:400
	s_wait_loadcnt 0x4
	v_fmac_f64_e32 v[96:97], v[66:67], v[88:89]
	s_wait_dscnt 0x1
	s_delay_alu instid0(VALU_DEP_1) | instskip(SKIP_1) | instid1(VALU_DEP_1)
	v_fmac_f64_e32 v[96:97], v[68:69], v[62:63]
	s_wait_loadcnt 0x3
	v_fmac_f64_e32 v[96:97], v[70:71], v[64:65]
	ds_load_b128 v[62:65], v2 offset:416
	ds_load_b128 v[66:69], v2 offset:432
	s_wait_dscnt 0x2
	v_fmac_f64_e32 v[96:97], v[72:73], v[82:83]
	s_wait_loadcnt 0x2
	s_delay_alu instid0(VALU_DEP_1) | instskip(SKIP_1) | instid1(VALU_DEP_1)
	v_fmac_f64_e32 v[96:97], v[74:75], v[84:85]
	s_wait_dscnt 0x1
	v_fmac_f64_e32 v[96:97], v[76:77], v[62:63]
	s_wait_loadcnt 0x1
	s_delay_alu instid0(VALU_DEP_1) | instskip(SKIP_1) | instid1(VALU_DEP_1)
	v_fmac_f64_e32 v[96:97], v[78:79], v[64:65]
	s_wait_dscnt 0x0
	v_fmac_f64_e32 v[96:97], v[80:81], v[66:67]
	s_wait_loadcnt 0x0
	s_delay_alu instid0(VALU_DEP_1) | instskip(NEXT) | instid1(VALU_DEP_1)
	v_fmac_f64_e32 v[96:97], v[90:91], v[68:69]
	v_add_f64_e64 v[2:3], v[60:61], -v[96:97]
	scratch_store_b64 off, v[2:3], off offset:24
	s_wait_xcnt 0x0
	v_cmpx_lt_u32_e32 2, v0
	s_cbranch_execz .LBB91_173
; %bb.172:
	scratch_load_b64 v[2:3], off, off offset:16
	v_mov_b64_e32 v[60:61], 0
	scratch_store_b64 off, v[60:61], off offset:16
	s_wait_loadcnt 0x0
	ds_store_b64 v1, v[2:3]
.LBB91_173:
	s_wait_xcnt 0x0
	s_or_b32 exec_lo, exec_lo, s0
	s_wait_storecnt_dscnt 0x0
	s_barrier_signal -1
	s_barrier_wait -1
	s_clause 0x5
	scratch_load_b128 v[60:63], off, off offset:16
	scratch_load_b128 v[64:67], off, off offset:32
	;; [unrolled: 1-line block ×6, first 2 shown]
	v_mov_b32_e32 v2, 0
	ds_load_2addr_b64 v[84:87], v2 offset0:31 offset1:32
	ds_load_2addr_b64 v[88:91], v2 offset0:33 offset1:34
	scratch_load_b128 v[92:95], off, off offset:112
	s_mov_b32 s0, exec_lo
	s_wait_loadcnt_dscnt 0x601
	v_fma_f64 v[96:97], v[62:63], v[84:85], 0
	s_wait_loadcnt 0x5
	s_delay_alu instid0(VALU_DEP_1) | instskip(SKIP_4) | instid1(VALU_DEP_1)
	v_fmac_f64_e32 v[96:97], v[64:65], v[86:87]
	scratch_load_b128 v[62:65], off, off offset:128
	s_wait_dscnt 0x0
	v_fmac_f64_e32 v[96:97], v[66:67], v[88:89]
	s_wait_loadcnt 0x5
	v_fmac_f64_e32 v[96:97], v[68:69], v[90:91]
	ds_load_2addr_b64 v[66:69], v2 offset0:35 offset1:36
	ds_load_2addr_b64 v[84:87], v2 offset0:37 offset1:38
	s_wait_dscnt 0x1
	v_fmac_f64_e32 v[96:97], v[70:71], v[66:67]
	s_wait_loadcnt 0x4
	s_delay_alu instid0(VALU_DEP_1)
	v_fmac_f64_e32 v[96:97], v[72:73], v[68:69]
	s_clause 0x1
	scratch_load_b128 v[66:69], off, off offset:144
	scratch_load_b128 v[70:73], off, off offset:160
	s_wait_dscnt 0x0
	v_fmac_f64_e32 v[96:97], v[74:75], v[84:85]
	s_wait_loadcnt 0x5
	s_delay_alu instid0(VALU_DEP_1)
	v_fmac_f64_e32 v[96:97], v[76:77], v[86:87]
	ds_load_2addr_b64 v[74:77], v2 offset0:39 offset1:40
	ds_load_2addr_b64 v[84:87], v2 offset0:41 offset1:42
	s_wait_dscnt 0x1
	v_fmac_f64_e32 v[96:97], v[78:79], v[74:75]
	s_wait_loadcnt 0x4
	s_delay_alu instid0(VALU_DEP_1)
	v_fmac_f64_e32 v[96:97], v[80:81], v[76:77]
	s_clause 0x1
	scratch_load_b128 v[74:77], off, off offset:176
	scratch_load_b128 v[78:81], off, off offset:192
	s_wait_dscnt 0x0
	v_fmac_f64_e32 v[96:97], v[82:83], v[84:85]
	s_wait_loadcnt 0x5
	s_delay_alu instid0(VALU_DEP_1)
	v_fmac_f64_e32 v[96:97], v[92:93], v[86:87]
	ds_load_2addr_b64 v[82:85], v2 offset0:43 offset1:44
	ds_load_2addr_b64 v[86:89], v2 offset0:45 offset1:46
	s_wait_dscnt 0x1
	v_fmac_f64_e32 v[96:97], v[94:95], v[82:83]
	s_wait_loadcnt 0x4
	s_delay_alu instid0(VALU_DEP_1) | instskip(SKIP_4) | instid1(VALU_DEP_1)
	v_fmac_f64_e32 v[96:97], v[62:63], v[84:85]
	scratch_load_b128 v[82:85], off, off offset:208
	s_wait_dscnt 0x0
	v_fmac_f64_e32 v[96:97], v[64:65], v[86:87]
	s_wait_loadcnt 0x4
	v_fmac_f64_e32 v[96:97], v[66:67], v[88:89]
	ds_load_2addr_b64 v[62:65], v2 offset0:47 offset1:48
	ds_load_2addr_b64 v[86:89], v2 offset0:49 offset1:50
	s_wait_dscnt 0x1
	v_fmac_f64_e32 v[96:97], v[68:69], v[62:63]
	s_wait_loadcnt 0x3
	s_delay_alu instid0(VALU_DEP_1)
	v_fmac_f64_e32 v[96:97], v[70:71], v[64:65]
	ds_load_2addr_b64 v[62:65], v2 offset0:51 offset1:52
	ds_load_2addr_b64 v[66:69], v2 offset0:53 offset1:54
	s_wait_dscnt 0x2
	v_fmac_f64_e32 v[96:97], v[72:73], v[86:87]
	s_wait_loadcnt 0x2
	s_delay_alu instid0(VALU_DEP_1) | instskip(SKIP_1) | instid1(VALU_DEP_1)
	v_fmac_f64_e32 v[96:97], v[74:75], v[88:89]
	s_wait_dscnt 0x1
	v_fmac_f64_e32 v[96:97], v[76:77], v[62:63]
	ds_load_b64 v[62:63], v2 offset:440
	s_wait_loadcnt 0x1
	v_fmac_f64_e32 v[96:97], v[78:79], v[64:65]
	s_wait_dscnt 0x1
	s_delay_alu instid0(VALU_DEP_1) | instskip(SKIP_1) | instid1(VALU_DEP_1)
	v_fmac_f64_e32 v[96:97], v[80:81], v[66:67]
	s_wait_loadcnt 0x0
	v_fmac_f64_e32 v[96:97], v[82:83], v[68:69]
	s_wait_dscnt 0x0
	s_delay_alu instid0(VALU_DEP_1) | instskip(NEXT) | instid1(VALU_DEP_1)
	v_fmac_f64_e32 v[96:97], v[84:85], v[62:63]
	v_add_f64_e64 v[60:61], v[60:61], -v[96:97]
	scratch_store_b64 off, v[60:61], off offset:16
	s_wait_xcnt 0x0
	v_cmpx_lt_u32_e32 1, v0
	s_cbranch_execz .LBB91_175
; %bb.174:
	scratch_load_b64 v[60:61], off, off offset:8
	v_mov_b64_e32 v[62:63], 0
	scratch_store_b64 off, v[62:63], off offset:8
	s_wait_loadcnt 0x0
	ds_store_b64 v1, v[60:61]
.LBB91_175:
	s_wait_xcnt 0x0
	s_or_b32 exec_lo, exec_lo, s0
	s_wait_storecnt_dscnt 0x0
	s_barrier_signal -1
	s_barrier_wait -1
	s_clause 0x5
	scratch_load_b128 v[60:63], off, off offset:8
	scratch_load_b128 v[64:67], off, off offset:24
	;; [unrolled: 1-line block ×6, first 2 shown]
	ds_load_b128 v[84:87], v2 offset:240
	ds_load_b128 v[88:91], v2 offset:256
	scratch_load_b128 v[92:95], off, off offset:104
	v_dual_ashrrev_i32 v9, 31, v8 :: v_dual_ashrrev_i32 v15, 31, v14
	v_dual_ashrrev_i32 v13, 31, v12 :: v_dual_ashrrev_i32 v19, 31, v18
	v_dual_ashrrev_i32 v17, 31, v16 :: v_dual_ashrrev_i32 v23, 31, v22
	v_dual_ashrrev_i32 v21, 31, v20 :: v_dual_ashrrev_i32 v27, 31, v26
	v_dual_ashrrev_i32 v25, 31, v24 :: v_dual_ashrrev_i32 v31, 31, v30
	v_dual_ashrrev_i32 v29, 31, v28 :: v_dual_ashrrev_i32 v35, 31, v34
	v_dual_ashrrev_i32 v33, 31, v32 :: v_dual_ashrrev_i32 v39, 31, v38
	v_dual_ashrrev_i32 v37, 31, v36 :: v_dual_ashrrev_i32 v43, 31, v42
	v_dual_ashrrev_i32 v41, 31, v40 :: v_dual_ashrrev_i32 v47, 31, v46
	v_dual_ashrrev_i32 v45, 31, v44 :: v_dual_ashrrev_i32 v51, 31, v50
	v_dual_ashrrev_i32 v49, 31, v48 :: v_dual_ashrrev_i32 v55, 31, v54
	v_dual_ashrrev_i32 v53, 31, v52 :: v_dual_ashrrev_i32 v59, 31, v58
	v_ashrrev_i32_e32 v57, 31, v56
	s_mov_b32 s0, exec_lo
	v_ashrrev_i32_e32 v11, 31, v10
	s_wait_loadcnt_dscnt 0x601
	v_fma_f64 v[96:97], v[62:63], v[84:85], 0
	s_wait_loadcnt 0x5
	s_delay_alu instid0(VALU_DEP_1) | instskip(SKIP_4) | instid1(VALU_DEP_1)
	v_fmac_f64_e32 v[96:97], v[64:65], v[86:87]
	scratch_load_b128 v[62:65], off, off offset:120
	s_wait_dscnt 0x0
	v_fmac_f64_e32 v[96:97], v[66:67], v[88:89]
	s_wait_loadcnt 0x5
	v_fmac_f64_e32 v[96:97], v[68:69], v[90:91]
	ds_load_b128 v[66:69], v2 offset:272
	ds_load_b128 v[84:87], v2 offset:288
	scratch_load_b128 v[88:91], off, off offset:136
	s_wait_dscnt 0x1
	v_fmac_f64_e32 v[96:97], v[70:71], v[66:67]
	s_wait_loadcnt 0x5
	s_delay_alu instid0(VALU_DEP_1) | instskip(SKIP_4) | instid1(VALU_DEP_1)
	v_fmac_f64_e32 v[96:97], v[72:73], v[68:69]
	scratch_load_b128 v[66:69], off, off offset:152
	s_wait_dscnt 0x0
	v_fmac_f64_e32 v[96:97], v[74:75], v[84:85]
	s_wait_loadcnt 0x5
	v_fmac_f64_e32 v[96:97], v[76:77], v[86:87]
	ds_load_b128 v[70:73], v2 offset:304
	ds_load_b128 v[74:77], v2 offset:320
	s_wait_dscnt 0x1
	v_fmac_f64_e32 v[96:97], v[78:79], v[70:71]
	s_wait_loadcnt 0x4
	s_delay_alu instid0(VALU_DEP_1) | instskip(SKIP_4) | instid1(VALU_DEP_1)
	v_fmac_f64_e32 v[96:97], v[80:81], v[72:73]
	scratch_load_b128 v[70:73], off, off offset:168
	s_wait_dscnt 0x0
	v_fmac_f64_e32 v[96:97], v[82:83], v[74:75]
	s_wait_loadcnt 0x4
	v_fmac_f64_e32 v[96:97], v[92:93], v[76:77]
	scratch_load_b128 v[74:77], off, off offset:184
	ds_load_b128 v[78:81], v2 offset:336
	ds_load_b128 v[82:85], v2 offset:352
	scratch_load_b64 v[86:87], off, off offset:216
	s_wait_dscnt 0x1
	v_fmac_f64_e32 v[96:97], v[94:95], v[78:79]
	s_wait_loadcnt 0x5
	s_delay_alu instid0(VALU_DEP_1) | instskip(SKIP_4) | instid1(VALU_DEP_1)
	v_fmac_f64_e32 v[96:97], v[62:63], v[80:81]
	scratch_load_b128 v[78:81], off, off offset:200
	s_wait_dscnt 0x0
	v_fmac_f64_e32 v[96:97], v[64:65], v[82:83]
	s_wait_loadcnt 0x5
	v_fmac_f64_e32 v[96:97], v[88:89], v[84:85]
	ds_load_b128 v[62:65], v2 offset:368
	ds_load_b128 v[82:85], v2 offset:384
	s_wait_dscnt 0x1
	v_fmac_f64_e32 v[96:97], v[90:91], v[62:63]
	s_wait_loadcnt 0x4
	s_delay_alu instid0(VALU_DEP_1) | instskip(SKIP_1) | instid1(VALU_DEP_1)
	v_fmac_f64_e32 v[96:97], v[66:67], v[64:65]
	s_wait_dscnt 0x0
	v_fmac_f64_e32 v[96:97], v[68:69], v[82:83]
	ds_load_b128 v[62:65], v2 offset:400
	ds_load_b128 v[66:69], v2 offset:416
	s_wait_loadcnt 0x3
	v_fmac_f64_e32 v[96:97], v[70:71], v[84:85]
	s_wait_dscnt 0x1
	s_delay_alu instid0(VALU_DEP_1) | instskip(SKIP_1) | instid1(VALU_DEP_1)
	v_fmac_f64_e32 v[96:97], v[72:73], v[62:63]
	s_wait_loadcnt 0x2
	v_fmac_f64_e32 v[96:97], v[74:75], v[64:65]
	ds_load_b128 v[62:65], v2 offset:432
	s_wait_dscnt 0x1
	v_fmac_f64_e32 v[96:97], v[76:77], v[66:67]
	s_wait_loadcnt 0x0
	s_delay_alu instid0(VALU_DEP_1) | instskip(SKIP_1) | instid1(VALU_DEP_1)
	v_fmac_f64_e32 v[96:97], v[78:79], v[68:69]
	s_wait_dscnt 0x0
	v_fmac_f64_e32 v[96:97], v[80:81], v[62:63]
	s_delay_alu instid0(VALU_DEP_1) | instskip(NEXT) | instid1(VALU_DEP_1)
	v_fmac_f64_e32 v[96:97], v[86:87], v[64:65]
	v_add_f64_e64 v[2:3], v[60:61], -v[96:97]
	scratch_store_b64 off, v[2:3], off offset:8
	s_wait_xcnt 0x0
	v_cmpx_ne_u32_e32 0, v0
	s_cbranch_execz .LBB91_177
; %bb.176:
	scratch_load_b64 v[2:3], off, off
	v_mov_b64_e32 v[60:61], 0
	scratch_store_b64 off, v[60:61], off
	s_wait_loadcnt 0x0
	ds_store_b64 v1, v[2:3]
.LBB91_177:
	s_wait_xcnt 0x0
	s_or_b32 exec_lo, exec_lo, s0
	s_wait_storecnt_dscnt 0x0
	s_barrier_signal -1
	s_barrier_wait -1
	s_clause 0x5
	scratch_load_b128 v[64:67], off, off
	scratch_load_b128 v[0:3], off, off offset:16
	scratch_load_b128 v[68:71], off, off offset:32
	;; [unrolled: 1-line block ×5, first 2 shown]
	v_mov_b32_e32 v62, 0
	scratch_load_b128 v[88:91], off, off offset:96
	s_and_b32 vcc_lo, exec_lo, s12
	ds_load_2addr_b64 v[84:87], v62 offset0:29 offset1:30
	s_wait_loadcnt_dscnt 0x600
	v_fma_f64 v[60:61], v[66:67], v[84:85], 0
	s_wait_loadcnt 0x5
	s_delay_alu instid0(VALU_DEP_1)
	v_fmac_f64_e32 v[60:61], v[0:1], v[86:87]
	ds_load_2addr_b64 v[84:87], v62 offset0:31 offset1:32
	s_wait_dscnt 0x0
	v_fmac_f64_e32 v[60:61], v[2:3], v[84:85]
	scratch_load_b128 v[0:3], off, off offset:112
	s_wait_loadcnt 0x5
	v_fmac_f64_e32 v[60:61], v[68:69], v[86:87]
	ds_load_2addr_b64 v[66:69], v62 offset0:33 offset1:34
	scratch_load_b128 v[84:87], off, off offset:128
	s_wait_dscnt 0x0
	v_fmac_f64_e32 v[60:61], v[70:71], v[66:67]
	s_wait_loadcnt 0x5
	s_delay_alu instid0(VALU_DEP_1)
	v_fmac_f64_e32 v[60:61], v[72:73], v[68:69]
	ds_load_2addr_b64 v[66:69], v62 offset0:35 offset1:36
	scratch_load_b128 v[70:73], off, off offset:144
	s_wait_dscnt 0x0
	v_fmac_f64_e32 v[60:61], v[74:75], v[66:67]
	s_wait_loadcnt 0x5
	s_delay_alu instid0(VALU_DEP_1)
	v_fmac_f64_e32 v[60:61], v[76:77], v[68:69]
	ds_load_2addr_b64 v[66:69], v62 offset0:37 offset1:38
	scratch_load_b128 v[74:77], off, off offset:160
	s_wait_dscnt 0x0
	v_fmac_f64_e32 v[60:61], v[78:79], v[66:67]
	s_wait_loadcnt 0x5
	s_delay_alu instid0(VALU_DEP_1)
	v_fmac_f64_e32 v[60:61], v[80:81], v[68:69]
	ds_load_2addr_b64 v[66:69], v62 offset0:39 offset1:40
	scratch_load_b128 v[78:81], off, off offset:176
	s_wait_dscnt 0x0
	v_fmac_f64_e32 v[60:61], v[82:83], v[66:67]
	s_wait_loadcnt 0x5
	s_delay_alu instid0(VALU_DEP_1)
	v_fmac_f64_e32 v[60:61], v[88:89], v[68:69]
	ds_load_2addr_b64 v[66:69], v62 offset0:41 offset1:42
	s_wait_dscnt 0x0
	v_fmac_f64_e32 v[60:61], v[90:91], v[66:67]
	scratch_load_b128 v[88:91], off, off offset:192
	s_wait_loadcnt 0x5
	v_fmac_f64_e32 v[60:61], v[0:1], v[68:69]
	ds_load_2addr_b64 v[66:69], v62 offset0:43 offset1:44
	s_wait_dscnt 0x0
	v_fmac_f64_e32 v[60:61], v[2:3], v[66:67]
	scratch_load_b128 v[0:3], off, off offset:208
	s_wait_loadcnt 0x5
	v_fmac_f64_e32 v[60:61], v[84:85], v[68:69]
	ds_load_2addr_b64 v[66:69], v62 offset0:45 offset1:46
	s_wait_dscnt 0x0
	v_fmac_f64_e32 v[60:61], v[86:87], v[66:67]
	s_wait_loadcnt 0x4
	s_delay_alu instid0(VALU_DEP_1) | instskip(SKIP_4) | instid1(VALU_DEP_1)
	v_fmac_f64_e32 v[60:61], v[70:71], v[68:69]
	ds_load_2addr_b64 v[66:69], v62 offset0:47 offset1:48
	s_wait_dscnt 0x0
	v_fmac_f64_e32 v[60:61], v[72:73], v[66:67]
	s_wait_loadcnt 0x3
	v_fmac_f64_e32 v[60:61], v[74:75], v[68:69]
	ds_load_2addr_b64 v[66:69], v62 offset0:49 offset1:50
	s_wait_dscnt 0x0
	v_fmac_f64_e32 v[60:61], v[76:77], v[66:67]
	s_wait_loadcnt 0x2
	s_delay_alu instid0(VALU_DEP_1) | instskip(SKIP_4) | instid1(VALU_DEP_1)
	v_fmac_f64_e32 v[60:61], v[78:79], v[68:69]
	ds_load_2addr_b64 v[66:69], v62 offset0:51 offset1:52
	s_wait_dscnt 0x0
	v_fmac_f64_e32 v[60:61], v[80:81], v[66:67]
	s_wait_loadcnt 0x1
	v_fmac_f64_e32 v[60:61], v[88:89], v[68:69]
	ds_load_2addr_b64 v[66:69], v62 offset0:53 offset1:54
	s_wait_dscnt 0x0
	v_fmac_f64_e32 v[60:61], v[90:91], v[66:67]
	ds_load_b64 v[66:67], v62 offset:440
	s_wait_loadcnt 0x0
	v_fmac_f64_e32 v[60:61], v[0:1], v[68:69]
	s_wait_dscnt 0x0
	s_delay_alu instid0(VALU_DEP_1) | instskip(NEXT) | instid1(VALU_DEP_1)
	v_fmac_f64_e32 v[60:61], v[2:3], v[66:67]
	v_add_f64_e64 v[60:61], v[64:65], -v[60:61]
	scratch_store_b64 off, v[60:61], off
	s_cbranch_vccz .LBB91_232
; %bb.178:
	global_load_b32 v2, v62, s[8:9] offset:104
	s_wait_loadcnt 0x0
	v_cmp_ne_u32_e32 vcc_lo, 27, v2
	s_cbranch_vccz .LBB91_180
; %bb.179:
	v_lshlrev_b32_e32 v2, 3, v2
	s_wait_xcnt 0x1
	s_delay_alu instid0(VALU_DEP_1)
	v_mov_b32_e32 v60, v2
	scratch_load_b64 v[2:3], v60, off offset:-8
	s_wait_loadcnt 0x0
	scratch_store_b64 off, v[2:3], off offset:208
	scratch_store_b64 v60, v[0:1], off offset:-8
.LBB91_180:
	s_wait_xcnt 0x0
	v_mov_b32_e32 v0, 0
	global_load_b32 v1, v0, s[8:9] offset:100
	s_wait_loadcnt 0x0
	v_cmp_eq_u32_e32 vcc_lo, 26, v1
	s_cbranch_vccnz .LBB91_182
; %bb.181:
	v_lshlrev_b32_e32 v1, 3, v1
	scratch_load_b64 v[2:3], v1, off offset:-8
	scratch_load_b64 v[60:61], off, off offset:200
	s_wait_loadcnt 0x1
	scratch_store_b64 off, v[2:3], off offset:200
	s_wait_loadcnt 0x0
	scratch_store_b64 v1, v[60:61], off offset:-8
.LBB91_182:
	global_load_b32 v0, v0, s[8:9] offset:96
	s_wait_loadcnt 0x0
	v_cmp_eq_u32_e32 vcc_lo, 25, v0
	s_cbranch_vccnz .LBB91_184
; %bb.183:
	s_wait_xcnt 0x0
	v_lshlrev_b32_e32 v0, 3, v0
	s_delay_alu instid0(VALU_DEP_1)
	v_mov_b32_e32 v60, v0
	scratch_load_b64 v[0:1], v60, off offset:-8
	scratch_load_b64 v[2:3], off, off offset:192
	s_wait_loadcnt 0x1
	scratch_store_b64 off, v[0:1], off offset:192
	s_wait_loadcnt 0x0
	scratch_store_b64 v60, v[2:3], off offset:-8
.LBB91_184:
	s_wait_xcnt 0x0
	v_mov_b32_e32 v0, 0
	global_load_b32 v1, v0, s[8:9] offset:92
	s_wait_loadcnt 0x0
	v_cmp_eq_u32_e32 vcc_lo, 24, v1
	s_cbranch_vccnz .LBB91_186
; %bb.185:
	v_lshlrev_b32_e32 v1, 3, v1
	scratch_load_b64 v[2:3], v1, off offset:-8
	scratch_load_b64 v[60:61], off, off offset:184
	s_wait_loadcnt 0x1
	scratch_store_b64 off, v[2:3], off offset:184
	s_wait_loadcnt 0x0
	scratch_store_b64 v1, v[60:61], off offset:-8
.LBB91_186:
	global_load_b32 v0, v0, s[8:9] offset:88
	s_wait_loadcnt 0x0
	v_cmp_eq_u32_e32 vcc_lo, 23, v0
	s_cbranch_vccnz .LBB91_188
; %bb.187:
	s_wait_xcnt 0x0
	v_lshlrev_b32_e32 v0, 3, v0
	s_delay_alu instid0(VALU_DEP_1)
	v_mov_b32_e32 v60, v0
	scratch_load_b64 v[0:1], v60, off offset:-8
	scratch_load_b64 v[2:3], off, off offset:176
	s_wait_loadcnt 0x1
	scratch_store_b64 off, v[0:1], off offset:176
	s_wait_loadcnt 0x0
	scratch_store_b64 v60, v[2:3], off offset:-8
.LBB91_188:
	;; [unrolled: 31-line block ×12, first 2 shown]
	s_wait_xcnt 0x0
	v_mov_b32_e32 v0, 0
	global_load_b32 v1, v0, s[8:9] offset:4
	s_wait_loadcnt 0x0
	v_cmp_eq_u32_e32 vcc_lo, 2, v1
	s_cbranch_vccnz .LBB91_230
; %bb.229:
	v_lshlrev_b32_e32 v1, 3, v1
	scratch_load_b64 v[2:3], v1, off offset:-8
	scratch_load_b64 v[60:61], off, off offset:8
	s_wait_loadcnt 0x1
	scratch_store_b64 off, v[2:3], off offset:8
	s_wait_loadcnt 0x0
	scratch_store_b64 v1, v[60:61], off offset:-8
.LBB91_230:
	global_load_b32 v0, v0, s[8:9]
	scratch_load_b64 v[60:61], off, off
	s_wait_loadcnt 0x1
	v_cmp_eq_u32_e32 vcc_lo, 1, v0
	s_cbranch_vccnz .LBB91_232
; %bb.231:
	s_wait_xcnt 0x1
	v_lshlrev_b32_e32 v0, 3, v0
	s_delay_alu instid0(VALU_DEP_1)
	v_mov_b32_e32 v2, v0
	scratch_load_b64 v[0:1], v2, off offset:-8
	s_wait_loadcnt 0x0
	scratch_store_b64 off, v[0:1], off
	scratch_store_b64 v2, v[60:61], off offset:-8
	scratch_load_b64 v[60:61], off, off
.LBB91_232:
	s_wait_loadcnt 0x0
	flat_store_b64 v[4:5], v[60:61]
	scratch_load_b64 v[4:5], off, off offset:8
	v_lshl_add_u64 v[84:85], v[8:9], 3, s[2:3]
	v_lshl_add_u64 v[82:83], v[10:11], 3, s[2:3]
	;; [unrolled: 1-line block ×26, first 2 shown]
	s_wait_loadcnt 0x0
	flat_store_b64 v[6:7], v[4:5]
	scratch_load_b64 v[4:5], off, off offset:16
	s_wait_loadcnt 0x0
	flat_store_b64 v[84:85], v[4:5]
	scratch_load_b64 v[4:5], off, off offset:24
	;; [unrolled: 3-line block ×26, first 2 shown]
	s_wait_loadcnt 0x0
	flat_store_b64 v[0:1], v[2:3]
	s_sendmsg sendmsg(MSG_DEALLOC_VGPRS)
	s_endpgm
	.section	.rodata,"a",@progbits
	.p2align	6, 0x0
	.amdhsa_kernel _ZN9rocsolver6v33100L18getri_kernel_smallILi28EdPKPdEEvT1_iilPiilS6_bb
		.amdhsa_group_segment_fixed_size 456
		.amdhsa_private_segment_fixed_size 240
		.amdhsa_kernarg_size 60
		.amdhsa_user_sgpr_count 2
		.amdhsa_user_sgpr_dispatch_ptr 0
		.amdhsa_user_sgpr_queue_ptr 0
		.amdhsa_user_sgpr_kernarg_segment_ptr 1
		.amdhsa_user_sgpr_dispatch_id 0
		.amdhsa_user_sgpr_kernarg_preload_length 0
		.amdhsa_user_sgpr_kernarg_preload_offset 0
		.amdhsa_user_sgpr_private_segment_size 0
		.amdhsa_wavefront_size32 1
		.amdhsa_uses_dynamic_stack 0
		.amdhsa_enable_private_segment 1
		.amdhsa_system_sgpr_workgroup_id_x 1
		.amdhsa_system_sgpr_workgroup_id_y 0
		.amdhsa_system_sgpr_workgroup_id_z 0
		.amdhsa_system_sgpr_workgroup_info 0
		.amdhsa_system_vgpr_workitem_id 0
		.amdhsa_next_free_vgpr 98
		.amdhsa_next_free_sgpr 19
		.amdhsa_named_barrier_count 0
		.amdhsa_reserve_vcc 1
		.amdhsa_float_round_mode_32 0
		.amdhsa_float_round_mode_16_64 0
		.amdhsa_float_denorm_mode_32 3
		.amdhsa_float_denorm_mode_16_64 3
		.amdhsa_fp16_overflow 0
		.amdhsa_memory_ordered 1
		.amdhsa_forward_progress 1
		.amdhsa_inst_pref_size 167
		.amdhsa_round_robin_scheduling 0
		.amdhsa_exception_fp_ieee_invalid_op 0
		.amdhsa_exception_fp_denorm_src 0
		.amdhsa_exception_fp_ieee_div_zero 0
		.amdhsa_exception_fp_ieee_overflow 0
		.amdhsa_exception_fp_ieee_underflow 0
		.amdhsa_exception_fp_ieee_inexact 0
		.amdhsa_exception_int_div_zero 0
	.end_amdhsa_kernel
	.section	.text._ZN9rocsolver6v33100L18getri_kernel_smallILi28EdPKPdEEvT1_iilPiilS6_bb,"axG",@progbits,_ZN9rocsolver6v33100L18getri_kernel_smallILi28EdPKPdEEvT1_iilPiilS6_bb,comdat
.Lfunc_end91:
	.size	_ZN9rocsolver6v33100L18getri_kernel_smallILi28EdPKPdEEvT1_iilPiilS6_bb, .Lfunc_end91-_ZN9rocsolver6v33100L18getri_kernel_smallILi28EdPKPdEEvT1_iilPiilS6_bb
                                        ; -- End function
	.set _ZN9rocsolver6v33100L18getri_kernel_smallILi28EdPKPdEEvT1_iilPiilS6_bb.num_vgpr, 98
	.set _ZN9rocsolver6v33100L18getri_kernel_smallILi28EdPKPdEEvT1_iilPiilS6_bb.num_agpr, 0
	.set _ZN9rocsolver6v33100L18getri_kernel_smallILi28EdPKPdEEvT1_iilPiilS6_bb.numbered_sgpr, 19
	.set _ZN9rocsolver6v33100L18getri_kernel_smallILi28EdPKPdEEvT1_iilPiilS6_bb.num_named_barrier, 0
	.set _ZN9rocsolver6v33100L18getri_kernel_smallILi28EdPKPdEEvT1_iilPiilS6_bb.private_seg_size, 240
	.set _ZN9rocsolver6v33100L18getri_kernel_smallILi28EdPKPdEEvT1_iilPiilS6_bb.uses_vcc, 1
	.set _ZN9rocsolver6v33100L18getri_kernel_smallILi28EdPKPdEEvT1_iilPiilS6_bb.uses_flat_scratch, 1
	.set _ZN9rocsolver6v33100L18getri_kernel_smallILi28EdPKPdEEvT1_iilPiilS6_bb.has_dyn_sized_stack, 0
	.set _ZN9rocsolver6v33100L18getri_kernel_smallILi28EdPKPdEEvT1_iilPiilS6_bb.has_recursion, 0
	.set _ZN9rocsolver6v33100L18getri_kernel_smallILi28EdPKPdEEvT1_iilPiilS6_bb.has_indirect_call, 0
	.section	.AMDGPU.csdata,"",@progbits
; Kernel info:
; codeLenInByte = 21320
; TotalNumSgprs: 21
; NumVgprs: 98
; ScratchSize: 240
; MemoryBound: 0
; FloatMode: 240
; IeeeMode: 1
; LDSByteSize: 456 bytes/workgroup (compile time only)
; SGPRBlocks: 0
; VGPRBlocks: 6
; NumSGPRsForWavesPerEU: 21
; NumVGPRsForWavesPerEU: 98
; NamedBarCnt: 0
; Occupancy: 9
; WaveLimiterHint : 1
; COMPUTE_PGM_RSRC2:SCRATCH_EN: 1
; COMPUTE_PGM_RSRC2:USER_SGPR: 2
; COMPUTE_PGM_RSRC2:TRAP_HANDLER: 0
; COMPUTE_PGM_RSRC2:TGID_X_EN: 1
; COMPUTE_PGM_RSRC2:TGID_Y_EN: 0
; COMPUTE_PGM_RSRC2:TGID_Z_EN: 0
; COMPUTE_PGM_RSRC2:TIDIG_COMP_CNT: 0
	.section	.text._ZN9rocsolver6v33100L18getri_kernel_smallILi29EdPKPdEEvT1_iilPiilS6_bb,"axG",@progbits,_ZN9rocsolver6v33100L18getri_kernel_smallILi29EdPKPdEEvT1_iilPiilS6_bb,comdat
	.globl	_ZN9rocsolver6v33100L18getri_kernel_smallILi29EdPKPdEEvT1_iilPiilS6_bb ; -- Begin function _ZN9rocsolver6v33100L18getri_kernel_smallILi29EdPKPdEEvT1_iilPiilS6_bb
	.p2align	8
	.type	_ZN9rocsolver6v33100L18getri_kernel_smallILi29EdPKPdEEvT1_iilPiilS6_bb,@function
_ZN9rocsolver6v33100L18getri_kernel_smallILi29EdPKPdEEvT1_iilPiilS6_bb: ; @_ZN9rocsolver6v33100L18getri_kernel_smallILi29EdPKPdEEvT1_iilPiilS6_bb
; %bb.0:
	s_mov_b32 s2, exec_lo
	v_cmpx_gt_u32_e32 29, v0
	s_cbranch_execz .LBB92_126
; %bb.1:
	s_clause 0x1
	s_load_b32 s13, s[0:1], 0x38
	s_load_b64 s[2:3], s[0:1], 0x0
	s_getreg_b32 s6, hwreg(HW_REG_IB_STS2, 6, 4)
	s_wait_kmcnt 0x0
	s_bitcmp1_b32 s13, 8
	s_cselect_b32 s12, -1, 0
	s_bfe_u32 s4, ttmp6, 0x4000c
	s_and_b32 s5, ttmp6, 15
	s_add_co_i32 s4, s4, 1
	s_delay_alu instid0(SALU_CYCLE_1) | instskip(NEXT) | instid1(SALU_CYCLE_1)
	s_mul_i32 s4, ttmp9, s4
	s_add_co_i32 s5, s5, s4
	s_cmp_eq_u32 s6, 0
	s_cselect_b32 s10, ttmp9, s5
	s_load_b128 s[4:7], s[0:1], 0x28
	s_ashr_i32 s11, s10, 31
	s_delay_alu instid0(SALU_CYCLE_1) | instskip(NEXT) | instid1(SALU_CYCLE_1)
	s_lshl_b64 s[8:9], s[10:11], 3
	s_add_nc_u64 s[2:3], s[2:3], s[8:9]
	s_bfe_u32 s8, s13, 0x10008
	s_load_b64 s[2:3], s[2:3], 0x0
	s_cmp_eq_u32 s8, 0
                                        ; implicit-def: $sgpr8_sgpr9
	s_cbranch_scc1 .LBB92_3
; %bb.2:
	s_load_b96 s[16:18], s[0:1], 0x18
	s_wait_kmcnt 0x0
	s_mul_u64 s[4:5], s[4:5], s[10:11]
	s_delay_alu instid0(SALU_CYCLE_1) | instskip(SKIP_4) | instid1(SALU_CYCLE_1)
	s_lshl_b64 s[4:5], s[4:5], 2
	s_ashr_i32 s9, s18, 31
	s_mov_b32 s8, s18
	s_add_nc_u64 s[4:5], s[16:17], s[4:5]
	s_lshl_b64 s[8:9], s[8:9], 2
	s_add_nc_u64 s[8:9], s[4:5], s[8:9]
.LBB92_3:
	s_wait_kmcnt 0x0
	s_clause 0x1
	s_load_b64 s[4:5], s[0:1], 0x8
	s_load_b32 s13, s[0:1], 0x38
	v_dual_mov_b32 v3, 0 :: v_dual_lshlrev_b32 v2, 3, v0
	s_wait_kmcnt 0x0
	s_ashr_i32 s1, s4, 31
	s_mov_b32 s0, s4
	s_delay_alu instid0(SALU_CYCLE_1) | instskip(NEXT) | instid1(SALU_CYCLE_1)
	s_lshl_b64 s[0:1], s[0:1], 3
	s_add_nc_u64 s[2:3], s[2:3], s[0:1]
	s_ashr_i32 s1, s5, 31
	flat_load_b64 v[8:9], v0, s[2:3] scale_offset
	v_add_nc_u64_e32 v[4:5], s[2:3], v[2:3]
	s_mov_b32 s0, s5
	s_bitcmp0_b32 s13, 0
	s_delay_alu instid0(VALU_DEP_1)
	v_lshl_add_u64 v[6:7], s[0:1], 3, v[4:5]
	s_mov_b32 s1, -1
	s_wait_loadcnt_dscnt 0x0
	scratch_store_b64 off, v[8:9], off
	flat_load_b64 v[10:11], v[6:7]
	s_wait_xcnt 0x1
	v_add3_u32 v8, s5, s5, v0
	s_wait_loadcnt_dscnt 0x0
	scratch_store_b64 off, v[10:11], off offset:8
	flat_load_b64 v[12:13], v8, s[2:3] scale_offset
	s_wait_xcnt 0x1
	v_add_nc_u32_e32 v10, s5, v8
	s_wait_loadcnt_dscnt 0x0
	scratch_store_b64 off, v[12:13], off offset:16
	flat_load_b64 v[14:15], v10, s[2:3] scale_offset
	s_wait_xcnt 0x1
	v_add_nc_u32_e32 v12, s5, v10
	;; [unrolled: 5-line block ×26, first 2 shown]
	s_wait_loadcnt_dscnt 0x0
	scratch_store_b64 off, v[62:63], off offset:216
	flat_load_b64 v[62:63], v60, s[2:3] scale_offset
	s_wait_loadcnt_dscnt 0x0
	scratch_store_b64 off, v[62:63], off offset:224
	s_cbranch_scc1 .LBB92_124
; %bb.4:
	v_cmp_eq_u32_e64 s0, 0, v0
	s_wait_xcnt 0x0
	s_and_saveexec_b32 s1, s0
; %bb.5:
	v_mov_b32_e32 v1, 0
	ds_store_b32 v1, v1 offset:232
; %bb.6:
	s_or_b32 exec_lo, exec_lo, s1
	s_wait_storecnt_dscnt 0x0
	s_barrier_signal -1
	s_barrier_wait -1
	scratch_load_b64 v[62:63], v0, off scale_offset
	s_mov_b32 s4, exec_lo
	s_wait_loadcnt 0x0
	v_cmpx_eq_f64_e32 0, v[62:63]
	s_cbranch_execz .LBB92_10
; %bb.7:
	v_mov_b32_e32 v1, 0
	s_mov_b32 s5, 0
	ds_load_b32 v3, v1 offset:232
	s_wait_dscnt 0x0
	v_readfirstlane_b32 s1, v3
	v_add_nc_u32_e32 v3, 1, v0
	s_cmp_eq_u32 s1, 0
	s_delay_alu instid0(VALU_DEP_1) | instskip(SKIP_1) | instid1(SALU_CYCLE_1)
	v_cmp_gt_i32_e32 vcc_lo, s1, v3
	s_cselect_b32 s13, -1, 0
	s_or_b32 s13, s13, vcc_lo
	s_delay_alu instid0(SALU_CYCLE_1)
	s_and_b32 exec_lo, exec_lo, s13
	s_cbranch_execz .LBB92_10
; %bb.8:
	v_mov_b32_e32 v9, s1
.LBB92_9:                               ; =>This Inner Loop Header: Depth=1
	ds_cmpstore_rtn_b32 v9, v1, v3, v9 offset:232
	s_wait_dscnt 0x0
	v_cmp_ne_u32_e32 vcc_lo, 0, v9
	v_cmp_le_i32_e64 s1, v9, v3
	s_and_b32 s1, vcc_lo, s1
	s_delay_alu instid0(SALU_CYCLE_1) | instskip(NEXT) | instid1(SALU_CYCLE_1)
	s_and_b32 s1, exec_lo, s1
	s_or_b32 s5, s1, s5
	s_delay_alu instid0(SALU_CYCLE_1)
	s_and_not1_b32 exec_lo, exec_lo, s5
	s_cbranch_execnz .LBB92_9
.LBB92_10:
	s_or_b32 exec_lo, exec_lo, s4
	v_mov_b32_e32 v1, 0
	s_barrier_signal -1
	s_barrier_wait -1
	ds_load_b32 v3, v1 offset:232
	s_and_saveexec_b32 s1, s0
	s_cbranch_execz .LBB92_12
; %bb.11:
	s_lshl_b64 s[4:5], s[10:11], 2
	s_delay_alu instid0(SALU_CYCLE_1)
	s_add_nc_u64 s[4:5], s[6:7], s[4:5]
	s_wait_dscnt 0x0
	global_store_b32 v1, v3, s[4:5]
.LBB92_12:
	s_wait_xcnt 0x0
	s_or_b32 exec_lo, exec_lo, s1
	s_wait_dscnt 0x0
	v_cmp_ne_u32_e32 vcc_lo, 0, v3
	s_mov_b32 s1, 0
	s_cbranch_vccnz .LBB92_124
; %bb.13:
	v_lshl_add_u32 v3, v0, 3, 0
	v_add_nc_u32_e32 v1, 0xf0, v2
	scratch_load_b64 v[62:63], v3, off
	s_wait_loadcnt 0x0
	v_div_scale_f64 v[64:65], null, v[62:63], v[62:63], 1.0
	v_div_scale_f64 v[70:71], vcc_lo, 1.0, v[62:63], 1.0
	s_delay_alu instid0(VALU_DEP_2) | instskip(SKIP_1) | instid1(TRANS32_DEP_1)
	v_rcp_f64_e32 v[66:67], v[64:65]
	v_nop
	v_fma_f64 v[68:69], -v[64:65], v[66:67], 1.0
	s_delay_alu instid0(VALU_DEP_1) | instskip(NEXT) | instid1(VALU_DEP_1)
	v_fmac_f64_e32 v[66:67], v[66:67], v[68:69]
	v_fma_f64 v[68:69], -v[64:65], v[66:67], 1.0
	s_delay_alu instid0(VALU_DEP_1) | instskip(NEXT) | instid1(VALU_DEP_1)
	v_fmac_f64_e32 v[66:67], v[66:67], v[68:69]
	v_mul_f64_e32 v[68:69], v[70:71], v[66:67]
	s_delay_alu instid0(VALU_DEP_1) | instskip(NEXT) | instid1(VALU_DEP_1)
	v_fma_f64 v[64:65], -v[64:65], v[68:69], v[70:71]
	v_div_fmas_f64 v[64:65], v[64:65], v[66:67], v[68:69]
	s_delay_alu instid0(VALU_DEP_1)
	v_div_fixup_f64 v[62:63], v[64:65], v[62:63], 1.0
	scratch_store_b64 v3, v[62:63], off
	scratch_load_b64 v[64:65], off, off offset:8
	s_wait_xcnt 0x1
	v_xor_b32_e32 v63, 0x80000000, v63
	s_wait_loadcnt 0x0
	ds_store_2addr_b64 v2, v[62:63], v[64:65] offset1:30
	s_wait_storecnt_dscnt 0x0
	s_barrier_signal -1
	s_barrier_wait -1
	s_wait_xcnt 0x0
	s_and_saveexec_b32 s1, s0
	s_cbranch_execz .LBB92_15
; %bb.14:
	scratch_load_b64 v[62:63], v3, off
	ds_load_b64 v[64:65], v1
	s_wait_loadcnt_dscnt 0x0
	v_fma_f64 v[62:63], v[62:63], v[64:65], 0
	v_mov_b32_e32 v9, 0
	ds_load_b64 v[66:67], v9 offset:8
	s_wait_dscnt 0x0
	v_mul_f64_e32 v[62:63], v[62:63], v[66:67]
	scratch_store_b64 off, v[62:63], off offset:8
.LBB92_15:
	s_wait_xcnt 0x0
	s_or_b32 exec_lo, exec_lo, s1
	s_wait_storecnt 0x0
	s_barrier_signal -1
	s_barrier_wait -1
	scratch_load_b64 v[62:63], off, off offset:16
	s_mov_b32 s1, exec_lo
	s_wait_loadcnt 0x0
	ds_store_b64 v1, v[62:63]
	s_wait_dscnt 0x0
	s_barrier_signal -1
	s_barrier_wait -1
	v_cmpx_gt_u32_e32 2, v0
	s_cbranch_execz .LBB92_19
; %bb.16:
	scratch_load_b64 v[62:63], v3, off
	ds_load_b64 v[64:65], v1
	s_wait_loadcnt_dscnt 0x0
	v_fma_f64 v[62:63], v[62:63], v[64:65], 0
	s_and_saveexec_b32 s4, s0
	s_cbranch_execz .LBB92_18
; %bb.17:
	scratch_load_b64 v[64:65], off, off offset:8
	v_mov_b32_e32 v3, 0
	ds_load_b64 v[66:67], v3 offset:248
	s_wait_loadcnt_dscnt 0x0
	v_fmac_f64_e32 v[62:63], v[64:65], v[66:67]
.LBB92_18:
	s_or_b32 exec_lo, exec_lo, s4
	v_mov_b32_e32 v3, 0
	ds_load_b64 v[64:65], v3 offset:16
	s_wait_dscnt 0x0
	v_mul_f64_e32 v[62:63], v[62:63], v[64:65]
	scratch_store_b64 off, v[62:63], off offset:16
.LBB92_19:
	s_wait_xcnt 0x0
	s_or_b32 exec_lo, exec_lo, s1
	s_wait_storecnt 0x0
	s_barrier_signal -1
	s_barrier_wait -1
	scratch_load_b64 v[62:63], off, off offset:24
	v_add_nc_u32_e32 v3, -1, v0
	s_mov_b32 s0, exec_lo
	s_wait_loadcnt 0x0
	ds_store_b64 v1, v[62:63]
	s_wait_dscnt 0x0
	s_barrier_signal -1
	s_barrier_wait -1
	v_cmpx_gt_u32_e32 3, v0
	s_cbranch_execz .LBB92_23
; %bb.20:
	v_mov_b64_e32 v[62:63], 0
	v_dual_add_nc_u32 v9, -1, v0 :: v_dual_mov_b32 v13, v2
	v_add_nc_u32_e32 v11, 0xf0, v2
	s_mov_b32 s1, 0
.LBB92_21:                              ; =>This Inner Loop Header: Depth=1
	scratch_load_b64 v[64:65], v13, off
	ds_load_b64 v[66:67], v11
	v_dual_add_nc_u32 v9, 1, v9 :: v_dual_add_nc_u32 v11, 8, v11
	s_wait_xcnt 0x0
	v_add_nc_u32_e32 v13, 8, v13
	s_delay_alu instid0(VALU_DEP_2)
	v_cmp_lt_u32_e32 vcc_lo, 1, v9
	s_or_b32 s1, vcc_lo, s1
	s_wait_loadcnt_dscnt 0x0
	v_fmac_f64_e32 v[62:63], v[64:65], v[66:67]
	s_and_not1_b32 exec_lo, exec_lo, s1
	s_cbranch_execnz .LBB92_21
; %bb.22:
	s_or_b32 exec_lo, exec_lo, s1
	v_mov_b32_e32 v9, 0
	ds_load_b64 v[64:65], v9 offset:24
	s_wait_dscnt 0x0
	v_mul_f64_e32 v[62:63], v[62:63], v[64:65]
	scratch_store_b64 off, v[62:63], off offset:24
.LBB92_23:
	s_wait_xcnt 0x0
	s_or_b32 exec_lo, exec_lo, s0
	s_wait_storecnt 0x0
	s_barrier_signal -1
	s_barrier_wait -1
	scratch_load_b64 v[62:63], off, off offset:32
	s_mov_b32 s0, exec_lo
	s_wait_loadcnt 0x0
	ds_store_b64 v1, v[62:63]
	s_wait_dscnt 0x0
	s_barrier_signal -1
	s_barrier_wait -1
	v_cmpx_gt_u32_e32 4, v0
	s_cbranch_execz .LBB92_27
; %bb.24:
	v_mov_b64_e32 v[62:63], 0
	v_dual_add_nc_u32 v9, -1, v0 :: v_dual_mov_b32 v13, v2
	v_add_nc_u32_e32 v11, 0xf0, v2
	s_mov_b32 s1, 0
.LBB92_25:                              ; =>This Inner Loop Header: Depth=1
	scratch_load_b64 v[64:65], v13, off
	ds_load_b64 v[66:67], v11
	v_dual_add_nc_u32 v9, 1, v9 :: v_dual_add_nc_u32 v11, 8, v11
	s_wait_xcnt 0x0
	v_add_nc_u32_e32 v13, 8, v13
	s_delay_alu instid0(VALU_DEP_2)
	v_cmp_lt_u32_e32 vcc_lo, 2, v9
	s_or_b32 s1, vcc_lo, s1
	s_wait_loadcnt_dscnt 0x0
	v_fmac_f64_e32 v[62:63], v[64:65], v[66:67]
	s_and_not1_b32 exec_lo, exec_lo, s1
	s_cbranch_execnz .LBB92_25
; %bb.26:
	s_or_b32 exec_lo, exec_lo, s1
	v_mov_b32_e32 v9, 0
	ds_load_b64 v[64:65], v9 offset:32
	s_wait_dscnt 0x0
	v_mul_f64_e32 v[62:63], v[62:63], v[64:65]
	scratch_store_b64 off, v[62:63], off offset:32
.LBB92_27:
	s_wait_xcnt 0x0
	s_or_b32 exec_lo, exec_lo, s0
	s_wait_storecnt 0x0
	s_barrier_signal -1
	s_barrier_wait -1
	scratch_load_b64 v[62:63], off, off offset:40
	;; [unrolled: 40-line block ×20, first 2 shown]
	s_mov_b32 s0, exec_lo
	s_wait_loadcnt 0x0
	ds_store_b64 v1, v[62:63]
	s_wait_dscnt 0x0
	s_barrier_signal -1
	s_barrier_wait -1
	v_cmpx_gt_u32_e32 23, v0
	s_cbranch_execz .LBB92_103
; %bb.100:
	v_mov_b64_e32 v[62:63], 0
	v_dual_add_nc_u32 v9, -1, v0 :: v_dual_mov_b32 v13, v2
	v_add_nc_u32_e32 v11, 0xf0, v2
	s_mov_b32 s1, 0
.LBB92_101:                             ; =>This Inner Loop Header: Depth=1
	scratch_load_b64 v[64:65], v13, off
	ds_load_b64 v[66:67], v11
	v_dual_add_nc_u32 v9, 1, v9 :: v_dual_add_nc_u32 v11, 8, v11
	s_wait_xcnt 0x0
	v_add_nc_u32_e32 v13, 8, v13
	s_delay_alu instid0(VALU_DEP_2)
	v_cmp_lt_u32_e32 vcc_lo, 21, v9
	s_or_b32 s1, vcc_lo, s1
	s_wait_loadcnt_dscnt 0x0
	v_fmac_f64_e32 v[62:63], v[64:65], v[66:67]
	s_and_not1_b32 exec_lo, exec_lo, s1
	s_cbranch_execnz .LBB92_101
; %bb.102:
	s_or_b32 exec_lo, exec_lo, s1
	v_mov_b32_e32 v9, 0
	ds_load_b64 v[64:65], v9 offset:184
	s_wait_dscnt 0x0
	v_mul_f64_e32 v[62:63], v[62:63], v[64:65]
	scratch_store_b64 off, v[62:63], off offset:184
.LBB92_103:
	s_wait_xcnt 0x0
	s_or_b32 exec_lo, exec_lo, s0
	s_wait_storecnt 0x0
	s_barrier_signal -1
	s_barrier_wait -1
	scratch_load_b64 v[62:63], off, off offset:192
	s_mov_b32 s0, exec_lo
	s_wait_loadcnt 0x0
	ds_store_b64 v1, v[62:63]
	s_wait_dscnt 0x0
	s_barrier_signal -1
	s_barrier_wait -1
	v_cmpx_gt_u32_e32 24, v0
	s_cbranch_execz .LBB92_107
; %bb.104:
	v_mov_b64_e32 v[62:63], 0
	v_dual_add_nc_u32 v9, -1, v0 :: v_dual_mov_b32 v13, v2
	v_add_nc_u32_e32 v11, 0xf0, v2
	s_mov_b32 s1, 0
.LBB92_105:                             ; =>This Inner Loop Header: Depth=1
	scratch_load_b64 v[64:65], v13, off
	ds_load_b64 v[66:67], v11
	v_dual_add_nc_u32 v9, 1, v9 :: v_dual_add_nc_u32 v11, 8, v11
	s_wait_xcnt 0x0
	v_add_nc_u32_e32 v13, 8, v13
	s_delay_alu instid0(VALU_DEP_2)
	v_cmp_lt_u32_e32 vcc_lo, 22, v9
	s_or_b32 s1, vcc_lo, s1
	s_wait_loadcnt_dscnt 0x0
	v_fmac_f64_e32 v[62:63], v[64:65], v[66:67]
	s_and_not1_b32 exec_lo, exec_lo, s1
	s_cbranch_execnz .LBB92_105
; %bb.106:
	s_or_b32 exec_lo, exec_lo, s1
	v_mov_b32_e32 v9, 0
	ds_load_b64 v[64:65], v9 offset:192
	s_wait_dscnt 0x0
	v_mul_f64_e32 v[62:63], v[62:63], v[64:65]
	scratch_store_b64 off, v[62:63], off offset:192
.LBB92_107:
	s_wait_xcnt 0x0
	s_or_b32 exec_lo, exec_lo, s0
	s_wait_storecnt 0x0
	s_barrier_signal -1
	s_barrier_wait -1
	scratch_load_b64 v[62:63], off, off offset:200
	;; [unrolled: 40-line block ×5, first 2 shown]
	s_mov_b32 s0, exec_lo
	s_wait_loadcnt 0x0
	ds_store_b64 v1, v[62:63]
	s_wait_dscnt 0x0
	s_barrier_signal -1
	s_barrier_wait -1
	v_cmpx_ne_u32_e32 28, v0
	s_cbranch_execz .LBB92_123
; %bb.120:
	v_mov_b64_e32 v[62:63], 0
	s_mov_b32 s1, 0
.LBB92_121:                             ; =>This Inner Loop Header: Depth=1
	scratch_load_b64 v[64:65], v2, off
	ds_load_b64 v[66:67], v1
	v_dual_add_nc_u32 v3, 1, v3 :: v_dual_add_nc_u32 v1, 8, v1
	s_wait_xcnt 0x0
	v_add_nc_u32_e32 v2, 8, v2
	s_delay_alu instid0(VALU_DEP_2)
	v_cmp_lt_u32_e32 vcc_lo, 26, v3
	s_or_b32 s1, vcc_lo, s1
	s_wait_loadcnt_dscnt 0x0
	v_fmac_f64_e32 v[62:63], v[64:65], v[66:67]
	s_and_not1_b32 exec_lo, exec_lo, s1
	s_cbranch_execnz .LBB92_121
; %bb.122:
	s_or_b32 exec_lo, exec_lo, s1
	v_mov_b32_e32 v1, 0
	ds_load_b64 v[2:3], v1 offset:224
	s_wait_dscnt 0x0
	v_mul_f64_e32 v[2:3], v[62:63], v[2:3]
	scratch_store_b64 off, v[2:3], off offset:224
.LBB92_123:
	s_wait_xcnt 0x0
	s_or_b32 exec_lo, exec_lo, s0
	s_mov_b32 s1, -1
	s_wait_storecnt 0x0
	s_barrier_signal -1
	s_barrier_wait -1
.LBB92_124:
	s_and_b32 vcc_lo, exec_lo, s1
	s_cbranch_vccz .LBB92_126
; %bb.125:
	v_mov_b32_e32 v1, 0
	s_lshl_b64 s[0:1], s[10:11], 2
	s_delay_alu instid0(SALU_CYCLE_1)
	s_add_nc_u64 s[0:1], s[6:7], s[0:1]
	global_load_b32 v1, v1, s[0:1]
	s_wait_loadcnt 0x0
	v_cmp_ne_u32_e32 vcc_lo, 0, v1
	s_cbranch_vccz .LBB92_127
.LBB92_126:
	s_sendmsg sendmsg(MSG_DEALLOC_VGPRS)
	s_endpgm
.LBB92_127:
	s_wait_xcnt 0x0
	v_lshl_add_u32 v1, v0, 3, 0xf0
	s_mov_b32 s0, exec_lo
	v_cmpx_eq_u32_e32 28, v0
	s_cbranch_execz .LBB92_129
; %bb.128:
	scratch_load_b64 v[2:3], off, off offset:216
	v_mov_b64_e32 v[62:63], 0
	scratch_store_b64 off, v[62:63], off offset:216
	s_wait_loadcnt 0x0
	ds_store_b64 v1, v[2:3]
.LBB92_129:
	s_wait_xcnt 0x0
	s_or_b32 exec_lo, exec_lo, s0
	s_wait_storecnt_dscnt 0x0
	s_barrier_signal -1
	s_barrier_wait -1
	scratch_load_b128 v[62:65], off, off offset:216
	v_mov_b32_e32 v2, 0
	s_mov_b32 s0, exec_lo
	ds_load_b64 v[66:67], v2 offset:464
	s_wait_loadcnt_dscnt 0x0
	v_fma_f64 v[64:65], v[64:65], v[66:67], 0
	s_delay_alu instid0(VALU_DEP_1)
	v_add_f64_e64 v[62:63], v[62:63], -v[64:65]
	scratch_store_b64 off, v[62:63], off offset:216
	s_wait_xcnt 0x0
	v_cmpx_lt_u32_e32 26, v0
	s_cbranch_execz .LBB92_131
; %bb.130:
	scratch_load_b64 v[62:63], off, off offset:208
	v_mov_b64_e32 v[64:65], 0
	scratch_store_b64 off, v[64:65], off offset:208
	s_wait_loadcnt 0x0
	ds_store_b64 v1, v[62:63]
.LBB92_131:
	s_wait_xcnt 0x0
	s_or_b32 exec_lo, exec_lo, s0
	s_wait_storecnt_dscnt 0x0
	s_barrier_signal -1
	s_barrier_wait -1
	s_clause 0x1
	scratch_load_b128 v[62:65], off, off offset:208
	scratch_load_b64 v[70:71], off, off offset:224
	ds_load_2addr_b64 v[66:69], v2 offset0:57 offset1:58
	s_mov_b32 s0, exec_lo
	s_wait_loadcnt_dscnt 0x100
	v_fma_f64 v[2:3], v[64:65], v[66:67], 0
	s_wait_loadcnt 0x0
	s_delay_alu instid0(VALU_DEP_1) | instskip(NEXT) | instid1(VALU_DEP_1)
	v_fmac_f64_e32 v[2:3], v[70:71], v[68:69]
	v_add_f64_e64 v[2:3], v[62:63], -v[2:3]
	scratch_store_b64 off, v[2:3], off offset:208
	s_wait_xcnt 0x0
	v_cmpx_lt_u32_e32 25, v0
	s_cbranch_execz .LBB92_133
; %bb.132:
	scratch_load_b64 v[2:3], off, off offset:200
	v_mov_b64_e32 v[62:63], 0
	scratch_store_b64 off, v[62:63], off offset:200
	s_wait_loadcnt 0x0
	ds_store_b64 v1, v[2:3]
.LBB92_133:
	s_wait_xcnt 0x0
	s_or_b32 exec_lo, exec_lo, s0
	s_wait_storecnt_dscnt 0x0
	s_barrier_signal -1
	s_barrier_wait -1
	s_clause 0x1
	scratch_load_b128 v[62:65], off, off offset:200
	scratch_load_b128 v[66:69], off, off offset:216
	v_mov_b32_e32 v2, 0
	ds_load_b128 v[70:73], v2 offset:448
	ds_load_b64 v[74:75], v2 offset:464
	s_mov_b32 s0, exec_lo
	s_wait_loadcnt_dscnt 0x101
	v_fma_f64 v[64:65], v[64:65], v[70:71], 0
	s_wait_loadcnt 0x0
	s_delay_alu instid0(VALU_DEP_1) | instskip(SKIP_1) | instid1(VALU_DEP_1)
	v_fmac_f64_e32 v[64:65], v[66:67], v[72:73]
	s_wait_dscnt 0x0
	v_fmac_f64_e32 v[64:65], v[68:69], v[74:75]
	s_delay_alu instid0(VALU_DEP_1)
	v_add_f64_e64 v[62:63], v[62:63], -v[64:65]
	scratch_store_b64 off, v[62:63], off offset:200
	s_wait_xcnt 0x0
	v_cmpx_lt_u32_e32 24, v0
	s_cbranch_execz .LBB92_135
; %bb.134:
	scratch_load_b64 v[62:63], off, off offset:192
	v_mov_b64_e32 v[64:65], 0
	scratch_store_b64 off, v[64:65], off offset:192
	s_wait_loadcnt 0x0
	ds_store_b64 v1, v[62:63]
.LBB92_135:
	s_wait_xcnt 0x0
	s_or_b32 exec_lo, exec_lo, s0
	s_wait_storecnt_dscnt 0x0
	s_barrier_signal -1
	s_barrier_wait -1
	s_clause 0x2
	scratch_load_b128 v[62:65], off, off offset:192
	scratch_load_b128 v[66:69], off, off offset:208
	scratch_load_b64 v[78:79], off, off offset:224
	ds_load_2addr_b64 v[70:73], v2 offset0:55 offset1:56
	ds_load_2addr_b64 v[74:77], v2 offset0:57 offset1:58
	s_mov_b32 s0, exec_lo
	s_wait_loadcnt_dscnt 0x201
	v_fma_f64 v[2:3], v[64:65], v[70:71], 0
	s_wait_loadcnt 0x1
	s_delay_alu instid0(VALU_DEP_1) | instskip(SKIP_1) | instid1(VALU_DEP_1)
	v_fmac_f64_e32 v[2:3], v[66:67], v[72:73]
	s_wait_dscnt 0x0
	v_fmac_f64_e32 v[2:3], v[68:69], v[74:75]
	s_wait_loadcnt 0x0
	s_delay_alu instid0(VALU_DEP_1) | instskip(NEXT) | instid1(VALU_DEP_1)
	v_fmac_f64_e32 v[2:3], v[78:79], v[76:77]
	v_add_f64_e64 v[2:3], v[62:63], -v[2:3]
	scratch_store_b64 off, v[2:3], off offset:192
	s_wait_xcnt 0x0
	v_cmpx_lt_u32_e32 23, v0
	s_cbranch_execz .LBB92_137
; %bb.136:
	scratch_load_b64 v[2:3], off, off offset:184
	v_mov_b64_e32 v[62:63], 0
	scratch_store_b64 off, v[62:63], off offset:184
	s_wait_loadcnt 0x0
	ds_store_b64 v1, v[2:3]
.LBB92_137:
	s_wait_xcnt 0x0
	s_or_b32 exec_lo, exec_lo, s0
	s_wait_storecnt_dscnt 0x0
	s_barrier_signal -1
	s_barrier_wait -1
	s_clause 0x2
	scratch_load_b128 v[62:65], off, off offset:184
	scratch_load_b128 v[66:69], off, off offset:200
	;; [unrolled: 1-line block ×3, first 2 shown]
	v_mov_b32_e32 v2, 0
	ds_load_b128 v[74:77], v2 offset:432
	ds_load_b128 v[78:81], v2 offset:448
	s_mov_b32 s0, exec_lo
	s_wait_loadcnt_dscnt 0x201
	v_fma_f64 v[64:65], v[64:65], v[74:75], 0
	s_wait_loadcnt 0x1
	s_delay_alu instid0(VALU_DEP_1) | instskip(SKIP_4) | instid1(VALU_DEP_1)
	v_fmac_f64_e32 v[64:65], v[66:67], v[76:77]
	ds_load_b64 v[66:67], v2 offset:464
	s_wait_dscnt 0x1
	v_fmac_f64_e32 v[64:65], v[68:69], v[78:79]
	s_wait_loadcnt 0x0
	v_fmac_f64_e32 v[64:65], v[70:71], v[80:81]
	s_wait_dscnt 0x0
	s_delay_alu instid0(VALU_DEP_1) | instskip(NEXT) | instid1(VALU_DEP_1)
	v_fmac_f64_e32 v[64:65], v[72:73], v[66:67]
	v_add_f64_e64 v[62:63], v[62:63], -v[64:65]
	scratch_store_b64 off, v[62:63], off offset:184
	s_wait_xcnt 0x0
	v_cmpx_lt_u32_e32 22, v0
	s_cbranch_execz .LBB92_139
; %bb.138:
	scratch_load_b64 v[62:63], off, off offset:176
	v_mov_b64_e32 v[64:65], 0
	scratch_store_b64 off, v[64:65], off offset:176
	s_wait_loadcnt 0x0
	ds_store_b64 v1, v[62:63]
.LBB92_139:
	s_wait_xcnt 0x0
	s_or_b32 exec_lo, exec_lo, s0
	s_wait_storecnt_dscnt 0x0
	s_barrier_signal -1
	s_barrier_wait -1
	s_clause 0x3
	scratch_load_b128 v[62:65], off, off offset:176
	scratch_load_b128 v[66:69], off, off offset:192
	;; [unrolled: 1-line block ×3, first 2 shown]
	scratch_load_b64 v[82:83], off, off offset:224
	ds_load_2addr_b64 v[74:77], v2 offset0:53 offset1:54
	ds_load_2addr_b64 v[78:81], v2 offset0:55 offset1:56
	s_mov_b32 s0, exec_lo
	s_wait_loadcnt_dscnt 0x301
	v_fma_f64 v[74:75], v[64:65], v[74:75], 0
	s_wait_loadcnt 0x2
	s_delay_alu instid0(VALU_DEP_1) | instskip(SKIP_4) | instid1(VALU_DEP_1)
	v_fmac_f64_e32 v[74:75], v[66:67], v[76:77]
	ds_load_2addr_b64 v[64:67], v2 offset0:57 offset1:58
	s_wait_dscnt 0x1
	v_fmac_f64_e32 v[74:75], v[68:69], v[78:79]
	s_wait_loadcnt 0x1
	v_fmac_f64_e32 v[74:75], v[70:71], v[80:81]
	s_wait_dscnt 0x0
	s_delay_alu instid0(VALU_DEP_1) | instskip(SKIP_1) | instid1(VALU_DEP_1)
	v_fmac_f64_e32 v[74:75], v[72:73], v[64:65]
	s_wait_loadcnt 0x0
	v_fmac_f64_e32 v[74:75], v[82:83], v[66:67]
	s_delay_alu instid0(VALU_DEP_1)
	v_add_f64_e64 v[2:3], v[62:63], -v[74:75]
	scratch_store_b64 off, v[2:3], off offset:176
	s_wait_xcnt 0x0
	v_cmpx_lt_u32_e32 21, v0
	s_cbranch_execz .LBB92_141
; %bb.140:
	scratch_load_b64 v[2:3], off, off offset:168
	v_mov_b64_e32 v[62:63], 0
	scratch_store_b64 off, v[62:63], off offset:168
	s_wait_loadcnt 0x0
	ds_store_b64 v1, v[2:3]
.LBB92_141:
	s_wait_xcnt 0x0
	s_or_b32 exec_lo, exec_lo, s0
	s_wait_storecnt_dscnt 0x0
	s_barrier_signal -1
	s_barrier_wait -1
	s_clause 0x3
	scratch_load_b128 v[62:65], off, off offset:168
	scratch_load_b128 v[66:69], off, off offset:184
	;; [unrolled: 1-line block ×4, first 2 shown]
	v_mov_b32_e32 v2, 0
	ds_load_b128 v[78:81], v2 offset:416
	ds_load_b128 v[82:85], v2 offset:432
	s_mov_b32 s0, exec_lo
	s_wait_loadcnt_dscnt 0x301
	v_fma_f64 v[78:79], v[64:65], v[78:79], 0
	s_wait_loadcnt 0x2
	s_delay_alu instid0(VALU_DEP_1) | instskip(SKIP_1) | instid1(VALU_DEP_1)
	v_fmac_f64_e32 v[78:79], v[66:67], v[80:81]
	s_wait_dscnt 0x0
	v_fmac_f64_e32 v[78:79], v[68:69], v[82:83]
	ds_load_b128 v[64:67], v2 offset:448
	ds_load_b64 v[68:69], v2 offset:464
	s_wait_loadcnt 0x1
	v_fmac_f64_e32 v[78:79], v[70:71], v[84:85]
	s_wait_dscnt 0x1
	s_delay_alu instid0(VALU_DEP_1) | instskip(SKIP_1) | instid1(VALU_DEP_1)
	v_fmac_f64_e32 v[78:79], v[72:73], v[64:65]
	s_wait_loadcnt 0x0
	v_fmac_f64_e32 v[78:79], v[74:75], v[66:67]
	s_wait_dscnt 0x0
	s_delay_alu instid0(VALU_DEP_1) | instskip(NEXT) | instid1(VALU_DEP_1)
	v_fmac_f64_e32 v[78:79], v[76:77], v[68:69]
	v_add_f64_e64 v[62:63], v[62:63], -v[78:79]
	scratch_store_b64 off, v[62:63], off offset:168
	s_wait_xcnt 0x0
	v_cmpx_lt_u32_e32 20, v0
	s_cbranch_execz .LBB92_143
; %bb.142:
	scratch_load_b64 v[62:63], off, off offset:160
	v_mov_b64_e32 v[64:65], 0
	scratch_store_b64 off, v[64:65], off offset:160
	s_wait_loadcnt 0x0
	ds_store_b64 v1, v[62:63]
.LBB92_143:
	s_wait_xcnt 0x0
	s_or_b32 exec_lo, exec_lo, s0
	s_wait_storecnt_dscnt 0x0
	s_barrier_signal -1
	s_barrier_wait -1
	s_clause 0x4
	scratch_load_b128 v[62:65], off, off offset:160
	scratch_load_b128 v[66:69], off, off offset:176
	scratch_load_b128 v[70:73], off, off offset:192
	scratch_load_b128 v[74:77], off, off offset:208
	scratch_load_b64 v[86:87], off, off offset:224
	ds_load_2addr_b64 v[78:81], v2 offset0:51 offset1:52
	ds_load_2addr_b64 v[82:85], v2 offset0:53 offset1:54
	s_mov_b32 s0, exec_lo
	s_wait_loadcnt_dscnt 0x401
	v_fma_f64 v[78:79], v[64:65], v[78:79], 0
	s_wait_loadcnt 0x3
	s_delay_alu instid0(VALU_DEP_1) | instskip(SKIP_1) | instid1(VALU_DEP_1)
	v_fmac_f64_e32 v[78:79], v[66:67], v[80:81]
	s_wait_dscnt 0x0
	v_fmac_f64_e32 v[78:79], v[68:69], v[82:83]
	s_wait_loadcnt 0x2
	s_delay_alu instid0(VALU_DEP_1)
	v_fmac_f64_e32 v[78:79], v[70:71], v[84:85]
	ds_load_2addr_b64 v[64:67], v2 offset0:55 offset1:56
	ds_load_2addr_b64 v[68:71], v2 offset0:57 offset1:58
	s_wait_dscnt 0x1
	v_fmac_f64_e32 v[78:79], v[72:73], v[64:65]
	s_wait_loadcnt 0x1
	s_delay_alu instid0(VALU_DEP_1) | instskip(SKIP_1) | instid1(VALU_DEP_1)
	v_fmac_f64_e32 v[78:79], v[74:75], v[66:67]
	s_wait_dscnt 0x0
	v_fmac_f64_e32 v[78:79], v[76:77], v[68:69]
	s_wait_loadcnt 0x0
	s_delay_alu instid0(VALU_DEP_1) | instskip(NEXT) | instid1(VALU_DEP_1)
	v_fmac_f64_e32 v[78:79], v[86:87], v[70:71]
	v_add_f64_e64 v[2:3], v[62:63], -v[78:79]
	scratch_store_b64 off, v[2:3], off offset:160
	s_wait_xcnt 0x0
	v_cmpx_lt_u32_e32 19, v0
	s_cbranch_execz .LBB92_145
; %bb.144:
	scratch_load_b64 v[2:3], off, off offset:152
	v_mov_b64_e32 v[62:63], 0
	scratch_store_b64 off, v[62:63], off offset:152
	s_wait_loadcnt 0x0
	ds_store_b64 v1, v[2:3]
.LBB92_145:
	s_wait_xcnt 0x0
	s_or_b32 exec_lo, exec_lo, s0
	s_wait_storecnt_dscnt 0x0
	s_barrier_signal -1
	s_barrier_wait -1
	s_clause 0x4
	scratch_load_b128 v[62:65], off, off offset:152
	scratch_load_b128 v[66:69], off, off offset:168
	;; [unrolled: 1-line block ×5, first 2 shown]
	v_mov_b32_e32 v2, 0
	ds_load_b128 v[82:85], v2 offset:400
	ds_load_b128 v[86:89], v2 offset:416
	s_mov_b32 s0, exec_lo
	s_wait_loadcnt_dscnt 0x401
	v_fma_f64 v[82:83], v[64:65], v[82:83], 0
	s_wait_loadcnt 0x3
	s_delay_alu instid0(VALU_DEP_1) | instskip(SKIP_1) | instid1(VALU_DEP_1)
	v_fmac_f64_e32 v[82:83], v[66:67], v[84:85]
	s_wait_dscnt 0x0
	v_fmac_f64_e32 v[82:83], v[68:69], v[86:87]
	s_wait_loadcnt 0x2
	s_delay_alu instid0(VALU_DEP_1)
	v_fmac_f64_e32 v[82:83], v[70:71], v[88:89]
	ds_load_b128 v[64:67], v2 offset:432
	ds_load_b128 v[68:71], v2 offset:448
	s_wait_dscnt 0x1
	v_fmac_f64_e32 v[82:83], v[72:73], v[64:65]
	ds_load_b64 v[64:65], v2 offset:464
	s_wait_loadcnt 0x1
	v_fmac_f64_e32 v[82:83], v[74:75], v[66:67]
	s_wait_dscnt 0x1
	s_delay_alu instid0(VALU_DEP_1) | instskip(SKIP_1) | instid1(VALU_DEP_1)
	v_fmac_f64_e32 v[82:83], v[76:77], v[68:69]
	s_wait_loadcnt 0x0
	v_fmac_f64_e32 v[82:83], v[78:79], v[70:71]
	s_wait_dscnt 0x0
	s_delay_alu instid0(VALU_DEP_1) | instskip(NEXT) | instid1(VALU_DEP_1)
	v_fmac_f64_e32 v[82:83], v[80:81], v[64:65]
	v_add_f64_e64 v[62:63], v[62:63], -v[82:83]
	scratch_store_b64 off, v[62:63], off offset:152
	s_wait_xcnt 0x0
	v_cmpx_lt_u32_e32 18, v0
	s_cbranch_execz .LBB92_147
; %bb.146:
	scratch_load_b64 v[62:63], off, off offset:144
	v_mov_b64_e32 v[64:65], 0
	scratch_store_b64 off, v[64:65], off offset:144
	s_wait_loadcnt 0x0
	ds_store_b64 v1, v[62:63]
.LBB92_147:
	s_wait_xcnt 0x0
	s_or_b32 exec_lo, exec_lo, s0
	s_wait_storecnt_dscnt 0x0
	s_barrier_signal -1
	s_barrier_wait -1
	s_clause 0x5
	scratch_load_b128 v[62:65], off, off offset:144
	scratch_load_b128 v[66:69], off, off offset:160
	;; [unrolled: 1-line block ×5, first 2 shown]
	scratch_load_b64 v[90:91], off, off offset:224
	ds_load_2addr_b64 v[82:85], v2 offset0:49 offset1:50
	ds_load_2addr_b64 v[86:89], v2 offset0:51 offset1:52
	s_mov_b32 s0, exec_lo
	s_wait_loadcnt_dscnt 0x501
	v_fma_f64 v[82:83], v[64:65], v[82:83], 0
	s_wait_loadcnt 0x4
	s_delay_alu instid0(VALU_DEP_1) | instskip(SKIP_1) | instid1(VALU_DEP_1)
	v_fmac_f64_e32 v[82:83], v[66:67], v[84:85]
	s_wait_dscnt 0x0
	v_fmac_f64_e32 v[82:83], v[68:69], v[86:87]
	s_wait_loadcnt 0x3
	s_delay_alu instid0(VALU_DEP_1)
	v_fmac_f64_e32 v[82:83], v[70:71], v[88:89]
	ds_load_2addr_b64 v[64:67], v2 offset0:53 offset1:54
	ds_load_2addr_b64 v[68:71], v2 offset0:55 offset1:56
	s_wait_dscnt 0x1
	v_fmac_f64_e32 v[82:83], v[72:73], v[64:65]
	s_wait_loadcnt 0x2
	s_delay_alu instid0(VALU_DEP_1) | instskip(SKIP_4) | instid1(VALU_DEP_1)
	v_fmac_f64_e32 v[82:83], v[74:75], v[66:67]
	ds_load_2addr_b64 v[64:67], v2 offset0:57 offset1:58
	s_wait_dscnt 0x1
	v_fmac_f64_e32 v[82:83], v[76:77], v[68:69]
	s_wait_loadcnt 0x1
	v_fmac_f64_e32 v[82:83], v[78:79], v[70:71]
	s_wait_dscnt 0x0
	s_delay_alu instid0(VALU_DEP_1) | instskip(SKIP_1) | instid1(VALU_DEP_1)
	v_fmac_f64_e32 v[82:83], v[80:81], v[64:65]
	s_wait_loadcnt 0x0
	v_fmac_f64_e32 v[82:83], v[90:91], v[66:67]
	s_delay_alu instid0(VALU_DEP_1)
	v_add_f64_e64 v[2:3], v[62:63], -v[82:83]
	scratch_store_b64 off, v[2:3], off offset:144
	s_wait_xcnt 0x0
	v_cmpx_lt_u32_e32 17, v0
	s_cbranch_execz .LBB92_149
; %bb.148:
	scratch_load_b64 v[2:3], off, off offset:136
	v_mov_b64_e32 v[62:63], 0
	scratch_store_b64 off, v[62:63], off offset:136
	s_wait_loadcnt 0x0
	ds_store_b64 v1, v[2:3]
.LBB92_149:
	s_wait_xcnt 0x0
	s_or_b32 exec_lo, exec_lo, s0
	s_wait_storecnt_dscnt 0x0
	s_barrier_signal -1
	s_barrier_wait -1
	s_clause 0x5
	scratch_load_b128 v[62:65], off, off offset:136
	scratch_load_b128 v[66:69], off, off offset:152
	;; [unrolled: 1-line block ×6, first 2 shown]
	v_mov_b32_e32 v2, 0
	ds_load_b128 v[86:89], v2 offset:384
	ds_load_b128 v[90:93], v2 offset:400
	s_mov_b32 s0, exec_lo
	s_wait_loadcnt_dscnt 0x501
	v_fma_f64 v[86:87], v[64:65], v[86:87], 0
	s_wait_loadcnt 0x4
	s_delay_alu instid0(VALU_DEP_1) | instskip(SKIP_1) | instid1(VALU_DEP_1)
	v_fmac_f64_e32 v[86:87], v[66:67], v[88:89]
	s_wait_dscnt 0x0
	v_fmac_f64_e32 v[86:87], v[68:69], v[90:91]
	s_wait_loadcnt 0x3
	s_delay_alu instid0(VALU_DEP_1)
	v_fmac_f64_e32 v[86:87], v[70:71], v[92:93]
	ds_load_b128 v[64:67], v2 offset:416
	ds_load_b128 v[68:71], v2 offset:432
	s_wait_dscnt 0x1
	v_fmac_f64_e32 v[86:87], v[72:73], v[64:65]
	s_wait_loadcnt 0x2
	s_delay_alu instid0(VALU_DEP_1) | instskip(SKIP_1) | instid1(VALU_DEP_1)
	v_fmac_f64_e32 v[86:87], v[74:75], v[66:67]
	s_wait_dscnt 0x0
	v_fmac_f64_e32 v[86:87], v[76:77], v[68:69]
	ds_load_b128 v[64:67], v2 offset:448
	ds_load_b64 v[68:69], v2 offset:464
	s_wait_loadcnt 0x1
	v_fmac_f64_e32 v[86:87], v[78:79], v[70:71]
	s_wait_dscnt 0x1
	s_delay_alu instid0(VALU_DEP_1) | instskip(SKIP_1) | instid1(VALU_DEP_1)
	v_fmac_f64_e32 v[86:87], v[80:81], v[64:65]
	s_wait_loadcnt 0x0
	v_fmac_f64_e32 v[86:87], v[82:83], v[66:67]
	s_wait_dscnt 0x0
	s_delay_alu instid0(VALU_DEP_1) | instskip(NEXT) | instid1(VALU_DEP_1)
	v_fmac_f64_e32 v[86:87], v[84:85], v[68:69]
	v_add_f64_e64 v[62:63], v[62:63], -v[86:87]
	scratch_store_b64 off, v[62:63], off offset:136
	s_wait_xcnt 0x0
	v_cmpx_lt_u32_e32 16, v0
	s_cbranch_execz .LBB92_151
; %bb.150:
	scratch_load_b64 v[62:63], off, off offset:128
	v_mov_b64_e32 v[64:65], 0
	scratch_store_b64 off, v[64:65], off offset:128
	s_wait_loadcnt 0x0
	ds_store_b64 v1, v[62:63]
.LBB92_151:
	s_wait_xcnt 0x0
	s_or_b32 exec_lo, exec_lo, s0
	s_wait_storecnt_dscnt 0x0
	s_barrier_signal -1
	s_barrier_wait -1
	s_clause 0x5
	scratch_load_b128 v[62:65], off, off offset:128
	scratch_load_b128 v[66:69], off, off offset:144
	;; [unrolled: 1-line block ×6, first 2 shown]
	ds_load_2addr_b64 v[86:89], v2 offset0:47 offset1:48
	ds_load_2addr_b64 v[90:93], v2 offset0:49 offset1:50
	s_mov_b32 s0, exec_lo
	s_wait_loadcnt_dscnt 0x501
	v_fma_f64 v[86:87], v[64:65], v[86:87], 0
	s_wait_loadcnt 0x4
	s_delay_alu instid0(VALU_DEP_1) | instskip(SKIP_4) | instid1(VALU_DEP_1)
	v_fmac_f64_e32 v[86:87], v[66:67], v[88:89]
	scratch_load_b64 v[88:89], off, off offset:224
	s_wait_dscnt 0x0
	v_fmac_f64_e32 v[86:87], v[68:69], v[90:91]
	s_wait_loadcnt 0x4
	v_fmac_f64_e32 v[86:87], v[70:71], v[92:93]
	ds_load_2addr_b64 v[64:67], v2 offset0:51 offset1:52
	ds_load_2addr_b64 v[68:71], v2 offset0:53 offset1:54
	s_wait_dscnt 0x1
	v_fmac_f64_e32 v[86:87], v[72:73], v[64:65]
	s_wait_loadcnt 0x3
	s_delay_alu instid0(VALU_DEP_1) | instskip(SKIP_1) | instid1(VALU_DEP_1)
	v_fmac_f64_e32 v[86:87], v[74:75], v[66:67]
	s_wait_dscnt 0x0
	v_fmac_f64_e32 v[86:87], v[76:77], v[68:69]
	s_wait_loadcnt 0x2
	s_delay_alu instid0(VALU_DEP_1)
	v_fmac_f64_e32 v[86:87], v[78:79], v[70:71]
	ds_load_2addr_b64 v[64:67], v2 offset0:55 offset1:56
	ds_load_2addr_b64 v[68:71], v2 offset0:57 offset1:58
	s_wait_dscnt 0x1
	v_fmac_f64_e32 v[86:87], v[80:81], v[64:65]
	s_wait_loadcnt 0x1
	s_delay_alu instid0(VALU_DEP_1) | instskip(SKIP_1) | instid1(VALU_DEP_1)
	v_fmac_f64_e32 v[86:87], v[82:83], v[66:67]
	s_wait_dscnt 0x0
	v_fmac_f64_e32 v[86:87], v[84:85], v[68:69]
	s_wait_loadcnt 0x0
	s_delay_alu instid0(VALU_DEP_1) | instskip(NEXT) | instid1(VALU_DEP_1)
	v_fmac_f64_e32 v[86:87], v[88:89], v[70:71]
	v_add_f64_e64 v[2:3], v[62:63], -v[86:87]
	scratch_store_b64 off, v[2:3], off offset:128
	s_wait_xcnt 0x0
	v_cmpx_lt_u32_e32 15, v0
	s_cbranch_execz .LBB92_153
; %bb.152:
	scratch_load_b64 v[2:3], off, off offset:120
	v_mov_b64_e32 v[62:63], 0
	scratch_store_b64 off, v[62:63], off offset:120
	s_wait_loadcnt 0x0
	ds_store_b64 v1, v[2:3]
.LBB92_153:
	s_wait_xcnt 0x0
	s_or_b32 exec_lo, exec_lo, s0
	s_wait_storecnt_dscnt 0x0
	s_barrier_signal -1
	s_barrier_wait -1
	s_clause 0x5
	scratch_load_b128 v[62:65], off, off offset:120
	scratch_load_b128 v[66:69], off, off offset:136
	;; [unrolled: 1-line block ×6, first 2 shown]
	v_mov_b32_e32 v2, 0
	ds_load_b128 v[86:89], v2 offset:368
	ds_load_b128 v[90:93], v2 offset:384
	s_mov_b32 s0, exec_lo
	s_wait_loadcnt_dscnt 0x501
	v_fma_f64 v[94:95], v[64:65], v[86:87], 0
	s_wait_loadcnt 0x4
	s_delay_alu instid0(VALU_DEP_1) | instskip(SKIP_4) | instid1(VALU_DEP_1)
	v_fmac_f64_e32 v[94:95], v[66:67], v[88:89]
	scratch_load_b128 v[64:67], off, off offset:216
	s_wait_dscnt 0x0
	v_fmac_f64_e32 v[94:95], v[68:69], v[90:91]
	s_wait_loadcnt 0x4
	v_fmac_f64_e32 v[94:95], v[70:71], v[92:93]
	ds_load_b128 v[68:71], v2 offset:400
	ds_load_b128 v[86:89], v2 offset:416
	s_wait_dscnt 0x1
	v_fmac_f64_e32 v[94:95], v[72:73], v[68:69]
	s_wait_loadcnt 0x3
	s_delay_alu instid0(VALU_DEP_1)
	v_fmac_f64_e32 v[94:95], v[74:75], v[70:71]
	ds_load_b128 v[68:71], v2 offset:432
	ds_load_b128 v[72:75], v2 offset:448
	s_wait_dscnt 0x2
	v_fmac_f64_e32 v[94:95], v[76:77], v[86:87]
	s_wait_loadcnt 0x2
	s_delay_alu instid0(VALU_DEP_1) | instskip(SKIP_1) | instid1(VALU_DEP_1)
	v_fmac_f64_e32 v[94:95], v[78:79], v[88:89]
	s_wait_dscnt 0x1
	v_fmac_f64_e32 v[94:95], v[80:81], v[68:69]
	s_wait_loadcnt 0x1
	s_delay_alu instid0(VALU_DEP_1) | instskip(SKIP_1) | instid1(VALU_DEP_1)
	v_fmac_f64_e32 v[94:95], v[82:83], v[70:71]
	s_wait_dscnt 0x0
	v_fmac_f64_e32 v[94:95], v[84:85], v[72:73]
	s_wait_loadcnt 0x0
	s_delay_alu instid0(VALU_DEP_1) | instskip(SKIP_3) | instid1(VALU_DEP_1)
	v_fmac_f64_e32 v[94:95], v[64:65], v[74:75]
	ds_load_b64 v[64:65], v2 offset:464
	s_wait_dscnt 0x0
	v_fmac_f64_e32 v[94:95], v[66:67], v[64:65]
	v_add_f64_e64 v[62:63], v[62:63], -v[94:95]
	scratch_store_b64 off, v[62:63], off offset:120
	s_wait_xcnt 0x0
	v_cmpx_lt_u32_e32 14, v0
	s_cbranch_execz .LBB92_155
; %bb.154:
	scratch_load_b64 v[62:63], off, off offset:112
	v_mov_b64_e32 v[64:65], 0
	scratch_store_b64 off, v[64:65], off offset:112
	s_wait_loadcnt 0x0
	ds_store_b64 v1, v[62:63]
.LBB92_155:
	s_wait_xcnt 0x0
	s_or_b32 exec_lo, exec_lo, s0
	s_wait_storecnt_dscnt 0x0
	s_barrier_signal -1
	s_barrier_wait -1
	s_clause 0x5
	scratch_load_b128 v[62:65], off, off offset:112
	scratch_load_b128 v[66:69], off, off offset:128
	;; [unrolled: 1-line block ×6, first 2 shown]
	ds_load_2addr_b64 v[86:89], v2 offset0:45 offset1:46
	ds_load_2addr_b64 v[90:93], v2 offset0:47 offset1:48
	s_mov_b32 s0, exec_lo
	s_wait_loadcnt_dscnt 0x501
	v_fma_f64 v[94:95], v[64:65], v[86:87], 0
	s_wait_loadcnt 0x4
	s_delay_alu instid0(VALU_DEP_1)
	v_fmac_f64_e32 v[94:95], v[66:67], v[88:89]
	scratch_load_b128 v[64:67], off, off offset:208
	s_wait_dscnt 0x0
	v_fmac_f64_e32 v[94:95], v[68:69], v[90:91]
	scratch_load_b64 v[90:91], off, off offset:224
	s_wait_loadcnt 0x5
	v_fmac_f64_e32 v[94:95], v[70:71], v[92:93]
	ds_load_2addr_b64 v[68:71], v2 offset0:49 offset1:50
	ds_load_2addr_b64 v[86:89], v2 offset0:51 offset1:52
	s_wait_dscnt 0x1
	v_fmac_f64_e32 v[94:95], v[72:73], v[68:69]
	s_wait_loadcnt 0x4
	s_delay_alu instid0(VALU_DEP_1)
	v_fmac_f64_e32 v[94:95], v[74:75], v[70:71]
	ds_load_2addr_b64 v[68:71], v2 offset0:53 offset1:54
	ds_load_2addr_b64 v[72:75], v2 offset0:55 offset1:56
	s_wait_dscnt 0x2
	v_fmac_f64_e32 v[94:95], v[76:77], v[86:87]
	s_wait_loadcnt 0x3
	s_delay_alu instid0(VALU_DEP_1) | instskip(SKIP_1) | instid1(VALU_DEP_1)
	v_fmac_f64_e32 v[94:95], v[78:79], v[88:89]
	s_wait_dscnt 0x1
	v_fmac_f64_e32 v[94:95], v[80:81], v[68:69]
	s_wait_loadcnt 0x2
	s_delay_alu instid0(VALU_DEP_1) | instskip(SKIP_4) | instid1(VALU_DEP_1)
	v_fmac_f64_e32 v[94:95], v[82:83], v[70:71]
	ds_load_2addr_b64 v[68:71], v2 offset0:57 offset1:58
	s_wait_dscnt 0x1
	v_fmac_f64_e32 v[94:95], v[84:85], v[72:73]
	s_wait_loadcnt 0x1
	v_fmac_f64_e32 v[94:95], v[64:65], v[74:75]
	s_wait_dscnt 0x0
	s_delay_alu instid0(VALU_DEP_1) | instskip(SKIP_1) | instid1(VALU_DEP_1)
	v_fmac_f64_e32 v[94:95], v[66:67], v[68:69]
	s_wait_loadcnt 0x0
	v_fmac_f64_e32 v[94:95], v[90:91], v[70:71]
	s_delay_alu instid0(VALU_DEP_1)
	v_add_f64_e64 v[2:3], v[62:63], -v[94:95]
	scratch_store_b64 off, v[2:3], off offset:112
	s_wait_xcnt 0x0
	v_cmpx_lt_u32_e32 13, v0
	s_cbranch_execz .LBB92_157
; %bb.156:
	scratch_load_b64 v[2:3], off, off offset:104
	v_mov_b64_e32 v[62:63], 0
	scratch_store_b64 off, v[62:63], off offset:104
	s_wait_loadcnt 0x0
	ds_store_b64 v1, v[2:3]
.LBB92_157:
	s_wait_xcnt 0x0
	s_or_b32 exec_lo, exec_lo, s0
	s_wait_storecnt_dscnt 0x0
	s_barrier_signal -1
	s_barrier_wait -1
	s_clause 0x5
	scratch_load_b128 v[62:65], off, off offset:104
	scratch_load_b128 v[66:69], off, off offset:120
	;; [unrolled: 1-line block ×6, first 2 shown]
	v_mov_b32_e32 v2, 0
	ds_load_b128 v[86:89], v2 offset:352
	ds_load_b128 v[90:93], v2 offset:368
	s_mov_b32 s0, exec_lo
	s_wait_loadcnt_dscnt 0x501
	v_fma_f64 v[94:95], v[64:65], v[86:87], 0
	s_wait_loadcnt 0x4
	s_delay_alu instid0(VALU_DEP_1) | instskip(SKIP_4) | instid1(VALU_DEP_1)
	v_fmac_f64_e32 v[94:95], v[66:67], v[88:89]
	scratch_load_b128 v[64:67], off, off offset:200
	s_wait_dscnt 0x0
	v_fmac_f64_e32 v[94:95], v[68:69], v[90:91]
	s_wait_loadcnt 0x4
	v_fmac_f64_e32 v[94:95], v[70:71], v[92:93]
	scratch_load_b128 v[68:71], off, off offset:216
	ds_load_b128 v[86:89], v2 offset:384
	ds_load_b128 v[90:93], v2 offset:400
	s_wait_dscnt 0x1
	v_fmac_f64_e32 v[94:95], v[72:73], v[86:87]
	s_wait_loadcnt 0x4
	s_delay_alu instid0(VALU_DEP_1) | instskip(SKIP_1) | instid1(VALU_DEP_1)
	v_fmac_f64_e32 v[94:95], v[74:75], v[88:89]
	s_wait_dscnt 0x0
	v_fmac_f64_e32 v[94:95], v[76:77], v[90:91]
	s_wait_loadcnt 0x3
	s_delay_alu instid0(VALU_DEP_1)
	v_fmac_f64_e32 v[94:95], v[78:79], v[92:93]
	ds_load_b128 v[72:75], v2 offset:416
	ds_load_b128 v[76:79], v2 offset:432
	s_wait_dscnt 0x1
	v_fmac_f64_e32 v[94:95], v[80:81], v[72:73]
	s_wait_loadcnt 0x2
	s_delay_alu instid0(VALU_DEP_1) | instskip(SKIP_1) | instid1(VALU_DEP_1)
	v_fmac_f64_e32 v[94:95], v[82:83], v[74:75]
	s_wait_dscnt 0x0
	v_fmac_f64_e32 v[94:95], v[84:85], v[76:77]
	s_wait_loadcnt 0x1
	s_delay_alu instid0(VALU_DEP_1)
	v_fmac_f64_e32 v[94:95], v[64:65], v[78:79]
	ds_load_b128 v[72:75], v2 offset:448
	ds_load_b64 v[64:65], v2 offset:464
	s_wait_dscnt 0x1
	v_fmac_f64_e32 v[94:95], v[66:67], v[72:73]
	s_wait_loadcnt 0x0
	s_delay_alu instid0(VALU_DEP_1) | instskip(SKIP_1) | instid1(VALU_DEP_1)
	v_fmac_f64_e32 v[94:95], v[68:69], v[74:75]
	s_wait_dscnt 0x0
	v_fmac_f64_e32 v[94:95], v[70:71], v[64:65]
	s_delay_alu instid0(VALU_DEP_1)
	v_add_f64_e64 v[62:63], v[62:63], -v[94:95]
	scratch_store_b64 off, v[62:63], off offset:104
	s_wait_xcnt 0x0
	v_cmpx_lt_u32_e32 12, v0
	s_cbranch_execz .LBB92_159
; %bb.158:
	scratch_load_b64 v[62:63], off, off offset:96
	v_mov_b64_e32 v[64:65], 0
	scratch_store_b64 off, v[64:65], off offset:96
	s_wait_loadcnt 0x0
	ds_store_b64 v1, v[62:63]
.LBB92_159:
	s_wait_xcnt 0x0
	s_or_b32 exec_lo, exec_lo, s0
	s_wait_storecnt_dscnt 0x0
	s_barrier_signal -1
	s_barrier_wait -1
	s_clause 0x5
	scratch_load_b128 v[62:65], off, off offset:96
	scratch_load_b128 v[66:69], off, off offset:112
	;; [unrolled: 1-line block ×6, first 2 shown]
	ds_load_2addr_b64 v[86:89], v2 offset0:43 offset1:44
	ds_load_2addr_b64 v[90:93], v2 offset0:45 offset1:46
	s_mov_b32 s0, exec_lo
	s_wait_loadcnt_dscnt 0x501
	v_fma_f64 v[94:95], v[64:65], v[86:87], 0
	s_wait_loadcnt 0x4
	s_delay_alu instid0(VALU_DEP_1) | instskip(SKIP_4) | instid1(VALU_DEP_1)
	v_fmac_f64_e32 v[94:95], v[66:67], v[88:89]
	scratch_load_b128 v[64:67], off, off offset:192
	s_wait_dscnt 0x0
	v_fmac_f64_e32 v[94:95], v[68:69], v[90:91]
	s_wait_loadcnt 0x4
	v_fmac_f64_e32 v[94:95], v[70:71], v[92:93]
	scratch_load_b128 v[68:71], off, off offset:208
	ds_load_2addr_b64 v[86:89], v2 offset0:47 offset1:48
	ds_load_2addr_b64 v[90:93], v2 offset0:49 offset1:50
	s_wait_dscnt 0x1
	v_fmac_f64_e32 v[94:95], v[72:73], v[86:87]
	scratch_load_b64 v[86:87], off, off offset:224
	s_wait_loadcnt 0x5
	v_fmac_f64_e32 v[94:95], v[74:75], v[88:89]
	s_wait_dscnt 0x0
	s_delay_alu instid0(VALU_DEP_1) | instskip(SKIP_1) | instid1(VALU_DEP_1)
	v_fmac_f64_e32 v[94:95], v[76:77], v[90:91]
	s_wait_loadcnt 0x4
	v_fmac_f64_e32 v[94:95], v[78:79], v[92:93]
	ds_load_2addr_b64 v[72:75], v2 offset0:51 offset1:52
	ds_load_2addr_b64 v[76:79], v2 offset0:53 offset1:54
	s_wait_dscnt 0x1
	v_fmac_f64_e32 v[94:95], v[80:81], v[72:73]
	s_wait_loadcnt 0x3
	s_delay_alu instid0(VALU_DEP_1) | instskip(SKIP_1) | instid1(VALU_DEP_1)
	v_fmac_f64_e32 v[94:95], v[82:83], v[74:75]
	s_wait_dscnt 0x0
	v_fmac_f64_e32 v[94:95], v[84:85], v[76:77]
	s_wait_loadcnt 0x2
	s_delay_alu instid0(VALU_DEP_1)
	v_fmac_f64_e32 v[94:95], v[64:65], v[78:79]
	ds_load_2addr_b64 v[72:75], v2 offset0:55 offset1:56
	ds_load_2addr_b64 v[76:79], v2 offset0:57 offset1:58
	s_wait_dscnt 0x1
	v_fmac_f64_e32 v[94:95], v[66:67], v[72:73]
	s_wait_loadcnt 0x1
	s_delay_alu instid0(VALU_DEP_1) | instskip(SKIP_1) | instid1(VALU_DEP_1)
	v_fmac_f64_e32 v[94:95], v[68:69], v[74:75]
	s_wait_dscnt 0x0
	v_fmac_f64_e32 v[94:95], v[70:71], v[76:77]
	s_wait_loadcnt 0x0
	s_delay_alu instid0(VALU_DEP_1) | instskip(NEXT) | instid1(VALU_DEP_1)
	v_fmac_f64_e32 v[94:95], v[86:87], v[78:79]
	v_add_f64_e64 v[2:3], v[62:63], -v[94:95]
	scratch_store_b64 off, v[2:3], off offset:96
	s_wait_xcnt 0x0
	v_cmpx_lt_u32_e32 11, v0
	s_cbranch_execz .LBB92_161
; %bb.160:
	scratch_load_b64 v[2:3], off, off offset:88
	v_mov_b64_e32 v[62:63], 0
	scratch_store_b64 off, v[62:63], off offset:88
	s_wait_loadcnt 0x0
	ds_store_b64 v1, v[2:3]
.LBB92_161:
	s_wait_xcnt 0x0
	s_or_b32 exec_lo, exec_lo, s0
	s_wait_storecnt_dscnt 0x0
	s_barrier_signal -1
	s_barrier_wait -1
	s_clause 0x5
	scratch_load_b128 v[62:65], off, off offset:88
	scratch_load_b128 v[66:69], off, off offset:104
	;; [unrolled: 1-line block ×6, first 2 shown]
	v_mov_b32_e32 v2, 0
	ds_load_b128 v[86:89], v2 offset:336
	ds_load_b128 v[90:93], v2 offset:352
	s_mov_b32 s0, exec_lo
	s_wait_loadcnt_dscnt 0x501
	v_fma_f64 v[94:95], v[64:65], v[86:87], 0
	s_wait_loadcnt 0x4
	s_delay_alu instid0(VALU_DEP_1) | instskip(SKIP_4) | instid1(VALU_DEP_1)
	v_fmac_f64_e32 v[94:95], v[66:67], v[88:89]
	scratch_load_b128 v[64:67], off, off offset:184
	s_wait_dscnt 0x0
	v_fmac_f64_e32 v[94:95], v[68:69], v[90:91]
	s_wait_loadcnt 0x4
	v_fmac_f64_e32 v[94:95], v[70:71], v[92:93]
	scratch_load_b128 v[68:71], off, off offset:200
	ds_load_b128 v[86:89], v2 offset:368
	ds_load_b128 v[90:93], v2 offset:384
	s_wait_dscnt 0x1
	v_fmac_f64_e32 v[94:95], v[72:73], v[86:87]
	s_wait_loadcnt 0x4
	s_delay_alu instid0(VALU_DEP_1) | instskip(SKIP_4) | instid1(VALU_DEP_1)
	v_fmac_f64_e32 v[94:95], v[74:75], v[88:89]
	scratch_load_b128 v[72:75], off, off offset:216
	s_wait_dscnt 0x0
	v_fmac_f64_e32 v[94:95], v[76:77], v[90:91]
	s_wait_loadcnt 0x4
	v_fmac_f64_e32 v[94:95], v[78:79], v[92:93]
	ds_load_b128 v[76:79], v2 offset:400
	ds_load_b128 v[86:89], v2 offset:416
	s_wait_dscnt 0x1
	v_fmac_f64_e32 v[94:95], v[80:81], v[76:77]
	s_wait_loadcnt 0x3
	s_delay_alu instid0(VALU_DEP_1)
	v_fmac_f64_e32 v[94:95], v[82:83], v[78:79]
	ds_load_b128 v[76:79], v2 offset:432
	ds_load_b128 v[80:83], v2 offset:448
	s_wait_dscnt 0x2
	v_fmac_f64_e32 v[94:95], v[84:85], v[86:87]
	s_wait_loadcnt 0x2
	s_delay_alu instid0(VALU_DEP_1) | instskip(SKIP_4) | instid1(VALU_DEP_1)
	v_fmac_f64_e32 v[94:95], v[64:65], v[88:89]
	ds_load_b64 v[64:65], v2 offset:464
	s_wait_dscnt 0x2
	v_fmac_f64_e32 v[94:95], v[66:67], v[76:77]
	s_wait_loadcnt 0x1
	v_fmac_f64_e32 v[94:95], v[68:69], v[78:79]
	s_wait_dscnt 0x1
	s_delay_alu instid0(VALU_DEP_1) | instskip(SKIP_1) | instid1(VALU_DEP_1)
	v_fmac_f64_e32 v[94:95], v[70:71], v[80:81]
	s_wait_loadcnt 0x0
	v_fmac_f64_e32 v[94:95], v[72:73], v[82:83]
	s_wait_dscnt 0x0
	s_delay_alu instid0(VALU_DEP_1) | instskip(NEXT) | instid1(VALU_DEP_1)
	v_fmac_f64_e32 v[94:95], v[74:75], v[64:65]
	v_add_f64_e64 v[62:63], v[62:63], -v[94:95]
	scratch_store_b64 off, v[62:63], off offset:88
	s_wait_xcnt 0x0
	v_cmpx_lt_u32_e32 10, v0
	s_cbranch_execz .LBB92_163
; %bb.162:
	scratch_load_b64 v[62:63], off, off offset:80
	v_mov_b64_e32 v[64:65], 0
	scratch_store_b64 off, v[64:65], off offset:80
	s_wait_loadcnt 0x0
	ds_store_b64 v1, v[62:63]
.LBB92_163:
	s_wait_xcnt 0x0
	s_or_b32 exec_lo, exec_lo, s0
	s_wait_storecnt_dscnt 0x0
	s_barrier_signal -1
	s_barrier_wait -1
	s_clause 0x5
	scratch_load_b128 v[62:65], off, off offset:80
	scratch_load_b128 v[66:69], off, off offset:96
	scratch_load_b128 v[70:73], off, off offset:112
	scratch_load_b128 v[74:77], off, off offset:128
	scratch_load_b128 v[78:81], off, off offset:144
	scratch_load_b128 v[82:85], off, off offset:160
	ds_load_2addr_b64 v[86:89], v2 offset0:41 offset1:42
	ds_load_2addr_b64 v[90:93], v2 offset0:43 offset1:44
	s_mov_b32 s0, exec_lo
	s_wait_loadcnt_dscnt 0x501
	v_fma_f64 v[94:95], v[64:65], v[86:87], 0
	s_wait_loadcnt 0x4
	s_delay_alu instid0(VALU_DEP_1) | instskip(SKIP_4) | instid1(VALU_DEP_1)
	v_fmac_f64_e32 v[94:95], v[66:67], v[88:89]
	scratch_load_b128 v[64:67], off, off offset:176
	s_wait_dscnt 0x0
	v_fmac_f64_e32 v[94:95], v[68:69], v[90:91]
	s_wait_loadcnt 0x4
	v_fmac_f64_e32 v[94:95], v[70:71], v[92:93]
	scratch_load_b128 v[68:71], off, off offset:192
	ds_load_2addr_b64 v[86:89], v2 offset0:45 offset1:46
	ds_load_2addr_b64 v[90:93], v2 offset0:47 offset1:48
	s_wait_dscnt 0x1
	v_fmac_f64_e32 v[94:95], v[72:73], v[86:87]
	s_wait_loadcnt 0x4
	s_delay_alu instid0(VALU_DEP_1)
	v_fmac_f64_e32 v[94:95], v[74:75], v[88:89]
	scratch_load_b128 v[72:75], off, off offset:208
	s_wait_dscnt 0x0
	v_fmac_f64_e32 v[94:95], v[76:77], v[90:91]
	scratch_load_b64 v[90:91], off, off offset:224
	s_wait_loadcnt 0x5
	v_fmac_f64_e32 v[94:95], v[78:79], v[92:93]
	ds_load_2addr_b64 v[76:79], v2 offset0:49 offset1:50
	ds_load_2addr_b64 v[86:89], v2 offset0:51 offset1:52
	s_wait_dscnt 0x1
	v_fmac_f64_e32 v[94:95], v[80:81], v[76:77]
	s_wait_loadcnt 0x4
	s_delay_alu instid0(VALU_DEP_1)
	v_fmac_f64_e32 v[94:95], v[82:83], v[78:79]
	ds_load_2addr_b64 v[76:79], v2 offset0:53 offset1:54
	ds_load_2addr_b64 v[80:83], v2 offset0:55 offset1:56
	s_wait_dscnt 0x2
	v_fmac_f64_e32 v[94:95], v[84:85], v[86:87]
	s_wait_loadcnt 0x3
	s_delay_alu instid0(VALU_DEP_1) | instskip(SKIP_1) | instid1(VALU_DEP_1)
	v_fmac_f64_e32 v[94:95], v[64:65], v[88:89]
	s_wait_dscnt 0x1
	v_fmac_f64_e32 v[94:95], v[66:67], v[76:77]
	ds_load_2addr_b64 v[64:67], v2 offset0:57 offset1:58
	s_wait_loadcnt 0x2
	v_fmac_f64_e32 v[94:95], v[68:69], v[78:79]
	s_wait_dscnt 0x1
	s_delay_alu instid0(VALU_DEP_1) | instskip(SKIP_1) | instid1(VALU_DEP_1)
	v_fmac_f64_e32 v[94:95], v[70:71], v[80:81]
	s_wait_loadcnt 0x1
	v_fmac_f64_e32 v[94:95], v[72:73], v[82:83]
	s_wait_dscnt 0x0
	s_delay_alu instid0(VALU_DEP_1) | instskip(SKIP_1) | instid1(VALU_DEP_1)
	v_fmac_f64_e32 v[94:95], v[74:75], v[64:65]
	s_wait_loadcnt 0x0
	v_fmac_f64_e32 v[94:95], v[90:91], v[66:67]
	s_delay_alu instid0(VALU_DEP_1)
	v_add_f64_e64 v[2:3], v[62:63], -v[94:95]
	scratch_store_b64 off, v[2:3], off offset:80
	s_wait_xcnt 0x0
	v_cmpx_lt_u32_e32 9, v0
	s_cbranch_execz .LBB92_165
; %bb.164:
	scratch_load_b64 v[2:3], off, off offset:72
	v_mov_b64_e32 v[62:63], 0
	scratch_store_b64 off, v[62:63], off offset:72
	s_wait_loadcnt 0x0
	ds_store_b64 v1, v[2:3]
.LBB92_165:
	s_wait_xcnt 0x0
	s_or_b32 exec_lo, exec_lo, s0
	s_wait_storecnt_dscnt 0x0
	s_barrier_signal -1
	s_barrier_wait -1
	s_clause 0x5
	scratch_load_b128 v[62:65], off, off offset:72
	scratch_load_b128 v[66:69], off, off offset:88
	;; [unrolled: 1-line block ×6, first 2 shown]
	v_mov_b32_e32 v2, 0
	ds_load_b128 v[86:89], v2 offset:320
	ds_load_b128 v[90:93], v2 offset:336
	s_mov_b32 s0, exec_lo
	s_wait_loadcnt_dscnt 0x501
	v_fma_f64 v[94:95], v[64:65], v[86:87], 0
	s_wait_loadcnt 0x4
	s_delay_alu instid0(VALU_DEP_1) | instskip(SKIP_4) | instid1(VALU_DEP_1)
	v_fmac_f64_e32 v[94:95], v[66:67], v[88:89]
	scratch_load_b128 v[64:67], off, off offset:168
	s_wait_dscnt 0x0
	v_fmac_f64_e32 v[94:95], v[68:69], v[90:91]
	s_wait_loadcnt 0x4
	v_fmac_f64_e32 v[94:95], v[70:71], v[92:93]
	scratch_load_b128 v[68:71], off, off offset:184
	ds_load_b128 v[86:89], v2 offset:352
	ds_load_b128 v[90:93], v2 offset:368
	s_wait_dscnt 0x1
	v_fmac_f64_e32 v[94:95], v[72:73], v[86:87]
	s_wait_loadcnt 0x4
	s_delay_alu instid0(VALU_DEP_1) | instskip(SKIP_4) | instid1(VALU_DEP_1)
	v_fmac_f64_e32 v[94:95], v[74:75], v[88:89]
	scratch_load_b128 v[72:75], off, off offset:200
	s_wait_dscnt 0x0
	v_fmac_f64_e32 v[94:95], v[76:77], v[90:91]
	s_wait_loadcnt 0x4
	v_fmac_f64_e32 v[94:95], v[78:79], v[92:93]
	scratch_load_b128 v[76:79], off, off offset:216
	ds_load_b128 v[86:89], v2 offset:384
	ds_load_b128 v[90:93], v2 offset:400
	s_wait_dscnt 0x1
	v_fmac_f64_e32 v[94:95], v[80:81], v[86:87]
	s_wait_loadcnt 0x4
	s_delay_alu instid0(VALU_DEP_1) | instskip(SKIP_1) | instid1(VALU_DEP_1)
	v_fmac_f64_e32 v[94:95], v[82:83], v[88:89]
	s_wait_dscnt 0x0
	v_fmac_f64_e32 v[94:95], v[84:85], v[90:91]
	ds_load_b128 v[80:83], v2 offset:416
	ds_load_b128 v[84:87], v2 offset:432
	s_wait_loadcnt 0x3
	v_fmac_f64_e32 v[94:95], v[64:65], v[92:93]
	s_wait_dscnt 0x1
	s_delay_alu instid0(VALU_DEP_1) | instskip(SKIP_1) | instid1(VALU_DEP_1)
	v_fmac_f64_e32 v[94:95], v[66:67], v[80:81]
	s_wait_loadcnt 0x2
	v_fmac_f64_e32 v[94:95], v[68:69], v[82:83]
	ds_load_b128 v[64:67], v2 offset:448
	ds_load_b64 v[68:69], v2 offset:464
	s_wait_dscnt 0x2
	v_fmac_f64_e32 v[94:95], v[70:71], v[84:85]
	s_wait_loadcnt 0x1
	s_delay_alu instid0(VALU_DEP_1) | instskip(SKIP_1) | instid1(VALU_DEP_1)
	v_fmac_f64_e32 v[94:95], v[72:73], v[86:87]
	s_wait_dscnt 0x1
	v_fmac_f64_e32 v[94:95], v[74:75], v[64:65]
	s_wait_loadcnt 0x0
	s_delay_alu instid0(VALU_DEP_1) | instskip(SKIP_1) | instid1(VALU_DEP_1)
	v_fmac_f64_e32 v[94:95], v[76:77], v[66:67]
	s_wait_dscnt 0x0
	v_fmac_f64_e32 v[94:95], v[78:79], v[68:69]
	s_delay_alu instid0(VALU_DEP_1)
	v_add_f64_e64 v[62:63], v[62:63], -v[94:95]
	scratch_store_b64 off, v[62:63], off offset:72
	s_wait_xcnt 0x0
	v_cmpx_lt_u32_e32 8, v0
	s_cbranch_execz .LBB92_167
; %bb.166:
	scratch_load_b64 v[62:63], off, off offset:64
	v_mov_b64_e32 v[64:65], 0
	scratch_store_b64 off, v[64:65], off offset:64
	s_wait_loadcnt 0x0
	ds_store_b64 v1, v[62:63]
.LBB92_167:
	s_wait_xcnt 0x0
	s_or_b32 exec_lo, exec_lo, s0
	s_wait_storecnt_dscnt 0x0
	s_barrier_signal -1
	s_barrier_wait -1
	s_clause 0x5
	scratch_load_b128 v[62:65], off, off offset:64
	scratch_load_b128 v[66:69], off, off offset:80
	;; [unrolled: 1-line block ×6, first 2 shown]
	ds_load_2addr_b64 v[86:89], v2 offset0:39 offset1:40
	ds_load_2addr_b64 v[90:93], v2 offset0:41 offset1:42
	s_mov_b32 s0, exec_lo
	s_wait_loadcnt_dscnt 0x501
	v_fma_f64 v[94:95], v[64:65], v[86:87], 0
	s_wait_loadcnt 0x4
	s_delay_alu instid0(VALU_DEP_1) | instskip(SKIP_4) | instid1(VALU_DEP_1)
	v_fmac_f64_e32 v[94:95], v[66:67], v[88:89]
	scratch_load_b128 v[64:67], off, off offset:160
	s_wait_dscnt 0x0
	v_fmac_f64_e32 v[94:95], v[68:69], v[90:91]
	s_wait_loadcnt 0x4
	v_fmac_f64_e32 v[94:95], v[70:71], v[92:93]
	scratch_load_b128 v[68:71], off, off offset:176
	ds_load_2addr_b64 v[86:89], v2 offset0:43 offset1:44
	ds_load_2addr_b64 v[90:93], v2 offset0:45 offset1:46
	s_wait_dscnt 0x1
	v_fmac_f64_e32 v[94:95], v[72:73], v[86:87]
	s_wait_loadcnt 0x4
	s_delay_alu instid0(VALU_DEP_1) | instskip(SKIP_4) | instid1(VALU_DEP_1)
	v_fmac_f64_e32 v[94:95], v[74:75], v[88:89]
	scratch_load_b128 v[72:75], off, off offset:192
	s_wait_dscnt 0x0
	v_fmac_f64_e32 v[94:95], v[76:77], v[90:91]
	s_wait_loadcnt 0x4
	v_fmac_f64_e32 v[94:95], v[78:79], v[92:93]
	scratch_load_b128 v[76:79], off, off offset:208
	ds_load_2addr_b64 v[86:89], v2 offset0:47 offset1:48
	ds_load_2addr_b64 v[90:93], v2 offset0:49 offset1:50
	s_wait_dscnt 0x1
	v_fmac_f64_e32 v[94:95], v[80:81], v[86:87]
	s_wait_loadcnt 0x4
	s_delay_alu instid0(VALU_DEP_1)
	v_fmac_f64_e32 v[94:95], v[82:83], v[88:89]
	scratch_load_b64 v[88:89], off, off offset:224
	s_wait_dscnt 0x0
	v_fmac_f64_e32 v[94:95], v[84:85], v[90:91]
	ds_load_2addr_b64 v[80:83], v2 offset0:51 offset1:52
	ds_load_2addr_b64 v[84:87], v2 offset0:53 offset1:54
	s_wait_loadcnt 0x4
	v_fmac_f64_e32 v[94:95], v[64:65], v[92:93]
	s_wait_dscnt 0x1
	s_delay_alu instid0(VALU_DEP_1) | instskip(SKIP_1) | instid1(VALU_DEP_1)
	v_fmac_f64_e32 v[94:95], v[66:67], v[80:81]
	s_wait_loadcnt 0x3
	v_fmac_f64_e32 v[94:95], v[68:69], v[82:83]
	s_wait_dscnt 0x0
	s_delay_alu instid0(VALU_DEP_1)
	v_fmac_f64_e32 v[94:95], v[70:71], v[84:85]
	ds_load_2addr_b64 v[64:67], v2 offset0:55 offset1:56
	ds_load_2addr_b64 v[68:71], v2 offset0:57 offset1:58
	s_wait_loadcnt 0x2
	v_fmac_f64_e32 v[94:95], v[72:73], v[86:87]
	s_wait_dscnt 0x1
	s_delay_alu instid0(VALU_DEP_1) | instskip(SKIP_1) | instid1(VALU_DEP_1)
	v_fmac_f64_e32 v[94:95], v[74:75], v[64:65]
	s_wait_loadcnt 0x1
	v_fmac_f64_e32 v[94:95], v[76:77], v[66:67]
	s_wait_dscnt 0x0
	s_delay_alu instid0(VALU_DEP_1) | instskip(SKIP_1) | instid1(VALU_DEP_1)
	v_fmac_f64_e32 v[94:95], v[78:79], v[68:69]
	s_wait_loadcnt 0x0
	v_fmac_f64_e32 v[94:95], v[88:89], v[70:71]
	s_delay_alu instid0(VALU_DEP_1)
	v_add_f64_e64 v[2:3], v[62:63], -v[94:95]
	scratch_store_b64 off, v[2:3], off offset:64
	s_wait_xcnt 0x0
	v_cmpx_lt_u32_e32 7, v0
	s_cbranch_execz .LBB92_169
; %bb.168:
	scratch_load_b64 v[2:3], off, off offset:56
	v_mov_b64_e32 v[62:63], 0
	scratch_store_b64 off, v[62:63], off offset:56
	s_wait_loadcnt 0x0
	ds_store_b64 v1, v[2:3]
.LBB92_169:
	s_wait_xcnt 0x0
	s_or_b32 exec_lo, exec_lo, s0
	s_wait_storecnt_dscnt 0x0
	s_barrier_signal -1
	s_barrier_wait -1
	s_clause 0x5
	scratch_load_b128 v[62:65], off, off offset:56
	scratch_load_b128 v[66:69], off, off offset:72
	;; [unrolled: 1-line block ×6, first 2 shown]
	v_mov_b32_e32 v2, 0
	ds_load_b128 v[86:89], v2 offset:304
	ds_load_b128 v[90:93], v2 offset:320
	s_mov_b32 s0, exec_lo
	s_wait_loadcnt_dscnt 0x501
	v_fma_f64 v[94:95], v[64:65], v[86:87], 0
	s_wait_loadcnt 0x4
	s_delay_alu instid0(VALU_DEP_1) | instskip(SKIP_4) | instid1(VALU_DEP_1)
	v_fmac_f64_e32 v[94:95], v[66:67], v[88:89]
	scratch_load_b128 v[64:67], off, off offset:152
	s_wait_dscnt 0x0
	v_fmac_f64_e32 v[94:95], v[68:69], v[90:91]
	s_wait_loadcnt 0x4
	v_fmac_f64_e32 v[94:95], v[70:71], v[92:93]
	scratch_load_b128 v[68:71], off, off offset:168
	ds_load_b128 v[86:89], v2 offset:336
	ds_load_b128 v[90:93], v2 offset:352
	s_wait_dscnt 0x1
	v_fmac_f64_e32 v[94:95], v[72:73], v[86:87]
	s_wait_loadcnt 0x4
	s_delay_alu instid0(VALU_DEP_1) | instskip(SKIP_4) | instid1(VALU_DEP_1)
	v_fmac_f64_e32 v[94:95], v[74:75], v[88:89]
	scratch_load_b128 v[72:75], off, off offset:184
	s_wait_dscnt 0x0
	v_fmac_f64_e32 v[94:95], v[76:77], v[90:91]
	s_wait_loadcnt 0x4
	v_fmac_f64_e32 v[94:95], v[78:79], v[92:93]
	scratch_load_b128 v[76:79], off, off offset:200
	ds_load_b128 v[86:89], v2 offset:368
	ds_load_b128 v[90:93], v2 offset:384
	s_wait_dscnt 0x1
	v_fmac_f64_e32 v[94:95], v[80:81], v[86:87]
	s_wait_loadcnt 0x4
	s_delay_alu instid0(VALU_DEP_1)
	v_fmac_f64_e32 v[94:95], v[82:83], v[88:89]
	scratch_load_b128 v[80:83], off, off offset:216
	s_wait_dscnt 0x0
	v_fmac_f64_e32 v[94:95], v[84:85], v[90:91]
	ds_load_b128 v[84:87], v2 offset:400
	ds_load_b128 v[88:91], v2 offset:416
	s_wait_loadcnt 0x4
	v_fmac_f64_e32 v[94:95], v[64:65], v[92:93]
	s_wait_dscnt 0x1
	s_delay_alu instid0(VALU_DEP_1) | instskip(SKIP_1) | instid1(VALU_DEP_1)
	v_fmac_f64_e32 v[94:95], v[66:67], v[84:85]
	s_wait_loadcnt 0x3
	v_fmac_f64_e32 v[94:95], v[68:69], v[86:87]
	s_wait_dscnt 0x0
	s_delay_alu instid0(VALU_DEP_1)
	v_fmac_f64_e32 v[94:95], v[70:71], v[88:89]
	ds_load_b128 v[64:67], v2 offset:432
	ds_load_b128 v[68:71], v2 offset:448
	s_wait_loadcnt 0x2
	v_fmac_f64_e32 v[94:95], v[72:73], v[90:91]
	s_wait_dscnt 0x1
	s_delay_alu instid0(VALU_DEP_1) | instskip(SKIP_4) | instid1(VALU_DEP_1)
	v_fmac_f64_e32 v[94:95], v[74:75], v[64:65]
	ds_load_b64 v[64:65], v2 offset:464
	s_wait_loadcnt 0x1
	v_fmac_f64_e32 v[94:95], v[76:77], v[66:67]
	s_wait_dscnt 0x1
	v_fmac_f64_e32 v[94:95], v[78:79], v[68:69]
	s_wait_loadcnt 0x0
	s_delay_alu instid0(VALU_DEP_1) | instskip(SKIP_1) | instid1(VALU_DEP_1)
	v_fmac_f64_e32 v[94:95], v[80:81], v[70:71]
	s_wait_dscnt 0x0
	v_fmac_f64_e32 v[94:95], v[82:83], v[64:65]
	s_delay_alu instid0(VALU_DEP_1)
	v_add_f64_e64 v[62:63], v[62:63], -v[94:95]
	scratch_store_b64 off, v[62:63], off offset:56
	s_wait_xcnt 0x0
	v_cmpx_lt_u32_e32 6, v0
	s_cbranch_execz .LBB92_171
; %bb.170:
	scratch_load_b64 v[62:63], off, off offset:48
	v_mov_b64_e32 v[64:65], 0
	scratch_store_b64 off, v[64:65], off offset:48
	s_wait_loadcnt 0x0
	ds_store_b64 v1, v[62:63]
.LBB92_171:
	s_wait_xcnt 0x0
	s_or_b32 exec_lo, exec_lo, s0
	s_wait_storecnt_dscnt 0x0
	s_barrier_signal -1
	s_barrier_wait -1
	s_clause 0x5
	scratch_load_b128 v[62:65], off, off offset:48
	scratch_load_b128 v[66:69], off, off offset:64
	;; [unrolled: 1-line block ×6, first 2 shown]
	ds_load_2addr_b64 v[86:89], v2 offset0:37 offset1:38
	ds_load_2addr_b64 v[90:93], v2 offset0:39 offset1:40
	scratch_load_b128 v[94:97], off, off offset:144
	s_mov_b32 s0, exec_lo
	s_wait_loadcnt_dscnt 0x601
	v_fma_f64 v[98:99], v[64:65], v[86:87], 0
	s_wait_loadcnt 0x5
	s_delay_alu instid0(VALU_DEP_1) | instskip(SKIP_4) | instid1(VALU_DEP_1)
	v_fmac_f64_e32 v[98:99], v[66:67], v[88:89]
	scratch_load_b128 v[64:67], off, off offset:160
	s_wait_dscnt 0x0
	v_fmac_f64_e32 v[98:99], v[68:69], v[90:91]
	s_wait_loadcnt 0x5
	v_fmac_f64_e32 v[98:99], v[70:71], v[92:93]
	ds_load_2addr_b64 v[68:71], v2 offset0:41 offset1:42
	ds_load_2addr_b64 v[86:89], v2 offset0:43 offset1:44
	s_wait_dscnt 0x1
	v_fmac_f64_e32 v[98:99], v[72:73], v[68:69]
	s_wait_loadcnt 0x4
	s_delay_alu instid0(VALU_DEP_1)
	v_fmac_f64_e32 v[98:99], v[74:75], v[70:71]
	s_clause 0x1
	scratch_load_b128 v[68:71], off, off offset:176
	scratch_load_b128 v[72:75], off, off offset:192
	s_wait_dscnt 0x0
	v_fmac_f64_e32 v[98:99], v[76:77], v[86:87]
	s_wait_loadcnt 0x5
	s_delay_alu instid0(VALU_DEP_1)
	v_fmac_f64_e32 v[98:99], v[78:79], v[88:89]
	ds_load_2addr_b64 v[76:79], v2 offset0:45 offset1:46
	ds_load_2addr_b64 v[86:89], v2 offset0:47 offset1:48
	s_wait_dscnt 0x1
	v_fmac_f64_e32 v[98:99], v[80:81], v[76:77]
	s_wait_loadcnt 0x4
	s_delay_alu instid0(VALU_DEP_1) | instskip(SKIP_4) | instid1(VALU_DEP_1)
	v_fmac_f64_e32 v[98:99], v[82:83], v[78:79]
	scratch_load_b128 v[76:79], off, off offset:208
	s_wait_dscnt 0x0
	v_fmac_f64_e32 v[98:99], v[84:85], v[86:87]
	s_wait_loadcnt 0x4
	v_fmac_f64_e32 v[98:99], v[94:95], v[88:89]
	scratch_load_b64 v[88:89], off, off offset:224
	ds_load_2addr_b64 v[80:83], v2 offset0:49 offset1:50
	ds_load_2addr_b64 v[84:87], v2 offset0:51 offset1:52
	s_wait_dscnt 0x1
	v_fmac_f64_e32 v[98:99], v[96:97], v[80:81]
	s_wait_loadcnt 0x4
	s_delay_alu instid0(VALU_DEP_1) | instskip(SKIP_1) | instid1(VALU_DEP_1)
	v_fmac_f64_e32 v[98:99], v[64:65], v[82:83]
	s_wait_dscnt 0x0
	v_fmac_f64_e32 v[98:99], v[66:67], v[84:85]
	ds_load_2addr_b64 v[64:67], v2 offset0:53 offset1:54
	ds_load_2addr_b64 v[80:83], v2 offset0:55 offset1:56
	s_wait_loadcnt 0x3
	v_fmac_f64_e32 v[98:99], v[68:69], v[86:87]
	s_wait_dscnt 0x1
	s_delay_alu instid0(VALU_DEP_1) | instskip(SKIP_1) | instid1(VALU_DEP_1)
	v_fmac_f64_e32 v[98:99], v[70:71], v[64:65]
	s_wait_loadcnt 0x2
	v_fmac_f64_e32 v[98:99], v[72:73], v[66:67]
	ds_load_2addr_b64 v[64:67], v2 offset0:57 offset1:58
	s_wait_dscnt 0x1
	v_fmac_f64_e32 v[98:99], v[74:75], v[80:81]
	s_wait_loadcnt 0x1
	s_delay_alu instid0(VALU_DEP_1) | instskip(SKIP_1) | instid1(VALU_DEP_1)
	v_fmac_f64_e32 v[98:99], v[76:77], v[82:83]
	s_wait_dscnt 0x0
	v_fmac_f64_e32 v[98:99], v[78:79], v[64:65]
	s_wait_loadcnt 0x0
	s_delay_alu instid0(VALU_DEP_1) | instskip(NEXT) | instid1(VALU_DEP_1)
	v_fmac_f64_e32 v[98:99], v[88:89], v[66:67]
	v_add_f64_e64 v[2:3], v[62:63], -v[98:99]
	scratch_store_b64 off, v[2:3], off offset:48
	s_wait_xcnt 0x0
	v_cmpx_lt_u32_e32 5, v0
	s_cbranch_execz .LBB92_173
; %bb.172:
	scratch_load_b64 v[2:3], off, off offset:40
	v_mov_b64_e32 v[62:63], 0
	scratch_store_b64 off, v[62:63], off offset:40
	s_wait_loadcnt 0x0
	ds_store_b64 v1, v[2:3]
.LBB92_173:
	s_wait_xcnt 0x0
	s_or_b32 exec_lo, exec_lo, s0
	s_wait_storecnt_dscnt 0x0
	s_barrier_signal -1
	s_barrier_wait -1
	s_clause 0x5
	scratch_load_b128 v[62:65], off, off offset:40
	scratch_load_b128 v[66:69], off, off offset:56
	;; [unrolled: 1-line block ×6, first 2 shown]
	v_mov_b32_e32 v2, 0
	ds_load_b128 v[86:89], v2 offset:288
	ds_load_b128 v[90:93], v2 offset:304
	scratch_load_b128 v[94:97], off, off offset:136
	s_mov_b32 s0, exec_lo
	s_wait_loadcnt_dscnt 0x601
	v_fma_f64 v[98:99], v[64:65], v[86:87], 0
	s_wait_loadcnt 0x5
	s_delay_alu instid0(VALU_DEP_1) | instskip(SKIP_4) | instid1(VALU_DEP_1)
	v_fmac_f64_e32 v[98:99], v[66:67], v[88:89]
	scratch_load_b128 v[64:67], off, off offset:152
	s_wait_dscnt 0x0
	v_fmac_f64_e32 v[98:99], v[68:69], v[90:91]
	s_wait_loadcnt 0x5
	v_fmac_f64_e32 v[98:99], v[70:71], v[92:93]
	ds_load_b128 v[68:71], v2 offset:320
	ds_load_b128 v[86:89], v2 offset:336
	s_wait_dscnt 0x1
	v_fmac_f64_e32 v[98:99], v[72:73], v[68:69]
	s_wait_loadcnt 0x4
	s_delay_alu instid0(VALU_DEP_1)
	v_fmac_f64_e32 v[98:99], v[74:75], v[70:71]
	s_clause 0x1
	scratch_load_b128 v[68:71], off, off offset:168
	scratch_load_b128 v[72:75], off, off offset:184
	s_wait_dscnt 0x0
	v_fmac_f64_e32 v[98:99], v[76:77], v[86:87]
	s_wait_loadcnt 0x5
	s_delay_alu instid0(VALU_DEP_1)
	v_fmac_f64_e32 v[98:99], v[78:79], v[88:89]
	ds_load_b128 v[76:79], v2 offset:352
	ds_load_b128 v[86:89], v2 offset:368
	s_wait_dscnt 0x1
	v_fmac_f64_e32 v[98:99], v[80:81], v[76:77]
	s_wait_loadcnt 0x4
	s_delay_alu instid0(VALU_DEP_1)
	v_fmac_f64_e32 v[98:99], v[82:83], v[78:79]
	s_clause 0x1
	scratch_load_b128 v[76:79], off, off offset:200
	scratch_load_b128 v[80:83], off, off offset:216
	s_wait_dscnt 0x0
	v_fmac_f64_e32 v[98:99], v[84:85], v[86:87]
	s_wait_loadcnt 0x5
	s_delay_alu instid0(VALU_DEP_1)
	v_fmac_f64_e32 v[98:99], v[94:95], v[88:89]
	ds_load_b128 v[84:87], v2 offset:384
	ds_load_b128 v[88:91], v2 offset:400
	s_wait_dscnt 0x1
	v_fmac_f64_e32 v[98:99], v[96:97], v[84:85]
	s_wait_loadcnt 0x4
	s_delay_alu instid0(VALU_DEP_1) | instskip(SKIP_1) | instid1(VALU_DEP_1)
	v_fmac_f64_e32 v[98:99], v[64:65], v[86:87]
	s_wait_dscnt 0x0
	v_fmac_f64_e32 v[98:99], v[66:67], v[88:89]
	ds_load_b128 v[64:67], v2 offset:416
	ds_load_b128 v[84:87], v2 offset:432
	s_wait_loadcnt 0x3
	v_fmac_f64_e32 v[98:99], v[68:69], v[90:91]
	s_wait_dscnt 0x1
	s_delay_alu instid0(VALU_DEP_1) | instskip(SKIP_1) | instid1(VALU_DEP_1)
	v_fmac_f64_e32 v[98:99], v[70:71], v[64:65]
	s_wait_loadcnt 0x2
	v_fmac_f64_e32 v[98:99], v[72:73], v[66:67]
	ds_load_b128 v[64:67], v2 offset:448
	ds_load_b64 v[68:69], v2 offset:464
	s_wait_dscnt 0x2
	v_fmac_f64_e32 v[98:99], v[74:75], v[84:85]
	s_wait_loadcnt 0x1
	s_delay_alu instid0(VALU_DEP_1) | instskip(SKIP_1) | instid1(VALU_DEP_1)
	v_fmac_f64_e32 v[98:99], v[76:77], v[86:87]
	s_wait_dscnt 0x1
	v_fmac_f64_e32 v[98:99], v[78:79], v[64:65]
	s_wait_loadcnt 0x0
	s_delay_alu instid0(VALU_DEP_1) | instskip(SKIP_1) | instid1(VALU_DEP_1)
	v_fmac_f64_e32 v[98:99], v[80:81], v[66:67]
	s_wait_dscnt 0x0
	v_fmac_f64_e32 v[98:99], v[82:83], v[68:69]
	s_delay_alu instid0(VALU_DEP_1)
	v_add_f64_e64 v[62:63], v[62:63], -v[98:99]
	scratch_store_b64 off, v[62:63], off offset:40
	s_wait_xcnt 0x0
	v_cmpx_lt_u32_e32 4, v0
	s_cbranch_execz .LBB92_175
; %bb.174:
	scratch_load_b64 v[62:63], off, off offset:32
	v_mov_b64_e32 v[64:65], 0
	scratch_store_b64 off, v[64:65], off offset:32
	s_wait_loadcnt 0x0
	ds_store_b64 v1, v[62:63]
.LBB92_175:
	s_wait_xcnt 0x0
	s_or_b32 exec_lo, exec_lo, s0
	s_wait_storecnt_dscnt 0x0
	s_barrier_signal -1
	s_barrier_wait -1
	s_clause 0x5
	scratch_load_b128 v[62:65], off, off offset:32
	scratch_load_b128 v[66:69], off, off offset:48
	;; [unrolled: 1-line block ×6, first 2 shown]
	ds_load_2addr_b64 v[86:89], v2 offset0:35 offset1:36
	ds_load_2addr_b64 v[90:93], v2 offset0:37 offset1:38
	scratch_load_b128 v[94:97], off, off offset:128
	s_mov_b32 s0, exec_lo
	s_wait_loadcnt_dscnt 0x601
	v_fma_f64 v[98:99], v[64:65], v[86:87], 0
	s_wait_loadcnt 0x5
	s_delay_alu instid0(VALU_DEP_1) | instskip(SKIP_4) | instid1(VALU_DEP_1)
	v_fmac_f64_e32 v[98:99], v[66:67], v[88:89]
	scratch_load_b128 v[64:67], off, off offset:144
	s_wait_dscnt 0x0
	v_fmac_f64_e32 v[98:99], v[68:69], v[90:91]
	s_wait_loadcnt 0x5
	v_fmac_f64_e32 v[98:99], v[70:71], v[92:93]
	ds_load_2addr_b64 v[68:71], v2 offset0:39 offset1:40
	ds_load_2addr_b64 v[86:89], v2 offset0:41 offset1:42
	s_wait_dscnt 0x1
	v_fmac_f64_e32 v[98:99], v[72:73], v[68:69]
	s_wait_loadcnt 0x4
	s_delay_alu instid0(VALU_DEP_1)
	v_fmac_f64_e32 v[98:99], v[74:75], v[70:71]
	s_clause 0x1
	scratch_load_b128 v[68:71], off, off offset:160
	scratch_load_b128 v[72:75], off, off offset:176
	s_wait_dscnt 0x0
	v_fmac_f64_e32 v[98:99], v[76:77], v[86:87]
	s_wait_loadcnt 0x5
	s_delay_alu instid0(VALU_DEP_1)
	v_fmac_f64_e32 v[98:99], v[78:79], v[88:89]
	ds_load_2addr_b64 v[76:79], v2 offset0:43 offset1:44
	ds_load_2addr_b64 v[86:89], v2 offset0:45 offset1:46
	s_wait_dscnt 0x1
	v_fmac_f64_e32 v[98:99], v[80:81], v[76:77]
	s_wait_loadcnt 0x4
	s_delay_alu instid0(VALU_DEP_1)
	v_fmac_f64_e32 v[98:99], v[82:83], v[78:79]
	s_clause 0x1
	scratch_load_b128 v[76:79], off, off offset:192
	scratch_load_b128 v[80:83], off, off offset:208
	s_wait_dscnt 0x0
	v_fmac_f64_e32 v[98:99], v[84:85], v[86:87]
	s_wait_loadcnt 0x5
	s_delay_alu instid0(VALU_DEP_1)
	v_fmac_f64_e32 v[98:99], v[94:95], v[88:89]
	ds_load_2addr_b64 v[84:87], v2 offset0:47 offset1:48
	ds_load_2addr_b64 v[88:91], v2 offset0:49 offset1:50
	scratch_load_b64 v[92:93], off, off offset:224
	s_wait_dscnt 0x1
	v_fmac_f64_e32 v[98:99], v[96:97], v[84:85]
	s_wait_loadcnt 0x5
	s_delay_alu instid0(VALU_DEP_1) | instskip(SKIP_1) | instid1(VALU_DEP_1)
	v_fmac_f64_e32 v[98:99], v[64:65], v[86:87]
	s_wait_dscnt 0x0
	v_fmac_f64_e32 v[98:99], v[66:67], v[88:89]
	ds_load_2addr_b64 v[64:67], v2 offset0:51 offset1:52
	ds_load_2addr_b64 v[84:87], v2 offset0:53 offset1:54
	s_wait_loadcnt 0x4
	v_fmac_f64_e32 v[98:99], v[68:69], v[90:91]
	s_wait_dscnt 0x1
	s_delay_alu instid0(VALU_DEP_1) | instskip(SKIP_1) | instid1(VALU_DEP_1)
	v_fmac_f64_e32 v[98:99], v[70:71], v[64:65]
	s_wait_loadcnt 0x3
	v_fmac_f64_e32 v[98:99], v[72:73], v[66:67]
	ds_load_2addr_b64 v[64:67], v2 offset0:55 offset1:56
	ds_load_2addr_b64 v[68:71], v2 offset0:57 offset1:58
	s_wait_dscnt 0x2
	v_fmac_f64_e32 v[98:99], v[74:75], v[84:85]
	s_wait_loadcnt 0x2
	s_delay_alu instid0(VALU_DEP_1) | instskip(SKIP_1) | instid1(VALU_DEP_1)
	v_fmac_f64_e32 v[98:99], v[76:77], v[86:87]
	s_wait_dscnt 0x1
	v_fmac_f64_e32 v[98:99], v[78:79], v[64:65]
	s_wait_loadcnt 0x1
	s_delay_alu instid0(VALU_DEP_1) | instskip(SKIP_1) | instid1(VALU_DEP_1)
	v_fmac_f64_e32 v[98:99], v[80:81], v[66:67]
	s_wait_dscnt 0x0
	v_fmac_f64_e32 v[98:99], v[82:83], v[68:69]
	s_wait_loadcnt 0x0
	s_delay_alu instid0(VALU_DEP_1) | instskip(NEXT) | instid1(VALU_DEP_1)
	v_fmac_f64_e32 v[98:99], v[92:93], v[70:71]
	v_add_f64_e64 v[2:3], v[62:63], -v[98:99]
	scratch_store_b64 off, v[2:3], off offset:32
	s_wait_xcnt 0x0
	v_cmpx_lt_u32_e32 3, v0
	s_cbranch_execz .LBB92_177
; %bb.176:
	scratch_load_b64 v[2:3], off, off offset:24
	v_mov_b64_e32 v[62:63], 0
	scratch_store_b64 off, v[62:63], off offset:24
	s_wait_loadcnt 0x0
	ds_store_b64 v1, v[2:3]
.LBB92_177:
	s_wait_xcnt 0x0
	s_or_b32 exec_lo, exec_lo, s0
	s_wait_storecnt_dscnt 0x0
	s_barrier_signal -1
	s_barrier_wait -1
	s_clause 0x5
	scratch_load_b128 v[62:65], off, off offset:24
	scratch_load_b128 v[66:69], off, off offset:40
	;; [unrolled: 1-line block ×6, first 2 shown]
	v_mov_b32_e32 v2, 0
	ds_load_b128 v[86:89], v2 offset:272
	ds_load_b128 v[90:93], v2 offset:288
	scratch_load_b128 v[94:97], off, off offset:120
	s_mov_b32 s0, exec_lo
	s_wait_loadcnt_dscnt 0x601
	v_fma_f64 v[98:99], v[64:65], v[86:87], 0
	s_wait_loadcnt 0x5
	s_delay_alu instid0(VALU_DEP_1) | instskip(SKIP_4) | instid1(VALU_DEP_1)
	v_fmac_f64_e32 v[98:99], v[66:67], v[88:89]
	scratch_load_b128 v[64:67], off, off offset:136
	s_wait_dscnt 0x0
	v_fmac_f64_e32 v[98:99], v[68:69], v[90:91]
	s_wait_loadcnt 0x5
	v_fmac_f64_e32 v[98:99], v[70:71], v[92:93]
	ds_load_b128 v[68:71], v2 offset:304
	ds_load_b128 v[86:89], v2 offset:320
	s_wait_dscnt 0x1
	v_fmac_f64_e32 v[98:99], v[72:73], v[68:69]
	s_wait_loadcnt 0x4
	s_delay_alu instid0(VALU_DEP_1)
	v_fmac_f64_e32 v[98:99], v[74:75], v[70:71]
	s_clause 0x1
	scratch_load_b128 v[68:71], off, off offset:152
	scratch_load_b128 v[72:75], off, off offset:168
	s_wait_dscnt 0x0
	v_fmac_f64_e32 v[98:99], v[76:77], v[86:87]
	s_wait_loadcnt 0x5
	s_delay_alu instid0(VALU_DEP_1)
	v_fmac_f64_e32 v[98:99], v[78:79], v[88:89]
	ds_load_b128 v[76:79], v2 offset:336
	ds_load_b128 v[86:89], v2 offset:352
	s_wait_dscnt 0x1
	v_fmac_f64_e32 v[98:99], v[80:81], v[76:77]
	s_wait_loadcnt 0x4
	s_delay_alu instid0(VALU_DEP_1)
	v_fmac_f64_e32 v[98:99], v[82:83], v[78:79]
	s_clause 0x1
	scratch_load_b128 v[76:79], off, off offset:184
	scratch_load_b128 v[80:83], off, off offset:200
	s_wait_dscnt 0x0
	v_fmac_f64_e32 v[98:99], v[84:85], v[86:87]
	s_wait_loadcnt 0x5
	s_delay_alu instid0(VALU_DEP_1)
	v_fmac_f64_e32 v[98:99], v[94:95], v[88:89]
	ds_load_b128 v[84:87], v2 offset:368
	ds_load_b128 v[88:91], v2 offset:384
	s_wait_dscnt 0x1
	v_fmac_f64_e32 v[98:99], v[96:97], v[84:85]
	s_wait_loadcnt 0x4
	s_delay_alu instid0(VALU_DEP_1) | instskip(SKIP_4) | instid1(VALU_DEP_1)
	v_fmac_f64_e32 v[98:99], v[64:65], v[86:87]
	scratch_load_b128 v[84:87], off, off offset:216
	s_wait_dscnt 0x0
	v_fmac_f64_e32 v[98:99], v[66:67], v[88:89]
	s_wait_loadcnt 0x4
	v_fmac_f64_e32 v[98:99], v[68:69], v[90:91]
	ds_load_b128 v[64:67], v2 offset:400
	ds_load_b128 v[88:91], v2 offset:416
	s_wait_dscnt 0x1
	v_fmac_f64_e32 v[98:99], v[70:71], v[64:65]
	s_wait_loadcnt 0x3
	s_delay_alu instid0(VALU_DEP_1)
	v_fmac_f64_e32 v[98:99], v[72:73], v[66:67]
	ds_load_b128 v[64:67], v2 offset:432
	ds_load_b128 v[68:71], v2 offset:448
	s_wait_dscnt 0x2
	v_fmac_f64_e32 v[98:99], v[74:75], v[88:89]
	s_wait_loadcnt 0x2
	s_delay_alu instid0(VALU_DEP_1) | instskip(SKIP_1) | instid1(VALU_DEP_1)
	v_fmac_f64_e32 v[98:99], v[76:77], v[90:91]
	s_wait_dscnt 0x1
	v_fmac_f64_e32 v[98:99], v[78:79], v[64:65]
	ds_load_b64 v[64:65], v2 offset:464
	s_wait_loadcnt 0x1
	v_fmac_f64_e32 v[98:99], v[80:81], v[66:67]
	s_wait_dscnt 0x1
	s_delay_alu instid0(VALU_DEP_1) | instskip(SKIP_1) | instid1(VALU_DEP_1)
	v_fmac_f64_e32 v[98:99], v[82:83], v[68:69]
	s_wait_loadcnt 0x0
	v_fmac_f64_e32 v[98:99], v[84:85], v[70:71]
	s_wait_dscnt 0x0
	s_delay_alu instid0(VALU_DEP_1) | instskip(NEXT) | instid1(VALU_DEP_1)
	v_fmac_f64_e32 v[98:99], v[86:87], v[64:65]
	v_add_f64_e64 v[62:63], v[62:63], -v[98:99]
	scratch_store_b64 off, v[62:63], off offset:24
	s_wait_xcnt 0x0
	v_cmpx_lt_u32_e32 2, v0
	s_cbranch_execz .LBB92_179
; %bb.178:
	scratch_load_b64 v[62:63], off, off offset:16
	v_mov_b64_e32 v[64:65], 0
	scratch_store_b64 off, v[64:65], off offset:16
	s_wait_loadcnt 0x0
	ds_store_b64 v1, v[62:63]
.LBB92_179:
	s_wait_xcnt 0x0
	s_or_b32 exec_lo, exec_lo, s0
	s_wait_storecnt_dscnt 0x0
	s_barrier_signal -1
	s_barrier_wait -1
	s_clause 0x5
	scratch_load_b128 v[62:65], off, off offset:16
	scratch_load_b128 v[66:69], off, off offset:32
	;; [unrolled: 1-line block ×6, first 2 shown]
	ds_load_2addr_b64 v[86:89], v2 offset0:33 offset1:34
	ds_load_2addr_b64 v[90:93], v2 offset0:35 offset1:36
	scratch_load_b128 v[94:97], off, off offset:112
	s_mov_b32 s0, exec_lo
	s_wait_loadcnt_dscnt 0x601
	v_fma_f64 v[98:99], v[64:65], v[86:87], 0
	s_wait_loadcnt 0x5
	s_delay_alu instid0(VALU_DEP_1) | instskip(SKIP_4) | instid1(VALU_DEP_1)
	v_fmac_f64_e32 v[98:99], v[66:67], v[88:89]
	scratch_load_b128 v[64:67], off, off offset:128
	s_wait_dscnt 0x0
	v_fmac_f64_e32 v[98:99], v[68:69], v[90:91]
	s_wait_loadcnt 0x5
	v_fmac_f64_e32 v[98:99], v[70:71], v[92:93]
	ds_load_2addr_b64 v[68:71], v2 offset0:37 offset1:38
	ds_load_2addr_b64 v[86:89], v2 offset0:39 offset1:40
	scratch_load_b128 v[90:93], off, off offset:144
	s_wait_dscnt 0x1
	v_fmac_f64_e32 v[98:99], v[72:73], v[68:69]
	s_wait_loadcnt 0x5
	s_delay_alu instid0(VALU_DEP_1) | instskip(SKIP_4) | instid1(VALU_DEP_1)
	v_fmac_f64_e32 v[98:99], v[74:75], v[70:71]
	scratch_load_b128 v[68:71], off, off offset:160
	s_wait_dscnt 0x0
	v_fmac_f64_e32 v[98:99], v[76:77], v[86:87]
	s_wait_loadcnt 0x5
	v_fmac_f64_e32 v[98:99], v[78:79], v[88:89]
	ds_load_2addr_b64 v[72:75], v2 offset0:41 offset1:42
	ds_load_2addr_b64 v[76:79], v2 offset0:43 offset1:44
	s_wait_dscnt 0x1
	v_fmac_f64_e32 v[98:99], v[80:81], v[72:73]
	s_wait_loadcnt 0x4
	s_delay_alu instid0(VALU_DEP_1) | instskip(SKIP_4) | instid1(VALU_DEP_1)
	v_fmac_f64_e32 v[98:99], v[82:83], v[74:75]
	scratch_load_b128 v[72:75], off, off offset:176
	s_wait_dscnt 0x0
	v_fmac_f64_e32 v[98:99], v[84:85], v[76:77]
	s_wait_loadcnt 0x4
	v_fmac_f64_e32 v[98:99], v[94:95], v[78:79]
	scratch_load_b128 v[76:79], off, off offset:192
	ds_load_2addr_b64 v[80:83], v2 offset0:45 offset1:46
	ds_load_2addr_b64 v[84:87], v2 offset0:47 offset1:48
	scratch_load_b64 v[88:89], off, off offset:224
	s_wait_dscnt 0x1
	v_fmac_f64_e32 v[98:99], v[96:97], v[80:81]
	s_wait_loadcnt 0x5
	s_delay_alu instid0(VALU_DEP_1) | instskip(SKIP_4) | instid1(VALU_DEP_1)
	v_fmac_f64_e32 v[98:99], v[64:65], v[82:83]
	scratch_load_b128 v[80:83], off, off offset:208
	s_wait_dscnt 0x0
	v_fmac_f64_e32 v[98:99], v[66:67], v[84:85]
	s_wait_loadcnt 0x5
	v_fmac_f64_e32 v[98:99], v[90:91], v[86:87]
	ds_load_2addr_b64 v[64:67], v2 offset0:49 offset1:50
	ds_load_2addr_b64 v[84:87], v2 offset0:51 offset1:52
	s_wait_dscnt 0x1
	v_fmac_f64_e32 v[98:99], v[92:93], v[64:65]
	s_wait_loadcnt 0x4
	s_delay_alu instid0(VALU_DEP_1) | instskip(SKIP_1) | instid1(VALU_DEP_1)
	v_fmac_f64_e32 v[98:99], v[68:69], v[66:67]
	s_wait_dscnt 0x0
	v_fmac_f64_e32 v[98:99], v[70:71], v[84:85]
	ds_load_2addr_b64 v[64:67], v2 offset0:53 offset1:54
	ds_load_2addr_b64 v[68:71], v2 offset0:55 offset1:56
	s_wait_loadcnt 0x3
	v_fmac_f64_e32 v[98:99], v[72:73], v[86:87]
	s_wait_dscnt 0x1
	s_delay_alu instid0(VALU_DEP_1) | instskip(SKIP_1) | instid1(VALU_DEP_1)
	v_fmac_f64_e32 v[98:99], v[74:75], v[64:65]
	s_wait_loadcnt 0x2
	v_fmac_f64_e32 v[98:99], v[76:77], v[66:67]
	ds_load_2addr_b64 v[64:67], v2 offset0:57 offset1:58
	s_wait_dscnt 0x1
	v_fmac_f64_e32 v[98:99], v[78:79], v[68:69]
	s_wait_loadcnt 0x0
	s_delay_alu instid0(VALU_DEP_1) | instskip(SKIP_1) | instid1(VALU_DEP_1)
	v_fmac_f64_e32 v[98:99], v[80:81], v[70:71]
	s_wait_dscnt 0x0
	v_fmac_f64_e32 v[98:99], v[82:83], v[64:65]
	s_delay_alu instid0(VALU_DEP_1) | instskip(NEXT) | instid1(VALU_DEP_1)
	v_fmac_f64_e32 v[98:99], v[88:89], v[66:67]
	v_add_f64_e64 v[2:3], v[62:63], -v[98:99]
	scratch_store_b64 off, v[2:3], off offset:16
	s_wait_xcnt 0x0
	v_cmpx_lt_u32_e32 1, v0
	s_cbranch_execz .LBB92_181
; %bb.180:
	scratch_load_b64 v[2:3], off, off offset:8
	v_mov_b64_e32 v[62:63], 0
	scratch_store_b64 off, v[62:63], off offset:8
	s_wait_loadcnt 0x0
	ds_store_b64 v1, v[2:3]
.LBB92_181:
	s_wait_xcnt 0x0
	s_or_b32 exec_lo, exec_lo, s0
	s_wait_storecnt_dscnt 0x0
	s_barrier_signal -1
	s_barrier_wait -1
	s_clause 0x4
	scratch_load_b128 v[64:67], off, off offset:8
	scratch_load_b128 v[68:71], off, off offset:24
	;; [unrolled: 1-line block ×5, first 2 shown]
	v_mov_b32_e32 v62, 0
	ds_load_b128 v[84:87], v62 offset:256
	ds_load_b128 v[88:91], v62 offset:272
	scratch_load_b128 v[92:95], off, off offset:88
	v_dual_ashrrev_i32 v9, 31, v8 :: v_dual_ashrrev_i32 v11, 31, v10
	v_dual_ashrrev_i32 v13, 31, v12 :: v_dual_ashrrev_i32 v15, 31, v14
	;; [unrolled: 1-line block ×13, first 2 shown]
	v_ashrrev_i32_e32 v61, 31, v60
	s_mov_b32 s0, exec_lo
	s_wait_loadcnt_dscnt 0x501
	v_fma_f64 v[2:3], v[66:67], v[84:85], 0
	s_wait_loadcnt 0x4
	s_delay_alu instid0(VALU_DEP_1) | instskip(SKIP_4) | instid1(VALU_DEP_1)
	v_fmac_f64_e32 v[2:3], v[68:69], v[86:87]
	scratch_load_b128 v[66:69], off, off offset:104
	s_wait_dscnt 0x0
	v_fmac_f64_e32 v[2:3], v[70:71], v[88:89]
	s_wait_loadcnt 0x4
	v_fmac_f64_e32 v[2:3], v[72:73], v[90:91]
	ds_load_b128 v[70:73], v62 offset:288
	ds_load_b128 v[84:87], v62 offset:304
	scratch_load_b128 v[88:91], off, off offset:120
	s_wait_dscnt 0x1
	v_fmac_f64_e32 v[2:3], v[74:75], v[70:71]
	s_wait_loadcnt 0x4
	s_delay_alu instid0(VALU_DEP_1) | instskip(SKIP_4) | instid1(VALU_DEP_1)
	v_fmac_f64_e32 v[2:3], v[76:77], v[72:73]
	scratch_load_b128 v[70:73], off, off offset:136
	s_wait_dscnt 0x0
	v_fmac_f64_e32 v[2:3], v[78:79], v[84:85]
	s_wait_loadcnt 0x4
	v_fmac_f64_e32 v[2:3], v[80:81], v[86:87]
	ds_load_b128 v[74:77], v62 offset:320
	ds_load_b128 v[78:81], v62 offset:336
	s_wait_dscnt 0x1
	v_fmac_f64_e32 v[2:3], v[82:83], v[74:75]
	scratch_load_b128 v[82:85], off, off offset:152
	s_wait_loadcnt 0x4
	v_fmac_f64_e32 v[2:3], v[92:93], v[76:77]
	scratch_load_b128 v[74:77], off, off offset:168
	s_wait_dscnt 0x0
	v_fmac_f64_e32 v[2:3], v[94:95], v[78:79]
	s_wait_loadcnt 0x4
	s_delay_alu instid0(VALU_DEP_1)
	v_fmac_f64_e32 v[2:3], v[66:67], v[80:81]
	ds_load_b128 v[78:81], v62 offset:352
	ds_load_b128 v[92:95], v62 offset:368
	s_wait_dscnt 0x1
	v_fmac_f64_e32 v[2:3], v[68:69], v[78:79]
	scratch_load_b128 v[66:69], off, off offset:184
	s_wait_loadcnt 0x4
	v_fmac_f64_e32 v[2:3], v[88:89], v[80:81]
	scratch_load_b128 v[78:81], off, off offset:200
	s_wait_dscnt 0x0
	v_fmac_f64_e32 v[2:3], v[90:91], v[92:93]
	ds_load_b128 v[86:89], v62 offset:384
	ds_load_b128 v[90:93], v62 offset:400
	s_wait_loadcnt 0x4
	v_fmac_f64_e32 v[2:3], v[70:71], v[94:95]
	s_wait_dscnt 0x1
	s_delay_alu instid0(VALU_DEP_1) | instskip(SKIP_4) | instid1(VALU_DEP_1)
	v_fmac_f64_e32 v[2:3], v[72:73], v[86:87]
	scratch_load_b128 v[70:73], off, off offset:216
	s_wait_loadcnt 0x4
	v_fmac_f64_e32 v[2:3], v[82:83], v[88:89]
	s_wait_dscnt 0x0
	v_fmac_f64_e32 v[2:3], v[84:85], v[90:91]
	ds_load_b128 v[82:85], v62 offset:416
	ds_load_b128 v[86:89], v62 offset:432
	s_wait_loadcnt 0x3
	v_fmac_f64_e32 v[2:3], v[74:75], v[92:93]
	s_wait_dscnt 0x1
	s_delay_alu instid0(VALU_DEP_1) | instskip(SKIP_1) | instid1(VALU_DEP_1)
	v_fmac_f64_e32 v[2:3], v[76:77], v[82:83]
	s_wait_loadcnt 0x2
	v_fmac_f64_e32 v[2:3], v[66:67], v[84:85]
	s_wait_dscnt 0x0
	s_delay_alu instid0(VALU_DEP_1)
	v_fmac_f64_e32 v[2:3], v[68:69], v[86:87]
	ds_load_b128 v[66:69], v62 offset:448
	ds_load_b64 v[74:75], v62 offset:464
	s_wait_loadcnt 0x1
	v_fmac_f64_e32 v[2:3], v[78:79], v[88:89]
	s_wait_dscnt 0x1
	s_delay_alu instid0(VALU_DEP_1) | instskip(SKIP_1) | instid1(VALU_DEP_1)
	v_fmac_f64_e32 v[2:3], v[80:81], v[66:67]
	s_wait_loadcnt 0x0
	v_fmac_f64_e32 v[2:3], v[70:71], v[68:69]
	s_wait_dscnt 0x0
	s_delay_alu instid0(VALU_DEP_1) | instskip(NEXT) | instid1(VALU_DEP_1)
	v_fmac_f64_e32 v[2:3], v[72:73], v[74:75]
	v_add_f64_e64 v[2:3], v[64:65], -v[2:3]
	scratch_store_b64 off, v[2:3], off offset:8
	s_wait_xcnt 0x0
	v_cmpx_ne_u32_e32 0, v0
	s_cbranch_execz .LBB92_183
; %bb.182:
	scratch_load_b64 v[2:3], off, off
	v_mov_b64_e32 v[64:65], 0
	scratch_store_b64 off, v[64:65], off
	s_wait_loadcnt 0x0
	ds_store_b64 v1, v[2:3]
.LBB92_183:
	s_wait_xcnt 0x0
	s_or_b32 exec_lo, exec_lo, s0
	s_wait_storecnt_dscnt 0x0
	s_barrier_signal -1
	s_barrier_wait -1
	s_clause 0x5
	scratch_load_b128 v[64:67], off, off
	scratch_load_b128 v[0:3], off, off offset:16
	scratch_load_b128 v[68:71], off, off offset:32
	;; [unrolled: 1-line block ×5, first 2 shown]
	ds_load_2addr_b64 v[84:87], v62 offset0:31 offset1:32
	scratch_load_b128 v[88:91], off, off offset:96
	s_and_b32 vcc_lo, exec_lo, s12
	s_wait_loadcnt_dscnt 0x600
	v_fma_f64 v[92:93], v[66:67], v[84:85], 0
	s_wait_loadcnt 0x5
	s_delay_alu instid0(VALU_DEP_1)
	v_fmac_f64_e32 v[92:93], v[0:1], v[86:87]
	ds_load_2addr_b64 v[84:87], v62 offset0:33 offset1:34
	s_wait_dscnt 0x0
	v_fmac_f64_e32 v[92:93], v[2:3], v[84:85]
	scratch_load_b128 v[0:3], off, off offset:112
	s_wait_loadcnt 0x5
	v_fmac_f64_e32 v[92:93], v[68:69], v[86:87]
	ds_load_2addr_b64 v[66:69], v62 offset0:35 offset1:36
	scratch_load_b128 v[84:87], off, off offset:128
	s_wait_dscnt 0x0
	v_fmac_f64_e32 v[92:93], v[70:71], v[66:67]
	s_wait_loadcnt 0x5
	s_delay_alu instid0(VALU_DEP_1)
	v_fmac_f64_e32 v[92:93], v[72:73], v[68:69]
	ds_load_2addr_b64 v[66:69], v62 offset0:37 offset1:38
	scratch_load_b128 v[70:73], off, off offset:144
	s_wait_dscnt 0x0
	v_fmac_f64_e32 v[92:93], v[74:75], v[66:67]
	s_wait_loadcnt 0x5
	s_delay_alu instid0(VALU_DEP_1)
	;; [unrolled: 7-line block ×3, first 2 shown]
	v_fmac_f64_e32 v[92:93], v[80:81], v[68:69]
	ds_load_2addr_b64 v[66:69], v62 offset0:41 offset1:42
	scratch_load_b128 v[78:81], off, off offset:176
	s_wait_dscnt 0x0
	v_fmac_f64_e32 v[92:93], v[82:83], v[66:67]
	scratch_load_b64 v[82:83], off, off offset:224
	s_wait_loadcnt 0x6
	v_fmac_f64_e32 v[92:93], v[88:89], v[68:69]
	ds_load_2addr_b64 v[66:69], v62 offset0:43 offset1:44
	s_wait_dscnt 0x0
	v_fmac_f64_e32 v[92:93], v[90:91], v[66:67]
	scratch_load_b128 v[88:91], off, off offset:192
	s_wait_loadcnt 0x6
	v_fmac_f64_e32 v[92:93], v[0:1], v[68:69]
	ds_load_2addr_b64 v[66:69], v62 offset0:45 offset1:46
	s_wait_dscnt 0x0
	v_fmac_f64_e32 v[92:93], v[2:3], v[66:67]
	scratch_load_b128 v[0:3], off, off offset:208
	s_wait_loadcnt 0x6
	v_fmac_f64_e32 v[92:93], v[84:85], v[68:69]
	ds_load_2addr_b64 v[66:69], v62 offset0:47 offset1:48
	s_wait_dscnt 0x0
	v_fmac_f64_e32 v[92:93], v[86:87], v[66:67]
	s_wait_loadcnt 0x5
	s_delay_alu instid0(VALU_DEP_1) | instskip(SKIP_4) | instid1(VALU_DEP_1)
	v_fmac_f64_e32 v[92:93], v[70:71], v[68:69]
	ds_load_2addr_b64 v[66:69], v62 offset0:49 offset1:50
	s_wait_dscnt 0x0
	v_fmac_f64_e32 v[92:93], v[72:73], v[66:67]
	s_wait_loadcnt 0x4
	v_fmac_f64_e32 v[92:93], v[74:75], v[68:69]
	ds_load_2addr_b64 v[66:69], v62 offset0:51 offset1:52
	s_wait_dscnt 0x0
	v_fmac_f64_e32 v[92:93], v[76:77], v[66:67]
	s_wait_loadcnt 0x3
	s_delay_alu instid0(VALU_DEP_1) | instskip(SKIP_4) | instid1(VALU_DEP_1)
	v_fmac_f64_e32 v[92:93], v[78:79], v[68:69]
	ds_load_2addr_b64 v[66:69], v62 offset0:53 offset1:54
	s_wait_dscnt 0x0
	v_fmac_f64_e32 v[92:93], v[80:81], v[66:67]
	s_wait_loadcnt 0x1
	v_fmac_f64_e32 v[92:93], v[88:89], v[68:69]
	ds_load_2addr_b64 v[66:69], v62 offset0:55 offset1:56
	s_wait_dscnt 0x0
	v_fmac_f64_e32 v[92:93], v[90:91], v[66:67]
	s_wait_loadcnt 0x0
	s_delay_alu instid0(VALU_DEP_1) | instskip(SKIP_3) | instid1(VALU_DEP_1)
	v_fmac_f64_e32 v[92:93], v[0:1], v[68:69]
	ds_load_2addr_b64 v[66:69], v62 offset0:57 offset1:58
	s_wait_dscnt 0x0
	v_fmac_f64_e32 v[92:93], v[2:3], v[66:67]
	v_fmac_f64_e32 v[92:93], v[82:83], v[68:69]
	s_delay_alu instid0(VALU_DEP_1)
	v_add_f64_e64 v[62:63], v[64:65], -v[92:93]
	scratch_store_b64 off, v[62:63], off
	s_cbranch_vccz .LBB92_240
; %bb.184:
	v_mov_b32_e32 v0, 0
	global_load_b32 v1, v0, s[8:9] offset:108
	s_wait_loadcnt 0x0
	v_cmp_ne_u32_e32 vcc_lo, 28, v1
	s_cbranch_vccz .LBB92_186
; %bb.185:
	v_lshlrev_b32_e32 v1, 3, v1
	scratch_load_b64 v[62:63], v1, off offset:-8
	s_wait_loadcnt 0x0
	scratch_store_b64 off, v[62:63], off offset:216
	scratch_store_b64 v1, v[2:3], off offset:-8
.LBB92_186:
	global_load_b32 v0, v0, s[8:9] offset:104
	s_wait_loadcnt 0x0
	v_cmp_eq_u32_e32 vcc_lo, 27, v0
	s_cbranch_vccnz .LBB92_188
; %bb.187:
	s_wait_xcnt 0x0
	v_lshlrev_b32_e32 v0, 3, v0
	s_delay_alu instid0(VALU_DEP_1)
	v_mov_b32_e32 v62, v0
	scratch_load_b64 v[0:1], v62, off offset:-8
	scratch_load_b64 v[2:3], off, off offset:208
	s_wait_loadcnt 0x1
	scratch_store_b64 off, v[0:1], off offset:208
	s_wait_loadcnt 0x0
	scratch_store_b64 v62, v[2:3], off offset:-8
.LBB92_188:
	s_wait_xcnt 0x0
	v_mov_b32_e32 v0, 0
	global_load_b32 v1, v0, s[8:9] offset:100
	s_wait_loadcnt 0x0
	v_cmp_eq_u32_e32 vcc_lo, 26, v1
	s_cbranch_vccnz .LBB92_190
; %bb.189:
	v_lshlrev_b32_e32 v1, 3, v1
	scratch_load_b64 v[2:3], v1, off offset:-8
	scratch_load_b64 v[62:63], off, off offset:200
	s_wait_loadcnt 0x1
	scratch_store_b64 off, v[2:3], off offset:200
	s_wait_loadcnt 0x0
	scratch_store_b64 v1, v[62:63], off offset:-8
.LBB92_190:
	global_load_b32 v0, v0, s[8:9] offset:96
	s_wait_loadcnt 0x0
	v_cmp_eq_u32_e32 vcc_lo, 25, v0
	s_cbranch_vccnz .LBB92_192
; %bb.191:
	s_wait_xcnt 0x0
	v_lshlrev_b32_e32 v0, 3, v0
	s_delay_alu instid0(VALU_DEP_1)
	v_mov_b32_e32 v62, v0
	scratch_load_b64 v[0:1], v62, off offset:-8
	scratch_load_b64 v[2:3], off, off offset:192
	s_wait_loadcnt 0x1
	scratch_store_b64 off, v[0:1], off offset:192
	s_wait_loadcnt 0x0
	scratch_store_b64 v62, v[2:3], off offset:-8
.LBB92_192:
	s_wait_xcnt 0x0
	v_mov_b32_e32 v0, 0
	global_load_b32 v1, v0, s[8:9] offset:92
	s_wait_loadcnt 0x0
	v_cmp_eq_u32_e32 vcc_lo, 24, v1
	s_cbranch_vccnz .LBB92_194
; %bb.193:
	v_lshlrev_b32_e32 v1, 3, v1
	scratch_load_b64 v[2:3], v1, off offset:-8
	scratch_load_b64 v[62:63], off, off offset:184
	s_wait_loadcnt 0x1
	scratch_store_b64 off, v[2:3], off offset:184
	s_wait_loadcnt 0x0
	scratch_store_b64 v1, v[62:63], off offset:-8
.LBB92_194:
	;; [unrolled: 31-line block ×13, first 2 shown]
	global_load_b32 v0, v0, s[8:9]
	scratch_load_b64 v[62:63], off, off
	s_wait_loadcnt 0x1
	v_cmp_eq_u32_e32 vcc_lo, 1, v0
	s_cbranch_vccnz .LBB92_240
; %bb.239:
	s_wait_xcnt 0x1
	v_lshlrev_b32_e32 v0, 3, v0
	s_delay_alu instid0(VALU_DEP_1)
	v_mov_b32_e32 v2, v0
	scratch_load_b64 v[0:1], v2, off offset:-8
	s_wait_loadcnt 0x0
	scratch_store_b64 off, v[0:1], off
	scratch_store_b64 v2, v[62:63], off offset:-8
	scratch_load_b64 v[62:63], off, off
.LBB92_240:
	s_wait_loadcnt 0x0
	flat_store_b64 v[4:5], v[62:63]
	scratch_load_b64 v[4:5], off, off offset:8
	v_lshl_add_u64 v[86:87], v[8:9], 3, s[2:3]
	v_lshl_add_u64 v[84:85], v[10:11], 3, s[2:3]
	;; [unrolled: 1-line block ×27, first 2 shown]
	s_wait_loadcnt 0x0
	flat_store_b64 v[6:7], v[4:5]
	scratch_load_b64 v[4:5], off, off offset:16
	s_wait_loadcnt 0x0
	flat_store_b64 v[86:87], v[4:5]
	scratch_load_b64 v[4:5], off, off offset:24
	;; [unrolled: 3-line block ×27, first 2 shown]
	s_wait_loadcnt 0x0
	flat_store_b64 v[0:1], v[2:3]
	s_sendmsg sendmsg(MSG_DEALLOC_VGPRS)
	s_endpgm
	.section	.rodata,"a",@progbits
	.p2align	6, 0x0
	.amdhsa_kernel _ZN9rocsolver6v33100L18getri_kernel_smallILi29EdPKPdEEvT1_iilPiilS6_bb
		.amdhsa_group_segment_fixed_size 472
		.amdhsa_private_segment_fixed_size 240
		.amdhsa_kernarg_size 60
		.amdhsa_user_sgpr_count 2
		.amdhsa_user_sgpr_dispatch_ptr 0
		.amdhsa_user_sgpr_queue_ptr 0
		.amdhsa_user_sgpr_kernarg_segment_ptr 1
		.amdhsa_user_sgpr_dispatch_id 0
		.amdhsa_user_sgpr_kernarg_preload_length 0
		.amdhsa_user_sgpr_kernarg_preload_offset 0
		.amdhsa_user_sgpr_private_segment_size 0
		.amdhsa_wavefront_size32 1
		.amdhsa_uses_dynamic_stack 0
		.amdhsa_enable_private_segment 1
		.amdhsa_system_sgpr_workgroup_id_x 1
		.amdhsa_system_sgpr_workgroup_id_y 0
		.amdhsa_system_sgpr_workgroup_id_z 0
		.amdhsa_system_sgpr_workgroup_info 0
		.amdhsa_system_vgpr_workitem_id 0
		.amdhsa_next_free_vgpr 100
		.amdhsa_next_free_sgpr 19
		.amdhsa_named_barrier_count 0
		.amdhsa_reserve_vcc 1
		.amdhsa_float_round_mode_32 0
		.amdhsa_float_round_mode_16_64 0
		.amdhsa_float_denorm_mode_32 3
		.amdhsa_float_denorm_mode_16_64 3
		.amdhsa_fp16_overflow 0
		.amdhsa_memory_ordered 1
		.amdhsa_forward_progress 1
		.amdhsa_inst_pref_size 175
		.amdhsa_round_robin_scheduling 0
		.amdhsa_exception_fp_ieee_invalid_op 0
		.amdhsa_exception_fp_denorm_src 0
		.amdhsa_exception_fp_ieee_div_zero 0
		.amdhsa_exception_fp_ieee_overflow 0
		.amdhsa_exception_fp_ieee_underflow 0
		.amdhsa_exception_fp_ieee_inexact 0
		.amdhsa_exception_int_div_zero 0
	.end_amdhsa_kernel
	.section	.text._ZN9rocsolver6v33100L18getri_kernel_smallILi29EdPKPdEEvT1_iilPiilS6_bb,"axG",@progbits,_ZN9rocsolver6v33100L18getri_kernel_smallILi29EdPKPdEEvT1_iilPiilS6_bb,comdat
.Lfunc_end92:
	.size	_ZN9rocsolver6v33100L18getri_kernel_smallILi29EdPKPdEEvT1_iilPiilS6_bb, .Lfunc_end92-_ZN9rocsolver6v33100L18getri_kernel_smallILi29EdPKPdEEvT1_iilPiilS6_bb
                                        ; -- End function
	.set _ZN9rocsolver6v33100L18getri_kernel_smallILi29EdPKPdEEvT1_iilPiilS6_bb.num_vgpr, 100
	.set _ZN9rocsolver6v33100L18getri_kernel_smallILi29EdPKPdEEvT1_iilPiilS6_bb.num_agpr, 0
	.set _ZN9rocsolver6v33100L18getri_kernel_smallILi29EdPKPdEEvT1_iilPiilS6_bb.numbered_sgpr, 19
	.set _ZN9rocsolver6v33100L18getri_kernel_smallILi29EdPKPdEEvT1_iilPiilS6_bb.num_named_barrier, 0
	.set _ZN9rocsolver6v33100L18getri_kernel_smallILi29EdPKPdEEvT1_iilPiilS6_bb.private_seg_size, 240
	.set _ZN9rocsolver6v33100L18getri_kernel_smallILi29EdPKPdEEvT1_iilPiilS6_bb.uses_vcc, 1
	.set _ZN9rocsolver6v33100L18getri_kernel_smallILi29EdPKPdEEvT1_iilPiilS6_bb.uses_flat_scratch, 1
	.set _ZN9rocsolver6v33100L18getri_kernel_smallILi29EdPKPdEEvT1_iilPiilS6_bb.has_dyn_sized_stack, 0
	.set _ZN9rocsolver6v33100L18getri_kernel_smallILi29EdPKPdEEvT1_iilPiilS6_bb.has_recursion, 0
	.set _ZN9rocsolver6v33100L18getri_kernel_smallILi29EdPKPdEEvT1_iilPiilS6_bb.has_indirect_call, 0
	.section	.AMDGPU.csdata,"",@progbits
; Kernel info:
; codeLenInByte = 22336
; TotalNumSgprs: 21
; NumVgprs: 100
; ScratchSize: 240
; MemoryBound: 0
; FloatMode: 240
; IeeeMode: 1
; LDSByteSize: 472 bytes/workgroup (compile time only)
; SGPRBlocks: 0
; VGPRBlocks: 6
; NumSGPRsForWavesPerEU: 21
; NumVGPRsForWavesPerEU: 100
; NamedBarCnt: 0
; Occupancy: 9
; WaveLimiterHint : 1
; COMPUTE_PGM_RSRC2:SCRATCH_EN: 1
; COMPUTE_PGM_RSRC2:USER_SGPR: 2
; COMPUTE_PGM_RSRC2:TRAP_HANDLER: 0
; COMPUTE_PGM_RSRC2:TGID_X_EN: 1
; COMPUTE_PGM_RSRC2:TGID_Y_EN: 0
; COMPUTE_PGM_RSRC2:TGID_Z_EN: 0
; COMPUTE_PGM_RSRC2:TIDIG_COMP_CNT: 0
	.section	.text._ZN9rocsolver6v33100L18getri_kernel_smallILi30EdPKPdEEvT1_iilPiilS6_bb,"axG",@progbits,_ZN9rocsolver6v33100L18getri_kernel_smallILi30EdPKPdEEvT1_iilPiilS6_bb,comdat
	.globl	_ZN9rocsolver6v33100L18getri_kernel_smallILi30EdPKPdEEvT1_iilPiilS6_bb ; -- Begin function _ZN9rocsolver6v33100L18getri_kernel_smallILi30EdPKPdEEvT1_iilPiilS6_bb
	.p2align	8
	.type	_ZN9rocsolver6v33100L18getri_kernel_smallILi30EdPKPdEEvT1_iilPiilS6_bb,@function
_ZN9rocsolver6v33100L18getri_kernel_smallILi30EdPKPdEEvT1_iilPiilS6_bb: ; @_ZN9rocsolver6v33100L18getri_kernel_smallILi30EdPKPdEEvT1_iilPiilS6_bb
; %bb.0:
	s_mov_b32 s2, exec_lo
	v_cmpx_gt_u32_e32 30, v0
	s_cbranch_execz .LBB93_130
; %bb.1:
	s_clause 0x1
	s_load_b32 s13, s[0:1], 0x38
	s_load_b64 s[2:3], s[0:1], 0x0
	s_getreg_b32 s6, hwreg(HW_REG_IB_STS2, 6, 4)
	s_wait_kmcnt 0x0
	s_bitcmp1_b32 s13, 8
	s_cselect_b32 s12, -1, 0
	s_bfe_u32 s4, ttmp6, 0x4000c
	s_and_b32 s5, ttmp6, 15
	s_add_co_i32 s4, s4, 1
	s_delay_alu instid0(SALU_CYCLE_1) | instskip(NEXT) | instid1(SALU_CYCLE_1)
	s_mul_i32 s4, ttmp9, s4
	s_add_co_i32 s5, s5, s4
	s_cmp_eq_u32 s6, 0
	s_cselect_b32 s10, ttmp9, s5
	s_load_b128 s[4:7], s[0:1], 0x28
	s_ashr_i32 s11, s10, 31
	s_delay_alu instid0(SALU_CYCLE_1) | instskip(NEXT) | instid1(SALU_CYCLE_1)
	s_lshl_b64 s[8:9], s[10:11], 3
	s_add_nc_u64 s[2:3], s[2:3], s[8:9]
	s_bfe_u32 s8, s13, 0x10008
	s_load_b64 s[2:3], s[2:3], 0x0
	s_cmp_eq_u32 s8, 0
                                        ; implicit-def: $sgpr8_sgpr9
	s_cbranch_scc1 .LBB93_3
; %bb.2:
	s_load_b96 s[16:18], s[0:1], 0x18
	s_wait_kmcnt 0x0
	s_mul_u64 s[4:5], s[4:5], s[10:11]
	s_delay_alu instid0(SALU_CYCLE_1) | instskip(SKIP_4) | instid1(SALU_CYCLE_1)
	s_lshl_b64 s[4:5], s[4:5], 2
	s_ashr_i32 s9, s18, 31
	s_mov_b32 s8, s18
	s_add_nc_u64 s[4:5], s[16:17], s[4:5]
	s_lshl_b64 s[8:9], s[8:9], 2
	s_add_nc_u64 s[8:9], s[4:5], s[8:9]
.LBB93_3:
	s_wait_kmcnt 0x0
	s_clause 0x1
	s_load_b64 s[4:5], s[0:1], 0x8
	s_load_b32 s13, s[0:1], 0x38
	v_dual_mov_b32 v3, 0 :: v_dual_lshlrev_b32 v2, 3, v0
	s_wait_kmcnt 0x0
	s_ashr_i32 s1, s4, 31
	s_mov_b32 s0, s4
	s_delay_alu instid0(SALU_CYCLE_1) | instskip(NEXT) | instid1(SALU_CYCLE_1)
	s_lshl_b64 s[0:1], s[0:1], 3
	s_add_nc_u64 s[2:3], s[2:3], s[0:1]
	s_ashr_i32 s1, s5, 31
	flat_load_b64 v[8:9], v0, s[2:3] scale_offset
	v_add_nc_u64_e32 v[4:5], s[2:3], v[2:3]
	s_mov_b32 s0, s5
	s_bitcmp0_b32 s13, 0
	s_delay_alu instid0(VALU_DEP_1)
	v_lshl_add_u64 v[6:7], s[0:1], 3, v[4:5]
	s_mov_b32 s1, -1
	s_wait_loadcnt_dscnt 0x0
	scratch_store_b64 off, v[8:9], off
	flat_load_b64 v[10:11], v[6:7]
	s_wait_xcnt 0x1
	v_add3_u32 v8, s5, s5, v0
	s_wait_loadcnt_dscnt 0x0
	scratch_store_b64 off, v[10:11], off offset:8
	flat_load_b64 v[12:13], v8, s[2:3] scale_offset
	s_wait_xcnt 0x1
	v_add_nc_u32_e32 v10, s5, v8
	s_wait_loadcnt_dscnt 0x0
	scratch_store_b64 off, v[12:13], off offset:16
	flat_load_b64 v[14:15], v10, s[2:3] scale_offset
	s_wait_xcnt 0x1
	v_add_nc_u32_e32 v12, s5, v10
	;; [unrolled: 5-line block ×27, first 2 shown]
	s_wait_loadcnt_dscnt 0x0
	scratch_store_b64 off, v[64:65], off offset:224
	flat_load_b64 v[64:65], v62, s[2:3] scale_offset
	s_wait_loadcnt_dscnt 0x0
	scratch_store_b64 off, v[64:65], off offset:232
	s_cbranch_scc1 .LBB93_128
; %bb.4:
	v_cmp_eq_u32_e64 s0, 0, v0
	s_wait_xcnt 0x0
	s_and_saveexec_b32 s1, s0
; %bb.5:
	v_mov_b32_e32 v1, 0
	ds_store_b32 v1, v1 offset:480
; %bb.6:
	s_or_b32 exec_lo, exec_lo, s1
	s_wait_storecnt_dscnt 0x0
	s_barrier_signal -1
	s_barrier_wait -1
	scratch_load_b64 v[64:65], v0, off scale_offset
	s_mov_b32 s4, exec_lo
	s_wait_loadcnt 0x0
	v_cmpx_eq_f64_e32 0, v[64:65]
	s_cbranch_execz .LBB93_10
; %bb.7:
	v_mov_b32_e32 v1, 0
	s_mov_b32 s5, 0
	ds_load_b32 v3, v1 offset:480
	s_wait_dscnt 0x0
	v_readfirstlane_b32 s1, v3
	v_add_nc_u32_e32 v3, 1, v0
	s_cmp_eq_u32 s1, 0
	s_delay_alu instid0(VALU_DEP_1) | instskip(SKIP_1) | instid1(SALU_CYCLE_1)
	v_cmp_gt_i32_e32 vcc_lo, s1, v3
	s_cselect_b32 s13, -1, 0
	s_or_b32 s13, s13, vcc_lo
	s_delay_alu instid0(SALU_CYCLE_1)
	s_and_b32 exec_lo, exec_lo, s13
	s_cbranch_execz .LBB93_10
; %bb.8:
	v_mov_b32_e32 v9, s1
.LBB93_9:                               ; =>This Inner Loop Header: Depth=1
	ds_cmpstore_rtn_b32 v9, v1, v3, v9 offset:480
	s_wait_dscnt 0x0
	v_cmp_ne_u32_e32 vcc_lo, 0, v9
	v_cmp_le_i32_e64 s1, v9, v3
	s_and_b32 s1, vcc_lo, s1
	s_delay_alu instid0(SALU_CYCLE_1) | instskip(NEXT) | instid1(SALU_CYCLE_1)
	s_and_b32 s1, exec_lo, s1
	s_or_b32 s5, s1, s5
	s_delay_alu instid0(SALU_CYCLE_1)
	s_and_not1_b32 exec_lo, exec_lo, s5
	s_cbranch_execnz .LBB93_9
.LBB93_10:
	s_or_b32 exec_lo, exec_lo, s4
	v_mov_b32_e32 v1, 0
	s_barrier_signal -1
	s_barrier_wait -1
	ds_load_b32 v3, v1 offset:480
	s_and_saveexec_b32 s1, s0
	s_cbranch_execz .LBB93_12
; %bb.11:
	s_lshl_b64 s[4:5], s[10:11], 2
	s_delay_alu instid0(SALU_CYCLE_1)
	s_add_nc_u64 s[4:5], s[6:7], s[4:5]
	s_wait_dscnt 0x0
	global_store_b32 v1, v3, s[4:5]
.LBB93_12:
	s_wait_xcnt 0x0
	s_or_b32 exec_lo, exec_lo, s1
	s_wait_dscnt 0x0
	v_cmp_ne_u32_e32 vcc_lo, 0, v3
	s_mov_b32 s1, 0
	s_cbranch_vccnz .LBB93_128
; %bb.13:
	v_lshl_add_u32 v3, v0, 3, 0
	v_add_nc_u32_e32 v1, 0xf0, v2
	scratch_load_b64 v[64:65], v3, off
	s_wait_loadcnt 0x0
	v_div_scale_f64 v[66:67], null, v[64:65], v[64:65], 1.0
	v_div_scale_f64 v[72:73], vcc_lo, 1.0, v[64:65], 1.0
	s_delay_alu instid0(VALU_DEP_2) | instskip(SKIP_1) | instid1(TRANS32_DEP_1)
	v_rcp_f64_e32 v[68:69], v[66:67]
	v_nop
	v_fma_f64 v[70:71], -v[66:67], v[68:69], 1.0
	s_delay_alu instid0(VALU_DEP_1) | instskip(NEXT) | instid1(VALU_DEP_1)
	v_fmac_f64_e32 v[68:69], v[68:69], v[70:71]
	v_fma_f64 v[70:71], -v[66:67], v[68:69], 1.0
	s_delay_alu instid0(VALU_DEP_1) | instskip(NEXT) | instid1(VALU_DEP_1)
	v_fmac_f64_e32 v[68:69], v[68:69], v[70:71]
	v_mul_f64_e32 v[70:71], v[72:73], v[68:69]
	s_delay_alu instid0(VALU_DEP_1) | instskip(NEXT) | instid1(VALU_DEP_1)
	v_fma_f64 v[66:67], -v[66:67], v[70:71], v[72:73]
	v_div_fmas_f64 v[66:67], v[66:67], v[68:69], v[70:71]
	s_delay_alu instid0(VALU_DEP_1)
	v_div_fixup_f64 v[64:65], v[66:67], v[64:65], 1.0
	scratch_store_b64 v3, v[64:65], off
	scratch_load_b64 v[66:67], off, off offset:8
	s_wait_xcnt 0x1
	v_xor_b32_e32 v65, 0x80000000, v65
	s_wait_loadcnt 0x0
	ds_store_2addr_b64 v2, v[64:65], v[66:67] offset1:30
	s_wait_storecnt_dscnt 0x0
	s_barrier_signal -1
	s_barrier_wait -1
	s_wait_xcnt 0x0
	s_and_saveexec_b32 s1, s0
	s_cbranch_execz .LBB93_15
; %bb.14:
	scratch_load_b64 v[64:65], v3, off
	ds_load_b64 v[66:67], v1
	s_wait_loadcnt_dscnt 0x0
	v_fma_f64 v[64:65], v[64:65], v[66:67], 0
	v_mov_b32_e32 v9, 0
	ds_load_b64 v[68:69], v9 offset:8
	s_wait_dscnt 0x0
	v_mul_f64_e32 v[64:65], v[64:65], v[68:69]
	scratch_store_b64 off, v[64:65], off offset:8
.LBB93_15:
	s_wait_xcnt 0x0
	s_or_b32 exec_lo, exec_lo, s1
	s_wait_storecnt 0x0
	s_barrier_signal -1
	s_barrier_wait -1
	scratch_load_b64 v[64:65], off, off offset:16
	s_mov_b32 s1, exec_lo
	s_wait_loadcnt 0x0
	ds_store_b64 v1, v[64:65]
	s_wait_dscnt 0x0
	s_barrier_signal -1
	s_barrier_wait -1
	v_cmpx_gt_u32_e32 2, v0
	s_cbranch_execz .LBB93_19
; %bb.16:
	scratch_load_b64 v[64:65], v3, off
	ds_load_b64 v[66:67], v1
	s_wait_loadcnt_dscnt 0x0
	v_fma_f64 v[64:65], v[64:65], v[66:67], 0
	s_and_saveexec_b32 s4, s0
	s_cbranch_execz .LBB93_18
; %bb.17:
	scratch_load_b64 v[66:67], off, off offset:8
	v_mov_b32_e32 v3, 0
	ds_load_b64 v[68:69], v3 offset:248
	s_wait_loadcnt_dscnt 0x0
	v_fmac_f64_e32 v[64:65], v[66:67], v[68:69]
.LBB93_18:
	s_or_b32 exec_lo, exec_lo, s4
	v_mov_b32_e32 v3, 0
	ds_load_b64 v[66:67], v3 offset:16
	s_wait_dscnt 0x0
	v_mul_f64_e32 v[64:65], v[64:65], v[66:67]
	scratch_store_b64 off, v[64:65], off offset:16
.LBB93_19:
	s_wait_xcnt 0x0
	s_or_b32 exec_lo, exec_lo, s1
	s_wait_storecnt 0x0
	s_barrier_signal -1
	s_barrier_wait -1
	scratch_load_b64 v[64:65], off, off offset:24
	v_add_nc_u32_e32 v3, -1, v0
	s_mov_b32 s0, exec_lo
	s_wait_loadcnt 0x0
	ds_store_b64 v1, v[64:65]
	s_wait_dscnt 0x0
	s_barrier_signal -1
	s_barrier_wait -1
	v_cmpx_gt_u32_e32 3, v0
	s_cbranch_execz .LBB93_23
; %bb.20:
	v_mov_b64_e32 v[64:65], 0
	v_dual_add_nc_u32 v9, -1, v0 :: v_dual_mov_b32 v13, v2
	v_add_nc_u32_e32 v11, 0xf0, v2
	s_mov_b32 s1, 0
.LBB93_21:                              ; =>This Inner Loop Header: Depth=1
	scratch_load_b64 v[66:67], v13, off
	ds_load_b64 v[68:69], v11
	v_dual_add_nc_u32 v9, 1, v9 :: v_dual_add_nc_u32 v11, 8, v11
	s_wait_xcnt 0x0
	v_add_nc_u32_e32 v13, 8, v13
	s_delay_alu instid0(VALU_DEP_2)
	v_cmp_lt_u32_e32 vcc_lo, 1, v9
	s_or_b32 s1, vcc_lo, s1
	s_wait_loadcnt_dscnt 0x0
	v_fmac_f64_e32 v[64:65], v[66:67], v[68:69]
	s_and_not1_b32 exec_lo, exec_lo, s1
	s_cbranch_execnz .LBB93_21
; %bb.22:
	s_or_b32 exec_lo, exec_lo, s1
	v_mov_b32_e32 v9, 0
	ds_load_b64 v[66:67], v9 offset:24
	s_wait_dscnt 0x0
	v_mul_f64_e32 v[64:65], v[64:65], v[66:67]
	scratch_store_b64 off, v[64:65], off offset:24
.LBB93_23:
	s_wait_xcnt 0x0
	s_or_b32 exec_lo, exec_lo, s0
	s_wait_storecnt 0x0
	s_barrier_signal -1
	s_barrier_wait -1
	scratch_load_b64 v[64:65], off, off offset:32
	s_mov_b32 s0, exec_lo
	s_wait_loadcnt 0x0
	ds_store_b64 v1, v[64:65]
	s_wait_dscnt 0x0
	s_barrier_signal -1
	s_barrier_wait -1
	v_cmpx_gt_u32_e32 4, v0
	s_cbranch_execz .LBB93_27
; %bb.24:
	v_mov_b64_e32 v[64:65], 0
	v_dual_add_nc_u32 v9, -1, v0 :: v_dual_mov_b32 v13, v2
	v_add_nc_u32_e32 v11, 0xf0, v2
	s_mov_b32 s1, 0
.LBB93_25:                              ; =>This Inner Loop Header: Depth=1
	scratch_load_b64 v[66:67], v13, off
	ds_load_b64 v[68:69], v11
	v_dual_add_nc_u32 v9, 1, v9 :: v_dual_add_nc_u32 v11, 8, v11
	s_wait_xcnt 0x0
	v_add_nc_u32_e32 v13, 8, v13
	s_delay_alu instid0(VALU_DEP_2)
	v_cmp_lt_u32_e32 vcc_lo, 2, v9
	s_or_b32 s1, vcc_lo, s1
	s_wait_loadcnt_dscnt 0x0
	v_fmac_f64_e32 v[64:65], v[66:67], v[68:69]
	s_and_not1_b32 exec_lo, exec_lo, s1
	s_cbranch_execnz .LBB93_25
; %bb.26:
	s_or_b32 exec_lo, exec_lo, s1
	v_mov_b32_e32 v9, 0
	ds_load_b64 v[66:67], v9 offset:32
	s_wait_dscnt 0x0
	v_mul_f64_e32 v[64:65], v[64:65], v[66:67]
	scratch_store_b64 off, v[64:65], off offset:32
.LBB93_27:
	s_wait_xcnt 0x0
	s_or_b32 exec_lo, exec_lo, s0
	s_wait_storecnt 0x0
	s_barrier_signal -1
	s_barrier_wait -1
	scratch_load_b64 v[64:65], off, off offset:40
	;; [unrolled: 40-line block ×20, first 2 shown]
	s_mov_b32 s0, exec_lo
	s_wait_loadcnt 0x0
	ds_store_b64 v1, v[64:65]
	s_wait_dscnt 0x0
	s_barrier_signal -1
	s_barrier_wait -1
	v_cmpx_gt_u32_e32 23, v0
	s_cbranch_execz .LBB93_103
; %bb.100:
	v_mov_b64_e32 v[64:65], 0
	v_dual_add_nc_u32 v9, -1, v0 :: v_dual_mov_b32 v13, v2
	v_add_nc_u32_e32 v11, 0xf0, v2
	s_mov_b32 s1, 0
.LBB93_101:                             ; =>This Inner Loop Header: Depth=1
	scratch_load_b64 v[66:67], v13, off
	ds_load_b64 v[68:69], v11
	v_dual_add_nc_u32 v9, 1, v9 :: v_dual_add_nc_u32 v11, 8, v11
	s_wait_xcnt 0x0
	v_add_nc_u32_e32 v13, 8, v13
	s_delay_alu instid0(VALU_DEP_2)
	v_cmp_lt_u32_e32 vcc_lo, 21, v9
	s_or_b32 s1, vcc_lo, s1
	s_wait_loadcnt_dscnt 0x0
	v_fmac_f64_e32 v[64:65], v[66:67], v[68:69]
	s_and_not1_b32 exec_lo, exec_lo, s1
	s_cbranch_execnz .LBB93_101
; %bb.102:
	s_or_b32 exec_lo, exec_lo, s1
	v_mov_b32_e32 v9, 0
	ds_load_b64 v[66:67], v9 offset:184
	s_wait_dscnt 0x0
	v_mul_f64_e32 v[64:65], v[64:65], v[66:67]
	scratch_store_b64 off, v[64:65], off offset:184
.LBB93_103:
	s_wait_xcnt 0x0
	s_or_b32 exec_lo, exec_lo, s0
	s_wait_storecnt 0x0
	s_barrier_signal -1
	s_barrier_wait -1
	scratch_load_b64 v[64:65], off, off offset:192
	s_mov_b32 s0, exec_lo
	s_wait_loadcnt 0x0
	ds_store_b64 v1, v[64:65]
	s_wait_dscnt 0x0
	s_barrier_signal -1
	s_barrier_wait -1
	v_cmpx_gt_u32_e32 24, v0
	s_cbranch_execz .LBB93_107
; %bb.104:
	v_mov_b64_e32 v[64:65], 0
	v_dual_add_nc_u32 v9, -1, v0 :: v_dual_mov_b32 v13, v2
	v_add_nc_u32_e32 v11, 0xf0, v2
	s_mov_b32 s1, 0
.LBB93_105:                             ; =>This Inner Loop Header: Depth=1
	scratch_load_b64 v[66:67], v13, off
	ds_load_b64 v[68:69], v11
	v_dual_add_nc_u32 v9, 1, v9 :: v_dual_add_nc_u32 v11, 8, v11
	s_wait_xcnt 0x0
	v_add_nc_u32_e32 v13, 8, v13
	s_delay_alu instid0(VALU_DEP_2)
	v_cmp_lt_u32_e32 vcc_lo, 22, v9
	s_or_b32 s1, vcc_lo, s1
	s_wait_loadcnt_dscnt 0x0
	v_fmac_f64_e32 v[64:65], v[66:67], v[68:69]
	s_and_not1_b32 exec_lo, exec_lo, s1
	s_cbranch_execnz .LBB93_105
; %bb.106:
	s_or_b32 exec_lo, exec_lo, s1
	v_mov_b32_e32 v9, 0
	ds_load_b64 v[66:67], v9 offset:192
	s_wait_dscnt 0x0
	v_mul_f64_e32 v[64:65], v[64:65], v[66:67]
	scratch_store_b64 off, v[64:65], off offset:192
.LBB93_107:
	s_wait_xcnt 0x0
	s_or_b32 exec_lo, exec_lo, s0
	s_wait_storecnt 0x0
	s_barrier_signal -1
	s_barrier_wait -1
	scratch_load_b64 v[64:65], off, off offset:200
	;; [unrolled: 40-line block ×6, first 2 shown]
	s_mov_b32 s0, exec_lo
	s_wait_loadcnt 0x0
	ds_store_b64 v1, v[64:65]
	s_wait_dscnt 0x0
	s_barrier_signal -1
	s_barrier_wait -1
	v_cmpx_ne_u32_e32 29, v0
	s_cbranch_execz .LBB93_127
; %bb.124:
	v_mov_b64_e32 v[64:65], 0
	s_mov_b32 s1, 0
.LBB93_125:                             ; =>This Inner Loop Header: Depth=1
	scratch_load_b64 v[66:67], v2, off
	ds_load_b64 v[68:69], v1
	v_dual_add_nc_u32 v3, 1, v3 :: v_dual_add_nc_u32 v1, 8, v1
	s_wait_xcnt 0x0
	v_add_nc_u32_e32 v2, 8, v2
	s_delay_alu instid0(VALU_DEP_2)
	v_cmp_lt_u32_e32 vcc_lo, 27, v3
	s_or_b32 s1, vcc_lo, s1
	s_wait_loadcnt_dscnt 0x0
	v_fmac_f64_e32 v[64:65], v[66:67], v[68:69]
	s_and_not1_b32 exec_lo, exec_lo, s1
	s_cbranch_execnz .LBB93_125
; %bb.126:
	s_or_b32 exec_lo, exec_lo, s1
	v_mov_b32_e32 v1, 0
	ds_load_b64 v[2:3], v1 offset:232
	s_wait_dscnt 0x0
	v_mul_f64_e32 v[2:3], v[64:65], v[2:3]
	scratch_store_b64 off, v[2:3], off offset:232
.LBB93_127:
	s_wait_xcnt 0x0
	s_or_b32 exec_lo, exec_lo, s0
	s_mov_b32 s1, -1
	s_wait_storecnt 0x0
	s_barrier_signal -1
	s_barrier_wait -1
.LBB93_128:
	s_and_b32 vcc_lo, exec_lo, s1
	s_cbranch_vccz .LBB93_130
; %bb.129:
	v_mov_b32_e32 v1, 0
	s_lshl_b64 s[0:1], s[10:11], 2
	s_delay_alu instid0(SALU_CYCLE_1)
	s_add_nc_u64 s[0:1], s[6:7], s[0:1]
	global_load_b32 v1, v1, s[0:1]
	s_wait_loadcnt 0x0
	v_cmp_ne_u32_e32 vcc_lo, 0, v1
	s_cbranch_vccz .LBB93_131
.LBB93_130:
	s_sendmsg sendmsg(MSG_DEALLOC_VGPRS)
	s_endpgm
.LBB93_131:
	s_wait_xcnt 0x0
	v_lshl_add_u32 v1, v0, 3, 0xf0
	s_mov_b32 s0, exec_lo
	v_cmpx_eq_u32_e32 29, v0
	s_cbranch_execz .LBB93_133
; %bb.132:
	scratch_load_b64 v[2:3], off, off offset:224
	v_mov_b64_e32 v[64:65], 0
	scratch_store_b64 off, v[64:65], off offset:224
	s_wait_loadcnt 0x0
	ds_store_b64 v1, v[2:3]
.LBB93_133:
	s_wait_xcnt 0x0
	s_or_b32 exec_lo, exec_lo, s0
	s_wait_storecnt_dscnt 0x0
	s_barrier_signal -1
	s_barrier_wait -1
	scratch_load_b128 v[64:67], off, off offset:224
	v_mov_b32_e32 v2, 0
	s_mov_b32 s0, exec_lo
	ds_load_b64 v[68:69], v2 offset:472
	s_wait_loadcnt_dscnt 0x0
	v_fma_f64 v[66:67], v[66:67], v[68:69], 0
	s_delay_alu instid0(VALU_DEP_1)
	v_add_f64_e64 v[64:65], v[64:65], -v[66:67]
	scratch_store_b64 off, v[64:65], off offset:224
	s_wait_xcnt 0x0
	v_cmpx_lt_u32_e32 27, v0
	s_cbranch_execz .LBB93_135
; %bb.134:
	scratch_load_b64 v[64:65], off, off offset:216
	v_mov_b64_e32 v[66:67], 0
	scratch_store_b64 off, v[66:67], off offset:216
	s_wait_loadcnt 0x0
	ds_store_b64 v1, v[64:65]
.LBB93_135:
	s_wait_xcnt 0x0
	s_or_b32 exec_lo, exec_lo, s0
	s_wait_storecnt_dscnt 0x0
	s_barrier_signal -1
	s_barrier_wait -1
	s_clause 0x1
	scratch_load_b128 v[64:67], off, off offset:216
	scratch_load_b64 v[72:73], off, off offset:232
	ds_load_b128 v[68:71], v2 offset:464
	s_mov_b32 s0, exec_lo
	s_wait_loadcnt_dscnt 0x100
	v_fma_f64 v[2:3], v[66:67], v[68:69], 0
	s_wait_loadcnt 0x0
	s_delay_alu instid0(VALU_DEP_1) | instskip(NEXT) | instid1(VALU_DEP_1)
	v_fmac_f64_e32 v[2:3], v[72:73], v[70:71]
	v_add_f64_e64 v[2:3], v[64:65], -v[2:3]
	scratch_store_b64 off, v[2:3], off offset:216
	s_wait_xcnt 0x0
	v_cmpx_lt_u32_e32 26, v0
	s_cbranch_execz .LBB93_137
; %bb.136:
	scratch_load_b64 v[2:3], off, off offset:208
	v_mov_b64_e32 v[64:65], 0
	scratch_store_b64 off, v[64:65], off offset:208
	s_wait_loadcnt 0x0
	ds_store_b64 v1, v[2:3]
.LBB93_137:
	s_wait_xcnt 0x0
	s_or_b32 exec_lo, exec_lo, s0
	s_wait_storecnt_dscnt 0x0
	s_barrier_signal -1
	s_barrier_wait -1
	s_clause 0x1
	scratch_load_b128 v[64:67], off, off offset:208
	scratch_load_b128 v[68:71], off, off offset:224
	v_mov_b32_e32 v2, 0
	ds_load_2addr_b64 v[72:75], v2 offset0:57 offset1:58
	ds_load_b64 v[76:77], v2 offset:472
	s_mov_b32 s0, exec_lo
	s_wait_loadcnt_dscnt 0x101
	v_fma_f64 v[66:67], v[66:67], v[72:73], 0
	s_wait_loadcnt 0x0
	s_delay_alu instid0(VALU_DEP_1) | instskip(SKIP_1) | instid1(VALU_DEP_1)
	v_fmac_f64_e32 v[66:67], v[68:69], v[74:75]
	s_wait_dscnt 0x0
	v_fmac_f64_e32 v[66:67], v[70:71], v[76:77]
	s_delay_alu instid0(VALU_DEP_1)
	v_add_f64_e64 v[64:65], v[64:65], -v[66:67]
	scratch_store_b64 off, v[64:65], off offset:208
	s_wait_xcnt 0x0
	v_cmpx_lt_u32_e32 25, v0
	s_cbranch_execz .LBB93_139
; %bb.138:
	scratch_load_b64 v[64:65], off, off offset:200
	v_mov_b64_e32 v[66:67], 0
	scratch_store_b64 off, v[66:67], off offset:200
	s_wait_loadcnt 0x0
	ds_store_b64 v1, v[64:65]
.LBB93_139:
	s_wait_xcnt 0x0
	s_or_b32 exec_lo, exec_lo, s0
	s_wait_storecnt_dscnt 0x0
	s_barrier_signal -1
	s_barrier_wait -1
	s_clause 0x2
	scratch_load_b128 v[64:67], off, off offset:200
	scratch_load_b128 v[68:71], off, off offset:216
	scratch_load_b64 v[80:81], off, off offset:232
	ds_load_b128 v[72:75], v2 offset:448
	ds_load_b128 v[76:79], v2 offset:464
	s_mov_b32 s0, exec_lo
	s_wait_loadcnt_dscnt 0x201
	v_fma_f64 v[2:3], v[66:67], v[72:73], 0
	s_wait_loadcnt 0x1
	s_delay_alu instid0(VALU_DEP_1) | instskip(SKIP_1) | instid1(VALU_DEP_1)
	v_fmac_f64_e32 v[2:3], v[68:69], v[74:75]
	s_wait_dscnt 0x0
	v_fmac_f64_e32 v[2:3], v[70:71], v[76:77]
	s_wait_loadcnt 0x0
	s_delay_alu instid0(VALU_DEP_1) | instskip(NEXT) | instid1(VALU_DEP_1)
	v_fmac_f64_e32 v[2:3], v[80:81], v[78:79]
	v_add_f64_e64 v[2:3], v[64:65], -v[2:3]
	scratch_store_b64 off, v[2:3], off offset:200
	s_wait_xcnt 0x0
	v_cmpx_lt_u32_e32 24, v0
	s_cbranch_execz .LBB93_141
; %bb.140:
	scratch_load_b64 v[2:3], off, off offset:192
	v_mov_b64_e32 v[64:65], 0
	scratch_store_b64 off, v[64:65], off offset:192
	s_wait_loadcnt 0x0
	ds_store_b64 v1, v[2:3]
.LBB93_141:
	s_wait_xcnt 0x0
	s_or_b32 exec_lo, exec_lo, s0
	s_wait_storecnt_dscnt 0x0
	s_barrier_signal -1
	s_barrier_wait -1
	s_clause 0x2
	scratch_load_b128 v[64:67], off, off offset:192
	scratch_load_b128 v[68:71], off, off offset:208
	;; [unrolled: 1-line block ×3, first 2 shown]
	v_mov_b32_e32 v2, 0
	ds_load_2addr_b64 v[76:79], v2 offset0:55 offset1:56
	ds_load_2addr_b64 v[80:83], v2 offset0:57 offset1:58
	s_mov_b32 s0, exec_lo
	s_wait_loadcnt_dscnt 0x201
	v_fma_f64 v[66:67], v[66:67], v[76:77], 0
	s_wait_loadcnt 0x1
	s_delay_alu instid0(VALU_DEP_1) | instskip(SKIP_4) | instid1(VALU_DEP_1)
	v_fmac_f64_e32 v[66:67], v[68:69], v[78:79]
	ds_load_b64 v[68:69], v2 offset:472
	s_wait_dscnt 0x1
	v_fmac_f64_e32 v[66:67], v[70:71], v[80:81]
	s_wait_loadcnt 0x0
	v_fmac_f64_e32 v[66:67], v[72:73], v[82:83]
	s_wait_dscnt 0x0
	s_delay_alu instid0(VALU_DEP_1) | instskip(NEXT) | instid1(VALU_DEP_1)
	v_fmac_f64_e32 v[66:67], v[74:75], v[68:69]
	v_add_f64_e64 v[64:65], v[64:65], -v[66:67]
	scratch_store_b64 off, v[64:65], off offset:192
	s_wait_xcnt 0x0
	v_cmpx_lt_u32_e32 23, v0
	s_cbranch_execz .LBB93_143
; %bb.142:
	scratch_load_b64 v[64:65], off, off offset:184
	v_mov_b64_e32 v[66:67], 0
	scratch_store_b64 off, v[66:67], off offset:184
	s_wait_loadcnt 0x0
	ds_store_b64 v1, v[64:65]
.LBB93_143:
	s_wait_xcnt 0x0
	s_or_b32 exec_lo, exec_lo, s0
	s_wait_storecnt_dscnt 0x0
	s_barrier_signal -1
	s_barrier_wait -1
	s_clause 0x3
	scratch_load_b128 v[64:67], off, off offset:184
	scratch_load_b128 v[68:71], off, off offset:200
	;; [unrolled: 1-line block ×3, first 2 shown]
	scratch_load_b64 v[84:85], off, off offset:232
	ds_load_b128 v[76:79], v2 offset:432
	ds_load_b128 v[80:83], v2 offset:448
	s_mov_b32 s0, exec_lo
	s_wait_loadcnt_dscnt 0x301
	v_fma_f64 v[76:77], v[66:67], v[76:77], 0
	s_wait_loadcnt 0x2
	s_delay_alu instid0(VALU_DEP_1) | instskip(SKIP_4) | instid1(VALU_DEP_1)
	v_fmac_f64_e32 v[76:77], v[68:69], v[78:79]
	ds_load_b128 v[66:69], v2 offset:464
	s_wait_dscnt 0x1
	v_fmac_f64_e32 v[76:77], v[70:71], v[80:81]
	s_wait_loadcnt 0x1
	v_fmac_f64_e32 v[76:77], v[72:73], v[82:83]
	s_wait_dscnt 0x0
	s_delay_alu instid0(VALU_DEP_1) | instskip(SKIP_1) | instid1(VALU_DEP_1)
	v_fmac_f64_e32 v[76:77], v[74:75], v[66:67]
	s_wait_loadcnt 0x0
	v_fmac_f64_e32 v[76:77], v[84:85], v[68:69]
	s_delay_alu instid0(VALU_DEP_1)
	v_add_f64_e64 v[2:3], v[64:65], -v[76:77]
	scratch_store_b64 off, v[2:3], off offset:184
	s_wait_xcnt 0x0
	v_cmpx_lt_u32_e32 22, v0
	s_cbranch_execz .LBB93_145
; %bb.144:
	scratch_load_b64 v[2:3], off, off offset:176
	v_mov_b64_e32 v[64:65], 0
	scratch_store_b64 off, v[64:65], off offset:176
	s_wait_loadcnt 0x0
	ds_store_b64 v1, v[2:3]
.LBB93_145:
	s_wait_xcnt 0x0
	s_or_b32 exec_lo, exec_lo, s0
	s_wait_storecnt_dscnt 0x0
	s_barrier_signal -1
	s_barrier_wait -1
	s_clause 0x3
	scratch_load_b128 v[64:67], off, off offset:176
	scratch_load_b128 v[68:71], off, off offset:192
	;; [unrolled: 1-line block ×4, first 2 shown]
	v_mov_b32_e32 v2, 0
	ds_load_2addr_b64 v[80:83], v2 offset0:53 offset1:54
	ds_load_2addr_b64 v[84:87], v2 offset0:55 offset1:56
	s_mov_b32 s0, exec_lo
	s_wait_loadcnt_dscnt 0x301
	v_fma_f64 v[80:81], v[66:67], v[80:81], 0
	s_wait_loadcnt 0x2
	s_delay_alu instid0(VALU_DEP_1) | instskip(SKIP_1) | instid1(VALU_DEP_1)
	v_fmac_f64_e32 v[80:81], v[68:69], v[82:83]
	s_wait_dscnt 0x0
	v_fmac_f64_e32 v[80:81], v[70:71], v[84:85]
	ds_load_2addr_b64 v[66:69], v2 offset0:57 offset1:58
	ds_load_b64 v[70:71], v2 offset:472
	s_wait_loadcnt 0x1
	v_fmac_f64_e32 v[80:81], v[72:73], v[86:87]
	s_wait_dscnt 0x1
	s_delay_alu instid0(VALU_DEP_1) | instskip(SKIP_1) | instid1(VALU_DEP_1)
	v_fmac_f64_e32 v[80:81], v[74:75], v[66:67]
	s_wait_loadcnt 0x0
	v_fmac_f64_e32 v[80:81], v[76:77], v[68:69]
	s_wait_dscnt 0x0
	s_delay_alu instid0(VALU_DEP_1) | instskip(NEXT) | instid1(VALU_DEP_1)
	v_fmac_f64_e32 v[80:81], v[78:79], v[70:71]
	v_add_f64_e64 v[64:65], v[64:65], -v[80:81]
	scratch_store_b64 off, v[64:65], off offset:176
	s_wait_xcnt 0x0
	v_cmpx_lt_u32_e32 21, v0
	s_cbranch_execz .LBB93_147
; %bb.146:
	scratch_load_b64 v[64:65], off, off offset:168
	v_mov_b64_e32 v[66:67], 0
	scratch_store_b64 off, v[66:67], off offset:168
	s_wait_loadcnt 0x0
	ds_store_b64 v1, v[64:65]
.LBB93_147:
	s_wait_xcnt 0x0
	s_or_b32 exec_lo, exec_lo, s0
	s_wait_storecnt_dscnt 0x0
	s_barrier_signal -1
	s_barrier_wait -1
	s_clause 0x4
	scratch_load_b128 v[64:67], off, off offset:168
	scratch_load_b128 v[68:71], off, off offset:184
	scratch_load_b128 v[72:75], off, off offset:200
	scratch_load_b128 v[76:79], off, off offset:216
	scratch_load_b64 v[88:89], off, off offset:232
	ds_load_b128 v[80:83], v2 offset:416
	ds_load_b128 v[84:87], v2 offset:432
	s_mov_b32 s0, exec_lo
	s_wait_loadcnt_dscnt 0x401
	v_fma_f64 v[80:81], v[66:67], v[80:81], 0
	s_wait_loadcnt 0x3
	s_delay_alu instid0(VALU_DEP_1) | instskip(SKIP_1) | instid1(VALU_DEP_1)
	v_fmac_f64_e32 v[80:81], v[68:69], v[82:83]
	s_wait_dscnt 0x0
	v_fmac_f64_e32 v[80:81], v[70:71], v[84:85]
	s_wait_loadcnt 0x2
	s_delay_alu instid0(VALU_DEP_1)
	v_fmac_f64_e32 v[80:81], v[72:73], v[86:87]
	ds_load_b128 v[66:69], v2 offset:448
	ds_load_b128 v[70:73], v2 offset:464
	s_wait_dscnt 0x1
	v_fmac_f64_e32 v[80:81], v[74:75], v[66:67]
	s_wait_loadcnt 0x1
	s_delay_alu instid0(VALU_DEP_1) | instskip(SKIP_1) | instid1(VALU_DEP_1)
	v_fmac_f64_e32 v[80:81], v[76:77], v[68:69]
	s_wait_dscnt 0x0
	v_fmac_f64_e32 v[80:81], v[78:79], v[70:71]
	s_wait_loadcnt 0x0
	s_delay_alu instid0(VALU_DEP_1) | instskip(NEXT) | instid1(VALU_DEP_1)
	v_fmac_f64_e32 v[80:81], v[88:89], v[72:73]
	v_add_f64_e64 v[2:3], v[64:65], -v[80:81]
	scratch_store_b64 off, v[2:3], off offset:168
	s_wait_xcnt 0x0
	v_cmpx_lt_u32_e32 20, v0
	s_cbranch_execz .LBB93_149
; %bb.148:
	scratch_load_b64 v[2:3], off, off offset:160
	v_mov_b64_e32 v[64:65], 0
	scratch_store_b64 off, v[64:65], off offset:160
	s_wait_loadcnt 0x0
	ds_store_b64 v1, v[2:3]
.LBB93_149:
	s_wait_xcnt 0x0
	s_or_b32 exec_lo, exec_lo, s0
	s_wait_storecnt_dscnt 0x0
	s_barrier_signal -1
	s_barrier_wait -1
	s_clause 0x4
	scratch_load_b128 v[64:67], off, off offset:160
	scratch_load_b128 v[68:71], off, off offset:176
	scratch_load_b128 v[72:75], off, off offset:192
	scratch_load_b128 v[76:79], off, off offset:208
	scratch_load_b128 v[80:83], off, off offset:224
	v_mov_b32_e32 v2, 0
	ds_load_2addr_b64 v[84:87], v2 offset0:51 offset1:52
	ds_load_2addr_b64 v[88:91], v2 offset0:53 offset1:54
	s_mov_b32 s0, exec_lo
	s_wait_loadcnt_dscnt 0x401
	v_fma_f64 v[84:85], v[66:67], v[84:85], 0
	s_wait_loadcnt 0x3
	s_delay_alu instid0(VALU_DEP_1) | instskip(SKIP_1) | instid1(VALU_DEP_1)
	v_fmac_f64_e32 v[84:85], v[68:69], v[86:87]
	s_wait_dscnt 0x0
	v_fmac_f64_e32 v[84:85], v[70:71], v[88:89]
	s_wait_loadcnt 0x2
	s_delay_alu instid0(VALU_DEP_1)
	v_fmac_f64_e32 v[84:85], v[72:73], v[90:91]
	ds_load_2addr_b64 v[66:69], v2 offset0:55 offset1:56
	ds_load_2addr_b64 v[70:73], v2 offset0:57 offset1:58
	s_wait_dscnt 0x1
	v_fmac_f64_e32 v[84:85], v[74:75], v[66:67]
	ds_load_b64 v[66:67], v2 offset:472
	s_wait_loadcnt 0x1
	v_fmac_f64_e32 v[84:85], v[76:77], v[68:69]
	s_wait_dscnt 0x1
	s_delay_alu instid0(VALU_DEP_1) | instskip(SKIP_1) | instid1(VALU_DEP_1)
	v_fmac_f64_e32 v[84:85], v[78:79], v[70:71]
	s_wait_loadcnt 0x0
	v_fmac_f64_e32 v[84:85], v[80:81], v[72:73]
	s_wait_dscnt 0x0
	s_delay_alu instid0(VALU_DEP_1) | instskip(NEXT) | instid1(VALU_DEP_1)
	v_fmac_f64_e32 v[84:85], v[82:83], v[66:67]
	v_add_f64_e64 v[64:65], v[64:65], -v[84:85]
	scratch_store_b64 off, v[64:65], off offset:160
	s_wait_xcnt 0x0
	v_cmpx_lt_u32_e32 19, v0
	s_cbranch_execz .LBB93_151
; %bb.150:
	scratch_load_b64 v[64:65], off, off offset:152
	v_mov_b64_e32 v[66:67], 0
	scratch_store_b64 off, v[66:67], off offset:152
	s_wait_loadcnt 0x0
	ds_store_b64 v1, v[64:65]
.LBB93_151:
	s_wait_xcnt 0x0
	s_or_b32 exec_lo, exec_lo, s0
	s_wait_storecnt_dscnt 0x0
	s_barrier_signal -1
	s_barrier_wait -1
	s_clause 0x5
	scratch_load_b128 v[64:67], off, off offset:152
	scratch_load_b128 v[68:71], off, off offset:168
	;; [unrolled: 1-line block ×5, first 2 shown]
	scratch_load_b64 v[92:93], off, off offset:232
	ds_load_b128 v[84:87], v2 offset:400
	ds_load_b128 v[88:91], v2 offset:416
	s_mov_b32 s0, exec_lo
	s_wait_loadcnt_dscnt 0x501
	v_fma_f64 v[84:85], v[66:67], v[84:85], 0
	s_wait_loadcnt 0x4
	s_delay_alu instid0(VALU_DEP_1) | instskip(SKIP_1) | instid1(VALU_DEP_1)
	v_fmac_f64_e32 v[84:85], v[68:69], v[86:87]
	s_wait_dscnt 0x0
	v_fmac_f64_e32 v[84:85], v[70:71], v[88:89]
	s_wait_loadcnt 0x3
	s_delay_alu instid0(VALU_DEP_1)
	v_fmac_f64_e32 v[84:85], v[72:73], v[90:91]
	ds_load_b128 v[66:69], v2 offset:432
	ds_load_b128 v[70:73], v2 offset:448
	s_wait_dscnt 0x1
	v_fmac_f64_e32 v[84:85], v[74:75], v[66:67]
	s_wait_loadcnt 0x2
	s_delay_alu instid0(VALU_DEP_1) | instskip(SKIP_4) | instid1(VALU_DEP_1)
	v_fmac_f64_e32 v[84:85], v[76:77], v[68:69]
	ds_load_b128 v[66:69], v2 offset:464
	s_wait_dscnt 0x1
	v_fmac_f64_e32 v[84:85], v[78:79], v[70:71]
	s_wait_loadcnt 0x1
	v_fmac_f64_e32 v[84:85], v[80:81], v[72:73]
	s_wait_dscnt 0x0
	s_delay_alu instid0(VALU_DEP_1) | instskip(SKIP_1) | instid1(VALU_DEP_1)
	v_fmac_f64_e32 v[84:85], v[82:83], v[66:67]
	s_wait_loadcnt 0x0
	v_fmac_f64_e32 v[84:85], v[92:93], v[68:69]
	s_delay_alu instid0(VALU_DEP_1)
	v_add_f64_e64 v[2:3], v[64:65], -v[84:85]
	scratch_store_b64 off, v[2:3], off offset:152
	s_wait_xcnt 0x0
	v_cmpx_lt_u32_e32 18, v0
	s_cbranch_execz .LBB93_153
; %bb.152:
	scratch_load_b64 v[2:3], off, off offset:144
	v_mov_b64_e32 v[64:65], 0
	scratch_store_b64 off, v[64:65], off offset:144
	s_wait_loadcnt 0x0
	ds_store_b64 v1, v[2:3]
.LBB93_153:
	s_wait_xcnt 0x0
	s_or_b32 exec_lo, exec_lo, s0
	s_wait_storecnt_dscnt 0x0
	s_barrier_signal -1
	s_barrier_wait -1
	s_clause 0x5
	scratch_load_b128 v[64:67], off, off offset:144
	scratch_load_b128 v[68:71], off, off offset:160
	;; [unrolled: 1-line block ×6, first 2 shown]
	v_mov_b32_e32 v2, 0
	ds_load_2addr_b64 v[88:91], v2 offset0:49 offset1:50
	ds_load_2addr_b64 v[92:95], v2 offset0:51 offset1:52
	s_mov_b32 s0, exec_lo
	s_wait_loadcnt_dscnt 0x501
	v_fma_f64 v[88:89], v[66:67], v[88:89], 0
	s_wait_loadcnt 0x4
	s_delay_alu instid0(VALU_DEP_1) | instskip(SKIP_1) | instid1(VALU_DEP_1)
	v_fmac_f64_e32 v[88:89], v[68:69], v[90:91]
	s_wait_dscnt 0x0
	v_fmac_f64_e32 v[88:89], v[70:71], v[92:93]
	s_wait_loadcnt 0x3
	s_delay_alu instid0(VALU_DEP_1)
	v_fmac_f64_e32 v[88:89], v[72:73], v[94:95]
	ds_load_2addr_b64 v[66:69], v2 offset0:53 offset1:54
	ds_load_2addr_b64 v[70:73], v2 offset0:55 offset1:56
	s_wait_dscnt 0x1
	v_fmac_f64_e32 v[88:89], v[74:75], v[66:67]
	s_wait_loadcnt 0x2
	s_delay_alu instid0(VALU_DEP_1) | instskip(SKIP_1) | instid1(VALU_DEP_1)
	v_fmac_f64_e32 v[88:89], v[76:77], v[68:69]
	s_wait_dscnt 0x0
	v_fmac_f64_e32 v[88:89], v[78:79], v[70:71]
	ds_load_2addr_b64 v[66:69], v2 offset0:57 offset1:58
	ds_load_b64 v[70:71], v2 offset:472
	s_wait_loadcnt 0x1
	v_fmac_f64_e32 v[88:89], v[80:81], v[72:73]
	s_wait_dscnt 0x1
	s_delay_alu instid0(VALU_DEP_1) | instskip(SKIP_1) | instid1(VALU_DEP_1)
	v_fmac_f64_e32 v[88:89], v[82:83], v[66:67]
	s_wait_loadcnt 0x0
	v_fmac_f64_e32 v[88:89], v[84:85], v[68:69]
	s_wait_dscnt 0x0
	s_delay_alu instid0(VALU_DEP_1) | instskip(NEXT) | instid1(VALU_DEP_1)
	v_fmac_f64_e32 v[88:89], v[86:87], v[70:71]
	v_add_f64_e64 v[64:65], v[64:65], -v[88:89]
	scratch_store_b64 off, v[64:65], off offset:144
	s_wait_xcnt 0x0
	v_cmpx_lt_u32_e32 17, v0
	s_cbranch_execz .LBB93_155
; %bb.154:
	scratch_load_b64 v[64:65], off, off offset:136
	v_mov_b64_e32 v[66:67], 0
	scratch_store_b64 off, v[66:67], off offset:136
	s_wait_loadcnt 0x0
	ds_store_b64 v1, v[64:65]
.LBB93_155:
	s_wait_xcnt 0x0
	s_or_b32 exec_lo, exec_lo, s0
	s_wait_storecnt_dscnt 0x0
	s_barrier_signal -1
	s_barrier_wait -1
	s_clause 0x5
	scratch_load_b128 v[64:67], off, off offset:136
	scratch_load_b128 v[68:71], off, off offset:152
	;; [unrolled: 1-line block ×6, first 2 shown]
	ds_load_b128 v[88:91], v2 offset:384
	ds_load_b128 v[92:95], v2 offset:400
	s_mov_b32 s0, exec_lo
	s_wait_loadcnt_dscnt 0x501
	v_fma_f64 v[88:89], v[66:67], v[88:89], 0
	s_wait_loadcnt 0x4
	s_delay_alu instid0(VALU_DEP_1) | instskip(SKIP_4) | instid1(VALU_DEP_1)
	v_fmac_f64_e32 v[88:89], v[68:69], v[90:91]
	scratch_load_b64 v[90:91], off, off offset:232
	s_wait_dscnt 0x0
	v_fmac_f64_e32 v[88:89], v[70:71], v[92:93]
	s_wait_loadcnt 0x4
	v_fmac_f64_e32 v[88:89], v[72:73], v[94:95]
	ds_load_b128 v[66:69], v2 offset:416
	ds_load_b128 v[70:73], v2 offset:432
	s_wait_dscnt 0x1
	v_fmac_f64_e32 v[88:89], v[74:75], v[66:67]
	s_wait_loadcnt 0x3
	s_delay_alu instid0(VALU_DEP_1) | instskip(SKIP_1) | instid1(VALU_DEP_1)
	v_fmac_f64_e32 v[88:89], v[76:77], v[68:69]
	s_wait_dscnt 0x0
	v_fmac_f64_e32 v[88:89], v[78:79], v[70:71]
	s_wait_loadcnt 0x2
	s_delay_alu instid0(VALU_DEP_1)
	v_fmac_f64_e32 v[88:89], v[80:81], v[72:73]
	ds_load_b128 v[66:69], v2 offset:448
	ds_load_b128 v[70:73], v2 offset:464
	s_wait_dscnt 0x1
	v_fmac_f64_e32 v[88:89], v[82:83], v[66:67]
	s_wait_loadcnt 0x1
	s_delay_alu instid0(VALU_DEP_1) | instskip(SKIP_1) | instid1(VALU_DEP_1)
	v_fmac_f64_e32 v[88:89], v[84:85], v[68:69]
	s_wait_dscnt 0x0
	v_fmac_f64_e32 v[88:89], v[86:87], v[70:71]
	s_wait_loadcnt 0x0
	s_delay_alu instid0(VALU_DEP_1) | instskip(NEXT) | instid1(VALU_DEP_1)
	v_fmac_f64_e32 v[88:89], v[90:91], v[72:73]
	v_add_f64_e64 v[2:3], v[64:65], -v[88:89]
	scratch_store_b64 off, v[2:3], off offset:136
	s_wait_xcnt 0x0
	v_cmpx_lt_u32_e32 16, v0
	s_cbranch_execz .LBB93_157
; %bb.156:
	scratch_load_b64 v[2:3], off, off offset:128
	v_mov_b64_e32 v[64:65], 0
	scratch_store_b64 off, v[64:65], off offset:128
	s_wait_loadcnt 0x0
	ds_store_b64 v1, v[2:3]
.LBB93_157:
	s_wait_xcnt 0x0
	s_or_b32 exec_lo, exec_lo, s0
	s_wait_storecnt_dscnt 0x0
	s_barrier_signal -1
	s_barrier_wait -1
	s_clause 0x5
	scratch_load_b128 v[64:67], off, off offset:128
	scratch_load_b128 v[68:71], off, off offset:144
	;; [unrolled: 1-line block ×6, first 2 shown]
	v_mov_b32_e32 v2, 0
	ds_load_2addr_b64 v[88:91], v2 offset0:47 offset1:48
	ds_load_2addr_b64 v[92:95], v2 offset0:49 offset1:50
	s_mov_b32 s0, exec_lo
	s_wait_loadcnt_dscnt 0x501
	v_fma_f64 v[96:97], v[66:67], v[88:89], 0
	s_wait_loadcnt 0x4
	s_delay_alu instid0(VALU_DEP_1) | instskip(SKIP_4) | instid1(VALU_DEP_1)
	v_fmac_f64_e32 v[96:97], v[68:69], v[90:91]
	scratch_load_b128 v[66:69], off, off offset:224
	s_wait_dscnt 0x0
	v_fmac_f64_e32 v[96:97], v[70:71], v[92:93]
	s_wait_loadcnt 0x4
	v_fmac_f64_e32 v[96:97], v[72:73], v[94:95]
	ds_load_2addr_b64 v[70:73], v2 offset0:51 offset1:52
	ds_load_2addr_b64 v[88:91], v2 offset0:53 offset1:54
	s_wait_dscnt 0x1
	v_fmac_f64_e32 v[96:97], v[74:75], v[70:71]
	s_wait_loadcnt 0x3
	s_delay_alu instid0(VALU_DEP_1)
	v_fmac_f64_e32 v[96:97], v[76:77], v[72:73]
	ds_load_2addr_b64 v[70:73], v2 offset0:55 offset1:56
	ds_load_2addr_b64 v[74:77], v2 offset0:57 offset1:58
	s_wait_dscnt 0x2
	v_fmac_f64_e32 v[96:97], v[78:79], v[88:89]
	s_wait_loadcnt 0x2
	s_delay_alu instid0(VALU_DEP_1) | instskip(SKIP_1) | instid1(VALU_DEP_1)
	v_fmac_f64_e32 v[96:97], v[80:81], v[90:91]
	s_wait_dscnt 0x1
	v_fmac_f64_e32 v[96:97], v[82:83], v[70:71]
	s_wait_loadcnt 0x1
	s_delay_alu instid0(VALU_DEP_1) | instskip(SKIP_1) | instid1(VALU_DEP_1)
	v_fmac_f64_e32 v[96:97], v[84:85], v[72:73]
	s_wait_dscnt 0x0
	v_fmac_f64_e32 v[96:97], v[86:87], v[74:75]
	s_wait_loadcnt 0x0
	s_delay_alu instid0(VALU_DEP_1) | instskip(SKIP_3) | instid1(VALU_DEP_1)
	v_fmac_f64_e32 v[96:97], v[66:67], v[76:77]
	ds_load_b64 v[66:67], v2 offset:472
	s_wait_dscnt 0x0
	v_fmac_f64_e32 v[96:97], v[68:69], v[66:67]
	v_add_f64_e64 v[64:65], v[64:65], -v[96:97]
	scratch_store_b64 off, v[64:65], off offset:128
	s_wait_xcnt 0x0
	v_cmpx_lt_u32_e32 15, v0
	s_cbranch_execz .LBB93_159
; %bb.158:
	scratch_load_b64 v[64:65], off, off offset:120
	v_mov_b64_e32 v[66:67], 0
	scratch_store_b64 off, v[66:67], off offset:120
	s_wait_loadcnt 0x0
	ds_store_b64 v1, v[64:65]
.LBB93_159:
	s_wait_xcnt 0x0
	s_or_b32 exec_lo, exec_lo, s0
	s_wait_storecnt_dscnt 0x0
	s_barrier_signal -1
	s_barrier_wait -1
	s_clause 0x5
	scratch_load_b128 v[64:67], off, off offset:120
	scratch_load_b128 v[68:71], off, off offset:136
	;; [unrolled: 1-line block ×6, first 2 shown]
	ds_load_b128 v[88:91], v2 offset:368
	ds_load_b128 v[92:95], v2 offset:384
	s_mov_b32 s0, exec_lo
	s_wait_loadcnt_dscnt 0x501
	v_fma_f64 v[96:97], v[66:67], v[88:89], 0
	s_wait_loadcnt 0x4
	s_delay_alu instid0(VALU_DEP_1)
	v_fmac_f64_e32 v[96:97], v[68:69], v[90:91]
	scratch_load_b128 v[66:69], off, off offset:216
	s_wait_dscnt 0x0
	v_fmac_f64_e32 v[96:97], v[70:71], v[92:93]
	scratch_load_b64 v[92:93], off, off offset:232
	s_wait_loadcnt 0x5
	v_fmac_f64_e32 v[96:97], v[72:73], v[94:95]
	ds_load_b128 v[70:73], v2 offset:400
	ds_load_b128 v[88:91], v2 offset:416
	s_wait_dscnt 0x1
	v_fmac_f64_e32 v[96:97], v[74:75], v[70:71]
	s_wait_loadcnt 0x4
	s_delay_alu instid0(VALU_DEP_1)
	v_fmac_f64_e32 v[96:97], v[76:77], v[72:73]
	ds_load_b128 v[70:73], v2 offset:432
	ds_load_b128 v[74:77], v2 offset:448
	s_wait_dscnt 0x2
	v_fmac_f64_e32 v[96:97], v[78:79], v[88:89]
	s_wait_loadcnt 0x3
	s_delay_alu instid0(VALU_DEP_1) | instskip(SKIP_1) | instid1(VALU_DEP_1)
	v_fmac_f64_e32 v[96:97], v[80:81], v[90:91]
	s_wait_dscnt 0x1
	v_fmac_f64_e32 v[96:97], v[82:83], v[70:71]
	s_wait_loadcnt 0x2
	s_delay_alu instid0(VALU_DEP_1) | instskip(SKIP_4) | instid1(VALU_DEP_1)
	v_fmac_f64_e32 v[96:97], v[84:85], v[72:73]
	ds_load_b128 v[70:73], v2 offset:464
	s_wait_dscnt 0x1
	v_fmac_f64_e32 v[96:97], v[86:87], v[74:75]
	s_wait_loadcnt 0x1
	v_fmac_f64_e32 v[96:97], v[66:67], v[76:77]
	s_wait_dscnt 0x0
	s_delay_alu instid0(VALU_DEP_1) | instskip(SKIP_1) | instid1(VALU_DEP_1)
	v_fmac_f64_e32 v[96:97], v[68:69], v[70:71]
	s_wait_loadcnt 0x0
	v_fmac_f64_e32 v[96:97], v[92:93], v[72:73]
	s_delay_alu instid0(VALU_DEP_1)
	v_add_f64_e64 v[2:3], v[64:65], -v[96:97]
	scratch_store_b64 off, v[2:3], off offset:120
	s_wait_xcnt 0x0
	v_cmpx_lt_u32_e32 14, v0
	s_cbranch_execz .LBB93_161
; %bb.160:
	scratch_load_b64 v[2:3], off, off offset:112
	v_mov_b64_e32 v[64:65], 0
	scratch_store_b64 off, v[64:65], off offset:112
	s_wait_loadcnt 0x0
	ds_store_b64 v1, v[2:3]
.LBB93_161:
	s_wait_xcnt 0x0
	s_or_b32 exec_lo, exec_lo, s0
	s_wait_storecnt_dscnt 0x0
	s_barrier_signal -1
	s_barrier_wait -1
	s_clause 0x5
	scratch_load_b128 v[64:67], off, off offset:112
	scratch_load_b128 v[68:71], off, off offset:128
	;; [unrolled: 1-line block ×6, first 2 shown]
	v_mov_b32_e32 v2, 0
	ds_load_2addr_b64 v[88:91], v2 offset0:45 offset1:46
	ds_load_2addr_b64 v[92:95], v2 offset0:47 offset1:48
	s_mov_b32 s0, exec_lo
	s_wait_loadcnt_dscnt 0x501
	v_fma_f64 v[96:97], v[66:67], v[88:89], 0
	s_wait_loadcnt 0x4
	s_delay_alu instid0(VALU_DEP_1) | instskip(SKIP_4) | instid1(VALU_DEP_1)
	v_fmac_f64_e32 v[96:97], v[68:69], v[90:91]
	scratch_load_b128 v[66:69], off, off offset:208
	s_wait_dscnt 0x0
	v_fmac_f64_e32 v[96:97], v[70:71], v[92:93]
	s_wait_loadcnt 0x4
	v_fmac_f64_e32 v[96:97], v[72:73], v[94:95]
	scratch_load_b128 v[70:73], off, off offset:224
	ds_load_2addr_b64 v[88:91], v2 offset0:49 offset1:50
	ds_load_2addr_b64 v[92:95], v2 offset0:51 offset1:52
	s_wait_dscnt 0x1
	v_fmac_f64_e32 v[96:97], v[74:75], v[88:89]
	s_wait_loadcnt 0x4
	s_delay_alu instid0(VALU_DEP_1) | instskip(SKIP_1) | instid1(VALU_DEP_1)
	v_fmac_f64_e32 v[96:97], v[76:77], v[90:91]
	s_wait_dscnt 0x0
	v_fmac_f64_e32 v[96:97], v[78:79], v[92:93]
	s_wait_loadcnt 0x3
	s_delay_alu instid0(VALU_DEP_1)
	v_fmac_f64_e32 v[96:97], v[80:81], v[94:95]
	ds_load_2addr_b64 v[74:77], v2 offset0:53 offset1:54
	ds_load_2addr_b64 v[78:81], v2 offset0:55 offset1:56
	s_wait_dscnt 0x1
	v_fmac_f64_e32 v[96:97], v[82:83], v[74:75]
	s_wait_loadcnt 0x2
	s_delay_alu instid0(VALU_DEP_1) | instskip(SKIP_1) | instid1(VALU_DEP_1)
	v_fmac_f64_e32 v[96:97], v[84:85], v[76:77]
	s_wait_dscnt 0x0
	v_fmac_f64_e32 v[96:97], v[86:87], v[78:79]
	s_wait_loadcnt 0x1
	s_delay_alu instid0(VALU_DEP_1)
	v_fmac_f64_e32 v[96:97], v[66:67], v[80:81]
	ds_load_2addr_b64 v[74:77], v2 offset0:57 offset1:58
	ds_load_b64 v[66:67], v2 offset:472
	s_wait_dscnt 0x1
	v_fmac_f64_e32 v[96:97], v[68:69], v[74:75]
	s_wait_loadcnt 0x0
	s_delay_alu instid0(VALU_DEP_1) | instskip(SKIP_1) | instid1(VALU_DEP_1)
	v_fmac_f64_e32 v[96:97], v[70:71], v[76:77]
	s_wait_dscnt 0x0
	v_fmac_f64_e32 v[96:97], v[72:73], v[66:67]
	s_delay_alu instid0(VALU_DEP_1)
	v_add_f64_e64 v[64:65], v[64:65], -v[96:97]
	scratch_store_b64 off, v[64:65], off offset:112
	s_wait_xcnt 0x0
	v_cmpx_lt_u32_e32 13, v0
	s_cbranch_execz .LBB93_163
; %bb.162:
	scratch_load_b64 v[64:65], off, off offset:104
	v_mov_b64_e32 v[66:67], 0
	scratch_store_b64 off, v[66:67], off offset:104
	s_wait_loadcnt 0x0
	ds_store_b64 v1, v[64:65]
.LBB93_163:
	s_wait_xcnt 0x0
	s_or_b32 exec_lo, exec_lo, s0
	s_wait_storecnt_dscnt 0x0
	s_barrier_signal -1
	s_barrier_wait -1
	s_clause 0x5
	scratch_load_b128 v[64:67], off, off offset:104
	scratch_load_b128 v[68:71], off, off offset:120
	;; [unrolled: 1-line block ×6, first 2 shown]
	ds_load_b128 v[88:91], v2 offset:352
	ds_load_b128 v[92:95], v2 offset:368
	s_mov_b32 s0, exec_lo
	s_wait_loadcnt_dscnt 0x501
	v_fma_f64 v[96:97], v[66:67], v[88:89], 0
	s_wait_loadcnt 0x4
	s_delay_alu instid0(VALU_DEP_1) | instskip(SKIP_4) | instid1(VALU_DEP_1)
	v_fmac_f64_e32 v[96:97], v[68:69], v[90:91]
	scratch_load_b128 v[66:69], off, off offset:200
	s_wait_dscnt 0x0
	v_fmac_f64_e32 v[96:97], v[70:71], v[92:93]
	s_wait_loadcnt 0x4
	v_fmac_f64_e32 v[96:97], v[72:73], v[94:95]
	scratch_load_b128 v[70:73], off, off offset:216
	ds_load_b128 v[88:91], v2 offset:384
	ds_load_b128 v[92:95], v2 offset:400
	s_wait_dscnt 0x1
	v_fmac_f64_e32 v[96:97], v[74:75], v[88:89]
	scratch_load_b64 v[88:89], off, off offset:232
	s_wait_loadcnt 0x5
	v_fmac_f64_e32 v[96:97], v[76:77], v[90:91]
	s_wait_dscnt 0x0
	s_delay_alu instid0(VALU_DEP_1) | instskip(SKIP_1) | instid1(VALU_DEP_1)
	v_fmac_f64_e32 v[96:97], v[78:79], v[92:93]
	s_wait_loadcnt 0x4
	v_fmac_f64_e32 v[96:97], v[80:81], v[94:95]
	ds_load_b128 v[74:77], v2 offset:416
	ds_load_b128 v[78:81], v2 offset:432
	s_wait_dscnt 0x1
	v_fmac_f64_e32 v[96:97], v[82:83], v[74:75]
	s_wait_loadcnt 0x3
	s_delay_alu instid0(VALU_DEP_1) | instskip(SKIP_1) | instid1(VALU_DEP_1)
	v_fmac_f64_e32 v[96:97], v[84:85], v[76:77]
	s_wait_dscnt 0x0
	v_fmac_f64_e32 v[96:97], v[86:87], v[78:79]
	s_wait_loadcnt 0x2
	s_delay_alu instid0(VALU_DEP_1)
	v_fmac_f64_e32 v[96:97], v[66:67], v[80:81]
	ds_load_b128 v[74:77], v2 offset:448
	ds_load_b128 v[78:81], v2 offset:464
	s_wait_dscnt 0x1
	v_fmac_f64_e32 v[96:97], v[68:69], v[74:75]
	s_wait_loadcnt 0x1
	s_delay_alu instid0(VALU_DEP_1) | instskip(SKIP_1) | instid1(VALU_DEP_1)
	v_fmac_f64_e32 v[96:97], v[70:71], v[76:77]
	s_wait_dscnt 0x0
	v_fmac_f64_e32 v[96:97], v[72:73], v[78:79]
	s_wait_loadcnt 0x0
	s_delay_alu instid0(VALU_DEP_1) | instskip(NEXT) | instid1(VALU_DEP_1)
	v_fmac_f64_e32 v[96:97], v[88:89], v[80:81]
	v_add_f64_e64 v[2:3], v[64:65], -v[96:97]
	scratch_store_b64 off, v[2:3], off offset:104
	s_wait_xcnt 0x0
	v_cmpx_lt_u32_e32 12, v0
	s_cbranch_execz .LBB93_165
; %bb.164:
	scratch_load_b64 v[2:3], off, off offset:96
	v_mov_b64_e32 v[64:65], 0
	scratch_store_b64 off, v[64:65], off offset:96
	s_wait_loadcnt 0x0
	ds_store_b64 v1, v[2:3]
.LBB93_165:
	s_wait_xcnt 0x0
	s_or_b32 exec_lo, exec_lo, s0
	s_wait_storecnt_dscnt 0x0
	s_barrier_signal -1
	s_barrier_wait -1
	s_clause 0x5
	scratch_load_b128 v[64:67], off, off offset:96
	scratch_load_b128 v[68:71], off, off offset:112
	;; [unrolled: 1-line block ×6, first 2 shown]
	v_mov_b32_e32 v2, 0
	ds_load_2addr_b64 v[88:91], v2 offset0:43 offset1:44
	ds_load_2addr_b64 v[92:95], v2 offset0:45 offset1:46
	s_mov_b32 s0, exec_lo
	s_wait_loadcnt_dscnt 0x501
	v_fma_f64 v[96:97], v[66:67], v[88:89], 0
	s_wait_loadcnt 0x4
	s_delay_alu instid0(VALU_DEP_1) | instskip(SKIP_4) | instid1(VALU_DEP_1)
	v_fmac_f64_e32 v[96:97], v[68:69], v[90:91]
	scratch_load_b128 v[66:69], off, off offset:192
	s_wait_dscnt 0x0
	v_fmac_f64_e32 v[96:97], v[70:71], v[92:93]
	s_wait_loadcnt 0x4
	v_fmac_f64_e32 v[96:97], v[72:73], v[94:95]
	scratch_load_b128 v[70:73], off, off offset:208
	ds_load_2addr_b64 v[88:91], v2 offset0:47 offset1:48
	ds_load_2addr_b64 v[92:95], v2 offset0:49 offset1:50
	s_wait_dscnt 0x1
	v_fmac_f64_e32 v[96:97], v[74:75], v[88:89]
	s_wait_loadcnt 0x4
	s_delay_alu instid0(VALU_DEP_1) | instskip(SKIP_4) | instid1(VALU_DEP_1)
	v_fmac_f64_e32 v[96:97], v[76:77], v[90:91]
	scratch_load_b128 v[74:77], off, off offset:224
	s_wait_dscnt 0x0
	v_fmac_f64_e32 v[96:97], v[78:79], v[92:93]
	s_wait_loadcnt 0x4
	v_fmac_f64_e32 v[96:97], v[80:81], v[94:95]
	ds_load_2addr_b64 v[78:81], v2 offset0:51 offset1:52
	ds_load_2addr_b64 v[88:91], v2 offset0:53 offset1:54
	s_wait_dscnt 0x1
	v_fmac_f64_e32 v[96:97], v[82:83], v[78:79]
	s_wait_loadcnt 0x3
	s_delay_alu instid0(VALU_DEP_1)
	v_fmac_f64_e32 v[96:97], v[84:85], v[80:81]
	ds_load_2addr_b64 v[78:81], v2 offset0:55 offset1:56
	ds_load_2addr_b64 v[82:85], v2 offset0:57 offset1:58
	s_wait_dscnt 0x2
	v_fmac_f64_e32 v[96:97], v[86:87], v[88:89]
	s_wait_loadcnt 0x2
	s_delay_alu instid0(VALU_DEP_1) | instskip(SKIP_4) | instid1(VALU_DEP_1)
	v_fmac_f64_e32 v[96:97], v[66:67], v[90:91]
	ds_load_b64 v[66:67], v2 offset:472
	s_wait_dscnt 0x2
	v_fmac_f64_e32 v[96:97], v[68:69], v[78:79]
	s_wait_loadcnt 0x1
	v_fmac_f64_e32 v[96:97], v[70:71], v[80:81]
	s_wait_dscnt 0x1
	s_delay_alu instid0(VALU_DEP_1) | instskip(SKIP_1) | instid1(VALU_DEP_1)
	v_fmac_f64_e32 v[96:97], v[72:73], v[82:83]
	s_wait_loadcnt 0x0
	v_fmac_f64_e32 v[96:97], v[74:75], v[84:85]
	s_wait_dscnt 0x0
	s_delay_alu instid0(VALU_DEP_1) | instskip(NEXT) | instid1(VALU_DEP_1)
	v_fmac_f64_e32 v[96:97], v[76:77], v[66:67]
	v_add_f64_e64 v[64:65], v[64:65], -v[96:97]
	scratch_store_b64 off, v[64:65], off offset:96
	s_wait_xcnt 0x0
	v_cmpx_lt_u32_e32 11, v0
	s_cbranch_execz .LBB93_167
; %bb.166:
	scratch_load_b64 v[64:65], off, off offset:88
	v_mov_b64_e32 v[66:67], 0
	scratch_store_b64 off, v[66:67], off offset:88
	s_wait_loadcnt 0x0
	ds_store_b64 v1, v[64:65]
.LBB93_167:
	s_wait_xcnt 0x0
	s_or_b32 exec_lo, exec_lo, s0
	s_wait_storecnt_dscnt 0x0
	s_barrier_signal -1
	s_barrier_wait -1
	s_clause 0x5
	scratch_load_b128 v[64:67], off, off offset:88
	scratch_load_b128 v[68:71], off, off offset:104
	;; [unrolled: 1-line block ×6, first 2 shown]
	ds_load_b128 v[88:91], v2 offset:336
	ds_load_b128 v[92:95], v2 offset:352
	s_mov_b32 s0, exec_lo
	s_wait_loadcnt_dscnt 0x501
	v_fma_f64 v[96:97], v[66:67], v[88:89], 0
	s_wait_loadcnt 0x4
	s_delay_alu instid0(VALU_DEP_1) | instskip(SKIP_4) | instid1(VALU_DEP_1)
	v_fmac_f64_e32 v[96:97], v[68:69], v[90:91]
	scratch_load_b128 v[66:69], off, off offset:184
	s_wait_dscnt 0x0
	v_fmac_f64_e32 v[96:97], v[70:71], v[92:93]
	s_wait_loadcnt 0x4
	v_fmac_f64_e32 v[96:97], v[72:73], v[94:95]
	scratch_load_b128 v[70:73], off, off offset:200
	ds_load_b128 v[88:91], v2 offset:368
	ds_load_b128 v[92:95], v2 offset:384
	s_wait_dscnt 0x1
	v_fmac_f64_e32 v[96:97], v[74:75], v[88:89]
	s_wait_loadcnt 0x4
	s_delay_alu instid0(VALU_DEP_1)
	v_fmac_f64_e32 v[96:97], v[76:77], v[90:91]
	scratch_load_b128 v[74:77], off, off offset:216
	s_wait_dscnt 0x0
	v_fmac_f64_e32 v[96:97], v[78:79], v[92:93]
	scratch_load_b64 v[92:93], off, off offset:232
	s_wait_loadcnt 0x5
	v_fmac_f64_e32 v[96:97], v[80:81], v[94:95]
	ds_load_b128 v[78:81], v2 offset:400
	ds_load_b128 v[88:91], v2 offset:416
	s_wait_dscnt 0x1
	v_fmac_f64_e32 v[96:97], v[82:83], v[78:79]
	s_wait_loadcnt 0x4
	s_delay_alu instid0(VALU_DEP_1)
	v_fmac_f64_e32 v[96:97], v[84:85], v[80:81]
	ds_load_b128 v[78:81], v2 offset:432
	ds_load_b128 v[82:85], v2 offset:448
	s_wait_dscnt 0x2
	v_fmac_f64_e32 v[96:97], v[86:87], v[88:89]
	s_wait_loadcnt 0x3
	s_delay_alu instid0(VALU_DEP_1) | instskip(SKIP_1) | instid1(VALU_DEP_1)
	v_fmac_f64_e32 v[96:97], v[66:67], v[90:91]
	s_wait_dscnt 0x1
	v_fmac_f64_e32 v[96:97], v[68:69], v[78:79]
	ds_load_b128 v[66:69], v2 offset:464
	s_wait_loadcnt 0x2
	v_fmac_f64_e32 v[96:97], v[70:71], v[80:81]
	s_wait_dscnt 0x1
	s_delay_alu instid0(VALU_DEP_1) | instskip(SKIP_1) | instid1(VALU_DEP_1)
	v_fmac_f64_e32 v[96:97], v[72:73], v[82:83]
	s_wait_loadcnt 0x1
	v_fmac_f64_e32 v[96:97], v[74:75], v[84:85]
	s_wait_dscnt 0x0
	s_delay_alu instid0(VALU_DEP_1) | instskip(SKIP_1) | instid1(VALU_DEP_1)
	v_fmac_f64_e32 v[96:97], v[76:77], v[66:67]
	s_wait_loadcnt 0x0
	v_fmac_f64_e32 v[96:97], v[92:93], v[68:69]
	s_delay_alu instid0(VALU_DEP_1)
	v_add_f64_e64 v[2:3], v[64:65], -v[96:97]
	scratch_store_b64 off, v[2:3], off offset:88
	s_wait_xcnt 0x0
	v_cmpx_lt_u32_e32 10, v0
	s_cbranch_execz .LBB93_169
; %bb.168:
	scratch_load_b64 v[2:3], off, off offset:80
	v_mov_b64_e32 v[64:65], 0
	scratch_store_b64 off, v[64:65], off offset:80
	s_wait_loadcnt 0x0
	ds_store_b64 v1, v[2:3]
.LBB93_169:
	s_wait_xcnt 0x0
	s_or_b32 exec_lo, exec_lo, s0
	s_wait_storecnt_dscnt 0x0
	s_barrier_signal -1
	s_barrier_wait -1
	s_clause 0x5
	scratch_load_b128 v[64:67], off, off offset:80
	scratch_load_b128 v[68:71], off, off offset:96
	;; [unrolled: 1-line block ×6, first 2 shown]
	v_mov_b32_e32 v2, 0
	ds_load_2addr_b64 v[88:91], v2 offset0:41 offset1:42
	ds_load_2addr_b64 v[92:95], v2 offset0:43 offset1:44
	s_mov_b32 s0, exec_lo
	s_wait_loadcnt_dscnt 0x501
	v_fma_f64 v[96:97], v[66:67], v[88:89], 0
	s_wait_loadcnt 0x4
	s_delay_alu instid0(VALU_DEP_1) | instskip(SKIP_4) | instid1(VALU_DEP_1)
	v_fmac_f64_e32 v[96:97], v[68:69], v[90:91]
	scratch_load_b128 v[66:69], off, off offset:176
	s_wait_dscnt 0x0
	v_fmac_f64_e32 v[96:97], v[70:71], v[92:93]
	s_wait_loadcnt 0x4
	v_fmac_f64_e32 v[96:97], v[72:73], v[94:95]
	scratch_load_b128 v[70:73], off, off offset:192
	ds_load_2addr_b64 v[88:91], v2 offset0:45 offset1:46
	ds_load_2addr_b64 v[92:95], v2 offset0:47 offset1:48
	s_wait_dscnt 0x1
	v_fmac_f64_e32 v[96:97], v[74:75], v[88:89]
	s_wait_loadcnt 0x4
	s_delay_alu instid0(VALU_DEP_1) | instskip(SKIP_4) | instid1(VALU_DEP_1)
	v_fmac_f64_e32 v[96:97], v[76:77], v[90:91]
	scratch_load_b128 v[74:77], off, off offset:208
	s_wait_dscnt 0x0
	v_fmac_f64_e32 v[96:97], v[78:79], v[92:93]
	s_wait_loadcnt 0x4
	v_fmac_f64_e32 v[96:97], v[80:81], v[94:95]
	scratch_load_b128 v[78:81], off, off offset:224
	ds_load_2addr_b64 v[88:91], v2 offset0:49 offset1:50
	ds_load_2addr_b64 v[92:95], v2 offset0:51 offset1:52
	s_wait_dscnt 0x1
	v_fmac_f64_e32 v[96:97], v[82:83], v[88:89]
	s_wait_loadcnt 0x4
	s_delay_alu instid0(VALU_DEP_1) | instskip(SKIP_1) | instid1(VALU_DEP_1)
	v_fmac_f64_e32 v[96:97], v[84:85], v[90:91]
	s_wait_dscnt 0x0
	v_fmac_f64_e32 v[96:97], v[86:87], v[92:93]
	ds_load_2addr_b64 v[82:85], v2 offset0:53 offset1:54
	ds_load_2addr_b64 v[86:89], v2 offset0:55 offset1:56
	s_wait_loadcnt 0x3
	v_fmac_f64_e32 v[96:97], v[66:67], v[94:95]
	s_wait_dscnt 0x1
	s_delay_alu instid0(VALU_DEP_1) | instskip(SKIP_1) | instid1(VALU_DEP_1)
	v_fmac_f64_e32 v[96:97], v[68:69], v[82:83]
	s_wait_loadcnt 0x2
	v_fmac_f64_e32 v[96:97], v[70:71], v[84:85]
	ds_load_2addr_b64 v[66:69], v2 offset0:57 offset1:58
	ds_load_b64 v[70:71], v2 offset:472
	s_wait_dscnt 0x2
	v_fmac_f64_e32 v[96:97], v[72:73], v[86:87]
	s_wait_loadcnt 0x1
	s_delay_alu instid0(VALU_DEP_1) | instskip(SKIP_1) | instid1(VALU_DEP_1)
	v_fmac_f64_e32 v[96:97], v[74:75], v[88:89]
	s_wait_dscnt 0x1
	v_fmac_f64_e32 v[96:97], v[76:77], v[66:67]
	s_wait_loadcnt 0x0
	s_delay_alu instid0(VALU_DEP_1) | instskip(SKIP_1) | instid1(VALU_DEP_1)
	v_fmac_f64_e32 v[96:97], v[78:79], v[68:69]
	s_wait_dscnt 0x0
	v_fmac_f64_e32 v[96:97], v[80:81], v[70:71]
	s_delay_alu instid0(VALU_DEP_1)
	v_add_f64_e64 v[64:65], v[64:65], -v[96:97]
	scratch_store_b64 off, v[64:65], off offset:80
	s_wait_xcnt 0x0
	v_cmpx_lt_u32_e32 9, v0
	s_cbranch_execz .LBB93_171
; %bb.170:
	scratch_load_b64 v[64:65], off, off offset:72
	v_mov_b64_e32 v[66:67], 0
	scratch_store_b64 off, v[66:67], off offset:72
	s_wait_loadcnt 0x0
	ds_store_b64 v1, v[64:65]
.LBB93_171:
	s_wait_xcnt 0x0
	s_or_b32 exec_lo, exec_lo, s0
	s_wait_storecnt_dscnt 0x0
	s_barrier_signal -1
	s_barrier_wait -1
	s_clause 0x5
	scratch_load_b128 v[64:67], off, off offset:72
	scratch_load_b128 v[68:71], off, off offset:88
	scratch_load_b128 v[72:75], off, off offset:104
	scratch_load_b128 v[76:79], off, off offset:120
	scratch_load_b128 v[80:83], off, off offset:136
	scratch_load_b128 v[84:87], off, off offset:152
	ds_load_b128 v[88:91], v2 offset:320
	ds_load_b128 v[92:95], v2 offset:336
	s_mov_b32 s0, exec_lo
	s_wait_loadcnt_dscnt 0x501
	v_fma_f64 v[96:97], v[66:67], v[88:89], 0
	s_wait_loadcnt 0x4
	s_delay_alu instid0(VALU_DEP_1) | instskip(SKIP_4) | instid1(VALU_DEP_1)
	v_fmac_f64_e32 v[96:97], v[68:69], v[90:91]
	scratch_load_b128 v[66:69], off, off offset:168
	s_wait_dscnt 0x0
	v_fmac_f64_e32 v[96:97], v[70:71], v[92:93]
	s_wait_loadcnt 0x4
	v_fmac_f64_e32 v[96:97], v[72:73], v[94:95]
	scratch_load_b128 v[70:73], off, off offset:184
	ds_load_b128 v[88:91], v2 offset:352
	ds_load_b128 v[92:95], v2 offset:368
	s_wait_dscnt 0x1
	v_fmac_f64_e32 v[96:97], v[74:75], v[88:89]
	s_wait_loadcnt 0x4
	s_delay_alu instid0(VALU_DEP_1) | instskip(SKIP_4) | instid1(VALU_DEP_1)
	v_fmac_f64_e32 v[96:97], v[76:77], v[90:91]
	scratch_load_b128 v[74:77], off, off offset:200
	s_wait_dscnt 0x0
	v_fmac_f64_e32 v[96:97], v[78:79], v[92:93]
	s_wait_loadcnt 0x4
	v_fmac_f64_e32 v[96:97], v[80:81], v[94:95]
	scratch_load_b128 v[78:81], off, off offset:216
	ds_load_b128 v[88:91], v2 offset:384
	ds_load_b128 v[92:95], v2 offset:400
	s_wait_dscnt 0x1
	v_fmac_f64_e32 v[96:97], v[82:83], v[88:89]
	s_wait_loadcnt 0x4
	s_delay_alu instid0(VALU_DEP_1)
	v_fmac_f64_e32 v[96:97], v[84:85], v[90:91]
	scratch_load_b64 v[90:91], off, off offset:232
	s_wait_dscnt 0x0
	v_fmac_f64_e32 v[96:97], v[86:87], v[92:93]
	ds_load_b128 v[82:85], v2 offset:416
	ds_load_b128 v[86:89], v2 offset:432
	s_wait_loadcnt 0x4
	v_fmac_f64_e32 v[96:97], v[66:67], v[94:95]
	s_wait_dscnt 0x1
	s_delay_alu instid0(VALU_DEP_1) | instskip(SKIP_1) | instid1(VALU_DEP_1)
	v_fmac_f64_e32 v[96:97], v[68:69], v[82:83]
	s_wait_loadcnt 0x3
	v_fmac_f64_e32 v[96:97], v[70:71], v[84:85]
	s_wait_dscnt 0x0
	s_delay_alu instid0(VALU_DEP_1)
	v_fmac_f64_e32 v[96:97], v[72:73], v[86:87]
	ds_load_b128 v[66:69], v2 offset:448
	ds_load_b128 v[70:73], v2 offset:464
	s_wait_loadcnt 0x2
	v_fmac_f64_e32 v[96:97], v[74:75], v[88:89]
	s_wait_dscnt 0x1
	s_delay_alu instid0(VALU_DEP_1) | instskip(SKIP_1) | instid1(VALU_DEP_1)
	v_fmac_f64_e32 v[96:97], v[76:77], v[66:67]
	s_wait_loadcnt 0x1
	v_fmac_f64_e32 v[96:97], v[78:79], v[68:69]
	s_wait_dscnt 0x0
	s_delay_alu instid0(VALU_DEP_1) | instskip(SKIP_1) | instid1(VALU_DEP_1)
	v_fmac_f64_e32 v[96:97], v[80:81], v[70:71]
	s_wait_loadcnt 0x0
	v_fmac_f64_e32 v[96:97], v[90:91], v[72:73]
	s_delay_alu instid0(VALU_DEP_1)
	v_add_f64_e64 v[2:3], v[64:65], -v[96:97]
	scratch_store_b64 off, v[2:3], off offset:72
	s_wait_xcnt 0x0
	v_cmpx_lt_u32_e32 8, v0
	s_cbranch_execz .LBB93_173
; %bb.172:
	scratch_load_b64 v[2:3], off, off offset:64
	v_mov_b64_e32 v[64:65], 0
	scratch_store_b64 off, v[64:65], off offset:64
	s_wait_loadcnt 0x0
	ds_store_b64 v1, v[2:3]
.LBB93_173:
	s_wait_xcnt 0x0
	s_or_b32 exec_lo, exec_lo, s0
	s_wait_storecnt_dscnt 0x0
	s_barrier_signal -1
	s_barrier_wait -1
	s_clause 0x5
	scratch_load_b128 v[64:67], off, off offset:64
	scratch_load_b128 v[68:71], off, off offset:80
	;; [unrolled: 1-line block ×6, first 2 shown]
	v_mov_b32_e32 v2, 0
	ds_load_2addr_b64 v[88:91], v2 offset0:39 offset1:40
	ds_load_2addr_b64 v[92:95], v2 offset0:41 offset1:42
	s_mov_b32 s0, exec_lo
	s_wait_loadcnt_dscnt 0x501
	v_fma_f64 v[96:97], v[66:67], v[88:89], 0
	s_wait_loadcnt 0x4
	s_delay_alu instid0(VALU_DEP_1) | instskip(SKIP_4) | instid1(VALU_DEP_1)
	v_fmac_f64_e32 v[96:97], v[68:69], v[90:91]
	scratch_load_b128 v[66:69], off, off offset:160
	s_wait_dscnt 0x0
	v_fmac_f64_e32 v[96:97], v[70:71], v[92:93]
	s_wait_loadcnt 0x4
	v_fmac_f64_e32 v[96:97], v[72:73], v[94:95]
	scratch_load_b128 v[70:73], off, off offset:176
	ds_load_2addr_b64 v[88:91], v2 offset0:43 offset1:44
	ds_load_2addr_b64 v[92:95], v2 offset0:45 offset1:46
	s_wait_dscnt 0x1
	v_fmac_f64_e32 v[96:97], v[74:75], v[88:89]
	s_wait_loadcnt 0x4
	s_delay_alu instid0(VALU_DEP_1) | instskip(SKIP_4) | instid1(VALU_DEP_1)
	v_fmac_f64_e32 v[96:97], v[76:77], v[90:91]
	scratch_load_b128 v[74:77], off, off offset:192
	s_wait_dscnt 0x0
	v_fmac_f64_e32 v[96:97], v[78:79], v[92:93]
	s_wait_loadcnt 0x4
	v_fmac_f64_e32 v[96:97], v[80:81], v[94:95]
	scratch_load_b128 v[78:81], off, off offset:208
	ds_load_2addr_b64 v[88:91], v2 offset0:47 offset1:48
	ds_load_2addr_b64 v[92:95], v2 offset0:49 offset1:50
	s_wait_dscnt 0x1
	v_fmac_f64_e32 v[96:97], v[82:83], v[88:89]
	s_wait_loadcnt 0x4
	s_delay_alu instid0(VALU_DEP_1)
	v_fmac_f64_e32 v[96:97], v[84:85], v[90:91]
	scratch_load_b128 v[82:85], off, off offset:224
	s_wait_dscnt 0x0
	v_fmac_f64_e32 v[96:97], v[86:87], v[92:93]
	ds_load_2addr_b64 v[86:89], v2 offset0:51 offset1:52
	ds_load_2addr_b64 v[90:93], v2 offset0:53 offset1:54
	s_wait_loadcnt 0x4
	v_fmac_f64_e32 v[96:97], v[66:67], v[94:95]
	s_wait_dscnt 0x1
	s_delay_alu instid0(VALU_DEP_1) | instskip(SKIP_1) | instid1(VALU_DEP_1)
	v_fmac_f64_e32 v[96:97], v[68:69], v[86:87]
	s_wait_loadcnt 0x3
	v_fmac_f64_e32 v[96:97], v[70:71], v[88:89]
	s_wait_dscnt 0x0
	s_delay_alu instid0(VALU_DEP_1)
	v_fmac_f64_e32 v[96:97], v[72:73], v[90:91]
	ds_load_2addr_b64 v[66:69], v2 offset0:55 offset1:56
	ds_load_2addr_b64 v[70:73], v2 offset0:57 offset1:58
	s_wait_loadcnt 0x2
	v_fmac_f64_e32 v[96:97], v[74:75], v[92:93]
	s_wait_dscnt 0x1
	s_delay_alu instid0(VALU_DEP_1) | instskip(SKIP_4) | instid1(VALU_DEP_1)
	v_fmac_f64_e32 v[96:97], v[76:77], v[66:67]
	ds_load_b64 v[66:67], v2 offset:472
	s_wait_loadcnt 0x1
	v_fmac_f64_e32 v[96:97], v[78:79], v[68:69]
	s_wait_dscnt 0x1
	v_fmac_f64_e32 v[96:97], v[80:81], v[70:71]
	s_wait_loadcnt 0x0
	s_delay_alu instid0(VALU_DEP_1) | instskip(SKIP_1) | instid1(VALU_DEP_1)
	v_fmac_f64_e32 v[96:97], v[82:83], v[72:73]
	s_wait_dscnt 0x0
	v_fmac_f64_e32 v[96:97], v[84:85], v[66:67]
	s_delay_alu instid0(VALU_DEP_1)
	v_add_f64_e64 v[64:65], v[64:65], -v[96:97]
	scratch_store_b64 off, v[64:65], off offset:64
	s_wait_xcnt 0x0
	v_cmpx_lt_u32_e32 7, v0
	s_cbranch_execz .LBB93_175
; %bb.174:
	scratch_load_b64 v[64:65], off, off offset:56
	v_mov_b64_e32 v[66:67], 0
	scratch_store_b64 off, v[66:67], off offset:56
	s_wait_loadcnt 0x0
	ds_store_b64 v1, v[64:65]
.LBB93_175:
	s_wait_xcnt 0x0
	s_or_b32 exec_lo, exec_lo, s0
	s_wait_storecnt_dscnt 0x0
	s_barrier_signal -1
	s_barrier_wait -1
	s_clause 0x5
	scratch_load_b128 v[64:67], off, off offset:56
	scratch_load_b128 v[68:71], off, off offset:72
	scratch_load_b128 v[72:75], off, off offset:88
	scratch_load_b128 v[76:79], off, off offset:104
	scratch_load_b128 v[80:83], off, off offset:120
	scratch_load_b128 v[84:87], off, off offset:136
	ds_load_b128 v[88:91], v2 offset:304
	ds_load_b128 v[92:95], v2 offset:320
	scratch_load_b128 v[96:99], off, off offset:152
	s_mov_b32 s0, exec_lo
	s_wait_loadcnt_dscnt 0x601
	v_fma_f64 v[100:101], v[66:67], v[88:89], 0
	s_wait_loadcnt 0x5
	s_delay_alu instid0(VALU_DEP_1) | instskip(SKIP_4) | instid1(VALU_DEP_1)
	v_fmac_f64_e32 v[100:101], v[68:69], v[90:91]
	scratch_load_b128 v[66:69], off, off offset:168
	s_wait_dscnt 0x0
	v_fmac_f64_e32 v[100:101], v[70:71], v[92:93]
	s_wait_loadcnt 0x5
	v_fmac_f64_e32 v[100:101], v[72:73], v[94:95]
	ds_load_b128 v[70:73], v2 offset:336
	ds_load_b128 v[88:91], v2 offset:352
	s_wait_dscnt 0x1
	v_fmac_f64_e32 v[100:101], v[74:75], v[70:71]
	s_wait_loadcnt 0x4
	s_delay_alu instid0(VALU_DEP_1)
	v_fmac_f64_e32 v[100:101], v[76:77], v[72:73]
	s_clause 0x1
	scratch_load_b128 v[70:73], off, off offset:184
	scratch_load_b128 v[74:77], off, off offset:200
	s_wait_dscnt 0x0
	v_fmac_f64_e32 v[100:101], v[78:79], v[88:89]
	s_wait_loadcnt 0x5
	s_delay_alu instid0(VALU_DEP_1)
	v_fmac_f64_e32 v[100:101], v[80:81], v[90:91]
	ds_load_b128 v[78:81], v2 offset:368
	ds_load_b128 v[88:91], v2 offset:384
	s_wait_dscnt 0x1
	v_fmac_f64_e32 v[100:101], v[82:83], v[78:79]
	s_wait_loadcnt 0x4
	s_delay_alu instid0(VALU_DEP_1) | instskip(SKIP_4) | instid1(VALU_DEP_1)
	v_fmac_f64_e32 v[100:101], v[84:85], v[80:81]
	scratch_load_b128 v[78:81], off, off offset:216
	s_wait_dscnt 0x0
	v_fmac_f64_e32 v[100:101], v[86:87], v[88:89]
	s_wait_loadcnt 0x4
	v_fmac_f64_e32 v[100:101], v[96:97], v[90:91]
	scratch_load_b64 v[90:91], off, off offset:232
	ds_load_b128 v[82:85], v2 offset:400
	ds_load_b128 v[86:89], v2 offset:416
	s_wait_dscnt 0x1
	v_fmac_f64_e32 v[100:101], v[98:99], v[82:83]
	s_wait_loadcnt 0x4
	s_delay_alu instid0(VALU_DEP_1) | instskip(SKIP_1) | instid1(VALU_DEP_1)
	v_fmac_f64_e32 v[100:101], v[66:67], v[84:85]
	s_wait_dscnt 0x0
	v_fmac_f64_e32 v[100:101], v[68:69], v[86:87]
	ds_load_b128 v[66:69], v2 offset:432
	ds_load_b128 v[82:85], v2 offset:448
	s_wait_loadcnt 0x3
	v_fmac_f64_e32 v[100:101], v[70:71], v[88:89]
	s_wait_dscnt 0x1
	s_delay_alu instid0(VALU_DEP_1) | instskip(SKIP_1) | instid1(VALU_DEP_1)
	v_fmac_f64_e32 v[100:101], v[72:73], v[66:67]
	s_wait_loadcnt 0x2
	v_fmac_f64_e32 v[100:101], v[74:75], v[68:69]
	ds_load_b128 v[66:69], v2 offset:464
	s_wait_dscnt 0x1
	v_fmac_f64_e32 v[100:101], v[76:77], v[82:83]
	s_wait_loadcnt 0x1
	s_delay_alu instid0(VALU_DEP_1) | instskip(SKIP_1) | instid1(VALU_DEP_1)
	v_fmac_f64_e32 v[100:101], v[78:79], v[84:85]
	s_wait_dscnt 0x0
	v_fmac_f64_e32 v[100:101], v[80:81], v[66:67]
	s_wait_loadcnt 0x0
	s_delay_alu instid0(VALU_DEP_1) | instskip(NEXT) | instid1(VALU_DEP_1)
	v_fmac_f64_e32 v[100:101], v[90:91], v[68:69]
	v_add_f64_e64 v[2:3], v[64:65], -v[100:101]
	scratch_store_b64 off, v[2:3], off offset:56
	s_wait_xcnt 0x0
	v_cmpx_lt_u32_e32 6, v0
	s_cbranch_execz .LBB93_177
; %bb.176:
	scratch_load_b64 v[2:3], off, off offset:48
	v_mov_b64_e32 v[64:65], 0
	scratch_store_b64 off, v[64:65], off offset:48
	s_wait_loadcnt 0x0
	ds_store_b64 v1, v[2:3]
.LBB93_177:
	s_wait_xcnt 0x0
	s_or_b32 exec_lo, exec_lo, s0
	s_wait_storecnt_dscnt 0x0
	s_barrier_signal -1
	s_barrier_wait -1
	s_clause 0x5
	scratch_load_b128 v[64:67], off, off offset:48
	scratch_load_b128 v[68:71], off, off offset:64
	;; [unrolled: 1-line block ×6, first 2 shown]
	v_mov_b32_e32 v2, 0
	ds_load_2addr_b64 v[88:91], v2 offset0:37 offset1:38
	ds_load_2addr_b64 v[92:95], v2 offset0:39 offset1:40
	scratch_load_b128 v[96:99], off, off offset:144
	s_mov_b32 s0, exec_lo
	s_wait_loadcnt_dscnt 0x601
	v_fma_f64 v[100:101], v[66:67], v[88:89], 0
	s_wait_loadcnt 0x5
	s_delay_alu instid0(VALU_DEP_1) | instskip(SKIP_4) | instid1(VALU_DEP_1)
	v_fmac_f64_e32 v[100:101], v[68:69], v[90:91]
	scratch_load_b128 v[66:69], off, off offset:160
	s_wait_dscnt 0x0
	v_fmac_f64_e32 v[100:101], v[70:71], v[92:93]
	s_wait_loadcnt 0x5
	v_fmac_f64_e32 v[100:101], v[72:73], v[94:95]
	ds_load_2addr_b64 v[70:73], v2 offset0:41 offset1:42
	ds_load_2addr_b64 v[88:91], v2 offset0:43 offset1:44
	s_wait_dscnt 0x1
	v_fmac_f64_e32 v[100:101], v[74:75], v[70:71]
	s_wait_loadcnt 0x4
	s_delay_alu instid0(VALU_DEP_1)
	v_fmac_f64_e32 v[100:101], v[76:77], v[72:73]
	s_clause 0x1
	scratch_load_b128 v[70:73], off, off offset:176
	scratch_load_b128 v[74:77], off, off offset:192
	s_wait_dscnt 0x0
	v_fmac_f64_e32 v[100:101], v[78:79], v[88:89]
	s_wait_loadcnt 0x5
	s_delay_alu instid0(VALU_DEP_1)
	v_fmac_f64_e32 v[100:101], v[80:81], v[90:91]
	ds_load_2addr_b64 v[78:81], v2 offset0:45 offset1:46
	ds_load_2addr_b64 v[88:91], v2 offset0:47 offset1:48
	s_wait_dscnt 0x1
	v_fmac_f64_e32 v[100:101], v[82:83], v[78:79]
	s_wait_loadcnt 0x4
	s_delay_alu instid0(VALU_DEP_1)
	v_fmac_f64_e32 v[100:101], v[84:85], v[80:81]
	s_clause 0x1
	scratch_load_b128 v[78:81], off, off offset:208
	scratch_load_b128 v[82:85], off, off offset:224
	s_wait_dscnt 0x0
	v_fmac_f64_e32 v[100:101], v[86:87], v[88:89]
	s_wait_loadcnt 0x5
	s_delay_alu instid0(VALU_DEP_1)
	v_fmac_f64_e32 v[100:101], v[96:97], v[90:91]
	ds_load_2addr_b64 v[86:89], v2 offset0:49 offset1:50
	ds_load_2addr_b64 v[90:93], v2 offset0:51 offset1:52
	s_wait_dscnt 0x1
	v_fmac_f64_e32 v[100:101], v[98:99], v[86:87]
	s_wait_loadcnt 0x4
	s_delay_alu instid0(VALU_DEP_1) | instskip(SKIP_1) | instid1(VALU_DEP_1)
	v_fmac_f64_e32 v[100:101], v[66:67], v[88:89]
	s_wait_dscnt 0x0
	v_fmac_f64_e32 v[100:101], v[68:69], v[90:91]
	ds_load_2addr_b64 v[66:69], v2 offset0:53 offset1:54
	ds_load_2addr_b64 v[86:89], v2 offset0:55 offset1:56
	s_wait_loadcnt 0x3
	v_fmac_f64_e32 v[100:101], v[70:71], v[92:93]
	s_wait_dscnt 0x1
	s_delay_alu instid0(VALU_DEP_1) | instskip(SKIP_1) | instid1(VALU_DEP_1)
	v_fmac_f64_e32 v[100:101], v[72:73], v[66:67]
	s_wait_loadcnt 0x2
	v_fmac_f64_e32 v[100:101], v[74:75], v[68:69]
	ds_load_2addr_b64 v[66:69], v2 offset0:57 offset1:58
	ds_load_b64 v[70:71], v2 offset:472
	s_wait_dscnt 0x2
	v_fmac_f64_e32 v[100:101], v[76:77], v[86:87]
	s_wait_loadcnt 0x1
	s_delay_alu instid0(VALU_DEP_1) | instskip(SKIP_1) | instid1(VALU_DEP_1)
	v_fmac_f64_e32 v[100:101], v[78:79], v[88:89]
	s_wait_dscnt 0x1
	v_fmac_f64_e32 v[100:101], v[80:81], v[66:67]
	s_wait_loadcnt 0x0
	s_delay_alu instid0(VALU_DEP_1) | instskip(SKIP_1) | instid1(VALU_DEP_1)
	v_fmac_f64_e32 v[100:101], v[82:83], v[68:69]
	s_wait_dscnt 0x0
	v_fmac_f64_e32 v[100:101], v[84:85], v[70:71]
	s_delay_alu instid0(VALU_DEP_1)
	v_add_f64_e64 v[64:65], v[64:65], -v[100:101]
	scratch_store_b64 off, v[64:65], off offset:48
	s_wait_xcnt 0x0
	v_cmpx_lt_u32_e32 5, v0
	s_cbranch_execz .LBB93_179
; %bb.178:
	scratch_load_b64 v[64:65], off, off offset:40
	v_mov_b64_e32 v[66:67], 0
	scratch_store_b64 off, v[66:67], off offset:40
	s_wait_loadcnt 0x0
	ds_store_b64 v1, v[64:65]
.LBB93_179:
	s_wait_xcnt 0x0
	s_or_b32 exec_lo, exec_lo, s0
	s_wait_storecnt_dscnt 0x0
	s_barrier_signal -1
	s_barrier_wait -1
	s_clause 0x5
	scratch_load_b128 v[64:67], off, off offset:40
	scratch_load_b128 v[68:71], off, off offset:56
	;; [unrolled: 1-line block ×6, first 2 shown]
	ds_load_b128 v[88:91], v2 offset:288
	ds_load_b128 v[92:95], v2 offset:304
	scratch_load_b128 v[96:99], off, off offset:136
	s_mov_b32 s0, exec_lo
	s_wait_loadcnt_dscnt 0x601
	v_fma_f64 v[100:101], v[66:67], v[88:89], 0
	s_wait_loadcnt 0x5
	s_delay_alu instid0(VALU_DEP_1) | instskip(SKIP_4) | instid1(VALU_DEP_1)
	v_fmac_f64_e32 v[100:101], v[68:69], v[90:91]
	scratch_load_b128 v[66:69], off, off offset:152
	s_wait_dscnt 0x0
	v_fmac_f64_e32 v[100:101], v[70:71], v[92:93]
	s_wait_loadcnt 0x5
	v_fmac_f64_e32 v[100:101], v[72:73], v[94:95]
	ds_load_b128 v[70:73], v2 offset:320
	ds_load_b128 v[88:91], v2 offset:336
	s_wait_dscnt 0x1
	v_fmac_f64_e32 v[100:101], v[74:75], v[70:71]
	s_wait_loadcnt 0x4
	s_delay_alu instid0(VALU_DEP_1)
	v_fmac_f64_e32 v[100:101], v[76:77], v[72:73]
	s_clause 0x1
	scratch_load_b128 v[70:73], off, off offset:168
	scratch_load_b128 v[74:77], off, off offset:184
	s_wait_dscnt 0x0
	v_fmac_f64_e32 v[100:101], v[78:79], v[88:89]
	s_wait_loadcnt 0x5
	s_delay_alu instid0(VALU_DEP_1)
	v_fmac_f64_e32 v[100:101], v[80:81], v[90:91]
	ds_load_b128 v[78:81], v2 offset:352
	ds_load_b128 v[88:91], v2 offset:368
	s_wait_dscnt 0x1
	v_fmac_f64_e32 v[100:101], v[82:83], v[78:79]
	s_wait_loadcnt 0x4
	s_delay_alu instid0(VALU_DEP_1)
	v_fmac_f64_e32 v[100:101], v[84:85], v[80:81]
	s_clause 0x1
	scratch_load_b128 v[78:81], off, off offset:200
	scratch_load_b128 v[82:85], off, off offset:216
	s_wait_dscnt 0x0
	v_fmac_f64_e32 v[100:101], v[86:87], v[88:89]
	s_wait_loadcnt 0x5
	s_delay_alu instid0(VALU_DEP_1)
	v_fmac_f64_e32 v[100:101], v[96:97], v[90:91]
	ds_load_b128 v[86:89], v2 offset:384
	ds_load_b128 v[90:93], v2 offset:400
	scratch_load_b64 v[94:95], off, off offset:232
	s_wait_dscnt 0x1
	v_fmac_f64_e32 v[100:101], v[98:99], v[86:87]
	s_wait_loadcnt 0x5
	s_delay_alu instid0(VALU_DEP_1) | instskip(SKIP_1) | instid1(VALU_DEP_1)
	v_fmac_f64_e32 v[100:101], v[66:67], v[88:89]
	s_wait_dscnt 0x0
	v_fmac_f64_e32 v[100:101], v[68:69], v[90:91]
	ds_load_b128 v[66:69], v2 offset:416
	ds_load_b128 v[86:89], v2 offset:432
	s_wait_loadcnt 0x4
	v_fmac_f64_e32 v[100:101], v[70:71], v[92:93]
	s_wait_dscnt 0x1
	s_delay_alu instid0(VALU_DEP_1) | instskip(SKIP_1) | instid1(VALU_DEP_1)
	v_fmac_f64_e32 v[100:101], v[72:73], v[66:67]
	s_wait_loadcnt 0x3
	v_fmac_f64_e32 v[100:101], v[74:75], v[68:69]
	ds_load_b128 v[66:69], v2 offset:448
	ds_load_b128 v[70:73], v2 offset:464
	s_wait_dscnt 0x2
	v_fmac_f64_e32 v[100:101], v[76:77], v[86:87]
	s_wait_loadcnt 0x2
	s_delay_alu instid0(VALU_DEP_1) | instskip(SKIP_1) | instid1(VALU_DEP_1)
	v_fmac_f64_e32 v[100:101], v[78:79], v[88:89]
	s_wait_dscnt 0x1
	v_fmac_f64_e32 v[100:101], v[80:81], v[66:67]
	s_wait_loadcnt 0x1
	s_delay_alu instid0(VALU_DEP_1) | instskip(SKIP_1) | instid1(VALU_DEP_1)
	v_fmac_f64_e32 v[100:101], v[82:83], v[68:69]
	s_wait_dscnt 0x0
	v_fmac_f64_e32 v[100:101], v[84:85], v[70:71]
	s_wait_loadcnt 0x0
	s_delay_alu instid0(VALU_DEP_1) | instskip(NEXT) | instid1(VALU_DEP_1)
	v_fmac_f64_e32 v[100:101], v[94:95], v[72:73]
	v_add_f64_e64 v[2:3], v[64:65], -v[100:101]
	scratch_store_b64 off, v[2:3], off offset:40
	s_wait_xcnt 0x0
	v_cmpx_lt_u32_e32 4, v0
	s_cbranch_execz .LBB93_181
; %bb.180:
	scratch_load_b64 v[2:3], off, off offset:32
	v_mov_b64_e32 v[64:65], 0
	scratch_store_b64 off, v[64:65], off offset:32
	s_wait_loadcnt 0x0
	ds_store_b64 v1, v[2:3]
.LBB93_181:
	s_wait_xcnt 0x0
	s_or_b32 exec_lo, exec_lo, s0
	s_wait_storecnt_dscnt 0x0
	s_barrier_signal -1
	s_barrier_wait -1
	s_clause 0x5
	scratch_load_b128 v[64:67], off, off offset:32
	scratch_load_b128 v[68:71], off, off offset:48
	;; [unrolled: 1-line block ×6, first 2 shown]
	v_mov_b32_e32 v2, 0
	ds_load_2addr_b64 v[88:91], v2 offset0:35 offset1:36
	ds_load_2addr_b64 v[92:95], v2 offset0:37 offset1:38
	scratch_load_b128 v[96:99], off, off offset:128
	s_mov_b32 s0, exec_lo
	s_wait_loadcnt_dscnt 0x601
	v_fma_f64 v[100:101], v[66:67], v[88:89], 0
	s_wait_loadcnt 0x5
	s_delay_alu instid0(VALU_DEP_1) | instskip(SKIP_4) | instid1(VALU_DEP_1)
	v_fmac_f64_e32 v[100:101], v[68:69], v[90:91]
	scratch_load_b128 v[66:69], off, off offset:144
	s_wait_dscnt 0x0
	v_fmac_f64_e32 v[100:101], v[70:71], v[92:93]
	s_wait_loadcnt 0x5
	v_fmac_f64_e32 v[100:101], v[72:73], v[94:95]
	ds_load_2addr_b64 v[70:73], v2 offset0:39 offset1:40
	ds_load_2addr_b64 v[88:91], v2 offset0:41 offset1:42
	s_wait_dscnt 0x1
	v_fmac_f64_e32 v[100:101], v[74:75], v[70:71]
	s_wait_loadcnt 0x4
	s_delay_alu instid0(VALU_DEP_1)
	v_fmac_f64_e32 v[100:101], v[76:77], v[72:73]
	s_clause 0x1
	scratch_load_b128 v[70:73], off, off offset:160
	scratch_load_b128 v[74:77], off, off offset:176
	s_wait_dscnt 0x0
	v_fmac_f64_e32 v[100:101], v[78:79], v[88:89]
	s_wait_loadcnt 0x5
	s_delay_alu instid0(VALU_DEP_1)
	v_fmac_f64_e32 v[100:101], v[80:81], v[90:91]
	ds_load_2addr_b64 v[78:81], v2 offset0:43 offset1:44
	ds_load_2addr_b64 v[88:91], v2 offset0:45 offset1:46
	s_wait_dscnt 0x1
	v_fmac_f64_e32 v[100:101], v[82:83], v[78:79]
	s_wait_loadcnt 0x4
	s_delay_alu instid0(VALU_DEP_1)
	v_fmac_f64_e32 v[100:101], v[84:85], v[80:81]
	s_clause 0x1
	scratch_load_b128 v[78:81], off, off offset:192
	scratch_load_b128 v[82:85], off, off offset:208
	s_wait_dscnt 0x0
	v_fmac_f64_e32 v[100:101], v[86:87], v[88:89]
	s_wait_loadcnt 0x5
	s_delay_alu instid0(VALU_DEP_1)
	v_fmac_f64_e32 v[100:101], v[96:97], v[90:91]
	ds_load_2addr_b64 v[86:89], v2 offset0:47 offset1:48
	ds_load_2addr_b64 v[90:93], v2 offset0:49 offset1:50
	s_wait_dscnt 0x1
	v_fmac_f64_e32 v[100:101], v[98:99], v[86:87]
	s_wait_loadcnt 0x4
	s_delay_alu instid0(VALU_DEP_1) | instskip(SKIP_4) | instid1(VALU_DEP_1)
	v_fmac_f64_e32 v[100:101], v[66:67], v[88:89]
	scratch_load_b128 v[86:89], off, off offset:224
	s_wait_dscnt 0x0
	v_fmac_f64_e32 v[100:101], v[68:69], v[90:91]
	s_wait_loadcnt 0x4
	v_fmac_f64_e32 v[100:101], v[70:71], v[92:93]
	ds_load_2addr_b64 v[66:69], v2 offset0:51 offset1:52
	ds_load_2addr_b64 v[90:93], v2 offset0:53 offset1:54
	s_wait_dscnt 0x1
	v_fmac_f64_e32 v[100:101], v[72:73], v[66:67]
	s_wait_loadcnt 0x3
	s_delay_alu instid0(VALU_DEP_1)
	v_fmac_f64_e32 v[100:101], v[74:75], v[68:69]
	ds_load_2addr_b64 v[66:69], v2 offset0:55 offset1:56
	ds_load_2addr_b64 v[70:73], v2 offset0:57 offset1:58
	s_wait_dscnt 0x2
	v_fmac_f64_e32 v[100:101], v[76:77], v[90:91]
	s_wait_loadcnt 0x2
	s_delay_alu instid0(VALU_DEP_1) | instskip(SKIP_1) | instid1(VALU_DEP_1)
	v_fmac_f64_e32 v[100:101], v[78:79], v[92:93]
	s_wait_dscnt 0x1
	v_fmac_f64_e32 v[100:101], v[80:81], v[66:67]
	ds_load_b64 v[66:67], v2 offset:472
	s_wait_loadcnt 0x1
	v_fmac_f64_e32 v[100:101], v[82:83], v[68:69]
	s_wait_dscnt 0x1
	s_delay_alu instid0(VALU_DEP_1) | instskip(SKIP_1) | instid1(VALU_DEP_1)
	v_fmac_f64_e32 v[100:101], v[84:85], v[70:71]
	s_wait_loadcnt 0x0
	v_fmac_f64_e32 v[100:101], v[86:87], v[72:73]
	s_wait_dscnt 0x0
	s_delay_alu instid0(VALU_DEP_1) | instskip(NEXT) | instid1(VALU_DEP_1)
	v_fmac_f64_e32 v[100:101], v[88:89], v[66:67]
	v_add_f64_e64 v[64:65], v[64:65], -v[100:101]
	scratch_store_b64 off, v[64:65], off offset:32
	s_wait_xcnt 0x0
	v_cmpx_lt_u32_e32 3, v0
	s_cbranch_execz .LBB93_183
; %bb.182:
	scratch_load_b64 v[64:65], off, off offset:24
	v_mov_b64_e32 v[66:67], 0
	scratch_store_b64 off, v[66:67], off offset:24
	s_wait_loadcnt 0x0
	ds_store_b64 v1, v[64:65]
.LBB93_183:
	s_wait_xcnt 0x0
	s_or_b32 exec_lo, exec_lo, s0
	s_wait_storecnt_dscnt 0x0
	s_barrier_signal -1
	s_barrier_wait -1
	s_clause 0x5
	scratch_load_b128 v[64:67], off, off offset:24
	scratch_load_b128 v[68:71], off, off offset:40
	;; [unrolled: 1-line block ×6, first 2 shown]
	ds_load_b128 v[88:91], v2 offset:272
	ds_load_b128 v[92:95], v2 offset:288
	scratch_load_b128 v[96:99], off, off offset:120
	s_mov_b32 s0, exec_lo
	s_wait_loadcnt_dscnt 0x601
	v_fma_f64 v[100:101], v[66:67], v[88:89], 0
	s_wait_loadcnt 0x5
	s_delay_alu instid0(VALU_DEP_1) | instskip(SKIP_4) | instid1(VALU_DEP_1)
	v_fmac_f64_e32 v[100:101], v[68:69], v[90:91]
	scratch_load_b128 v[66:69], off, off offset:136
	s_wait_dscnt 0x0
	v_fmac_f64_e32 v[100:101], v[70:71], v[92:93]
	s_wait_loadcnt 0x5
	v_fmac_f64_e32 v[100:101], v[72:73], v[94:95]
	ds_load_b128 v[70:73], v2 offset:304
	ds_load_b128 v[88:91], v2 offset:320
	scratch_load_b128 v[92:95], off, off offset:152
	s_wait_dscnt 0x1
	v_fmac_f64_e32 v[100:101], v[74:75], v[70:71]
	s_wait_loadcnt 0x5
	s_delay_alu instid0(VALU_DEP_1) | instskip(SKIP_4) | instid1(VALU_DEP_1)
	v_fmac_f64_e32 v[100:101], v[76:77], v[72:73]
	scratch_load_b128 v[70:73], off, off offset:168
	s_wait_dscnt 0x0
	v_fmac_f64_e32 v[100:101], v[78:79], v[88:89]
	s_wait_loadcnt 0x5
	v_fmac_f64_e32 v[100:101], v[80:81], v[90:91]
	ds_load_b128 v[74:77], v2 offset:336
	ds_load_b128 v[78:81], v2 offset:352
	s_wait_dscnt 0x1
	v_fmac_f64_e32 v[100:101], v[82:83], v[74:75]
	s_wait_loadcnt 0x4
	s_delay_alu instid0(VALU_DEP_1) | instskip(SKIP_4) | instid1(VALU_DEP_1)
	v_fmac_f64_e32 v[100:101], v[84:85], v[76:77]
	scratch_load_b128 v[74:77], off, off offset:184
	s_wait_dscnt 0x0
	v_fmac_f64_e32 v[100:101], v[86:87], v[78:79]
	s_wait_loadcnt 0x4
	v_fmac_f64_e32 v[100:101], v[96:97], v[80:81]
	scratch_load_b128 v[78:81], off, off offset:200
	ds_load_b128 v[82:85], v2 offset:368
	ds_load_b128 v[86:89], v2 offset:384
	scratch_load_b64 v[90:91], off, off offset:232
	s_wait_dscnt 0x1
	v_fmac_f64_e32 v[100:101], v[98:99], v[82:83]
	s_wait_loadcnt 0x5
	s_delay_alu instid0(VALU_DEP_1) | instskip(SKIP_4) | instid1(VALU_DEP_1)
	v_fmac_f64_e32 v[100:101], v[66:67], v[84:85]
	scratch_load_b128 v[82:85], off, off offset:216
	s_wait_dscnt 0x0
	v_fmac_f64_e32 v[100:101], v[68:69], v[86:87]
	s_wait_loadcnt 0x5
	v_fmac_f64_e32 v[100:101], v[92:93], v[88:89]
	ds_load_b128 v[66:69], v2 offset:400
	ds_load_b128 v[86:89], v2 offset:416
	s_wait_dscnt 0x1
	v_fmac_f64_e32 v[100:101], v[94:95], v[66:67]
	s_wait_loadcnt 0x4
	s_delay_alu instid0(VALU_DEP_1) | instskip(SKIP_1) | instid1(VALU_DEP_1)
	v_fmac_f64_e32 v[100:101], v[70:71], v[68:69]
	s_wait_dscnt 0x0
	v_fmac_f64_e32 v[100:101], v[72:73], v[86:87]
	ds_load_b128 v[66:69], v2 offset:432
	ds_load_b128 v[70:73], v2 offset:448
	s_wait_loadcnt 0x3
	v_fmac_f64_e32 v[100:101], v[74:75], v[88:89]
	s_wait_dscnt 0x1
	s_delay_alu instid0(VALU_DEP_1) | instskip(SKIP_1) | instid1(VALU_DEP_1)
	v_fmac_f64_e32 v[100:101], v[76:77], v[66:67]
	s_wait_loadcnt 0x2
	v_fmac_f64_e32 v[100:101], v[78:79], v[68:69]
	ds_load_b128 v[66:69], v2 offset:464
	s_wait_dscnt 0x1
	v_fmac_f64_e32 v[100:101], v[80:81], v[70:71]
	s_wait_loadcnt 0x0
	s_delay_alu instid0(VALU_DEP_1) | instskip(SKIP_1) | instid1(VALU_DEP_1)
	v_fmac_f64_e32 v[100:101], v[82:83], v[72:73]
	s_wait_dscnt 0x0
	v_fmac_f64_e32 v[100:101], v[84:85], v[66:67]
	s_delay_alu instid0(VALU_DEP_1) | instskip(NEXT) | instid1(VALU_DEP_1)
	v_fmac_f64_e32 v[100:101], v[90:91], v[68:69]
	v_add_f64_e64 v[2:3], v[64:65], -v[100:101]
	scratch_store_b64 off, v[2:3], off offset:24
	s_wait_xcnt 0x0
	v_cmpx_lt_u32_e32 2, v0
	s_cbranch_execz .LBB93_185
; %bb.184:
	scratch_load_b64 v[2:3], off, off offset:16
	v_mov_b64_e32 v[64:65], 0
	scratch_store_b64 off, v[64:65], off offset:16
	s_wait_loadcnt 0x0
	ds_store_b64 v1, v[2:3]
.LBB93_185:
	s_wait_xcnt 0x0
	s_or_b32 exec_lo, exec_lo, s0
	s_wait_storecnt_dscnt 0x0
	s_barrier_signal -1
	s_barrier_wait -1
	s_clause 0x5
	scratch_load_b128 v[64:67], off, off offset:16
	scratch_load_b128 v[68:71], off, off offset:32
	;; [unrolled: 1-line block ×6, first 2 shown]
	v_mov_b32_e32 v2, 0
	ds_load_2addr_b64 v[88:91], v2 offset0:33 offset1:34
	ds_load_2addr_b64 v[92:95], v2 offset0:35 offset1:36
	scratch_load_b128 v[96:99], off, off offset:112
	s_mov_b32 s0, exec_lo
	s_wait_loadcnt_dscnt 0x601
	v_fma_f64 v[100:101], v[66:67], v[88:89], 0
	s_wait_loadcnt 0x5
	s_delay_alu instid0(VALU_DEP_1) | instskip(SKIP_4) | instid1(VALU_DEP_1)
	v_fmac_f64_e32 v[100:101], v[68:69], v[90:91]
	scratch_load_b128 v[66:69], off, off offset:128
	s_wait_dscnt 0x0
	v_fmac_f64_e32 v[100:101], v[70:71], v[92:93]
	s_wait_loadcnt 0x5
	v_fmac_f64_e32 v[100:101], v[72:73], v[94:95]
	ds_load_2addr_b64 v[70:73], v2 offset0:37 offset1:38
	ds_load_2addr_b64 v[88:91], v2 offset0:39 offset1:40
	scratch_load_b128 v[92:95], off, off offset:144
	s_wait_dscnt 0x1
	v_fmac_f64_e32 v[100:101], v[74:75], v[70:71]
	s_wait_loadcnt 0x5
	s_delay_alu instid0(VALU_DEP_1) | instskip(SKIP_4) | instid1(VALU_DEP_1)
	v_fmac_f64_e32 v[100:101], v[76:77], v[72:73]
	scratch_load_b128 v[70:73], off, off offset:160
	s_wait_dscnt 0x0
	v_fmac_f64_e32 v[100:101], v[78:79], v[88:89]
	s_wait_loadcnt 0x5
	v_fmac_f64_e32 v[100:101], v[80:81], v[90:91]
	ds_load_2addr_b64 v[74:77], v2 offset0:41 offset1:42
	ds_load_2addr_b64 v[78:81], v2 offset0:43 offset1:44
	s_wait_dscnt 0x1
	v_fmac_f64_e32 v[100:101], v[82:83], v[74:75]
	s_wait_loadcnt 0x4
	s_delay_alu instid0(VALU_DEP_1) | instskip(SKIP_4) | instid1(VALU_DEP_1)
	v_fmac_f64_e32 v[100:101], v[84:85], v[76:77]
	scratch_load_b128 v[74:77], off, off offset:176
	s_wait_dscnt 0x0
	v_fmac_f64_e32 v[100:101], v[86:87], v[78:79]
	s_wait_loadcnt 0x4
	v_fmac_f64_e32 v[100:101], v[96:97], v[80:81]
	scratch_load_b128 v[78:81], off, off offset:192
	ds_load_2addr_b64 v[82:85], v2 offset0:45 offset1:46
	ds_load_2addr_b64 v[86:89], v2 offset0:47 offset1:48
	s_wait_dscnt 0x1
	v_fmac_f64_e32 v[100:101], v[98:99], v[82:83]
	s_wait_loadcnt 0x4
	s_delay_alu instid0(VALU_DEP_1)
	v_fmac_f64_e32 v[100:101], v[66:67], v[84:85]
	scratch_load_b128 v[82:85], off, off offset:208
	s_wait_dscnt 0x0
	v_fmac_f64_e32 v[100:101], v[68:69], v[86:87]
	scratch_load_b128 v[66:69], off, off offset:224
	s_wait_loadcnt 0x5
	v_fmac_f64_e32 v[100:101], v[92:93], v[88:89]
	ds_load_2addr_b64 v[86:89], v2 offset0:49 offset1:50
	ds_load_2addr_b64 v[90:93], v2 offset0:51 offset1:52
	s_wait_dscnt 0x1
	v_fmac_f64_e32 v[100:101], v[94:95], v[86:87]
	s_wait_loadcnt 0x4
	s_delay_alu instid0(VALU_DEP_1) | instskip(SKIP_1) | instid1(VALU_DEP_1)
	v_fmac_f64_e32 v[100:101], v[70:71], v[88:89]
	s_wait_dscnt 0x0
	v_fmac_f64_e32 v[100:101], v[72:73], v[90:91]
	ds_load_2addr_b64 v[70:73], v2 offset0:53 offset1:54
	ds_load_2addr_b64 v[86:89], v2 offset0:55 offset1:56
	s_wait_loadcnt 0x3
	v_fmac_f64_e32 v[100:101], v[74:75], v[92:93]
	s_wait_dscnt 0x1
	s_delay_alu instid0(VALU_DEP_1) | instskip(SKIP_1) | instid1(VALU_DEP_1)
	v_fmac_f64_e32 v[100:101], v[76:77], v[70:71]
	s_wait_loadcnt 0x2
	v_fmac_f64_e32 v[100:101], v[78:79], v[72:73]
	ds_load_2addr_b64 v[70:73], v2 offset0:57 offset1:58
	ds_load_b64 v[74:75], v2 offset:472
	s_wait_dscnt 0x2
	v_fmac_f64_e32 v[100:101], v[80:81], v[86:87]
	s_wait_loadcnt 0x1
	s_delay_alu instid0(VALU_DEP_1) | instskip(SKIP_1) | instid1(VALU_DEP_1)
	v_fmac_f64_e32 v[100:101], v[82:83], v[88:89]
	s_wait_dscnt 0x1
	v_fmac_f64_e32 v[100:101], v[84:85], v[70:71]
	s_wait_loadcnt 0x0
	s_delay_alu instid0(VALU_DEP_1) | instskip(SKIP_1) | instid1(VALU_DEP_1)
	v_fmac_f64_e32 v[100:101], v[66:67], v[72:73]
	s_wait_dscnt 0x0
	v_fmac_f64_e32 v[100:101], v[68:69], v[74:75]
	s_delay_alu instid0(VALU_DEP_1)
	v_add_f64_e64 v[64:65], v[64:65], -v[100:101]
	scratch_store_b64 off, v[64:65], off offset:16
	s_wait_xcnt 0x0
	v_cmpx_lt_u32_e32 1, v0
	s_cbranch_execz .LBB93_187
; %bb.186:
	scratch_load_b64 v[64:65], off, off offset:8
	v_mov_b64_e32 v[66:67], 0
	scratch_store_b64 off, v[66:67], off offset:8
	s_wait_loadcnt 0x0
	ds_store_b64 v1, v[64:65]
.LBB93_187:
	s_wait_xcnt 0x0
	s_or_b32 exec_lo, exec_lo, s0
	s_wait_storecnt_dscnt 0x0
	s_barrier_signal -1
	s_barrier_wait -1
	s_clause 0x4
	scratch_load_b128 v[64:67], off, off offset:8
	scratch_load_b128 v[68:71], off, off offset:24
	;; [unrolled: 1-line block ×5, first 2 shown]
	ds_load_b128 v[84:87], v2 offset:256
	ds_load_b128 v[88:91], v2 offset:272
	scratch_load_b128 v[92:95], off, off offset:88
	v_dual_ashrrev_i32 v9, 31, v8 :: v_dual_ashrrev_i32 v11, 31, v10
	v_dual_ashrrev_i32 v13, 31, v12 :: v_dual_ashrrev_i32 v19, 31, v18
	;; [unrolled: 1-line block ×13, first 2 shown]
	v_ashrrev_i32_e32 v61, 31, v60
	s_mov_b32 s0, exec_lo
	v_ashrrev_i32_e32 v15, 31, v14
	s_wait_loadcnt_dscnt 0x501
	v_fma_f64 v[96:97], v[66:67], v[84:85], 0
	s_wait_loadcnt 0x4
	s_delay_alu instid0(VALU_DEP_1) | instskip(SKIP_4) | instid1(VALU_DEP_1)
	v_fmac_f64_e32 v[96:97], v[68:69], v[86:87]
	scratch_load_b128 v[66:69], off, off offset:104
	s_wait_dscnt 0x0
	v_fmac_f64_e32 v[96:97], v[70:71], v[88:89]
	s_wait_loadcnt 0x4
	v_fmac_f64_e32 v[96:97], v[72:73], v[90:91]
	ds_load_b128 v[70:73], v2 offset:288
	ds_load_b128 v[84:87], v2 offset:304
	scratch_load_b128 v[88:91], off, off offset:120
	s_wait_dscnt 0x1
	v_fmac_f64_e32 v[96:97], v[74:75], v[70:71]
	s_wait_loadcnt 0x4
	s_delay_alu instid0(VALU_DEP_1) | instskip(SKIP_4) | instid1(VALU_DEP_1)
	v_fmac_f64_e32 v[96:97], v[76:77], v[72:73]
	scratch_load_b128 v[70:73], off, off offset:136
	s_wait_dscnt 0x0
	v_fmac_f64_e32 v[96:97], v[78:79], v[84:85]
	s_wait_loadcnt 0x4
	v_fmac_f64_e32 v[96:97], v[80:81], v[86:87]
	ds_load_b128 v[74:77], v2 offset:320
	ds_load_b128 v[78:81], v2 offset:336
	s_wait_dscnt 0x1
	v_fmac_f64_e32 v[96:97], v[82:83], v[74:75]
	scratch_load_b128 v[82:85], off, off offset:152
	s_wait_loadcnt 0x4
	v_fmac_f64_e32 v[96:97], v[92:93], v[76:77]
	scratch_load_b128 v[74:77], off, off offset:168
	s_wait_dscnt 0x0
	v_fmac_f64_e32 v[96:97], v[94:95], v[78:79]
	s_wait_loadcnt 0x4
	s_delay_alu instid0(VALU_DEP_1)
	v_fmac_f64_e32 v[96:97], v[66:67], v[80:81]
	ds_load_b128 v[78:81], v2 offset:352
	ds_load_b128 v[92:95], v2 offset:368
	s_wait_dscnt 0x1
	v_fmac_f64_e32 v[96:97], v[68:69], v[78:79]
	scratch_load_b128 v[66:69], off, off offset:184
	s_wait_loadcnt 0x4
	v_fmac_f64_e32 v[96:97], v[88:89], v[80:81]
	scratch_load_b128 v[78:81], off, off offset:200
	s_wait_dscnt 0x0
	v_fmac_f64_e32 v[96:97], v[90:91], v[92:93]
	ds_load_b128 v[86:89], v2 offset:384
	ds_load_b128 v[90:93], v2 offset:400
	s_wait_loadcnt 0x4
	v_fmac_f64_e32 v[96:97], v[70:71], v[94:95]
	scratch_load_b64 v[94:95], off, off offset:232
	s_wait_dscnt 0x1
	v_fmac_f64_e32 v[96:97], v[72:73], v[86:87]
	scratch_load_b128 v[70:73], off, off offset:216
	s_wait_loadcnt 0x5
	v_fmac_f64_e32 v[96:97], v[82:83], v[88:89]
	s_wait_dscnt 0x0
	s_delay_alu instid0(VALU_DEP_1)
	v_fmac_f64_e32 v[96:97], v[84:85], v[90:91]
	ds_load_b128 v[82:85], v2 offset:416
	ds_load_b128 v[86:89], v2 offset:432
	s_wait_loadcnt 0x4
	v_fmac_f64_e32 v[96:97], v[74:75], v[92:93]
	s_wait_dscnt 0x1
	s_delay_alu instid0(VALU_DEP_1) | instskip(SKIP_1) | instid1(VALU_DEP_1)
	v_fmac_f64_e32 v[96:97], v[76:77], v[82:83]
	s_wait_loadcnt 0x3
	v_fmac_f64_e32 v[96:97], v[66:67], v[84:85]
	s_wait_dscnt 0x0
	s_delay_alu instid0(VALU_DEP_1)
	v_fmac_f64_e32 v[96:97], v[68:69], v[86:87]
	ds_load_b128 v[66:69], v2 offset:448
	ds_load_b128 v[74:77], v2 offset:464
	s_wait_loadcnt 0x2
	v_fmac_f64_e32 v[96:97], v[78:79], v[88:89]
	s_wait_dscnt 0x1
	s_delay_alu instid0(VALU_DEP_1) | instskip(SKIP_1) | instid1(VALU_DEP_1)
	v_fmac_f64_e32 v[96:97], v[80:81], v[66:67]
	s_wait_loadcnt 0x0
	v_fmac_f64_e32 v[96:97], v[70:71], v[68:69]
	s_wait_dscnt 0x0
	s_delay_alu instid0(VALU_DEP_1) | instskip(NEXT) | instid1(VALU_DEP_1)
	v_fmac_f64_e32 v[96:97], v[72:73], v[74:75]
	v_fmac_f64_e32 v[96:97], v[94:95], v[76:77]
	s_delay_alu instid0(VALU_DEP_1)
	v_add_f64_e64 v[2:3], v[64:65], -v[96:97]
	scratch_store_b64 off, v[2:3], off offset:8
	s_wait_xcnt 0x0
	v_cmpx_ne_u32_e32 0, v0
	s_cbranch_execz .LBB93_189
; %bb.188:
	scratch_load_b64 v[2:3], off, off
	v_mov_b64_e32 v[64:65], 0
	scratch_store_b64 off, v[64:65], off
	s_wait_loadcnt 0x0
	ds_store_b64 v1, v[2:3]
.LBB93_189:
	s_wait_xcnt 0x0
	s_or_b32 exec_lo, exec_lo, s0
	s_wait_storecnt_dscnt 0x0
	s_barrier_signal -1
	s_barrier_wait -1
	s_clause 0x5
	scratch_load_b128 v[68:71], off, off
	scratch_load_b128 v[0:3], off, off offset:16
	scratch_load_b128 v[72:75], off, off offset:32
	;; [unrolled: 1-line block ×5, first 2 shown]
	v_mov_b32_e32 v66, 0
	scratch_load_b128 v[92:95], off, off offset:96
	s_and_b32 vcc_lo, exec_lo, s12
	scratch_load_b128 v[96:99], off, off offset:208
	ds_load_2addr_b64 v[88:91], v66 offset0:31 offset1:32
	s_wait_loadcnt_dscnt 0x700
	v_fma_f64 v[64:65], v[70:71], v[88:89], 0
	s_wait_loadcnt 0x6
	s_delay_alu instid0(VALU_DEP_1)
	v_fmac_f64_e32 v[64:65], v[0:1], v[90:91]
	ds_load_2addr_b64 v[88:91], v66 offset0:33 offset1:34
	s_wait_dscnt 0x0
	v_fmac_f64_e32 v[64:65], v[2:3], v[88:89]
	scratch_load_b128 v[0:3], off, off offset:112
	s_wait_loadcnt 0x6
	v_fmac_f64_e32 v[64:65], v[72:73], v[90:91]
	ds_load_2addr_b64 v[70:73], v66 offset0:35 offset1:36
	scratch_load_b128 v[88:91], off, off offset:128
	s_wait_dscnt 0x0
	v_fmac_f64_e32 v[64:65], v[74:75], v[70:71]
	s_wait_loadcnt 0x6
	s_delay_alu instid0(VALU_DEP_1)
	v_fmac_f64_e32 v[64:65], v[76:77], v[72:73]
	ds_load_2addr_b64 v[70:73], v66 offset0:37 offset1:38
	scratch_load_b128 v[74:77], off, off offset:144
	s_wait_dscnt 0x0
	v_fmac_f64_e32 v[64:65], v[78:79], v[70:71]
	s_wait_loadcnt 0x6
	s_delay_alu instid0(VALU_DEP_1)
	;; [unrolled: 7-line block ×4, first 2 shown]
	v_fmac_f64_e32 v[64:65], v[92:93], v[72:73]
	ds_load_2addr_b64 v[70:73], v66 offset0:43 offset1:44
	s_wait_dscnt 0x0
	v_fmac_f64_e32 v[64:65], v[94:95], v[70:71]
	scratch_load_b128 v[92:95], off, off offset:192
	s_wait_loadcnt 0x5
	v_fmac_f64_e32 v[64:65], v[0:1], v[72:73]
	ds_load_2addr_b64 v[70:73], v66 offset0:45 offset1:46
	s_wait_dscnt 0x0
	v_fmac_f64_e32 v[64:65], v[2:3], v[70:71]
	scratch_load_b128 v[0:3], off, off offset:224
	s_wait_loadcnt 0x5
	v_fmac_f64_e32 v[64:65], v[88:89], v[72:73]
	ds_load_2addr_b64 v[70:73], v66 offset0:47 offset1:48
	s_wait_dscnt 0x0
	v_fmac_f64_e32 v[64:65], v[90:91], v[70:71]
	s_wait_loadcnt 0x4
	s_delay_alu instid0(VALU_DEP_1) | instskip(SKIP_4) | instid1(VALU_DEP_1)
	v_fmac_f64_e32 v[64:65], v[74:75], v[72:73]
	ds_load_2addr_b64 v[70:73], v66 offset0:49 offset1:50
	s_wait_dscnt 0x0
	v_fmac_f64_e32 v[64:65], v[76:77], v[70:71]
	s_wait_loadcnt 0x3
	v_fmac_f64_e32 v[64:65], v[78:79], v[72:73]
	ds_load_2addr_b64 v[70:73], v66 offset0:51 offset1:52
	s_wait_dscnt 0x0
	v_fmac_f64_e32 v[64:65], v[80:81], v[70:71]
	s_wait_loadcnt 0x2
	s_delay_alu instid0(VALU_DEP_1) | instskip(SKIP_4) | instid1(VALU_DEP_1)
	v_fmac_f64_e32 v[64:65], v[82:83], v[72:73]
	ds_load_2addr_b64 v[70:73], v66 offset0:53 offset1:54
	s_wait_dscnt 0x0
	v_fmac_f64_e32 v[64:65], v[84:85], v[70:71]
	s_wait_loadcnt 0x1
	v_fmac_f64_e32 v[64:65], v[92:93], v[72:73]
	ds_load_2addr_b64 v[70:73], v66 offset0:55 offset1:56
	s_wait_dscnt 0x0
	v_fmac_f64_e32 v[64:65], v[94:95], v[70:71]
	s_delay_alu instid0(VALU_DEP_1)
	v_fmac_f64_e32 v[64:65], v[96:97], v[72:73]
	ds_load_2addr_b64 v[70:73], v66 offset0:57 offset1:58
	s_wait_dscnt 0x0
	v_fmac_f64_e32 v[64:65], v[98:99], v[70:71]
	ds_load_b64 v[70:71], v66 offset:472
	s_wait_loadcnt 0x0
	v_fmac_f64_e32 v[64:65], v[0:1], v[72:73]
	s_wait_dscnt 0x0
	s_delay_alu instid0(VALU_DEP_1) | instskip(NEXT) | instid1(VALU_DEP_1)
	v_fmac_f64_e32 v[64:65], v[2:3], v[70:71]
	v_add_f64_e64 v[64:65], v[68:69], -v[64:65]
	scratch_store_b64 off, v[64:65], off
	s_cbranch_vccz .LBB93_248
; %bb.190:
	global_load_b32 v2, v66, s[8:9] offset:112
	s_wait_loadcnt 0x0
	v_cmp_ne_u32_e32 vcc_lo, 29, v2
	s_cbranch_vccz .LBB93_192
; %bb.191:
	v_lshlrev_b32_e32 v2, 3, v2
	s_wait_xcnt 0x1
	s_delay_alu instid0(VALU_DEP_1)
	v_mov_b32_e32 v64, v2
	scratch_load_b64 v[2:3], v64, off offset:-8
	s_wait_loadcnt 0x0
	scratch_store_b64 off, v[2:3], off offset:224
	scratch_store_b64 v64, v[0:1], off offset:-8
.LBB93_192:
	s_wait_xcnt 0x0
	v_mov_b32_e32 v0, 0
	global_load_b32 v1, v0, s[8:9] offset:108
	s_wait_loadcnt 0x0
	v_cmp_eq_u32_e32 vcc_lo, 28, v1
	s_cbranch_vccnz .LBB93_194
; %bb.193:
	v_lshlrev_b32_e32 v1, 3, v1
	scratch_load_b64 v[2:3], v1, off offset:-8
	scratch_load_b64 v[64:65], off, off offset:216
	s_wait_loadcnt 0x1
	scratch_store_b64 off, v[2:3], off offset:216
	s_wait_loadcnt 0x0
	scratch_store_b64 v1, v[64:65], off offset:-8
.LBB93_194:
	global_load_b32 v0, v0, s[8:9] offset:104
	s_wait_loadcnt 0x0
	v_cmp_eq_u32_e32 vcc_lo, 27, v0
	s_cbranch_vccnz .LBB93_196
; %bb.195:
	s_wait_xcnt 0x0
	v_lshlrev_b32_e32 v0, 3, v0
	s_delay_alu instid0(VALU_DEP_1)
	v_mov_b32_e32 v64, v0
	scratch_load_b64 v[0:1], v64, off offset:-8
	scratch_load_b64 v[2:3], off, off offset:208
	s_wait_loadcnt 0x1
	scratch_store_b64 off, v[0:1], off offset:208
	s_wait_loadcnt 0x0
	scratch_store_b64 v64, v[2:3], off offset:-8
.LBB93_196:
	s_wait_xcnt 0x0
	v_mov_b32_e32 v0, 0
	global_load_b32 v1, v0, s[8:9] offset:100
	s_wait_loadcnt 0x0
	v_cmp_eq_u32_e32 vcc_lo, 26, v1
	s_cbranch_vccnz .LBB93_198
; %bb.197:
	v_lshlrev_b32_e32 v1, 3, v1
	scratch_load_b64 v[2:3], v1, off offset:-8
	scratch_load_b64 v[64:65], off, off offset:200
	s_wait_loadcnt 0x1
	scratch_store_b64 off, v[2:3], off offset:200
	s_wait_loadcnt 0x0
	scratch_store_b64 v1, v[64:65], off offset:-8
.LBB93_198:
	global_load_b32 v0, v0, s[8:9] offset:96
	s_wait_loadcnt 0x0
	v_cmp_eq_u32_e32 vcc_lo, 25, v0
	s_cbranch_vccnz .LBB93_200
; %bb.199:
	s_wait_xcnt 0x0
	v_lshlrev_b32_e32 v0, 3, v0
	s_delay_alu instid0(VALU_DEP_1)
	v_mov_b32_e32 v64, v0
	scratch_load_b64 v[0:1], v64, off offset:-8
	scratch_load_b64 v[2:3], off, off offset:192
	s_wait_loadcnt 0x1
	scratch_store_b64 off, v[0:1], off offset:192
	s_wait_loadcnt 0x0
	scratch_store_b64 v64, v[2:3], off offset:-8
.LBB93_200:
	;; [unrolled: 31-line block ×13, first 2 shown]
	s_wait_xcnt 0x0
	v_mov_b32_e32 v0, 0
	global_load_b32 v1, v0, s[8:9] offset:4
	s_wait_loadcnt 0x0
	v_cmp_eq_u32_e32 vcc_lo, 2, v1
	s_cbranch_vccnz .LBB93_246
; %bb.245:
	v_lshlrev_b32_e32 v1, 3, v1
	scratch_load_b64 v[2:3], v1, off offset:-8
	scratch_load_b64 v[64:65], off, off offset:8
	s_wait_loadcnt 0x1
	scratch_store_b64 off, v[2:3], off offset:8
	s_wait_loadcnt 0x0
	scratch_store_b64 v1, v[64:65], off offset:-8
.LBB93_246:
	global_load_b32 v0, v0, s[8:9]
	scratch_load_b64 v[64:65], off, off
	s_wait_loadcnt 0x1
	v_cmp_eq_u32_e32 vcc_lo, 1, v0
	s_cbranch_vccnz .LBB93_248
; %bb.247:
	s_wait_xcnt 0x1
	v_lshlrev_b32_e32 v0, 3, v0
	s_delay_alu instid0(VALU_DEP_1)
	v_mov_b32_e32 v2, v0
	scratch_load_b64 v[0:1], v2, off offset:-8
	s_wait_loadcnt 0x0
	scratch_store_b64 off, v[0:1], off
	scratch_store_b64 v2, v[64:65], off offset:-8
	scratch_load_b64 v[64:65], off, off
.LBB93_248:
	s_wait_loadcnt 0x0
	flat_store_b64 v[4:5], v[64:65]
	scratch_load_b64 v[4:5], off, off offset:8
	v_lshl_add_u64 v[90:91], v[8:9], 3, s[2:3]
	v_lshl_add_u64 v[88:89], v[10:11], 3, s[2:3]
	;; [unrolled: 1-line block ×28, first 2 shown]
	s_wait_loadcnt 0x0
	flat_store_b64 v[6:7], v[4:5]
	scratch_load_b64 v[4:5], off, off offset:16
	s_wait_loadcnt 0x0
	flat_store_b64 v[90:91], v[4:5]
	scratch_load_b64 v[4:5], off, off offset:24
	;; [unrolled: 3-line block ×28, first 2 shown]
	s_wait_loadcnt 0x0
	flat_store_b64 v[0:1], v[2:3]
	s_sendmsg sendmsg(MSG_DEALLOC_VGPRS)
	s_endpgm
	.section	.rodata,"a",@progbits
	.p2align	6, 0x0
	.amdhsa_kernel _ZN9rocsolver6v33100L18getri_kernel_smallILi30EdPKPdEEvT1_iilPiilS6_bb
		.amdhsa_group_segment_fixed_size 488
		.amdhsa_private_segment_fixed_size 256
		.amdhsa_kernarg_size 60
		.amdhsa_user_sgpr_count 2
		.amdhsa_user_sgpr_dispatch_ptr 0
		.amdhsa_user_sgpr_queue_ptr 0
		.amdhsa_user_sgpr_kernarg_segment_ptr 1
		.amdhsa_user_sgpr_dispatch_id 0
		.amdhsa_user_sgpr_kernarg_preload_length 0
		.amdhsa_user_sgpr_kernarg_preload_offset 0
		.amdhsa_user_sgpr_private_segment_size 0
		.amdhsa_wavefront_size32 1
		.amdhsa_uses_dynamic_stack 0
		.amdhsa_enable_private_segment 1
		.amdhsa_system_sgpr_workgroup_id_x 1
		.amdhsa_system_sgpr_workgroup_id_y 0
		.amdhsa_system_sgpr_workgroup_id_z 0
		.amdhsa_system_sgpr_workgroup_info 0
		.amdhsa_system_vgpr_workitem_id 0
		.amdhsa_next_free_vgpr 102
		.amdhsa_next_free_sgpr 19
		.amdhsa_named_barrier_count 0
		.amdhsa_reserve_vcc 1
		.amdhsa_float_round_mode_32 0
		.amdhsa_float_round_mode_16_64 0
		.amdhsa_float_denorm_mode_32 3
		.amdhsa_float_denorm_mode_16_64 3
		.amdhsa_fp16_overflow 0
		.amdhsa_memory_ordered 1
		.amdhsa_forward_progress 1
		.amdhsa_inst_pref_size 183
		.amdhsa_round_robin_scheduling 0
		.amdhsa_exception_fp_ieee_invalid_op 0
		.amdhsa_exception_fp_denorm_src 0
		.amdhsa_exception_fp_ieee_div_zero 0
		.amdhsa_exception_fp_ieee_overflow 0
		.amdhsa_exception_fp_ieee_underflow 0
		.amdhsa_exception_fp_ieee_inexact 0
		.amdhsa_exception_int_div_zero 0
	.end_amdhsa_kernel
	.section	.text._ZN9rocsolver6v33100L18getri_kernel_smallILi30EdPKPdEEvT1_iilPiilS6_bb,"axG",@progbits,_ZN9rocsolver6v33100L18getri_kernel_smallILi30EdPKPdEEvT1_iilPiilS6_bb,comdat
.Lfunc_end93:
	.size	_ZN9rocsolver6v33100L18getri_kernel_smallILi30EdPKPdEEvT1_iilPiilS6_bb, .Lfunc_end93-_ZN9rocsolver6v33100L18getri_kernel_smallILi30EdPKPdEEvT1_iilPiilS6_bb
                                        ; -- End function
	.set _ZN9rocsolver6v33100L18getri_kernel_smallILi30EdPKPdEEvT1_iilPiilS6_bb.num_vgpr, 102
	.set _ZN9rocsolver6v33100L18getri_kernel_smallILi30EdPKPdEEvT1_iilPiilS6_bb.num_agpr, 0
	.set _ZN9rocsolver6v33100L18getri_kernel_smallILi30EdPKPdEEvT1_iilPiilS6_bb.numbered_sgpr, 19
	.set _ZN9rocsolver6v33100L18getri_kernel_smallILi30EdPKPdEEvT1_iilPiilS6_bb.num_named_barrier, 0
	.set _ZN9rocsolver6v33100L18getri_kernel_smallILi30EdPKPdEEvT1_iilPiilS6_bb.private_seg_size, 256
	.set _ZN9rocsolver6v33100L18getri_kernel_smallILi30EdPKPdEEvT1_iilPiilS6_bb.uses_vcc, 1
	.set _ZN9rocsolver6v33100L18getri_kernel_smallILi30EdPKPdEEvT1_iilPiilS6_bb.uses_flat_scratch, 1
	.set _ZN9rocsolver6v33100L18getri_kernel_smallILi30EdPKPdEEvT1_iilPiilS6_bb.has_dyn_sized_stack, 0
	.set _ZN9rocsolver6v33100L18getri_kernel_smallILi30EdPKPdEEvT1_iilPiilS6_bb.has_recursion, 0
	.set _ZN9rocsolver6v33100L18getri_kernel_smallILi30EdPKPdEEvT1_iilPiilS6_bb.has_indirect_call, 0
	.section	.AMDGPU.csdata,"",@progbits
; Kernel info:
; codeLenInByte = 23392
; TotalNumSgprs: 21
; NumVgprs: 102
; ScratchSize: 256
; MemoryBound: 0
; FloatMode: 240
; IeeeMode: 1
; LDSByteSize: 488 bytes/workgroup (compile time only)
; SGPRBlocks: 0
; VGPRBlocks: 6
; NumSGPRsForWavesPerEU: 21
; NumVGPRsForWavesPerEU: 102
; NamedBarCnt: 0
; Occupancy: 9
; WaveLimiterHint : 1
; COMPUTE_PGM_RSRC2:SCRATCH_EN: 1
; COMPUTE_PGM_RSRC2:USER_SGPR: 2
; COMPUTE_PGM_RSRC2:TRAP_HANDLER: 0
; COMPUTE_PGM_RSRC2:TGID_X_EN: 1
; COMPUTE_PGM_RSRC2:TGID_Y_EN: 0
; COMPUTE_PGM_RSRC2:TGID_Z_EN: 0
; COMPUTE_PGM_RSRC2:TIDIG_COMP_CNT: 0
	.section	.text._ZN9rocsolver6v33100L18getri_kernel_smallILi31EdPKPdEEvT1_iilPiilS6_bb,"axG",@progbits,_ZN9rocsolver6v33100L18getri_kernel_smallILi31EdPKPdEEvT1_iilPiilS6_bb,comdat
	.globl	_ZN9rocsolver6v33100L18getri_kernel_smallILi31EdPKPdEEvT1_iilPiilS6_bb ; -- Begin function _ZN9rocsolver6v33100L18getri_kernel_smallILi31EdPKPdEEvT1_iilPiilS6_bb
	.p2align	8
	.type	_ZN9rocsolver6v33100L18getri_kernel_smallILi31EdPKPdEEvT1_iilPiilS6_bb,@function
_ZN9rocsolver6v33100L18getri_kernel_smallILi31EdPKPdEEvT1_iilPiilS6_bb: ; @_ZN9rocsolver6v33100L18getri_kernel_smallILi31EdPKPdEEvT1_iilPiilS6_bb
; %bb.0:
	s_mov_b32 s2, exec_lo
	v_cmpx_gt_u32_e32 31, v0
	s_cbranch_execz .LBB94_134
; %bb.1:
	s_clause 0x1
	s_load_b32 s13, s[0:1], 0x38
	s_load_b64 s[2:3], s[0:1], 0x0
	s_getreg_b32 s6, hwreg(HW_REG_IB_STS2, 6, 4)
	s_wait_kmcnt 0x0
	s_bitcmp1_b32 s13, 8
	s_cselect_b32 s12, -1, 0
	s_bfe_u32 s4, ttmp6, 0x4000c
	s_and_b32 s5, ttmp6, 15
	s_add_co_i32 s4, s4, 1
	s_delay_alu instid0(SALU_CYCLE_1) | instskip(NEXT) | instid1(SALU_CYCLE_1)
	s_mul_i32 s4, ttmp9, s4
	s_add_co_i32 s5, s5, s4
	s_cmp_eq_u32 s6, 0
	s_cselect_b32 s10, ttmp9, s5
	s_load_b128 s[4:7], s[0:1], 0x28
	s_ashr_i32 s11, s10, 31
	s_delay_alu instid0(SALU_CYCLE_1) | instskip(NEXT) | instid1(SALU_CYCLE_1)
	s_lshl_b64 s[8:9], s[10:11], 3
	s_add_nc_u64 s[2:3], s[2:3], s[8:9]
	s_bfe_u32 s8, s13, 0x10008
	s_load_b64 s[2:3], s[2:3], 0x0
	s_cmp_eq_u32 s8, 0
                                        ; implicit-def: $sgpr8_sgpr9
	s_cbranch_scc1 .LBB94_3
; %bb.2:
	s_load_b96 s[16:18], s[0:1], 0x18
	s_wait_kmcnt 0x0
	s_mul_u64 s[4:5], s[4:5], s[10:11]
	s_delay_alu instid0(SALU_CYCLE_1) | instskip(SKIP_4) | instid1(SALU_CYCLE_1)
	s_lshl_b64 s[4:5], s[4:5], 2
	s_ashr_i32 s9, s18, 31
	s_mov_b32 s8, s18
	s_add_nc_u64 s[4:5], s[16:17], s[4:5]
	s_lshl_b64 s[8:9], s[8:9], 2
	s_add_nc_u64 s[8:9], s[4:5], s[8:9]
.LBB94_3:
	s_wait_kmcnt 0x0
	s_clause 0x1
	s_load_b64 s[4:5], s[0:1], 0x8
	s_load_b32 s13, s[0:1], 0x38
	v_dual_mov_b32 v3, 0 :: v_dual_lshlrev_b32 v2, 3, v0
	s_wait_kmcnt 0x0
	s_ashr_i32 s1, s4, 31
	s_mov_b32 s0, s4
	s_delay_alu instid0(SALU_CYCLE_1) | instskip(NEXT) | instid1(SALU_CYCLE_1)
	s_lshl_b64 s[0:1], s[0:1], 3
	s_add_nc_u64 s[2:3], s[2:3], s[0:1]
	s_ashr_i32 s1, s5, 31
	flat_load_b64 v[8:9], v0, s[2:3] scale_offset
	v_add_nc_u64_e32 v[4:5], s[2:3], v[2:3]
	s_mov_b32 s0, s5
	s_bitcmp0_b32 s13, 0
	s_delay_alu instid0(VALU_DEP_1)
	v_lshl_add_u64 v[6:7], s[0:1], 3, v[4:5]
	s_mov_b32 s1, -1
	s_wait_loadcnt_dscnt 0x0
	scratch_store_b64 off, v[8:9], off
	flat_load_b64 v[10:11], v[6:7]
	s_wait_xcnt 0x1
	v_add3_u32 v8, s5, s5, v0
	s_wait_loadcnt_dscnt 0x0
	scratch_store_b64 off, v[10:11], off offset:8
	flat_load_b64 v[12:13], v8, s[2:3] scale_offset
	s_wait_xcnt 0x1
	v_add_nc_u32_e32 v10, s5, v8
	s_wait_loadcnt_dscnt 0x0
	scratch_store_b64 off, v[12:13], off offset:16
	flat_load_b64 v[14:15], v10, s[2:3] scale_offset
	s_wait_xcnt 0x1
	v_add_nc_u32_e32 v12, s5, v10
	;; [unrolled: 5-line block ×28, first 2 shown]
	s_wait_loadcnt_dscnt 0x0
	scratch_store_b64 off, v[66:67], off offset:232
	flat_load_b64 v[66:67], v64, s[2:3] scale_offset
	s_wait_loadcnt_dscnt 0x0
	scratch_store_b64 off, v[66:67], off offset:240
	s_cbranch_scc1 .LBB94_132
; %bb.4:
	v_cmp_eq_u32_e64 s0, 0, v0
	s_wait_xcnt 0x0
	s_and_saveexec_b32 s1, s0
; %bb.5:
	v_mov_b32_e32 v1, 0
	ds_store_b32 v1, v1 offset:248
; %bb.6:
	s_or_b32 exec_lo, exec_lo, s1
	s_wait_storecnt_dscnt 0x0
	s_barrier_signal -1
	s_barrier_wait -1
	scratch_load_b64 v[66:67], v0, off scale_offset
	s_mov_b32 s4, exec_lo
	s_wait_loadcnt 0x0
	v_cmpx_eq_f64_e32 0, v[66:67]
	s_cbranch_execz .LBB94_10
; %bb.7:
	v_mov_b32_e32 v1, 0
	s_mov_b32 s5, 0
	ds_load_b32 v3, v1 offset:248
	s_wait_dscnt 0x0
	v_readfirstlane_b32 s1, v3
	v_add_nc_u32_e32 v3, 1, v0
	s_cmp_eq_u32 s1, 0
	s_delay_alu instid0(VALU_DEP_1) | instskip(SKIP_1) | instid1(SALU_CYCLE_1)
	v_cmp_gt_i32_e32 vcc_lo, s1, v3
	s_cselect_b32 s13, -1, 0
	s_or_b32 s13, s13, vcc_lo
	s_delay_alu instid0(SALU_CYCLE_1)
	s_and_b32 exec_lo, exec_lo, s13
	s_cbranch_execz .LBB94_10
; %bb.8:
	v_mov_b32_e32 v9, s1
.LBB94_9:                               ; =>This Inner Loop Header: Depth=1
	ds_cmpstore_rtn_b32 v9, v1, v3, v9 offset:248
	s_wait_dscnt 0x0
	v_cmp_ne_u32_e32 vcc_lo, 0, v9
	v_cmp_le_i32_e64 s1, v9, v3
	s_and_b32 s1, vcc_lo, s1
	s_delay_alu instid0(SALU_CYCLE_1) | instskip(NEXT) | instid1(SALU_CYCLE_1)
	s_and_b32 s1, exec_lo, s1
	s_or_b32 s5, s1, s5
	s_delay_alu instid0(SALU_CYCLE_1)
	s_and_not1_b32 exec_lo, exec_lo, s5
	s_cbranch_execnz .LBB94_9
.LBB94_10:
	s_or_b32 exec_lo, exec_lo, s4
	v_mov_b32_e32 v1, 0
	s_barrier_signal -1
	s_barrier_wait -1
	ds_load_b32 v3, v1 offset:248
	s_and_saveexec_b32 s1, s0
	s_cbranch_execz .LBB94_12
; %bb.11:
	s_lshl_b64 s[4:5], s[10:11], 2
	s_delay_alu instid0(SALU_CYCLE_1)
	s_add_nc_u64 s[4:5], s[6:7], s[4:5]
	s_wait_dscnt 0x0
	global_store_b32 v1, v3, s[4:5]
.LBB94_12:
	s_wait_xcnt 0x0
	s_or_b32 exec_lo, exec_lo, s1
	s_wait_dscnt 0x0
	v_cmp_ne_u32_e32 vcc_lo, 0, v3
	s_mov_b32 s1, 0
	s_cbranch_vccnz .LBB94_132
; %bb.13:
	v_lshl_add_u32 v3, v0, 3, 0
	v_add_nc_u32_e32 v1, 0x100, v2
	scratch_load_b64 v[66:67], v3, off
	s_wait_loadcnt 0x0
	v_div_scale_f64 v[68:69], null, v[66:67], v[66:67], 1.0
	v_div_scale_f64 v[74:75], vcc_lo, 1.0, v[66:67], 1.0
	s_delay_alu instid0(VALU_DEP_2) | instskip(SKIP_1) | instid1(TRANS32_DEP_1)
	v_rcp_f64_e32 v[70:71], v[68:69]
	v_nop
	v_fma_f64 v[72:73], -v[68:69], v[70:71], 1.0
	s_delay_alu instid0(VALU_DEP_1) | instskip(NEXT) | instid1(VALU_DEP_1)
	v_fmac_f64_e32 v[70:71], v[70:71], v[72:73]
	v_fma_f64 v[72:73], -v[68:69], v[70:71], 1.0
	s_delay_alu instid0(VALU_DEP_1) | instskip(NEXT) | instid1(VALU_DEP_1)
	v_fmac_f64_e32 v[70:71], v[70:71], v[72:73]
	v_mul_f64_e32 v[72:73], v[74:75], v[70:71]
	s_delay_alu instid0(VALU_DEP_1) | instskip(NEXT) | instid1(VALU_DEP_1)
	v_fma_f64 v[68:69], -v[68:69], v[72:73], v[74:75]
	v_div_fmas_f64 v[68:69], v[68:69], v[70:71], v[72:73]
	s_delay_alu instid0(VALU_DEP_1)
	v_div_fixup_f64 v[66:67], v[68:69], v[66:67], 1.0
	scratch_store_b64 v3, v[66:67], off
	scratch_load_b64 v[68:69], off, off offset:8
	s_wait_xcnt 0x1
	v_xor_b32_e32 v67, 0x80000000, v67
	s_wait_loadcnt 0x0
	ds_store_2addr_b64 v2, v[66:67], v[68:69] offset1:32
	s_wait_storecnt_dscnt 0x0
	s_barrier_signal -1
	s_barrier_wait -1
	s_wait_xcnt 0x0
	s_and_saveexec_b32 s1, s0
	s_cbranch_execz .LBB94_15
; %bb.14:
	scratch_load_b64 v[66:67], v3, off
	ds_load_b64 v[68:69], v1
	s_wait_loadcnt_dscnt 0x0
	v_fma_f64 v[66:67], v[66:67], v[68:69], 0
	v_mov_b32_e32 v9, 0
	ds_load_b64 v[70:71], v9 offset:8
	s_wait_dscnt 0x0
	v_mul_f64_e32 v[66:67], v[66:67], v[70:71]
	scratch_store_b64 off, v[66:67], off offset:8
.LBB94_15:
	s_wait_xcnt 0x0
	s_or_b32 exec_lo, exec_lo, s1
	s_wait_storecnt 0x0
	s_barrier_signal -1
	s_barrier_wait -1
	scratch_load_b64 v[66:67], off, off offset:16
	s_mov_b32 s1, exec_lo
	s_wait_loadcnt 0x0
	ds_store_b64 v1, v[66:67]
	s_wait_dscnt 0x0
	s_barrier_signal -1
	s_barrier_wait -1
	v_cmpx_gt_u32_e32 2, v0
	s_cbranch_execz .LBB94_19
; %bb.16:
	scratch_load_b64 v[66:67], v3, off
	ds_load_b64 v[68:69], v1
	s_wait_loadcnt_dscnt 0x0
	v_fma_f64 v[66:67], v[66:67], v[68:69], 0
	s_and_saveexec_b32 s4, s0
	s_cbranch_execz .LBB94_18
; %bb.17:
	scratch_load_b64 v[68:69], off, off offset:8
	v_mov_b32_e32 v3, 0
	ds_load_b64 v[70:71], v3 offset:264
	s_wait_loadcnt_dscnt 0x0
	v_fmac_f64_e32 v[66:67], v[68:69], v[70:71]
.LBB94_18:
	s_or_b32 exec_lo, exec_lo, s4
	v_mov_b32_e32 v3, 0
	ds_load_b64 v[68:69], v3 offset:16
	s_wait_dscnt 0x0
	v_mul_f64_e32 v[66:67], v[66:67], v[68:69]
	scratch_store_b64 off, v[66:67], off offset:16
.LBB94_19:
	s_wait_xcnt 0x0
	s_or_b32 exec_lo, exec_lo, s1
	s_wait_storecnt 0x0
	s_barrier_signal -1
	s_barrier_wait -1
	scratch_load_b64 v[66:67], off, off offset:24
	v_add_nc_u32_e32 v3, -1, v0
	s_mov_b32 s0, exec_lo
	s_wait_loadcnt 0x0
	ds_store_b64 v1, v[66:67]
	s_wait_dscnt 0x0
	s_barrier_signal -1
	s_barrier_wait -1
	v_cmpx_gt_u32_e32 3, v0
	s_cbranch_execz .LBB94_23
; %bb.20:
	v_mov_b64_e32 v[66:67], 0
	v_dual_add_nc_u32 v9, -1, v0 :: v_dual_mov_b32 v13, v2
	v_add_nc_u32_e32 v11, 0x100, v2
	s_mov_b32 s1, 0
.LBB94_21:                              ; =>This Inner Loop Header: Depth=1
	scratch_load_b64 v[68:69], v13, off
	ds_load_b64 v[70:71], v11
	v_dual_add_nc_u32 v9, 1, v9 :: v_dual_add_nc_u32 v11, 8, v11
	s_wait_xcnt 0x0
	v_add_nc_u32_e32 v13, 8, v13
	s_delay_alu instid0(VALU_DEP_2)
	v_cmp_lt_u32_e32 vcc_lo, 1, v9
	s_or_b32 s1, vcc_lo, s1
	s_wait_loadcnt_dscnt 0x0
	v_fmac_f64_e32 v[66:67], v[68:69], v[70:71]
	s_and_not1_b32 exec_lo, exec_lo, s1
	s_cbranch_execnz .LBB94_21
; %bb.22:
	s_or_b32 exec_lo, exec_lo, s1
	v_mov_b32_e32 v9, 0
	ds_load_b64 v[68:69], v9 offset:24
	s_wait_dscnt 0x0
	v_mul_f64_e32 v[66:67], v[66:67], v[68:69]
	scratch_store_b64 off, v[66:67], off offset:24
.LBB94_23:
	s_wait_xcnt 0x0
	s_or_b32 exec_lo, exec_lo, s0
	s_wait_storecnt 0x0
	s_barrier_signal -1
	s_barrier_wait -1
	scratch_load_b64 v[66:67], off, off offset:32
	s_mov_b32 s0, exec_lo
	s_wait_loadcnt 0x0
	ds_store_b64 v1, v[66:67]
	s_wait_dscnt 0x0
	s_barrier_signal -1
	s_barrier_wait -1
	v_cmpx_gt_u32_e32 4, v0
	s_cbranch_execz .LBB94_27
; %bb.24:
	v_mov_b64_e32 v[66:67], 0
	v_dual_add_nc_u32 v9, -1, v0 :: v_dual_mov_b32 v13, v2
	v_add_nc_u32_e32 v11, 0x100, v2
	s_mov_b32 s1, 0
.LBB94_25:                              ; =>This Inner Loop Header: Depth=1
	scratch_load_b64 v[68:69], v13, off
	ds_load_b64 v[70:71], v11
	v_dual_add_nc_u32 v9, 1, v9 :: v_dual_add_nc_u32 v11, 8, v11
	s_wait_xcnt 0x0
	v_add_nc_u32_e32 v13, 8, v13
	s_delay_alu instid0(VALU_DEP_2)
	v_cmp_lt_u32_e32 vcc_lo, 2, v9
	s_or_b32 s1, vcc_lo, s1
	s_wait_loadcnt_dscnt 0x0
	v_fmac_f64_e32 v[66:67], v[68:69], v[70:71]
	s_and_not1_b32 exec_lo, exec_lo, s1
	s_cbranch_execnz .LBB94_25
; %bb.26:
	s_or_b32 exec_lo, exec_lo, s1
	v_mov_b32_e32 v9, 0
	ds_load_b64 v[68:69], v9 offset:32
	s_wait_dscnt 0x0
	v_mul_f64_e32 v[66:67], v[66:67], v[68:69]
	scratch_store_b64 off, v[66:67], off offset:32
.LBB94_27:
	s_wait_xcnt 0x0
	s_or_b32 exec_lo, exec_lo, s0
	s_wait_storecnt 0x0
	s_barrier_signal -1
	s_barrier_wait -1
	scratch_load_b64 v[66:67], off, off offset:40
	;; [unrolled: 40-line block ×20, first 2 shown]
	s_mov_b32 s0, exec_lo
	s_wait_loadcnt 0x0
	ds_store_b64 v1, v[66:67]
	s_wait_dscnt 0x0
	s_barrier_signal -1
	s_barrier_wait -1
	v_cmpx_gt_u32_e32 23, v0
	s_cbranch_execz .LBB94_103
; %bb.100:
	v_mov_b64_e32 v[66:67], 0
	v_dual_add_nc_u32 v9, -1, v0 :: v_dual_mov_b32 v13, v2
	v_add_nc_u32_e32 v11, 0x100, v2
	s_mov_b32 s1, 0
.LBB94_101:                             ; =>This Inner Loop Header: Depth=1
	scratch_load_b64 v[68:69], v13, off
	ds_load_b64 v[70:71], v11
	v_dual_add_nc_u32 v9, 1, v9 :: v_dual_add_nc_u32 v11, 8, v11
	s_wait_xcnt 0x0
	v_add_nc_u32_e32 v13, 8, v13
	s_delay_alu instid0(VALU_DEP_2)
	v_cmp_lt_u32_e32 vcc_lo, 21, v9
	s_or_b32 s1, vcc_lo, s1
	s_wait_loadcnt_dscnt 0x0
	v_fmac_f64_e32 v[66:67], v[68:69], v[70:71]
	s_and_not1_b32 exec_lo, exec_lo, s1
	s_cbranch_execnz .LBB94_101
; %bb.102:
	s_or_b32 exec_lo, exec_lo, s1
	v_mov_b32_e32 v9, 0
	ds_load_b64 v[68:69], v9 offset:184
	s_wait_dscnt 0x0
	v_mul_f64_e32 v[66:67], v[66:67], v[68:69]
	scratch_store_b64 off, v[66:67], off offset:184
.LBB94_103:
	s_wait_xcnt 0x0
	s_or_b32 exec_lo, exec_lo, s0
	s_wait_storecnt 0x0
	s_barrier_signal -1
	s_barrier_wait -1
	scratch_load_b64 v[66:67], off, off offset:192
	s_mov_b32 s0, exec_lo
	s_wait_loadcnt 0x0
	ds_store_b64 v1, v[66:67]
	s_wait_dscnt 0x0
	s_barrier_signal -1
	s_barrier_wait -1
	v_cmpx_gt_u32_e32 24, v0
	s_cbranch_execz .LBB94_107
; %bb.104:
	v_mov_b64_e32 v[66:67], 0
	v_dual_add_nc_u32 v9, -1, v0 :: v_dual_mov_b32 v13, v2
	v_add_nc_u32_e32 v11, 0x100, v2
	s_mov_b32 s1, 0
.LBB94_105:                             ; =>This Inner Loop Header: Depth=1
	scratch_load_b64 v[68:69], v13, off
	ds_load_b64 v[70:71], v11
	v_dual_add_nc_u32 v9, 1, v9 :: v_dual_add_nc_u32 v11, 8, v11
	s_wait_xcnt 0x0
	v_add_nc_u32_e32 v13, 8, v13
	s_delay_alu instid0(VALU_DEP_2)
	v_cmp_lt_u32_e32 vcc_lo, 22, v9
	s_or_b32 s1, vcc_lo, s1
	s_wait_loadcnt_dscnt 0x0
	v_fmac_f64_e32 v[66:67], v[68:69], v[70:71]
	s_and_not1_b32 exec_lo, exec_lo, s1
	s_cbranch_execnz .LBB94_105
; %bb.106:
	s_or_b32 exec_lo, exec_lo, s1
	v_mov_b32_e32 v9, 0
	ds_load_b64 v[68:69], v9 offset:192
	s_wait_dscnt 0x0
	v_mul_f64_e32 v[66:67], v[66:67], v[68:69]
	scratch_store_b64 off, v[66:67], off offset:192
.LBB94_107:
	s_wait_xcnt 0x0
	s_or_b32 exec_lo, exec_lo, s0
	s_wait_storecnt 0x0
	s_barrier_signal -1
	s_barrier_wait -1
	scratch_load_b64 v[66:67], off, off offset:200
	;; [unrolled: 40-line block ×7, first 2 shown]
	s_mov_b32 s0, exec_lo
	s_wait_loadcnt 0x0
	ds_store_b64 v1, v[66:67]
	s_wait_dscnt 0x0
	s_barrier_signal -1
	s_barrier_wait -1
	v_cmpx_ne_u32_e32 30, v0
	s_cbranch_execz .LBB94_131
; %bb.128:
	v_mov_b64_e32 v[66:67], 0
	s_mov_b32 s1, 0
.LBB94_129:                             ; =>This Inner Loop Header: Depth=1
	scratch_load_b64 v[68:69], v2, off
	ds_load_b64 v[70:71], v1
	v_dual_add_nc_u32 v3, 1, v3 :: v_dual_add_nc_u32 v1, 8, v1
	s_wait_xcnt 0x0
	v_add_nc_u32_e32 v2, 8, v2
	s_delay_alu instid0(VALU_DEP_2)
	v_cmp_lt_u32_e32 vcc_lo, 28, v3
	s_or_b32 s1, vcc_lo, s1
	s_wait_loadcnt_dscnt 0x0
	v_fmac_f64_e32 v[66:67], v[68:69], v[70:71]
	s_and_not1_b32 exec_lo, exec_lo, s1
	s_cbranch_execnz .LBB94_129
; %bb.130:
	s_or_b32 exec_lo, exec_lo, s1
	v_mov_b32_e32 v1, 0
	ds_load_b64 v[2:3], v1 offset:240
	s_wait_dscnt 0x0
	v_mul_f64_e32 v[2:3], v[66:67], v[2:3]
	scratch_store_b64 off, v[2:3], off offset:240
.LBB94_131:
	s_wait_xcnt 0x0
	s_or_b32 exec_lo, exec_lo, s0
	s_mov_b32 s1, -1
	s_wait_storecnt 0x0
	s_barrier_signal -1
	s_barrier_wait -1
.LBB94_132:
	s_and_b32 vcc_lo, exec_lo, s1
	s_cbranch_vccz .LBB94_134
; %bb.133:
	v_mov_b32_e32 v1, 0
	s_lshl_b64 s[0:1], s[10:11], 2
	s_delay_alu instid0(SALU_CYCLE_1)
	s_add_nc_u64 s[0:1], s[6:7], s[0:1]
	global_load_b32 v1, v1, s[0:1]
	s_wait_loadcnt 0x0
	v_cmp_ne_u32_e32 vcc_lo, 0, v1
	s_cbranch_vccz .LBB94_135
.LBB94_134:
	s_sendmsg sendmsg(MSG_DEALLOC_VGPRS)
	s_endpgm
.LBB94_135:
	s_wait_xcnt 0x0
	v_lshl_add_u32 v1, v0, 3, 0x100
	s_mov_b32 s0, exec_lo
	v_cmpx_eq_u32_e32 30, v0
	s_cbranch_execz .LBB94_137
; %bb.136:
	scratch_load_b64 v[2:3], off, off offset:232
	v_mov_b64_e32 v[66:67], 0
	scratch_store_b64 off, v[66:67], off offset:232
	s_wait_loadcnt 0x0
	ds_store_b64 v1, v[2:3]
.LBB94_137:
	s_wait_xcnt 0x0
	s_or_b32 exec_lo, exec_lo, s0
	s_wait_storecnt_dscnt 0x0
	s_barrier_signal -1
	s_barrier_wait -1
	scratch_load_b128 v[66:69], off, off offset:232
	v_mov_b32_e32 v2, 0
	s_mov_b32 s0, exec_lo
	ds_load_b64 v[70:71], v2 offset:496
	s_wait_loadcnt_dscnt 0x0
	v_fma_f64 v[68:69], v[68:69], v[70:71], 0
	s_delay_alu instid0(VALU_DEP_1)
	v_add_f64_e64 v[66:67], v[66:67], -v[68:69]
	scratch_store_b64 off, v[66:67], off offset:232
	s_wait_xcnt 0x0
	v_cmpx_lt_u32_e32 28, v0
	s_cbranch_execz .LBB94_139
; %bb.138:
	scratch_load_b64 v[66:67], off, off offset:224
	v_mov_b64_e32 v[68:69], 0
	scratch_store_b64 off, v[68:69], off offset:224
	s_wait_loadcnt 0x0
	ds_store_b64 v1, v[66:67]
.LBB94_139:
	s_wait_xcnt 0x0
	s_or_b32 exec_lo, exec_lo, s0
	s_wait_storecnt_dscnt 0x0
	s_barrier_signal -1
	s_barrier_wait -1
	s_clause 0x1
	scratch_load_b128 v[66:69], off, off offset:224
	scratch_load_b64 v[74:75], off, off offset:240
	ds_load_2addr_b64 v[70:73], v2 offset0:61 offset1:62
	s_mov_b32 s0, exec_lo
	s_wait_loadcnt_dscnt 0x100
	v_fma_f64 v[2:3], v[68:69], v[70:71], 0
	s_wait_loadcnt 0x0
	s_delay_alu instid0(VALU_DEP_1) | instskip(NEXT) | instid1(VALU_DEP_1)
	v_fmac_f64_e32 v[2:3], v[74:75], v[72:73]
	v_add_f64_e64 v[2:3], v[66:67], -v[2:3]
	scratch_store_b64 off, v[2:3], off offset:224
	s_wait_xcnt 0x0
	v_cmpx_lt_u32_e32 27, v0
	s_cbranch_execz .LBB94_141
; %bb.140:
	scratch_load_b64 v[2:3], off, off offset:216
	v_mov_b64_e32 v[66:67], 0
	scratch_store_b64 off, v[66:67], off offset:216
	s_wait_loadcnt 0x0
	ds_store_b64 v1, v[2:3]
.LBB94_141:
	s_wait_xcnt 0x0
	s_or_b32 exec_lo, exec_lo, s0
	s_wait_storecnt_dscnt 0x0
	s_barrier_signal -1
	s_barrier_wait -1
	s_clause 0x1
	scratch_load_b128 v[66:69], off, off offset:216
	scratch_load_b128 v[70:73], off, off offset:232
	v_mov_b32_e32 v2, 0
	ds_load_b128 v[74:77], v2 offset:480
	ds_load_b64 v[78:79], v2 offset:496
	s_mov_b32 s0, exec_lo
	s_wait_loadcnt_dscnt 0x101
	v_fma_f64 v[68:69], v[68:69], v[74:75], 0
	s_wait_loadcnt 0x0
	s_delay_alu instid0(VALU_DEP_1) | instskip(SKIP_1) | instid1(VALU_DEP_1)
	v_fmac_f64_e32 v[68:69], v[70:71], v[76:77]
	s_wait_dscnt 0x0
	v_fmac_f64_e32 v[68:69], v[72:73], v[78:79]
	s_delay_alu instid0(VALU_DEP_1)
	v_add_f64_e64 v[66:67], v[66:67], -v[68:69]
	scratch_store_b64 off, v[66:67], off offset:216
	s_wait_xcnt 0x0
	v_cmpx_lt_u32_e32 26, v0
	s_cbranch_execz .LBB94_143
; %bb.142:
	scratch_load_b64 v[66:67], off, off offset:208
	v_mov_b64_e32 v[68:69], 0
	scratch_store_b64 off, v[68:69], off offset:208
	s_wait_loadcnt 0x0
	ds_store_b64 v1, v[66:67]
.LBB94_143:
	s_wait_xcnt 0x0
	s_or_b32 exec_lo, exec_lo, s0
	s_wait_storecnt_dscnt 0x0
	s_barrier_signal -1
	s_barrier_wait -1
	s_clause 0x2
	scratch_load_b128 v[66:69], off, off offset:208
	scratch_load_b128 v[70:73], off, off offset:224
	scratch_load_b64 v[82:83], off, off offset:240
	ds_load_2addr_b64 v[74:77], v2 offset0:59 offset1:60
	ds_load_2addr_b64 v[78:81], v2 offset0:61 offset1:62
	s_mov_b32 s0, exec_lo
	s_wait_loadcnt_dscnt 0x201
	v_fma_f64 v[2:3], v[68:69], v[74:75], 0
	s_wait_loadcnt 0x1
	s_delay_alu instid0(VALU_DEP_1) | instskip(SKIP_1) | instid1(VALU_DEP_1)
	v_fmac_f64_e32 v[2:3], v[70:71], v[76:77]
	s_wait_dscnt 0x0
	v_fmac_f64_e32 v[2:3], v[72:73], v[78:79]
	s_wait_loadcnt 0x0
	s_delay_alu instid0(VALU_DEP_1) | instskip(NEXT) | instid1(VALU_DEP_1)
	v_fmac_f64_e32 v[2:3], v[82:83], v[80:81]
	v_add_f64_e64 v[2:3], v[66:67], -v[2:3]
	scratch_store_b64 off, v[2:3], off offset:208
	s_wait_xcnt 0x0
	v_cmpx_lt_u32_e32 25, v0
	s_cbranch_execz .LBB94_145
; %bb.144:
	scratch_load_b64 v[2:3], off, off offset:200
	v_mov_b64_e32 v[66:67], 0
	scratch_store_b64 off, v[66:67], off offset:200
	s_wait_loadcnt 0x0
	ds_store_b64 v1, v[2:3]
.LBB94_145:
	s_wait_xcnt 0x0
	s_or_b32 exec_lo, exec_lo, s0
	s_wait_storecnt_dscnt 0x0
	s_barrier_signal -1
	s_barrier_wait -1
	s_clause 0x2
	scratch_load_b128 v[66:69], off, off offset:200
	scratch_load_b128 v[70:73], off, off offset:216
	;; [unrolled: 1-line block ×3, first 2 shown]
	v_mov_b32_e32 v2, 0
	ds_load_b128 v[78:81], v2 offset:464
	ds_load_b128 v[82:85], v2 offset:480
	s_mov_b32 s0, exec_lo
	s_wait_loadcnt_dscnt 0x201
	v_fma_f64 v[68:69], v[68:69], v[78:79], 0
	s_wait_loadcnt 0x1
	s_delay_alu instid0(VALU_DEP_1) | instskip(SKIP_4) | instid1(VALU_DEP_1)
	v_fmac_f64_e32 v[68:69], v[70:71], v[80:81]
	ds_load_b64 v[70:71], v2 offset:496
	s_wait_dscnt 0x1
	v_fmac_f64_e32 v[68:69], v[72:73], v[82:83]
	s_wait_loadcnt 0x0
	v_fmac_f64_e32 v[68:69], v[74:75], v[84:85]
	s_wait_dscnt 0x0
	s_delay_alu instid0(VALU_DEP_1) | instskip(NEXT) | instid1(VALU_DEP_1)
	v_fmac_f64_e32 v[68:69], v[76:77], v[70:71]
	v_add_f64_e64 v[66:67], v[66:67], -v[68:69]
	scratch_store_b64 off, v[66:67], off offset:200
	s_wait_xcnt 0x0
	v_cmpx_lt_u32_e32 24, v0
	s_cbranch_execz .LBB94_147
; %bb.146:
	scratch_load_b64 v[66:67], off, off offset:192
	v_mov_b64_e32 v[68:69], 0
	scratch_store_b64 off, v[68:69], off offset:192
	s_wait_loadcnt 0x0
	ds_store_b64 v1, v[66:67]
.LBB94_147:
	s_wait_xcnt 0x0
	s_or_b32 exec_lo, exec_lo, s0
	s_wait_storecnt_dscnt 0x0
	s_barrier_signal -1
	s_barrier_wait -1
	s_clause 0x3
	scratch_load_b128 v[66:69], off, off offset:192
	scratch_load_b128 v[70:73], off, off offset:208
	;; [unrolled: 1-line block ×3, first 2 shown]
	scratch_load_b64 v[86:87], off, off offset:240
	ds_load_2addr_b64 v[78:81], v2 offset0:57 offset1:58
	ds_load_2addr_b64 v[82:85], v2 offset0:59 offset1:60
	s_mov_b32 s0, exec_lo
	s_wait_loadcnt_dscnt 0x301
	v_fma_f64 v[78:79], v[68:69], v[78:79], 0
	s_wait_loadcnt 0x2
	s_delay_alu instid0(VALU_DEP_1) | instskip(SKIP_4) | instid1(VALU_DEP_1)
	v_fmac_f64_e32 v[78:79], v[70:71], v[80:81]
	ds_load_2addr_b64 v[68:71], v2 offset0:61 offset1:62
	s_wait_dscnt 0x1
	v_fmac_f64_e32 v[78:79], v[72:73], v[82:83]
	s_wait_loadcnt 0x1
	v_fmac_f64_e32 v[78:79], v[74:75], v[84:85]
	s_wait_dscnt 0x0
	s_delay_alu instid0(VALU_DEP_1) | instskip(SKIP_1) | instid1(VALU_DEP_1)
	v_fmac_f64_e32 v[78:79], v[76:77], v[68:69]
	s_wait_loadcnt 0x0
	v_fmac_f64_e32 v[78:79], v[86:87], v[70:71]
	s_delay_alu instid0(VALU_DEP_1)
	v_add_f64_e64 v[2:3], v[66:67], -v[78:79]
	scratch_store_b64 off, v[2:3], off offset:192
	s_wait_xcnt 0x0
	v_cmpx_lt_u32_e32 23, v0
	s_cbranch_execz .LBB94_149
; %bb.148:
	scratch_load_b64 v[2:3], off, off offset:184
	v_mov_b64_e32 v[66:67], 0
	scratch_store_b64 off, v[66:67], off offset:184
	s_wait_loadcnt 0x0
	ds_store_b64 v1, v[2:3]
.LBB94_149:
	s_wait_xcnt 0x0
	s_or_b32 exec_lo, exec_lo, s0
	s_wait_storecnt_dscnt 0x0
	s_barrier_signal -1
	s_barrier_wait -1
	s_clause 0x3
	scratch_load_b128 v[66:69], off, off offset:184
	scratch_load_b128 v[70:73], off, off offset:200
	;; [unrolled: 1-line block ×4, first 2 shown]
	v_mov_b32_e32 v2, 0
	ds_load_b128 v[82:85], v2 offset:448
	ds_load_b128 v[86:89], v2 offset:464
	s_mov_b32 s0, exec_lo
	s_wait_loadcnt_dscnt 0x301
	v_fma_f64 v[82:83], v[68:69], v[82:83], 0
	s_wait_loadcnt 0x2
	s_delay_alu instid0(VALU_DEP_1) | instskip(SKIP_1) | instid1(VALU_DEP_1)
	v_fmac_f64_e32 v[82:83], v[70:71], v[84:85]
	s_wait_dscnt 0x0
	v_fmac_f64_e32 v[82:83], v[72:73], v[86:87]
	ds_load_b128 v[68:71], v2 offset:480
	ds_load_b64 v[72:73], v2 offset:496
	s_wait_loadcnt 0x1
	v_fmac_f64_e32 v[82:83], v[74:75], v[88:89]
	s_wait_dscnt 0x1
	s_delay_alu instid0(VALU_DEP_1) | instskip(SKIP_1) | instid1(VALU_DEP_1)
	v_fmac_f64_e32 v[82:83], v[76:77], v[68:69]
	s_wait_loadcnt 0x0
	v_fmac_f64_e32 v[82:83], v[78:79], v[70:71]
	s_wait_dscnt 0x0
	s_delay_alu instid0(VALU_DEP_1) | instskip(NEXT) | instid1(VALU_DEP_1)
	v_fmac_f64_e32 v[82:83], v[80:81], v[72:73]
	v_add_f64_e64 v[66:67], v[66:67], -v[82:83]
	scratch_store_b64 off, v[66:67], off offset:184
	s_wait_xcnt 0x0
	v_cmpx_lt_u32_e32 22, v0
	s_cbranch_execz .LBB94_151
; %bb.150:
	scratch_load_b64 v[66:67], off, off offset:176
	v_mov_b64_e32 v[68:69], 0
	scratch_store_b64 off, v[68:69], off offset:176
	s_wait_loadcnt 0x0
	ds_store_b64 v1, v[66:67]
.LBB94_151:
	s_wait_xcnt 0x0
	s_or_b32 exec_lo, exec_lo, s0
	s_wait_storecnt_dscnt 0x0
	s_barrier_signal -1
	s_barrier_wait -1
	s_clause 0x4
	scratch_load_b128 v[66:69], off, off offset:176
	scratch_load_b128 v[70:73], off, off offset:192
	;; [unrolled: 1-line block ×4, first 2 shown]
	scratch_load_b64 v[90:91], off, off offset:240
	ds_load_2addr_b64 v[82:85], v2 offset0:55 offset1:56
	ds_load_2addr_b64 v[86:89], v2 offset0:57 offset1:58
	s_mov_b32 s0, exec_lo
	s_wait_loadcnt_dscnt 0x401
	v_fma_f64 v[82:83], v[68:69], v[82:83], 0
	s_wait_loadcnt 0x3
	s_delay_alu instid0(VALU_DEP_1) | instskip(SKIP_1) | instid1(VALU_DEP_1)
	v_fmac_f64_e32 v[82:83], v[70:71], v[84:85]
	s_wait_dscnt 0x0
	v_fmac_f64_e32 v[82:83], v[72:73], v[86:87]
	s_wait_loadcnt 0x2
	s_delay_alu instid0(VALU_DEP_1)
	v_fmac_f64_e32 v[82:83], v[74:75], v[88:89]
	ds_load_2addr_b64 v[68:71], v2 offset0:59 offset1:60
	ds_load_2addr_b64 v[72:75], v2 offset0:61 offset1:62
	s_wait_dscnt 0x1
	v_fmac_f64_e32 v[82:83], v[76:77], v[68:69]
	s_wait_loadcnt 0x1
	s_delay_alu instid0(VALU_DEP_1) | instskip(SKIP_1) | instid1(VALU_DEP_1)
	v_fmac_f64_e32 v[82:83], v[78:79], v[70:71]
	s_wait_dscnt 0x0
	v_fmac_f64_e32 v[82:83], v[80:81], v[72:73]
	s_wait_loadcnt 0x0
	s_delay_alu instid0(VALU_DEP_1) | instskip(NEXT) | instid1(VALU_DEP_1)
	v_fmac_f64_e32 v[82:83], v[90:91], v[74:75]
	v_add_f64_e64 v[2:3], v[66:67], -v[82:83]
	scratch_store_b64 off, v[2:3], off offset:176
	s_wait_xcnt 0x0
	v_cmpx_lt_u32_e32 21, v0
	s_cbranch_execz .LBB94_153
; %bb.152:
	scratch_load_b64 v[2:3], off, off offset:168
	v_mov_b64_e32 v[66:67], 0
	scratch_store_b64 off, v[66:67], off offset:168
	s_wait_loadcnt 0x0
	ds_store_b64 v1, v[2:3]
.LBB94_153:
	s_wait_xcnt 0x0
	s_or_b32 exec_lo, exec_lo, s0
	s_wait_storecnt_dscnt 0x0
	s_barrier_signal -1
	s_barrier_wait -1
	s_clause 0x4
	scratch_load_b128 v[66:69], off, off offset:168
	scratch_load_b128 v[70:73], off, off offset:184
	;; [unrolled: 1-line block ×5, first 2 shown]
	v_mov_b32_e32 v2, 0
	ds_load_b128 v[86:89], v2 offset:432
	ds_load_b128 v[90:93], v2 offset:448
	s_mov_b32 s0, exec_lo
	s_wait_loadcnt_dscnt 0x401
	v_fma_f64 v[86:87], v[68:69], v[86:87], 0
	s_wait_loadcnt 0x3
	s_delay_alu instid0(VALU_DEP_1) | instskip(SKIP_1) | instid1(VALU_DEP_1)
	v_fmac_f64_e32 v[86:87], v[70:71], v[88:89]
	s_wait_dscnt 0x0
	v_fmac_f64_e32 v[86:87], v[72:73], v[90:91]
	s_wait_loadcnt 0x2
	s_delay_alu instid0(VALU_DEP_1)
	v_fmac_f64_e32 v[86:87], v[74:75], v[92:93]
	ds_load_b128 v[68:71], v2 offset:464
	ds_load_b128 v[72:75], v2 offset:480
	s_wait_dscnt 0x1
	v_fmac_f64_e32 v[86:87], v[76:77], v[68:69]
	ds_load_b64 v[68:69], v2 offset:496
	s_wait_loadcnt 0x1
	v_fmac_f64_e32 v[86:87], v[78:79], v[70:71]
	s_wait_dscnt 0x1
	s_delay_alu instid0(VALU_DEP_1) | instskip(SKIP_1) | instid1(VALU_DEP_1)
	v_fmac_f64_e32 v[86:87], v[80:81], v[72:73]
	s_wait_loadcnt 0x0
	v_fmac_f64_e32 v[86:87], v[82:83], v[74:75]
	s_wait_dscnt 0x0
	s_delay_alu instid0(VALU_DEP_1) | instskip(NEXT) | instid1(VALU_DEP_1)
	v_fmac_f64_e32 v[86:87], v[84:85], v[68:69]
	v_add_f64_e64 v[66:67], v[66:67], -v[86:87]
	scratch_store_b64 off, v[66:67], off offset:168
	s_wait_xcnt 0x0
	v_cmpx_lt_u32_e32 20, v0
	s_cbranch_execz .LBB94_155
; %bb.154:
	scratch_load_b64 v[66:67], off, off offset:160
	v_mov_b64_e32 v[68:69], 0
	scratch_store_b64 off, v[68:69], off offset:160
	s_wait_loadcnt 0x0
	ds_store_b64 v1, v[66:67]
.LBB94_155:
	s_wait_xcnt 0x0
	s_or_b32 exec_lo, exec_lo, s0
	s_wait_storecnt_dscnt 0x0
	s_barrier_signal -1
	s_barrier_wait -1
	s_clause 0x5
	scratch_load_b128 v[66:69], off, off offset:160
	scratch_load_b128 v[70:73], off, off offset:176
	scratch_load_b128 v[74:77], off, off offset:192
	scratch_load_b128 v[78:81], off, off offset:208
	scratch_load_b128 v[82:85], off, off offset:224
	scratch_load_b64 v[94:95], off, off offset:240
	ds_load_2addr_b64 v[86:89], v2 offset0:53 offset1:54
	ds_load_2addr_b64 v[90:93], v2 offset0:55 offset1:56
	s_mov_b32 s0, exec_lo
	s_wait_loadcnt_dscnt 0x501
	v_fma_f64 v[86:87], v[68:69], v[86:87], 0
	s_wait_loadcnt 0x4
	s_delay_alu instid0(VALU_DEP_1) | instskip(SKIP_1) | instid1(VALU_DEP_1)
	v_fmac_f64_e32 v[86:87], v[70:71], v[88:89]
	s_wait_dscnt 0x0
	v_fmac_f64_e32 v[86:87], v[72:73], v[90:91]
	s_wait_loadcnt 0x3
	s_delay_alu instid0(VALU_DEP_1)
	v_fmac_f64_e32 v[86:87], v[74:75], v[92:93]
	ds_load_2addr_b64 v[68:71], v2 offset0:57 offset1:58
	ds_load_2addr_b64 v[72:75], v2 offset0:59 offset1:60
	s_wait_dscnt 0x1
	v_fmac_f64_e32 v[86:87], v[76:77], v[68:69]
	s_wait_loadcnt 0x2
	s_delay_alu instid0(VALU_DEP_1) | instskip(SKIP_4) | instid1(VALU_DEP_1)
	v_fmac_f64_e32 v[86:87], v[78:79], v[70:71]
	ds_load_2addr_b64 v[68:71], v2 offset0:61 offset1:62
	s_wait_dscnt 0x1
	v_fmac_f64_e32 v[86:87], v[80:81], v[72:73]
	s_wait_loadcnt 0x1
	v_fmac_f64_e32 v[86:87], v[82:83], v[74:75]
	s_wait_dscnt 0x0
	s_delay_alu instid0(VALU_DEP_1) | instskip(SKIP_1) | instid1(VALU_DEP_1)
	v_fmac_f64_e32 v[86:87], v[84:85], v[68:69]
	s_wait_loadcnt 0x0
	v_fmac_f64_e32 v[86:87], v[94:95], v[70:71]
	s_delay_alu instid0(VALU_DEP_1)
	v_add_f64_e64 v[2:3], v[66:67], -v[86:87]
	scratch_store_b64 off, v[2:3], off offset:160
	s_wait_xcnt 0x0
	v_cmpx_lt_u32_e32 19, v0
	s_cbranch_execz .LBB94_157
; %bb.156:
	scratch_load_b64 v[2:3], off, off offset:152
	v_mov_b64_e32 v[66:67], 0
	scratch_store_b64 off, v[66:67], off offset:152
	s_wait_loadcnt 0x0
	ds_store_b64 v1, v[2:3]
.LBB94_157:
	s_wait_xcnt 0x0
	s_or_b32 exec_lo, exec_lo, s0
	s_wait_storecnt_dscnt 0x0
	s_barrier_signal -1
	s_barrier_wait -1
	s_clause 0x5
	scratch_load_b128 v[66:69], off, off offset:152
	scratch_load_b128 v[70:73], off, off offset:168
	;; [unrolled: 1-line block ×6, first 2 shown]
	v_mov_b32_e32 v2, 0
	ds_load_b128 v[90:93], v2 offset:416
	ds_load_b128 v[94:97], v2 offset:432
	s_mov_b32 s0, exec_lo
	s_wait_loadcnt_dscnt 0x501
	v_fma_f64 v[90:91], v[68:69], v[90:91], 0
	s_wait_loadcnt 0x4
	s_delay_alu instid0(VALU_DEP_1) | instskip(SKIP_1) | instid1(VALU_DEP_1)
	v_fmac_f64_e32 v[90:91], v[70:71], v[92:93]
	s_wait_dscnt 0x0
	v_fmac_f64_e32 v[90:91], v[72:73], v[94:95]
	s_wait_loadcnt 0x3
	s_delay_alu instid0(VALU_DEP_1)
	v_fmac_f64_e32 v[90:91], v[74:75], v[96:97]
	ds_load_b128 v[68:71], v2 offset:448
	ds_load_b128 v[72:75], v2 offset:464
	s_wait_dscnt 0x1
	v_fmac_f64_e32 v[90:91], v[76:77], v[68:69]
	s_wait_loadcnt 0x2
	s_delay_alu instid0(VALU_DEP_1) | instskip(SKIP_1) | instid1(VALU_DEP_1)
	v_fmac_f64_e32 v[90:91], v[78:79], v[70:71]
	s_wait_dscnt 0x0
	v_fmac_f64_e32 v[90:91], v[80:81], v[72:73]
	ds_load_b128 v[68:71], v2 offset:480
	ds_load_b64 v[72:73], v2 offset:496
	s_wait_loadcnt 0x1
	v_fmac_f64_e32 v[90:91], v[82:83], v[74:75]
	s_wait_dscnt 0x1
	s_delay_alu instid0(VALU_DEP_1) | instskip(SKIP_1) | instid1(VALU_DEP_1)
	v_fmac_f64_e32 v[90:91], v[84:85], v[68:69]
	s_wait_loadcnt 0x0
	v_fmac_f64_e32 v[90:91], v[86:87], v[70:71]
	s_wait_dscnt 0x0
	s_delay_alu instid0(VALU_DEP_1) | instskip(NEXT) | instid1(VALU_DEP_1)
	v_fmac_f64_e32 v[90:91], v[88:89], v[72:73]
	v_add_f64_e64 v[66:67], v[66:67], -v[90:91]
	scratch_store_b64 off, v[66:67], off offset:152
	s_wait_xcnt 0x0
	v_cmpx_lt_u32_e32 18, v0
	s_cbranch_execz .LBB94_159
; %bb.158:
	scratch_load_b64 v[66:67], off, off offset:144
	v_mov_b64_e32 v[68:69], 0
	scratch_store_b64 off, v[68:69], off offset:144
	s_wait_loadcnt 0x0
	ds_store_b64 v1, v[66:67]
.LBB94_159:
	s_wait_xcnt 0x0
	s_or_b32 exec_lo, exec_lo, s0
	s_wait_storecnt_dscnt 0x0
	s_barrier_signal -1
	s_barrier_wait -1
	s_clause 0x5
	scratch_load_b128 v[66:69], off, off offset:144
	scratch_load_b128 v[70:73], off, off offset:160
	scratch_load_b128 v[74:77], off, off offset:176
	scratch_load_b128 v[78:81], off, off offset:192
	scratch_load_b128 v[82:85], off, off offset:208
	scratch_load_b128 v[86:89], off, off offset:224
	ds_load_2addr_b64 v[90:93], v2 offset0:51 offset1:52
	ds_load_2addr_b64 v[94:97], v2 offset0:53 offset1:54
	s_mov_b32 s0, exec_lo
	s_wait_loadcnt_dscnt 0x501
	v_fma_f64 v[90:91], v[68:69], v[90:91], 0
	s_wait_loadcnt 0x4
	s_delay_alu instid0(VALU_DEP_1) | instskip(SKIP_4) | instid1(VALU_DEP_1)
	v_fmac_f64_e32 v[90:91], v[70:71], v[92:93]
	scratch_load_b64 v[92:93], off, off offset:240
	s_wait_dscnt 0x0
	v_fmac_f64_e32 v[90:91], v[72:73], v[94:95]
	s_wait_loadcnt 0x4
	v_fmac_f64_e32 v[90:91], v[74:75], v[96:97]
	ds_load_2addr_b64 v[68:71], v2 offset0:55 offset1:56
	ds_load_2addr_b64 v[72:75], v2 offset0:57 offset1:58
	s_wait_dscnt 0x1
	v_fmac_f64_e32 v[90:91], v[76:77], v[68:69]
	s_wait_loadcnt 0x3
	s_delay_alu instid0(VALU_DEP_1) | instskip(SKIP_1) | instid1(VALU_DEP_1)
	v_fmac_f64_e32 v[90:91], v[78:79], v[70:71]
	s_wait_dscnt 0x0
	v_fmac_f64_e32 v[90:91], v[80:81], v[72:73]
	s_wait_loadcnt 0x2
	s_delay_alu instid0(VALU_DEP_1)
	v_fmac_f64_e32 v[90:91], v[82:83], v[74:75]
	ds_load_2addr_b64 v[68:71], v2 offset0:59 offset1:60
	ds_load_2addr_b64 v[72:75], v2 offset0:61 offset1:62
	s_wait_dscnt 0x1
	v_fmac_f64_e32 v[90:91], v[84:85], v[68:69]
	s_wait_loadcnt 0x1
	s_delay_alu instid0(VALU_DEP_1) | instskip(SKIP_1) | instid1(VALU_DEP_1)
	v_fmac_f64_e32 v[90:91], v[86:87], v[70:71]
	s_wait_dscnt 0x0
	v_fmac_f64_e32 v[90:91], v[88:89], v[72:73]
	s_wait_loadcnt 0x0
	s_delay_alu instid0(VALU_DEP_1) | instskip(NEXT) | instid1(VALU_DEP_1)
	v_fmac_f64_e32 v[90:91], v[92:93], v[74:75]
	v_add_f64_e64 v[2:3], v[66:67], -v[90:91]
	scratch_store_b64 off, v[2:3], off offset:144
	s_wait_xcnt 0x0
	v_cmpx_lt_u32_e32 17, v0
	s_cbranch_execz .LBB94_161
; %bb.160:
	scratch_load_b64 v[2:3], off, off offset:136
	v_mov_b64_e32 v[66:67], 0
	scratch_store_b64 off, v[66:67], off offset:136
	s_wait_loadcnt 0x0
	ds_store_b64 v1, v[2:3]
.LBB94_161:
	s_wait_xcnt 0x0
	s_or_b32 exec_lo, exec_lo, s0
	s_wait_storecnt_dscnt 0x0
	s_barrier_signal -1
	s_barrier_wait -1
	s_clause 0x5
	scratch_load_b128 v[66:69], off, off offset:136
	scratch_load_b128 v[70:73], off, off offset:152
	;; [unrolled: 1-line block ×6, first 2 shown]
	v_mov_b32_e32 v2, 0
	ds_load_b128 v[90:93], v2 offset:400
	ds_load_b128 v[94:97], v2 offset:416
	s_mov_b32 s0, exec_lo
	s_wait_loadcnt_dscnt 0x501
	v_fma_f64 v[98:99], v[68:69], v[90:91], 0
	s_wait_loadcnt 0x4
	s_delay_alu instid0(VALU_DEP_1) | instskip(SKIP_4) | instid1(VALU_DEP_1)
	v_fmac_f64_e32 v[98:99], v[70:71], v[92:93]
	scratch_load_b128 v[68:71], off, off offset:232
	s_wait_dscnt 0x0
	v_fmac_f64_e32 v[98:99], v[72:73], v[94:95]
	s_wait_loadcnt 0x4
	v_fmac_f64_e32 v[98:99], v[74:75], v[96:97]
	ds_load_b128 v[72:75], v2 offset:432
	ds_load_b128 v[90:93], v2 offset:448
	s_wait_dscnt 0x1
	v_fmac_f64_e32 v[98:99], v[76:77], v[72:73]
	s_wait_loadcnt 0x3
	s_delay_alu instid0(VALU_DEP_1)
	v_fmac_f64_e32 v[98:99], v[78:79], v[74:75]
	ds_load_b128 v[72:75], v2 offset:464
	ds_load_b128 v[76:79], v2 offset:480
	s_wait_dscnt 0x2
	v_fmac_f64_e32 v[98:99], v[80:81], v[90:91]
	s_wait_loadcnt 0x2
	s_delay_alu instid0(VALU_DEP_1) | instskip(SKIP_1) | instid1(VALU_DEP_1)
	v_fmac_f64_e32 v[98:99], v[82:83], v[92:93]
	s_wait_dscnt 0x1
	v_fmac_f64_e32 v[98:99], v[84:85], v[72:73]
	s_wait_loadcnt 0x1
	s_delay_alu instid0(VALU_DEP_1) | instskip(SKIP_1) | instid1(VALU_DEP_1)
	v_fmac_f64_e32 v[98:99], v[86:87], v[74:75]
	s_wait_dscnt 0x0
	v_fmac_f64_e32 v[98:99], v[88:89], v[76:77]
	s_wait_loadcnt 0x0
	s_delay_alu instid0(VALU_DEP_1) | instskip(SKIP_3) | instid1(VALU_DEP_1)
	v_fmac_f64_e32 v[98:99], v[68:69], v[78:79]
	ds_load_b64 v[68:69], v2 offset:496
	s_wait_dscnt 0x0
	v_fmac_f64_e32 v[98:99], v[70:71], v[68:69]
	v_add_f64_e64 v[66:67], v[66:67], -v[98:99]
	scratch_store_b64 off, v[66:67], off offset:136
	s_wait_xcnt 0x0
	v_cmpx_lt_u32_e32 16, v0
	s_cbranch_execz .LBB94_163
; %bb.162:
	scratch_load_b64 v[66:67], off, off offset:128
	v_mov_b64_e32 v[68:69], 0
	scratch_store_b64 off, v[68:69], off offset:128
	s_wait_loadcnt 0x0
	ds_store_b64 v1, v[66:67]
.LBB94_163:
	s_wait_xcnt 0x0
	s_or_b32 exec_lo, exec_lo, s0
	s_wait_storecnt_dscnt 0x0
	s_barrier_signal -1
	s_barrier_wait -1
	s_clause 0x5
	scratch_load_b128 v[66:69], off, off offset:128
	scratch_load_b128 v[70:73], off, off offset:144
	;; [unrolled: 1-line block ×6, first 2 shown]
	ds_load_2addr_b64 v[90:93], v2 offset0:49 offset1:50
	ds_load_2addr_b64 v[94:97], v2 offset0:51 offset1:52
	s_mov_b32 s0, exec_lo
	s_wait_loadcnt_dscnt 0x501
	v_fma_f64 v[98:99], v[68:69], v[90:91], 0
	s_wait_loadcnt 0x4
	s_delay_alu instid0(VALU_DEP_1)
	v_fmac_f64_e32 v[98:99], v[70:71], v[92:93]
	scratch_load_b128 v[68:71], off, off offset:224
	s_wait_dscnt 0x0
	v_fmac_f64_e32 v[98:99], v[72:73], v[94:95]
	scratch_load_b64 v[94:95], off, off offset:240
	s_wait_loadcnt 0x5
	v_fmac_f64_e32 v[98:99], v[74:75], v[96:97]
	ds_load_2addr_b64 v[72:75], v2 offset0:53 offset1:54
	ds_load_2addr_b64 v[90:93], v2 offset0:55 offset1:56
	s_wait_dscnt 0x1
	v_fmac_f64_e32 v[98:99], v[76:77], v[72:73]
	s_wait_loadcnt 0x4
	s_delay_alu instid0(VALU_DEP_1)
	v_fmac_f64_e32 v[98:99], v[78:79], v[74:75]
	ds_load_2addr_b64 v[72:75], v2 offset0:57 offset1:58
	ds_load_2addr_b64 v[76:79], v2 offset0:59 offset1:60
	s_wait_dscnt 0x2
	v_fmac_f64_e32 v[98:99], v[80:81], v[90:91]
	s_wait_loadcnt 0x3
	s_delay_alu instid0(VALU_DEP_1) | instskip(SKIP_1) | instid1(VALU_DEP_1)
	v_fmac_f64_e32 v[98:99], v[82:83], v[92:93]
	s_wait_dscnt 0x1
	v_fmac_f64_e32 v[98:99], v[84:85], v[72:73]
	s_wait_loadcnt 0x2
	s_delay_alu instid0(VALU_DEP_1) | instskip(SKIP_4) | instid1(VALU_DEP_1)
	v_fmac_f64_e32 v[98:99], v[86:87], v[74:75]
	ds_load_2addr_b64 v[72:75], v2 offset0:61 offset1:62
	s_wait_dscnt 0x1
	v_fmac_f64_e32 v[98:99], v[88:89], v[76:77]
	s_wait_loadcnt 0x1
	v_fmac_f64_e32 v[98:99], v[68:69], v[78:79]
	s_wait_dscnt 0x0
	s_delay_alu instid0(VALU_DEP_1) | instskip(SKIP_1) | instid1(VALU_DEP_1)
	v_fmac_f64_e32 v[98:99], v[70:71], v[72:73]
	s_wait_loadcnt 0x0
	v_fmac_f64_e32 v[98:99], v[94:95], v[74:75]
	s_delay_alu instid0(VALU_DEP_1)
	v_add_f64_e64 v[2:3], v[66:67], -v[98:99]
	scratch_store_b64 off, v[2:3], off offset:128
	s_wait_xcnt 0x0
	v_cmpx_lt_u32_e32 15, v0
	s_cbranch_execz .LBB94_165
; %bb.164:
	scratch_load_b64 v[2:3], off, off offset:120
	v_mov_b64_e32 v[66:67], 0
	scratch_store_b64 off, v[66:67], off offset:120
	s_wait_loadcnt 0x0
	ds_store_b64 v1, v[2:3]
.LBB94_165:
	s_wait_xcnt 0x0
	s_or_b32 exec_lo, exec_lo, s0
	s_wait_storecnt_dscnt 0x0
	s_barrier_signal -1
	s_barrier_wait -1
	s_clause 0x5
	scratch_load_b128 v[66:69], off, off offset:120
	scratch_load_b128 v[70:73], off, off offset:136
	;; [unrolled: 1-line block ×6, first 2 shown]
	v_mov_b32_e32 v2, 0
	ds_load_b128 v[90:93], v2 offset:384
	ds_load_b128 v[94:97], v2 offset:400
	s_mov_b32 s0, exec_lo
	s_wait_loadcnt_dscnt 0x501
	v_fma_f64 v[98:99], v[68:69], v[90:91], 0
	s_wait_loadcnt 0x4
	s_delay_alu instid0(VALU_DEP_1) | instskip(SKIP_4) | instid1(VALU_DEP_1)
	v_fmac_f64_e32 v[98:99], v[70:71], v[92:93]
	scratch_load_b128 v[68:71], off, off offset:216
	s_wait_dscnt 0x0
	v_fmac_f64_e32 v[98:99], v[72:73], v[94:95]
	s_wait_loadcnt 0x4
	v_fmac_f64_e32 v[98:99], v[74:75], v[96:97]
	scratch_load_b128 v[72:75], off, off offset:232
	ds_load_b128 v[90:93], v2 offset:416
	ds_load_b128 v[94:97], v2 offset:432
	s_wait_dscnt 0x1
	v_fmac_f64_e32 v[98:99], v[76:77], v[90:91]
	s_wait_loadcnt 0x4
	s_delay_alu instid0(VALU_DEP_1) | instskip(SKIP_1) | instid1(VALU_DEP_1)
	v_fmac_f64_e32 v[98:99], v[78:79], v[92:93]
	s_wait_dscnt 0x0
	v_fmac_f64_e32 v[98:99], v[80:81], v[94:95]
	s_wait_loadcnt 0x3
	s_delay_alu instid0(VALU_DEP_1)
	v_fmac_f64_e32 v[98:99], v[82:83], v[96:97]
	ds_load_b128 v[76:79], v2 offset:448
	ds_load_b128 v[80:83], v2 offset:464
	s_wait_dscnt 0x1
	v_fmac_f64_e32 v[98:99], v[84:85], v[76:77]
	s_wait_loadcnt 0x2
	s_delay_alu instid0(VALU_DEP_1) | instskip(SKIP_1) | instid1(VALU_DEP_1)
	v_fmac_f64_e32 v[98:99], v[86:87], v[78:79]
	s_wait_dscnt 0x0
	v_fmac_f64_e32 v[98:99], v[88:89], v[80:81]
	s_wait_loadcnt 0x1
	s_delay_alu instid0(VALU_DEP_1)
	v_fmac_f64_e32 v[98:99], v[68:69], v[82:83]
	ds_load_b128 v[76:79], v2 offset:480
	ds_load_b64 v[68:69], v2 offset:496
	s_wait_dscnt 0x1
	v_fmac_f64_e32 v[98:99], v[70:71], v[76:77]
	s_wait_loadcnt 0x0
	s_delay_alu instid0(VALU_DEP_1) | instskip(SKIP_1) | instid1(VALU_DEP_1)
	v_fmac_f64_e32 v[98:99], v[72:73], v[78:79]
	s_wait_dscnt 0x0
	v_fmac_f64_e32 v[98:99], v[74:75], v[68:69]
	s_delay_alu instid0(VALU_DEP_1)
	v_add_f64_e64 v[66:67], v[66:67], -v[98:99]
	scratch_store_b64 off, v[66:67], off offset:120
	s_wait_xcnt 0x0
	v_cmpx_lt_u32_e32 14, v0
	s_cbranch_execz .LBB94_167
; %bb.166:
	scratch_load_b64 v[66:67], off, off offset:112
	v_mov_b64_e32 v[68:69], 0
	scratch_store_b64 off, v[68:69], off offset:112
	s_wait_loadcnt 0x0
	ds_store_b64 v1, v[66:67]
.LBB94_167:
	s_wait_xcnt 0x0
	s_or_b32 exec_lo, exec_lo, s0
	s_wait_storecnt_dscnt 0x0
	s_barrier_signal -1
	s_barrier_wait -1
	s_clause 0x5
	scratch_load_b128 v[66:69], off, off offset:112
	scratch_load_b128 v[70:73], off, off offset:128
	;; [unrolled: 1-line block ×6, first 2 shown]
	ds_load_2addr_b64 v[90:93], v2 offset0:47 offset1:48
	ds_load_2addr_b64 v[94:97], v2 offset0:49 offset1:50
	s_mov_b32 s0, exec_lo
	s_wait_loadcnt_dscnt 0x501
	v_fma_f64 v[98:99], v[68:69], v[90:91], 0
	s_wait_loadcnt 0x4
	s_delay_alu instid0(VALU_DEP_1) | instskip(SKIP_4) | instid1(VALU_DEP_1)
	v_fmac_f64_e32 v[98:99], v[70:71], v[92:93]
	scratch_load_b128 v[68:71], off, off offset:208
	s_wait_dscnt 0x0
	v_fmac_f64_e32 v[98:99], v[72:73], v[94:95]
	s_wait_loadcnt 0x4
	v_fmac_f64_e32 v[98:99], v[74:75], v[96:97]
	scratch_load_b128 v[72:75], off, off offset:224
	ds_load_2addr_b64 v[90:93], v2 offset0:51 offset1:52
	ds_load_2addr_b64 v[94:97], v2 offset0:53 offset1:54
	s_wait_dscnt 0x1
	v_fmac_f64_e32 v[98:99], v[76:77], v[90:91]
	scratch_load_b64 v[90:91], off, off offset:240
	s_wait_loadcnt 0x5
	v_fmac_f64_e32 v[98:99], v[78:79], v[92:93]
	s_wait_dscnt 0x0
	s_delay_alu instid0(VALU_DEP_1) | instskip(SKIP_1) | instid1(VALU_DEP_1)
	v_fmac_f64_e32 v[98:99], v[80:81], v[94:95]
	s_wait_loadcnt 0x4
	v_fmac_f64_e32 v[98:99], v[82:83], v[96:97]
	ds_load_2addr_b64 v[76:79], v2 offset0:55 offset1:56
	ds_load_2addr_b64 v[80:83], v2 offset0:57 offset1:58
	s_wait_dscnt 0x1
	v_fmac_f64_e32 v[98:99], v[84:85], v[76:77]
	s_wait_loadcnt 0x3
	s_delay_alu instid0(VALU_DEP_1) | instskip(SKIP_1) | instid1(VALU_DEP_1)
	v_fmac_f64_e32 v[98:99], v[86:87], v[78:79]
	s_wait_dscnt 0x0
	v_fmac_f64_e32 v[98:99], v[88:89], v[80:81]
	s_wait_loadcnt 0x2
	s_delay_alu instid0(VALU_DEP_1)
	v_fmac_f64_e32 v[98:99], v[68:69], v[82:83]
	ds_load_2addr_b64 v[76:79], v2 offset0:59 offset1:60
	ds_load_2addr_b64 v[80:83], v2 offset0:61 offset1:62
	s_wait_dscnt 0x1
	v_fmac_f64_e32 v[98:99], v[70:71], v[76:77]
	s_wait_loadcnt 0x1
	s_delay_alu instid0(VALU_DEP_1) | instskip(SKIP_1) | instid1(VALU_DEP_1)
	v_fmac_f64_e32 v[98:99], v[72:73], v[78:79]
	s_wait_dscnt 0x0
	v_fmac_f64_e32 v[98:99], v[74:75], v[80:81]
	s_wait_loadcnt 0x0
	s_delay_alu instid0(VALU_DEP_1) | instskip(NEXT) | instid1(VALU_DEP_1)
	v_fmac_f64_e32 v[98:99], v[90:91], v[82:83]
	v_add_f64_e64 v[2:3], v[66:67], -v[98:99]
	scratch_store_b64 off, v[2:3], off offset:112
	s_wait_xcnt 0x0
	v_cmpx_lt_u32_e32 13, v0
	s_cbranch_execz .LBB94_169
; %bb.168:
	scratch_load_b64 v[2:3], off, off offset:104
	v_mov_b64_e32 v[66:67], 0
	scratch_store_b64 off, v[66:67], off offset:104
	s_wait_loadcnt 0x0
	ds_store_b64 v1, v[2:3]
.LBB94_169:
	s_wait_xcnt 0x0
	s_or_b32 exec_lo, exec_lo, s0
	s_wait_storecnt_dscnt 0x0
	s_barrier_signal -1
	s_barrier_wait -1
	s_clause 0x5
	scratch_load_b128 v[66:69], off, off offset:104
	scratch_load_b128 v[70:73], off, off offset:120
	;; [unrolled: 1-line block ×6, first 2 shown]
	v_mov_b32_e32 v2, 0
	ds_load_b128 v[90:93], v2 offset:368
	ds_load_b128 v[94:97], v2 offset:384
	s_mov_b32 s0, exec_lo
	s_wait_loadcnt_dscnt 0x501
	v_fma_f64 v[98:99], v[68:69], v[90:91], 0
	s_wait_loadcnt 0x4
	s_delay_alu instid0(VALU_DEP_1) | instskip(SKIP_4) | instid1(VALU_DEP_1)
	v_fmac_f64_e32 v[98:99], v[70:71], v[92:93]
	scratch_load_b128 v[68:71], off, off offset:200
	s_wait_dscnt 0x0
	v_fmac_f64_e32 v[98:99], v[72:73], v[94:95]
	s_wait_loadcnt 0x4
	v_fmac_f64_e32 v[98:99], v[74:75], v[96:97]
	scratch_load_b128 v[72:75], off, off offset:216
	ds_load_b128 v[90:93], v2 offset:400
	ds_load_b128 v[94:97], v2 offset:416
	s_wait_dscnt 0x1
	v_fmac_f64_e32 v[98:99], v[76:77], v[90:91]
	s_wait_loadcnt 0x4
	s_delay_alu instid0(VALU_DEP_1) | instskip(SKIP_4) | instid1(VALU_DEP_1)
	v_fmac_f64_e32 v[98:99], v[78:79], v[92:93]
	scratch_load_b128 v[76:79], off, off offset:232
	s_wait_dscnt 0x0
	v_fmac_f64_e32 v[98:99], v[80:81], v[94:95]
	s_wait_loadcnt 0x4
	v_fmac_f64_e32 v[98:99], v[82:83], v[96:97]
	ds_load_b128 v[80:83], v2 offset:432
	ds_load_b128 v[90:93], v2 offset:448
	s_wait_dscnt 0x1
	v_fmac_f64_e32 v[98:99], v[84:85], v[80:81]
	s_wait_loadcnt 0x3
	s_delay_alu instid0(VALU_DEP_1)
	v_fmac_f64_e32 v[98:99], v[86:87], v[82:83]
	ds_load_b128 v[80:83], v2 offset:464
	ds_load_b128 v[84:87], v2 offset:480
	s_wait_dscnt 0x2
	v_fmac_f64_e32 v[98:99], v[88:89], v[90:91]
	s_wait_loadcnt 0x2
	s_delay_alu instid0(VALU_DEP_1) | instskip(SKIP_4) | instid1(VALU_DEP_1)
	v_fmac_f64_e32 v[98:99], v[68:69], v[92:93]
	ds_load_b64 v[68:69], v2 offset:496
	s_wait_dscnt 0x2
	v_fmac_f64_e32 v[98:99], v[70:71], v[80:81]
	s_wait_loadcnt 0x1
	v_fmac_f64_e32 v[98:99], v[72:73], v[82:83]
	s_wait_dscnt 0x1
	s_delay_alu instid0(VALU_DEP_1) | instskip(SKIP_1) | instid1(VALU_DEP_1)
	v_fmac_f64_e32 v[98:99], v[74:75], v[84:85]
	s_wait_loadcnt 0x0
	v_fmac_f64_e32 v[98:99], v[76:77], v[86:87]
	s_wait_dscnt 0x0
	s_delay_alu instid0(VALU_DEP_1) | instskip(NEXT) | instid1(VALU_DEP_1)
	v_fmac_f64_e32 v[98:99], v[78:79], v[68:69]
	v_add_f64_e64 v[66:67], v[66:67], -v[98:99]
	scratch_store_b64 off, v[66:67], off offset:104
	s_wait_xcnt 0x0
	v_cmpx_lt_u32_e32 12, v0
	s_cbranch_execz .LBB94_171
; %bb.170:
	scratch_load_b64 v[66:67], off, off offset:96
	v_mov_b64_e32 v[68:69], 0
	scratch_store_b64 off, v[68:69], off offset:96
	s_wait_loadcnt 0x0
	ds_store_b64 v1, v[66:67]
.LBB94_171:
	s_wait_xcnt 0x0
	s_or_b32 exec_lo, exec_lo, s0
	s_wait_storecnt_dscnt 0x0
	s_barrier_signal -1
	s_barrier_wait -1
	s_clause 0x5
	scratch_load_b128 v[66:69], off, off offset:96
	scratch_load_b128 v[70:73], off, off offset:112
	;; [unrolled: 1-line block ×6, first 2 shown]
	ds_load_2addr_b64 v[90:93], v2 offset0:45 offset1:46
	ds_load_2addr_b64 v[94:97], v2 offset0:47 offset1:48
	s_mov_b32 s0, exec_lo
	s_wait_loadcnt_dscnt 0x501
	v_fma_f64 v[98:99], v[68:69], v[90:91], 0
	s_wait_loadcnt 0x4
	s_delay_alu instid0(VALU_DEP_1) | instskip(SKIP_4) | instid1(VALU_DEP_1)
	v_fmac_f64_e32 v[98:99], v[70:71], v[92:93]
	scratch_load_b128 v[68:71], off, off offset:192
	s_wait_dscnt 0x0
	v_fmac_f64_e32 v[98:99], v[72:73], v[94:95]
	s_wait_loadcnt 0x4
	v_fmac_f64_e32 v[98:99], v[74:75], v[96:97]
	scratch_load_b128 v[72:75], off, off offset:208
	ds_load_2addr_b64 v[90:93], v2 offset0:49 offset1:50
	ds_load_2addr_b64 v[94:97], v2 offset0:51 offset1:52
	s_wait_dscnt 0x1
	v_fmac_f64_e32 v[98:99], v[76:77], v[90:91]
	s_wait_loadcnt 0x4
	s_delay_alu instid0(VALU_DEP_1)
	v_fmac_f64_e32 v[98:99], v[78:79], v[92:93]
	scratch_load_b128 v[76:79], off, off offset:224
	s_wait_dscnt 0x0
	v_fmac_f64_e32 v[98:99], v[80:81], v[94:95]
	scratch_load_b64 v[94:95], off, off offset:240
	s_wait_loadcnt 0x5
	v_fmac_f64_e32 v[98:99], v[82:83], v[96:97]
	ds_load_2addr_b64 v[80:83], v2 offset0:53 offset1:54
	ds_load_2addr_b64 v[90:93], v2 offset0:55 offset1:56
	s_wait_dscnt 0x1
	v_fmac_f64_e32 v[98:99], v[84:85], v[80:81]
	s_wait_loadcnt 0x4
	s_delay_alu instid0(VALU_DEP_1)
	v_fmac_f64_e32 v[98:99], v[86:87], v[82:83]
	ds_load_2addr_b64 v[80:83], v2 offset0:57 offset1:58
	ds_load_2addr_b64 v[84:87], v2 offset0:59 offset1:60
	s_wait_dscnt 0x2
	v_fmac_f64_e32 v[98:99], v[88:89], v[90:91]
	s_wait_loadcnt 0x3
	s_delay_alu instid0(VALU_DEP_1) | instskip(SKIP_1) | instid1(VALU_DEP_1)
	v_fmac_f64_e32 v[98:99], v[68:69], v[92:93]
	s_wait_dscnt 0x1
	v_fmac_f64_e32 v[98:99], v[70:71], v[80:81]
	ds_load_2addr_b64 v[68:71], v2 offset0:61 offset1:62
	s_wait_loadcnt 0x2
	v_fmac_f64_e32 v[98:99], v[72:73], v[82:83]
	s_wait_dscnt 0x1
	s_delay_alu instid0(VALU_DEP_1) | instskip(SKIP_1) | instid1(VALU_DEP_1)
	v_fmac_f64_e32 v[98:99], v[74:75], v[84:85]
	s_wait_loadcnt 0x1
	v_fmac_f64_e32 v[98:99], v[76:77], v[86:87]
	s_wait_dscnt 0x0
	s_delay_alu instid0(VALU_DEP_1) | instskip(SKIP_1) | instid1(VALU_DEP_1)
	v_fmac_f64_e32 v[98:99], v[78:79], v[68:69]
	s_wait_loadcnt 0x0
	v_fmac_f64_e32 v[98:99], v[94:95], v[70:71]
	s_delay_alu instid0(VALU_DEP_1)
	v_add_f64_e64 v[2:3], v[66:67], -v[98:99]
	scratch_store_b64 off, v[2:3], off offset:96
	s_wait_xcnt 0x0
	v_cmpx_lt_u32_e32 11, v0
	s_cbranch_execz .LBB94_173
; %bb.172:
	scratch_load_b64 v[2:3], off, off offset:88
	v_mov_b64_e32 v[66:67], 0
	scratch_store_b64 off, v[66:67], off offset:88
	s_wait_loadcnt 0x0
	ds_store_b64 v1, v[2:3]
.LBB94_173:
	s_wait_xcnt 0x0
	s_or_b32 exec_lo, exec_lo, s0
	s_wait_storecnt_dscnt 0x0
	s_barrier_signal -1
	s_barrier_wait -1
	s_clause 0x5
	scratch_load_b128 v[66:69], off, off offset:88
	scratch_load_b128 v[70:73], off, off offset:104
	;; [unrolled: 1-line block ×6, first 2 shown]
	v_mov_b32_e32 v2, 0
	ds_load_b128 v[90:93], v2 offset:352
	ds_load_b128 v[94:97], v2 offset:368
	s_mov_b32 s0, exec_lo
	s_wait_loadcnt_dscnt 0x501
	v_fma_f64 v[98:99], v[68:69], v[90:91], 0
	s_wait_loadcnt 0x4
	s_delay_alu instid0(VALU_DEP_1) | instskip(SKIP_4) | instid1(VALU_DEP_1)
	v_fmac_f64_e32 v[98:99], v[70:71], v[92:93]
	scratch_load_b128 v[68:71], off, off offset:184
	s_wait_dscnt 0x0
	v_fmac_f64_e32 v[98:99], v[72:73], v[94:95]
	s_wait_loadcnt 0x4
	v_fmac_f64_e32 v[98:99], v[74:75], v[96:97]
	scratch_load_b128 v[72:75], off, off offset:200
	ds_load_b128 v[90:93], v2 offset:384
	ds_load_b128 v[94:97], v2 offset:400
	s_wait_dscnt 0x1
	v_fmac_f64_e32 v[98:99], v[76:77], v[90:91]
	s_wait_loadcnt 0x4
	s_delay_alu instid0(VALU_DEP_1) | instskip(SKIP_4) | instid1(VALU_DEP_1)
	v_fmac_f64_e32 v[98:99], v[78:79], v[92:93]
	scratch_load_b128 v[76:79], off, off offset:216
	s_wait_dscnt 0x0
	v_fmac_f64_e32 v[98:99], v[80:81], v[94:95]
	s_wait_loadcnt 0x4
	v_fmac_f64_e32 v[98:99], v[82:83], v[96:97]
	scratch_load_b128 v[80:83], off, off offset:232
	ds_load_b128 v[90:93], v2 offset:416
	ds_load_b128 v[94:97], v2 offset:432
	s_wait_dscnt 0x1
	v_fmac_f64_e32 v[98:99], v[84:85], v[90:91]
	s_wait_loadcnt 0x4
	s_delay_alu instid0(VALU_DEP_1) | instskip(SKIP_1) | instid1(VALU_DEP_1)
	v_fmac_f64_e32 v[98:99], v[86:87], v[92:93]
	s_wait_dscnt 0x0
	v_fmac_f64_e32 v[98:99], v[88:89], v[94:95]
	ds_load_b128 v[84:87], v2 offset:448
	ds_load_b128 v[88:91], v2 offset:464
	s_wait_loadcnt 0x3
	v_fmac_f64_e32 v[98:99], v[68:69], v[96:97]
	s_wait_dscnt 0x1
	s_delay_alu instid0(VALU_DEP_1) | instskip(SKIP_1) | instid1(VALU_DEP_1)
	v_fmac_f64_e32 v[98:99], v[70:71], v[84:85]
	s_wait_loadcnt 0x2
	v_fmac_f64_e32 v[98:99], v[72:73], v[86:87]
	ds_load_b128 v[68:71], v2 offset:480
	ds_load_b64 v[72:73], v2 offset:496
	s_wait_dscnt 0x2
	v_fmac_f64_e32 v[98:99], v[74:75], v[88:89]
	s_wait_loadcnt 0x1
	s_delay_alu instid0(VALU_DEP_1) | instskip(SKIP_1) | instid1(VALU_DEP_1)
	v_fmac_f64_e32 v[98:99], v[76:77], v[90:91]
	s_wait_dscnt 0x1
	v_fmac_f64_e32 v[98:99], v[78:79], v[68:69]
	s_wait_loadcnt 0x0
	s_delay_alu instid0(VALU_DEP_1) | instskip(SKIP_1) | instid1(VALU_DEP_1)
	v_fmac_f64_e32 v[98:99], v[80:81], v[70:71]
	s_wait_dscnt 0x0
	v_fmac_f64_e32 v[98:99], v[82:83], v[72:73]
	s_delay_alu instid0(VALU_DEP_1)
	v_add_f64_e64 v[66:67], v[66:67], -v[98:99]
	scratch_store_b64 off, v[66:67], off offset:88
	s_wait_xcnt 0x0
	v_cmpx_lt_u32_e32 10, v0
	s_cbranch_execz .LBB94_175
; %bb.174:
	scratch_load_b64 v[66:67], off, off offset:80
	v_mov_b64_e32 v[68:69], 0
	scratch_store_b64 off, v[68:69], off offset:80
	s_wait_loadcnt 0x0
	ds_store_b64 v1, v[66:67]
.LBB94_175:
	s_wait_xcnt 0x0
	s_or_b32 exec_lo, exec_lo, s0
	s_wait_storecnt_dscnt 0x0
	s_barrier_signal -1
	s_barrier_wait -1
	s_clause 0x5
	scratch_load_b128 v[66:69], off, off offset:80
	scratch_load_b128 v[70:73], off, off offset:96
	;; [unrolled: 1-line block ×6, first 2 shown]
	ds_load_2addr_b64 v[90:93], v2 offset0:43 offset1:44
	ds_load_2addr_b64 v[94:97], v2 offset0:45 offset1:46
	s_mov_b32 s0, exec_lo
	s_wait_loadcnt_dscnt 0x501
	v_fma_f64 v[98:99], v[68:69], v[90:91], 0
	s_wait_loadcnt 0x4
	s_delay_alu instid0(VALU_DEP_1) | instskip(SKIP_4) | instid1(VALU_DEP_1)
	v_fmac_f64_e32 v[98:99], v[70:71], v[92:93]
	scratch_load_b128 v[68:71], off, off offset:176
	s_wait_dscnt 0x0
	v_fmac_f64_e32 v[98:99], v[72:73], v[94:95]
	s_wait_loadcnt 0x4
	v_fmac_f64_e32 v[98:99], v[74:75], v[96:97]
	scratch_load_b128 v[72:75], off, off offset:192
	ds_load_2addr_b64 v[90:93], v2 offset0:47 offset1:48
	ds_load_2addr_b64 v[94:97], v2 offset0:49 offset1:50
	s_wait_dscnt 0x1
	v_fmac_f64_e32 v[98:99], v[76:77], v[90:91]
	s_wait_loadcnt 0x4
	s_delay_alu instid0(VALU_DEP_1) | instskip(SKIP_4) | instid1(VALU_DEP_1)
	v_fmac_f64_e32 v[98:99], v[78:79], v[92:93]
	scratch_load_b128 v[76:79], off, off offset:208
	s_wait_dscnt 0x0
	v_fmac_f64_e32 v[98:99], v[80:81], v[94:95]
	s_wait_loadcnt 0x4
	v_fmac_f64_e32 v[98:99], v[82:83], v[96:97]
	scratch_load_b128 v[80:83], off, off offset:224
	ds_load_2addr_b64 v[90:93], v2 offset0:51 offset1:52
	ds_load_2addr_b64 v[94:97], v2 offset0:53 offset1:54
	s_wait_dscnt 0x1
	v_fmac_f64_e32 v[98:99], v[84:85], v[90:91]
	s_wait_loadcnt 0x4
	s_delay_alu instid0(VALU_DEP_1)
	v_fmac_f64_e32 v[98:99], v[86:87], v[92:93]
	scratch_load_b64 v[92:93], off, off offset:240
	s_wait_dscnt 0x0
	v_fmac_f64_e32 v[98:99], v[88:89], v[94:95]
	ds_load_2addr_b64 v[84:87], v2 offset0:55 offset1:56
	ds_load_2addr_b64 v[88:91], v2 offset0:57 offset1:58
	s_wait_loadcnt 0x4
	v_fmac_f64_e32 v[98:99], v[68:69], v[96:97]
	s_wait_dscnt 0x1
	s_delay_alu instid0(VALU_DEP_1) | instskip(SKIP_1) | instid1(VALU_DEP_1)
	v_fmac_f64_e32 v[98:99], v[70:71], v[84:85]
	s_wait_loadcnt 0x3
	v_fmac_f64_e32 v[98:99], v[72:73], v[86:87]
	s_wait_dscnt 0x0
	s_delay_alu instid0(VALU_DEP_1)
	v_fmac_f64_e32 v[98:99], v[74:75], v[88:89]
	ds_load_2addr_b64 v[68:71], v2 offset0:59 offset1:60
	ds_load_2addr_b64 v[72:75], v2 offset0:61 offset1:62
	s_wait_loadcnt 0x2
	v_fmac_f64_e32 v[98:99], v[76:77], v[90:91]
	s_wait_dscnt 0x1
	s_delay_alu instid0(VALU_DEP_1) | instskip(SKIP_1) | instid1(VALU_DEP_1)
	v_fmac_f64_e32 v[98:99], v[78:79], v[68:69]
	s_wait_loadcnt 0x1
	v_fmac_f64_e32 v[98:99], v[80:81], v[70:71]
	s_wait_dscnt 0x0
	s_delay_alu instid0(VALU_DEP_1) | instskip(SKIP_1) | instid1(VALU_DEP_1)
	v_fmac_f64_e32 v[98:99], v[82:83], v[72:73]
	s_wait_loadcnt 0x0
	v_fmac_f64_e32 v[98:99], v[92:93], v[74:75]
	s_delay_alu instid0(VALU_DEP_1)
	v_add_f64_e64 v[2:3], v[66:67], -v[98:99]
	scratch_store_b64 off, v[2:3], off offset:80
	s_wait_xcnt 0x0
	v_cmpx_lt_u32_e32 9, v0
	s_cbranch_execz .LBB94_177
; %bb.176:
	scratch_load_b64 v[2:3], off, off offset:72
	v_mov_b64_e32 v[66:67], 0
	scratch_store_b64 off, v[66:67], off offset:72
	s_wait_loadcnt 0x0
	ds_store_b64 v1, v[2:3]
.LBB94_177:
	s_wait_xcnt 0x0
	s_or_b32 exec_lo, exec_lo, s0
	s_wait_storecnt_dscnt 0x0
	s_barrier_signal -1
	s_barrier_wait -1
	s_clause 0x5
	scratch_load_b128 v[66:69], off, off offset:72
	scratch_load_b128 v[70:73], off, off offset:88
	;; [unrolled: 1-line block ×6, first 2 shown]
	v_mov_b32_e32 v2, 0
	ds_load_b128 v[90:93], v2 offset:336
	ds_load_b128 v[94:97], v2 offset:352
	s_mov_b32 s0, exec_lo
	s_wait_loadcnt_dscnt 0x501
	v_fma_f64 v[98:99], v[68:69], v[90:91], 0
	s_wait_loadcnt 0x4
	s_delay_alu instid0(VALU_DEP_1) | instskip(SKIP_4) | instid1(VALU_DEP_1)
	v_fmac_f64_e32 v[98:99], v[70:71], v[92:93]
	scratch_load_b128 v[68:71], off, off offset:168
	s_wait_dscnt 0x0
	v_fmac_f64_e32 v[98:99], v[72:73], v[94:95]
	s_wait_loadcnt 0x4
	v_fmac_f64_e32 v[98:99], v[74:75], v[96:97]
	scratch_load_b128 v[72:75], off, off offset:184
	ds_load_b128 v[90:93], v2 offset:368
	ds_load_b128 v[94:97], v2 offset:384
	s_wait_dscnt 0x1
	v_fmac_f64_e32 v[98:99], v[76:77], v[90:91]
	s_wait_loadcnt 0x4
	s_delay_alu instid0(VALU_DEP_1) | instskip(SKIP_4) | instid1(VALU_DEP_1)
	v_fmac_f64_e32 v[98:99], v[78:79], v[92:93]
	scratch_load_b128 v[76:79], off, off offset:200
	s_wait_dscnt 0x0
	v_fmac_f64_e32 v[98:99], v[80:81], v[94:95]
	s_wait_loadcnt 0x4
	v_fmac_f64_e32 v[98:99], v[82:83], v[96:97]
	scratch_load_b128 v[80:83], off, off offset:216
	ds_load_b128 v[90:93], v2 offset:400
	ds_load_b128 v[94:97], v2 offset:416
	s_wait_dscnt 0x1
	v_fmac_f64_e32 v[98:99], v[84:85], v[90:91]
	s_wait_loadcnt 0x4
	s_delay_alu instid0(VALU_DEP_1)
	v_fmac_f64_e32 v[98:99], v[86:87], v[92:93]
	scratch_load_b128 v[84:87], off, off offset:232
	s_wait_dscnt 0x0
	v_fmac_f64_e32 v[98:99], v[88:89], v[94:95]
	ds_load_b128 v[88:91], v2 offset:432
	ds_load_b128 v[92:95], v2 offset:448
	s_wait_loadcnt 0x4
	v_fmac_f64_e32 v[98:99], v[68:69], v[96:97]
	s_wait_dscnt 0x1
	s_delay_alu instid0(VALU_DEP_1) | instskip(SKIP_1) | instid1(VALU_DEP_1)
	v_fmac_f64_e32 v[98:99], v[70:71], v[88:89]
	s_wait_loadcnt 0x3
	v_fmac_f64_e32 v[98:99], v[72:73], v[90:91]
	s_wait_dscnt 0x0
	s_delay_alu instid0(VALU_DEP_1)
	v_fmac_f64_e32 v[98:99], v[74:75], v[92:93]
	ds_load_b128 v[68:71], v2 offset:464
	ds_load_b128 v[72:75], v2 offset:480
	s_wait_loadcnt 0x2
	v_fmac_f64_e32 v[98:99], v[76:77], v[94:95]
	s_wait_dscnt 0x1
	s_delay_alu instid0(VALU_DEP_1) | instskip(SKIP_4) | instid1(VALU_DEP_1)
	v_fmac_f64_e32 v[98:99], v[78:79], v[68:69]
	ds_load_b64 v[68:69], v2 offset:496
	s_wait_loadcnt 0x1
	v_fmac_f64_e32 v[98:99], v[80:81], v[70:71]
	s_wait_dscnt 0x1
	v_fmac_f64_e32 v[98:99], v[82:83], v[72:73]
	s_wait_loadcnt 0x0
	s_delay_alu instid0(VALU_DEP_1) | instskip(SKIP_1) | instid1(VALU_DEP_1)
	v_fmac_f64_e32 v[98:99], v[84:85], v[74:75]
	s_wait_dscnt 0x0
	v_fmac_f64_e32 v[98:99], v[86:87], v[68:69]
	s_delay_alu instid0(VALU_DEP_1)
	v_add_f64_e64 v[66:67], v[66:67], -v[98:99]
	scratch_store_b64 off, v[66:67], off offset:72
	s_wait_xcnt 0x0
	v_cmpx_lt_u32_e32 8, v0
	s_cbranch_execz .LBB94_179
; %bb.178:
	scratch_load_b64 v[66:67], off, off offset:64
	v_mov_b64_e32 v[68:69], 0
	scratch_store_b64 off, v[68:69], off offset:64
	s_wait_loadcnt 0x0
	ds_store_b64 v1, v[66:67]
.LBB94_179:
	s_wait_xcnt 0x0
	s_or_b32 exec_lo, exec_lo, s0
	s_wait_storecnt_dscnt 0x0
	s_barrier_signal -1
	s_barrier_wait -1
	s_clause 0x5
	scratch_load_b128 v[66:69], off, off offset:64
	scratch_load_b128 v[70:73], off, off offset:80
	;; [unrolled: 1-line block ×6, first 2 shown]
	ds_load_2addr_b64 v[90:93], v2 offset0:41 offset1:42
	ds_load_2addr_b64 v[94:97], v2 offset0:43 offset1:44
	scratch_load_b128 v[98:101], off, off offset:160
	s_mov_b32 s0, exec_lo
	s_wait_loadcnt_dscnt 0x601
	v_fma_f64 v[102:103], v[68:69], v[90:91], 0
	s_wait_loadcnt 0x5
	s_delay_alu instid0(VALU_DEP_1) | instskip(SKIP_4) | instid1(VALU_DEP_1)
	v_fmac_f64_e32 v[102:103], v[70:71], v[92:93]
	scratch_load_b128 v[68:71], off, off offset:176
	s_wait_dscnt 0x0
	v_fmac_f64_e32 v[102:103], v[72:73], v[94:95]
	s_wait_loadcnt 0x5
	v_fmac_f64_e32 v[102:103], v[74:75], v[96:97]
	ds_load_2addr_b64 v[72:75], v2 offset0:45 offset1:46
	ds_load_2addr_b64 v[90:93], v2 offset0:47 offset1:48
	s_wait_dscnt 0x1
	v_fmac_f64_e32 v[102:103], v[76:77], v[72:73]
	s_wait_loadcnt 0x4
	s_delay_alu instid0(VALU_DEP_1)
	v_fmac_f64_e32 v[102:103], v[78:79], v[74:75]
	s_clause 0x1
	scratch_load_b128 v[72:75], off, off offset:192
	scratch_load_b128 v[76:79], off, off offset:208
	s_wait_dscnt 0x0
	v_fmac_f64_e32 v[102:103], v[80:81], v[90:91]
	s_wait_loadcnt 0x5
	s_delay_alu instid0(VALU_DEP_1)
	v_fmac_f64_e32 v[102:103], v[82:83], v[92:93]
	ds_load_2addr_b64 v[80:83], v2 offset0:49 offset1:50
	ds_load_2addr_b64 v[90:93], v2 offset0:51 offset1:52
	s_wait_dscnt 0x1
	v_fmac_f64_e32 v[102:103], v[84:85], v[80:81]
	s_wait_loadcnt 0x4
	s_delay_alu instid0(VALU_DEP_1) | instskip(SKIP_4) | instid1(VALU_DEP_1)
	v_fmac_f64_e32 v[102:103], v[86:87], v[82:83]
	scratch_load_b128 v[80:83], off, off offset:224
	s_wait_dscnt 0x0
	v_fmac_f64_e32 v[102:103], v[88:89], v[90:91]
	s_wait_loadcnt 0x4
	v_fmac_f64_e32 v[102:103], v[98:99], v[92:93]
	scratch_load_b64 v[92:93], off, off offset:240
	ds_load_2addr_b64 v[84:87], v2 offset0:53 offset1:54
	ds_load_2addr_b64 v[88:91], v2 offset0:55 offset1:56
	s_wait_dscnt 0x1
	v_fmac_f64_e32 v[102:103], v[100:101], v[84:85]
	s_wait_loadcnt 0x4
	s_delay_alu instid0(VALU_DEP_1) | instskip(SKIP_1) | instid1(VALU_DEP_1)
	v_fmac_f64_e32 v[102:103], v[68:69], v[86:87]
	s_wait_dscnt 0x0
	v_fmac_f64_e32 v[102:103], v[70:71], v[88:89]
	ds_load_2addr_b64 v[68:71], v2 offset0:57 offset1:58
	ds_load_2addr_b64 v[84:87], v2 offset0:59 offset1:60
	s_wait_loadcnt 0x3
	v_fmac_f64_e32 v[102:103], v[72:73], v[90:91]
	s_wait_dscnt 0x1
	s_delay_alu instid0(VALU_DEP_1) | instskip(SKIP_1) | instid1(VALU_DEP_1)
	v_fmac_f64_e32 v[102:103], v[74:75], v[68:69]
	s_wait_loadcnt 0x2
	v_fmac_f64_e32 v[102:103], v[76:77], v[70:71]
	ds_load_2addr_b64 v[68:71], v2 offset0:61 offset1:62
	s_wait_dscnt 0x1
	v_fmac_f64_e32 v[102:103], v[78:79], v[84:85]
	s_wait_loadcnt 0x1
	s_delay_alu instid0(VALU_DEP_1) | instskip(SKIP_1) | instid1(VALU_DEP_1)
	v_fmac_f64_e32 v[102:103], v[80:81], v[86:87]
	s_wait_dscnt 0x0
	v_fmac_f64_e32 v[102:103], v[82:83], v[68:69]
	s_wait_loadcnt 0x0
	s_delay_alu instid0(VALU_DEP_1) | instskip(NEXT) | instid1(VALU_DEP_1)
	v_fmac_f64_e32 v[102:103], v[92:93], v[70:71]
	v_add_f64_e64 v[2:3], v[66:67], -v[102:103]
	scratch_store_b64 off, v[2:3], off offset:64
	s_wait_xcnt 0x0
	v_cmpx_lt_u32_e32 7, v0
	s_cbranch_execz .LBB94_181
; %bb.180:
	scratch_load_b64 v[2:3], off, off offset:56
	v_mov_b64_e32 v[66:67], 0
	scratch_store_b64 off, v[66:67], off offset:56
	s_wait_loadcnt 0x0
	ds_store_b64 v1, v[2:3]
.LBB94_181:
	s_wait_xcnt 0x0
	s_or_b32 exec_lo, exec_lo, s0
	s_wait_storecnt_dscnt 0x0
	s_barrier_signal -1
	s_barrier_wait -1
	s_clause 0x5
	scratch_load_b128 v[66:69], off, off offset:56
	scratch_load_b128 v[70:73], off, off offset:72
	;; [unrolled: 1-line block ×6, first 2 shown]
	v_mov_b32_e32 v2, 0
	ds_load_b128 v[90:93], v2 offset:320
	ds_load_b128 v[94:97], v2 offset:336
	scratch_load_b128 v[98:101], off, off offset:152
	s_mov_b32 s0, exec_lo
	s_wait_loadcnt_dscnt 0x601
	v_fma_f64 v[102:103], v[68:69], v[90:91], 0
	s_wait_loadcnt 0x5
	s_delay_alu instid0(VALU_DEP_1) | instskip(SKIP_4) | instid1(VALU_DEP_1)
	v_fmac_f64_e32 v[102:103], v[70:71], v[92:93]
	scratch_load_b128 v[68:71], off, off offset:168
	s_wait_dscnt 0x0
	v_fmac_f64_e32 v[102:103], v[72:73], v[94:95]
	s_wait_loadcnt 0x5
	v_fmac_f64_e32 v[102:103], v[74:75], v[96:97]
	ds_load_b128 v[72:75], v2 offset:352
	ds_load_b128 v[90:93], v2 offset:368
	s_wait_dscnt 0x1
	v_fmac_f64_e32 v[102:103], v[76:77], v[72:73]
	s_wait_loadcnt 0x4
	s_delay_alu instid0(VALU_DEP_1)
	v_fmac_f64_e32 v[102:103], v[78:79], v[74:75]
	s_clause 0x1
	scratch_load_b128 v[72:75], off, off offset:184
	scratch_load_b128 v[76:79], off, off offset:200
	s_wait_dscnt 0x0
	v_fmac_f64_e32 v[102:103], v[80:81], v[90:91]
	s_wait_loadcnt 0x5
	s_delay_alu instid0(VALU_DEP_1)
	v_fmac_f64_e32 v[102:103], v[82:83], v[92:93]
	ds_load_b128 v[80:83], v2 offset:384
	ds_load_b128 v[90:93], v2 offset:400
	s_wait_dscnt 0x1
	v_fmac_f64_e32 v[102:103], v[84:85], v[80:81]
	s_wait_loadcnt 0x4
	s_delay_alu instid0(VALU_DEP_1)
	v_fmac_f64_e32 v[102:103], v[86:87], v[82:83]
	s_clause 0x1
	scratch_load_b128 v[80:83], off, off offset:216
	scratch_load_b128 v[84:87], off, off offset:232
	s_wait_dscnt 0x0
	v_fmac_f64_e32 v[102:103], v[88:89], v[90:91]
	s_wait_loadcnt 0x5
	s_delay_alu instid0(VALU_DEP_1)
	v_fmac_f64_e32 v[102:103], v[98:99], v[92:93]
	ds_load_b128 v[88:91], v2 offset:416
	ds_load_b128 v[92:95], v2 offset:432
	s_wait_dscnt 0x1
	v_fmac_f64_e32 v[102:103], v[100:101], v[88:89]
	s_wait_loadcnt 0x4
	s_delay_alu instid0(VALU_DEP_1) | instskip(SKIP_1) | instid1(VALU_DEP_1)
	v_fmac_f64_e32 v[102:103], v[68:69], v[90:91]
	s_wait_dscnt 0x0
	v_fmac_f64_e32 v[102:103], v[70:71], v[92:93]
	ds_load_b128 v[68:71], v2 offset:448
	ds_load_b128 v[88:91], v2 offset:464
	s_wait_loadcnt 0x3
	v_fmac_f64_e32 v[102:103], v[72:73], v[94:95]
	s_wait_dscnt 0x1
	s_delay_alu instid0(VALU_DEP_1) | instskip(SKIP_1) | instid1(VALU_DEP_1)
	v_fmac_f64_e32 v[102:103], v[74:75], v[68:69]
	s_wait_loadcnt 0x2
	v_fmac_f64_e32 v[102:103], v[76:77], v[70:71]
	ds_load_b128 v[68:71], v2 offset:480
	ds_load_b64 v[72:73], v2 offset:496
	s_wait_dscnt 0x2
	v_fmac_f64_e32 v[102:103], v[78:79], v[88:89]
	s_wait_loadcnt 0x1
	s_delay_alu instid0(VALU_DEP_1) | instskip(SKIP_1) | instid1(VALU_DEP_1)
	v_fmac_f64_e32 v[102:103], v[80:81], v[90:91]
	s_wait_dscnt 0x1
	v_fmac_f64_e32 v[102:103], v[82:83], v[68:69]
	s_wait_loadcnt 0x0
	s_delay_alu instid0(VALU_DEP_1) | instskip(SKIP_1) | instid1(VALU_DEP_1)
	v_fmac_f64_e32 v[102:103], v[84:85], v[70:71]
	s_wait_dscnt 0x0
	v_fmac_f64_e32 v[102:103], v[86:87], v[72:73]
	s_delay_alu instid0(VALU_DEP_1)
	v_add_f64_e64 v[66:67], v[66:67], -v[102:103]
	scratch_store_b64 off, v[66:67], off offset:56
	s_wait_xcnt 0x0
	v_cmpx_lt_u32_e32 6, v0
	s_cbranch_execz .LBB94_183
; %bb.182:
	scratch_load_b64 v[66:67], off, off offset:48
	v_mov_b64_e32 v[68:69], 0
	scratch_store_b64 off, v[68:69], off offset:48
	s_wait_loadcnt 0x0
	ds_store_b64 v1, v[66:67]
.LBB94_183:
	s_wait_xcnt 0x0
	s_or_b32 exec_lo, exec_lo, s0
	s_wait_storecnt_dscnt 0x0
	s_barrier_signal -1
	s_barrier_wait -1
	s_clause 0x5
	scratch_load_b128 v[66:69], off, off offset:48
	scratch_load_b128 v[70:73], off, off offset:64
	;; [unrolled: 1-line block ×6, first 2 shown]
	ds_load_2addr_b64 v[90:93], v2 offset0:39 offset1:40
	ds_load_2addr_b64 v[94:97], v2 offset0:41 offset1:42
	scratch_load_b128 v[98:101], off, off offset:144
	s_mov_b32 s0, exec_lo
	s_wait_loadcnt_dscnt 0x601
	v_fma_f64 v[102:103], v[68:69], v[90:91], 0
	s_wait_loadcnt 0x5
	s_delay_alu instid0(VALU_DEP_1) | instskip(SKIP_4) | instid1(VALU_DEP_1)
	v_fmac_f64_e32 v[102:103], v[70:71], v[92:93]
	scratch_load_b128 v[68:71], off, off offset:160
	s_wait_dscnt 0x0
	v_fmac_f64_e32 v[102:103], v[72:73], v[94:95]
	s_wait_loadcnt 0x5
	v_fmac_f64_e32 v[102:103], v[74:75], v[96:97]
	ds_load_2addr_b64 v[72:75], v2 offset0:43 offset1:44
	ds_load_2addr_b64 v[90:93], v2 offset0:45 offset1:46
	s_wait_dscnt 0x1
	v_fmac_f64_e32 v[102:103], v[76:77], v[72:73]
	s_wait_loadcnt 0x4
	s_delay_alu instid0(VALU_DEP_1)
	v_fmac_f64_e32 v[102:103], v[78:79], v[74:75]
	s_clause 0x1
	scratch_load_b128 v[72:75], off, off offset:176
	scratch_load_b128 v[76:79], off, off offset:192
	s_wait_dscnt 0x0
	v_fmac_f64_e32 v[102:103], v[80:81], v[90:91]
	s_wait_loadcnt 0x5
	s_delay_alu instid0(VALU_DEP_1)
	v_fmac_f64_e32 v[102:103], v[82:83], v[92:93]
	ds_load_2addr_b64 v[80:83], v2 offset0:47 offset1:48
	ds_load_2addr_b64 v[90:93], v2 offset0:49 offset1:50
	s_wait_dscnt 0x1
	v_fmac_f64_e32 v[102:103], v[84:85], v[80:81]
	s_wait_loadcnt 0x4
	s_delay_alu instid0(VALU_DEP_1)
	v_fmac_f64_e32 v[102:103], v[86:87], v[82:83]
	s_clause 0x1
	scratch_load_b128 v[80:83], off, off offset:208
	scratch_load_b128 v[84:87], off, off offset:224
	s_wait_dscnt 0x0
	v_fmac_f64_e32 v[102:103], v[88:89], v[90:91]
	s_wait_loadcnt 0x5
	s_delay_alu instid0(VALU_DEP_1)
	v_fmac_f64_e32 v[102:103], v[98:99], v[92:93]
	ds_load_2addr_b64 v[88:91], v2 offset0:51 offset1:52
	ds_load_2addr_b64 v[92:95], v2 offset0:53 offset1:54
	scratch_load_b64 v[96:97], off, off offset:240
	s_wait_dscnt 0x1
	v_fmac_f64_e32 v[102:103], v[100:101], v[88:89]
	s_wait_loadcnt 0x5
	s_delay_alu instid0(VALU_DEP_1) | instskip(SKIP_1) | instid1(VALU_DEP_1)
	v_fmac_f64_e32 v[102:103], v[68:69], v[90:91]
	s_wait_dscnt 0x0
	v_fmac_f64_e32 v[102:103], v[70:71], v[92:93]
	ds_load_2addr_b64 v[68:71], v2 offset0:55 offset1:56
	ds_load_2addr_b64 v[88:91], v2 offset0:57 offset1:58
	s_wait_loadcnt 0x4
	v_fmac_f64_e32 v[102:103], v[72:73], v[94:95]
	s_wait_dscnt 0x1
	s_delay_alu instid0(VALU_DEP_1) | instskip(SKIP_1) | instid1(VALU_DEP_1)
	v_fmac_f64_e32 v[102:103], v[74:75], v[68:69]
	s_wait_loadcnt 0x3
	v_fmac_f64_e32 v[102:103], v[76:77], v[70:71]
	ds_load_2addr_b64 v[68:71], v2 offset0:59 offset1:60
	ds_load_2addr_b64 v[72:75], v2 offset0:61 offset1:62
	s_wait_dscnt 0x2
	v_fmac_f64_e32 v[102:103], v[78:79], v[88:89]
	s_wait_loadcnt 0x2
	s_delay_alu instid0(VALU_DEP_1) | instskip(SKIP_1) | instid1(VALU_DEP_1)
	v_fmac_f64_e32 v[102:103], v[80:81], v[90:91]
	s_wait_dscnt 0x1
	v_fmac_f64_e32 v[102:103], v[82:83], v[68:69]
	s_wait_loadcnt 0x1
	s_delay_alu instid0(VALU_DEP_1) | instskip(SKIP_1) | instid1(VALU_DEP_1)
	v_fmac_f64_e32 v[102:103], v[84:85], v[70:71]
	s_wait_dscnt 0x0
	v_fmac_f64_e32 v[102:103], v[86:87], v[72:73]
	s_wait_loadcnt 0x0
	s_delay_alu instid0(VALU_DEP_1) | instskip(NEXT) | instid1(VALU_DEP_1)
	v_fmac_f64_e32 v[102:103], v[96:97], v[74:75]
	v_add_f64_e64 v[2:3], v[66:67], -v[102:103]
	scratch_store_b64 off, v[2:3], off offset:48
	s_wait_xcnt 0x0
	v_cmpx_lt_u32_e32 5, v0
	s_cbranch_execz .LBB94_185
; %bb.184:
	scratch_load_b64 v[2:3], off, off offset:40
	v_mov_b64_e32 v[66:67], 0
	scratch_store_b64 off, v[66:67], off offset:40
	s_wait_loadcnt 0x0
	ds_store_b64 v1, v[2:3]
.LBB94_185:
	s_wait_xcnt 0x0
	s_or_b32 exec_lo, exec_lo, s0
	s_wait_storecnt_dscnt 0x0
	s_barrier_signal -1
	s_barrier_wait -1
	s_clause 0x5
	scratch_load_b128 v[66:69], off, off offset:40
	scratch_load_b128 v[70:73], off, off offset:56
	scratch_load_b128 v[74:77], off, off offset:72
	scratch_load_b128 v[78:81], off, off offset:88
	scratch_load_b128 v[82:85], off, off offset:104
	scratch_load_b128 v[86:89], off, off offset:120
	v_mov_b32_e32 v2, 0
	ds_load_b128 v[90:93], v2 offset:304
	ds_load_b128 v[94:97], v2 offset:320
	scratch_load_b128 v[98:101], off, off offset:136
	s_mov_b32 s0, exec_lo
	s_wait_loadcnt_dscnt 0x601
	v_fma_f64 v[102:103], v[68:69], v[90:91], 0
	s_wait_loadcnt 0x5
	s_delay_alu instid0(VALU_DEP_1) | instskip(SKIP_4) | instid1(VALU_DEP_1)
	v_fmac_f64_e32 v[102:103], v[70:71], v[92:93]
	scratch_load_b128 v[68:71], off, off offset:152
	s_wait_dscnt 0x0
	v_fmac_f64_e32 v[102:103], v[72:73], v[94:95]
	s_wait_loadcnt 0x5
	v_fmac_f64_e32 v[102:103], v[74:75], v[96:97]
	ds_load_b128 v[72:75], v2 offset:336
	ds_load_b128 v[90:93], v2 offset:352
	s_wait_dscnt 0x1
	v_fmac_f64_e32 v[102:103], v[76:77], v[72:73]
	s_wait_loadcnt 0x4
	s_delay_alu instid0(VALU_DEP_1)
	v_fmac_f64_e32 v[102:103], v[78:79], v[74:75]
	s_clause 0x1
	scratch_load_b128 v[72:75], off, off offset:168
	scratch_load_b128 v[76:79], off, off offset:184
	s_wait_dscnt 0x0
	v_fmac_f64_e32 v[102:103], v[80:81], v[90:91]
	s_wait_loadcnt 0x5
	s_delay_alu instid0(VALU_DEP_1)
	v_fmac_f64_e32 v[102:103], v[82:83], v[92:93]
	ds_load_b128 v[80:83], v2 offset:368
	ds_load_b128 v[90:93], v2 offset:384
	s_wait_dscnt 0x1
	v_fmac_f64_e32 v[102:103], v[84:85], v[80:81]
	s_wait_loadcnt 0x4
	s_delay_alu instid0(VALU_DEP_1)
	v_fmac_f64_e32 v[102:103], v[86:87], v[82:83]
	s_clause 0x1
	scratch_load_b128 v[80:83], off, off offset:200
	scratch_load_b128 v[84:87], off, off offset:216
	s_wait_dscnt 0x0
	v_fmac_f64_e32 v[102:103], v[88:89], v[90:91]
	s_wait_loadcnt 0x5
	s_delay_alu instid0(VALU_DEP_1)
	v_fmac_f64_e32 v[102:103], v[98:99], v[92:93]
	ds_load_b128 v[88:91], v2 offset:400
	ds_load_b128 v[92:95], v2 offset:416
	s_wait_dscnt 0x1
	v_fmac_f64_e32 v[102:103], v[100:101], v[88:89]
	s_wait_loadcnt 0x4
	s_delay_alu instid0(VALU_DEP_1) | instskip(SKIP_4) | instid1(VALU_DEP_1)
	v_fmac_f64_e32 v[102:103], v[68:69], v[90:91]
	scratch_load_b128 v[88:91], off, off offset:232
	s_wait_dscnt 0x0
	v_fmac_f64_e32 v[102:103], v[70:71], v[92:93]
	s_wait_loadcnt 0x4
	v_fmac_f64_e32 v[102:103], v[72:73], v[94:95]
	ds_load_b128 v[68:71], v2 offset:432
	ds_load_b128 v[92:95], v2 offset:448
	s_wait_dscnt 0x1
	v_fmac_f64_e32 v[102:103], v[74:75], v[68:69]
	s_wait_loadcnt 0x3
	s_delay_alu instid0(VALU_DEP_1)
	v_fmac_f64_e32 v[102:103], v[76:77], v[70:71]
	ds_load_b128 v[68:71], v2 offset:464
	ds_load_b128 v[72:75], v2 offset:480
	s_wait_dscnt 0x2
	v_fmac_f64_e32 v[102:103], v[78:79], v[92:93]
	s_wait_loadcnt 0x2
	s_delay_alu instid0(VALU_DEP_1) | instskip(SKIP_1) | instid1(VALU_DEP_1)
	v_fmac_f64_e32 v[102:103], v[80:81], v[94:95]
	s_wait_dscnt 0x1
	v_fmac_f64_e32 v[102:103], v[82:83], v[68:69]
	ds_load_b64 v[68:69], v2 offset:496
	s_wait_loadcnt 0x1
	v_fmac_f64_e32 v[102:103], v[84:85], v[70:71]
	s_wait_dscnt 0x1
	s_delay_alu instid0(VALU_DEP_1) | instskip(SKIP_1) | instid1(VALU_DEP_1)
	v_fmac_f64_e32 v[102:103], v[86:87], v[72:73]
	s_wait_loadcnt 0x0
	v_fmac_f64_e32 v[102:103], v[88:89], v[74:75]
	s_wait_dscnt 0x0
	s_delay_alu instid0(VALU_DEP_1) | instskip(NEXT) | instid1(VALU_DEP_1)
	v_fmac_f64_e32 v[102:103], v[90:91], v[68:69]
	v_add_f64_e64 v[66:67], v[66:67], -v[102:103]
	scratch_store_b64 off, v[66:67], off offset:40
	s_wait_xcnt 0x0
	v_cmpx_lt_u32_e32 4, v0
	s_cbranch_execz .LBB94_187
; %bb.186:
	scratch_load_b64 v[66:67], off, off offset:32
	v_mov_b64_e32 v[68:69], 0
	scratch_store_b64 off, v[68:69], off offset:32
	s_wait_loadcnt 0x0
	ds_store_b64 v1, v[66:67]
.LBB94_187:
	s_wait_xcnt 0x0
	s_or_b32 exec_lo, exec_lo, s0
	s_wait_storecnt_dscnt 0x0
	s_barrier_signal -1
	s_barrier_wait -1
	s_clause 0x5
	scratch_load_b128 v[66:69], off, off offset:32
	scratch_load_b128 v[70:73], off, off offset:48
	;; [unrolled: 1-line block ×6, first 2 shown]
	ds_load_2addr_b64 v[90:93], v2 offset0:37 offset1:38
	ds_load_2addr_b64 v[94:97], v2 offset0:39 offset1:40
	scratch_load_b128 v[98:101], off, off offset:128
	s_mov_b32 s0, exec_lo
	s_wait_loadcnt_dscnt 0x601
	v_fma_f64 v[102:103], v[68:69], v[90:91], 0
	s_wait_loadcnt 0x5
	s_delay_alu instid0(VALU_DEP_1) | instskip(SKIP_4) | instid1(VALU_DEP_1)
	v_fmac_f64_e32 v[102:103], v[70:71], v[92:93]
	scratch_load_b128 v[68:71], off, off offset:144
	s_wait_dscnt 0x0
	v_fmac_f64_e32 v[102:103], v[72:73], v[94:95]
	s_wait_loadcnt 0x5
	v_fmac_f64_e32 v[102:103], v[74:75], v[96:97]
	ds_load_2addr_b64 v[72:75], v2 offset0:41 offset1:42
	ds_load_2addr_b64 v[90:93], v2 offset0:43 offset1:44
	scratch_load_b128 v[94:97], off, off offset:160
	s_wait_dscnt 0x1
	v_fmac_f64_e32 v[102:103], v[76:77], v[72:73]
	s_wait_loadcnt 0x5
	s_delay_alu instid0(VALU_DEP_1) | instskip(SKIP_4) | instid1(VALU_DEP_1)
	v_fmac_f64_e32 v[102:103], v[78:79], v[74:75]
	scratch_load_b128 v[72:75], off, off offset:176
	s_wait_dscnt 0x0
	v_fmac_f64_e32 v[102:103], v[80:81], v[90:91]
	s_wait_loadcnt 0x5
	v_fmac_f64_e32 v[102:103], v[82:83], v[92:93]
	ds_load_2addr_b64 v[76:79], v2 offset0:45 offset1:46
	ds_load_2addr_b64 v[80:83], v2 offset0:47 offset1:48
	s_wait_dscnt 0x1
	v_fmac_f64_e32 v[102:103], v[84:85], v[76:77]
	s_wait_loadcnt 0x4
	s_delay_alu instid0(VALU_DEP_1) | instskip(SKIP_4) | instid1(VALU_DEP_1)
	v_fmac_f64_e32 v[102:103], v[86:87], v[78:79]
	scratch_load_b128 v[76:79], off, off offset:192
	s_wait_dscnt 0x0
	v_fmac_f64_e32 v[102:103], v[88:89], v[80:81]
	s_wait_loadcnt 0x4
	v_fmac_f64_e32 v[102:103], v[98:99], v[82:83]
	scratch_load_b128 v[80:83], off, off offset:208
	ds_load_2addr_b64 v[84:87], v2 offset0:49 offset1:50
	ds_load_2addr_b64 v[88:91], v2 offset0:51 offset1:52
	scratch_load_b64 v[92:93], off, off offset:240
	s_wait_dscnt 0x1
	v_fmac_f64_e32 v[102:103], v[100:101], v[84:85]
	s_wait_loadcnt 0x5
	s_delay_alu instid0(VALU_DEP_1) | instskip(SKIP_4) | instid1(VALU_DEP_1)
	v_fmac_f64_e32 v[102:103], v[68:69], v[86:87]
	scratch_load_b128 v[84:87], off, off offset:224
	s_wait_dscnt 0x0
	v_fmac_f64_e32 v[102:103], v[70:71], v[88:89]
	s_wait_loadcnt 0x5
	v_fmac_f64_e32 v[102:103], v[94:95], v[90:91]
	ds_load_2addr_b64 v[68:71], v2 offset0:53 offset1:54
	ds_load_2addr_b64 v[88:91], v2 offset0:55 offset1:56
	s_wait_dscnt 0x1
	v_fmac_f64_e32 v[102:103], v[96:97], v[68:69]
	s_wait_loadcnt 0x4
	s_delay_alu instid0(VALU_DEP_1) | instskip(SKIP_1) | instid1(VALU_DEP_1)
	v_fmac_f64_e32 v[102:103], v[72:73], v[70:71]
	s_wait_dscnt 0x0
	v_fmac_f64_e32 v[102:103], v[74:75], v[88:89]
	ds_load_2addr_b64 v[68:71], v2 offset0:57 offset1:58
	ds_load_2addr_b64 v[72:75], v2 offset0:59 offset1:60
	s_wait_loadcnt 0x3
	v_fmac_f64_e32 v[102:103], v[76:77], v[90:91]
	s_wait_dscnt 0x1
	s_delay_alu instid0(VALU_DEP_1) | instskip(SKIP_1) | instid1(VALU_DEP_1)
	v_fmac_f64_e32 v[102:103], v[78:79], v[68:69]
	s_wait_loadcnt 0x2
	v_fmac_f64_e32 v[102:103], v[80:81], v[70:71]
	ds_load_2addr_b64 v[68:71], v2 offset0:61 offset1:62
	s_wait_dscnt 0x1
	v_fmac_f64_e32 v[102:103], v[82:83], v[72:73]
	s_wait_loadcnt 0x0
	s_delay_alu instid0(VALU_DEP_1) | instskip(SKIP_1) | instid1(VALU_DEP_1)
	v_fmac_f64_e32 v[102:103], v[84:85], v[74:75]
	s_wait_dscnt 0x0
	v_fmac_f64_e32 v[102:103], v[86:87], v[68:69]
	s_delay_alu instid0(VALU_DEP_1) | instskip(NEXT) | instid1(VALU_DEP_1)
	v_fmac_f64_e32 v[102:103], v[92:93], v[70:71]
	v_add_f64_e64 v[2:3], v[66:67], -v[102:103]
	scratch_store_b64 off, v[2:3], off offset:32
	s_wait_xcnt 0x0
	v_cmpx_lt_u32_e32 3, v0
	s_cbranch_execz .LBB94_189
; %bb.188:
	scratch_load_b64 v[2:3], off, off offset:24
	v_mov_b64_e32 v[66:67], 0
	scratch_store_b64 off, v[66:67], off offset:24
	s_wait_loadcnt 0x0
	ds_store_b64 v1, v[2:3]
.LBB94_189:
	s_wait_xcnt 0x0
	s_or_b32 exec_lo, exec_lo, s0
	s_wait_storecnt_dscnt 0x0
	s_barrier_signal -1
	s_barrier_wait -1
	s_clause 0x5
	scratch_load_b128 v[66:69], off, off offset:24
	scratch_load_b128 v[70:73], off, off offset:40
	;; [unrolled: 1-line block ×6, first 2 shown]
	v_mov_b32_e32 v2, 0
	ds_load_b128 v[90:93], v2 offset:288
	ds_load_b128 v[94:97], v2 offset:304
	scratch_load_b128 v[98:101], off, off offset:120
	s_mov_b32 s0, exec_lo
	s_wait_loadcnt_dscnt 0x601
	v_fma_f64 v[102:103], v[68:69], v[90:91], 0
	s_wait_loadcnt 0x5
	s_delay_alu instid0(VALU_DEP_1) | instskip(SKIP_4) | instid1(VALU_DEP_1)
	v_fmac_f64_e32 v[102:103], v[70:71], v[92:93]
	scratch_load_b128 v[68:71], off, off offset:136
	s_wait_dscnt 0x0
	v_fmac_f64_e32 v[102:103], v[72:73], v[94:95]
	s_wait_loadcnt 0x5
	v_fmac_f64_e32 v[102:103], v[74:75], v[96:97]
	ds_load_b128 v[72:75], v2 offset:320
	ds_load_b128 v[90:93], v2 offset:336
	scratch_load_b128 v[94:97], off, off offset:152
	s_wait_dscnt 0x1
	v_fmac_f64_e32 v[102:103], v[76:77], v[72:73]
	s_wait_loadcnt 0x5
	s_delay_alu instid0(VALU_DEP_1) | instskip(SKIP_4) | instid1(VALU_DEP_1)
	v_fmac_f64_e32 v[102:103], v[78:79], v[74:75]
	scratch_load_b128 v[72:75], off, off offset:168
	s_wait_dscnt 0x0
	v_fmac_f64_e32 v[102:103], v[80:81], v[90:91]
	s_wait_loadcnt 0x5
	v_fmac_f64_e32 v[102:103], v[82:83], v[92:93]
	ds_load_b128 v[76:79], v2 offset:352
	ds_load_b128 v[80:83], v2 offset:368
	s_wait_dscnt 0x1
	v_fmac_f64_e32 v[102:103], v[84:85], v[76:77]
	s_wait_loadcnt 0x4
	s_delay_alu instid0(VALU_DEP_1) | instskip(SKIP_4) | instid1(VALU_DEP_1)
	v_fmac_f64_e32 v[102:103], v[86:87], v[78:79]
	scratch_load_b128 v[76:79], off, off offset:184
	s_wait_dscnt 0x0
	v_fmac_f64_e32 v[102:103], v[88:89], v[80:81]
	s_wait_loadcnt 0x4
	v_fmac_f64_e32 v[102:103], v[98:99], v[82:83]
	scratch_load_b128 v[80:83], off, off offset:200
	ds_load_b128 v[84:87], v2 offset:384
	ds_load_b128 v[88:91], v2 offset:400
	s_wait_dscnt 0x1
	v_fmac_f64_e32 v[102:103], v[100:101], v[84:85]
	s_wait_loadcnt 0x4
	s_delay_alu instid0(VALU_DEP_1)
	v_fmac_f64_e32 v[102:103], v[68:69], v[86:87]
	scratch_load_b128 v[84:87], off, off offset:216
	s_wait_dscnt 0x0
	v_fmac_f64_e32 v[102:103], v[70:71], v[88:89]
	scratch_load_b128 v[68:71], off, off offset:232
	s_wait_loadcnt 0x5
	v_fmac_f64_e32 v[102:103], v[94:95], v[90:91]
	ds_load_b128 v[88:91], v2 offset:416
	ds_load_b128 v[92:95], v2 offset:432
	s_wait_dscnt 0x1
	v_fmac_f64_e32 v[102:103], v[96:97], v[88:89]
	s_wait_loadcnt 0x4
	s_delay_alu instid0(VALU_DEP_1) | instskip(SKIP_1) | instid1(VALU_DEP_1)
	v_fmac_f64_e32 v[102:103], v[72:73], v[90:91]
	s_wait_dscnt 0x0
	v_fmac_f64_e32 v[102:103], v[74:75], v[92:93]
	ds_load_b128 v[72:75], v2 offset:448
	ds_load_b128 v[88:91], v2 offset:464
	s_wait_loadcnt 0x3
	v_fmac_f64_e32 v[102:103], v[76:77], v[94:95]
	s_wait_dscnt 0x1
	s_delay_alu instid0(VALU_DEP_1) | instskip(SKIP_1) | instid1(VALU_DEP_1)
	v_fmac_f64_e32 v[102:103], v[78:79], v[72:73]
	s_wait_loadcnt 0x2
	v_fmac_f64_e32 v[102:103], v[80:81], v[74:75]
	ds_load_b128 v[72:75], v2 offset:480
	ds_load_b64 v[76:77], v2 offset:496
	s_wait_dscnt 0x2
	v_fmac_f64_e32 v[102:103], v[82:83], v[88:89]
	s_wait_loadcnt 0x1
	s_delay_alu instid0(VALU_DEP_1) | instskip(SKIP_1) | instid1(VALU_DEP_1)
	v_fmac_f64_e32 v[102:103], v[84:85], v[90:91]
	s_wait_dscnt 0x1
	v_fmac_f64_e32 v[102:103], v[86:87], v[72:73]
	s_wait_loadcnt 0x0
	s_delay_alu instid0(VALU_DEP_1) | instskip(SKIP_1) | instid1(VALU_DEP_1)
	v_fmac_f64_e32 v[102:103], v[68:69], v[74:75]
	s_wait_dscnt 0x0
	v_fmac_f64_e32 v[102:103], v[70:71], v[76:77]
	s_delay_alu instid0(VALU_DEP_1)
	v_add_f64_e64 v[66:67], v[66:67], -v[102:103]
	scratch_store_b64 off, v[66:67], off offset:24
	s_wait_xcnt 0x0
	v_cmpx_lt_u32_e32 2, v0
	s_cbranch_execz .LBB94_191
; %bb.190:
	scratch_load_b64 v[66:67], off, off offset:16
	v_mov_b64_e32 v[68:69], 0
	scratch_store_b64 off, v[68:69], off offset:16
	s_wait_loadcnt 0x0
	ds_store_b64 v1, v[66:67]
.LBB94_191:
	s_wait_xcnt 0x0
	s_or_b32 exec_lo, exec_lo, s0
	s_wait_storecnt_dscnt 0x0
	s_barrier_signal -1
	s_barrier_wait -1
	s_clause 0x5
	scratch_load_b128 v[66:69], off, off offset:16
	scratch_load_b128 v[70:73], off, off offset:32
	scratch_load_b128 v[74:77], off, off offset:48
	scratch_load_b128 v[78:81], off, off offset:64
	scratch_load_b128 v[82:85], off, off offset:80
	scratch_load_b128 v[86:89], off, off offset:96
	ds_load_2addr_b64 v[90:93], v2 offset0:35 offset1:36
	ds_load_2addr_b64 v[94:97], v2 offset0:37 offset1:38
	scratch_load_b128 v[98:101], off, off offset:112
	s_mov_b32 s0, exec_lo
	s_wait_loadcnt_dscnt 0x601
	v_fma_f64 v[102:103], v[68:69], v[90:91], 0
	s_wait_loadcnt 0x5
	s_delay_alu instid0(VALU_DEP_1) | instskip(SKIP_4) | instid1(VALU_DEP_1)
	v_fmac_f64_e32 v[102:103], v[70:71], v[92:93]
	scratch_load_b128 v[68:71], off, off offset:128
	s_wait_dscnt 0x0
	v_fmac_f64_e32 v[102:103], v[72:73], v[94:95]
	s_wait_loadcnt 0x5
	v_fmac_f64_e32 v[102:103], v[74:75], v[96:97]
	ds_load_2addr_b64 v[72:75], v2 offset0:39 offset1:40
	ds_load_2addr_b64 v[90:93], v2 offset0:41 offset1:42
	scratch_load_b128 v[94:97], off, off offset:144
	s_wait_dscnt 0x1
	v_fmac_f64_e32 v[102:103], v[76:77], v[72:73]
	s_wait_loadcnt 0x5
	s_delay_alu instid0(VALU_DEP_1) | instskip(SKIP_4) | instid1(VALU_DEP_1)
	v_fmac_f64_e32 v[102:103], v[78:79], v[74:75]
	scratch_load_b128 v[72:75], off, off offset:160
	s_wait_dscnt 0x0
	v_fmac_f64_e32 v[102:103], v[80:81], v[90:91]
	s_wait_loadcnt 0x5
	v_fmac_f64_e32 v[102:103], v[82:83], v[92:93]
	ds_load_2addr_b64 v[76:79], v2 offset0:43 offset1:44
	ds_load_2addr_b64 v[80:83], v2 offset0:45 offset1:46
	s_wait_dscnt 0x1
	v_fmac_f64_e32 v[102:103], v[84:85], v[76:77]
	s_wait_loadcnt 0x4
	s_delay_alu instid0(VALU_DEP_1) | instskip(SKIP_4) | instid1(VALU_DEP_1)
	v_fmac_f64_e32 v[102:103], v[86:87], v[78:79]
	scratch_load_b128 v[76:79], off, off offset:176
	s_wait_dscnt 0x0
	v_fmac_f64_e32 v[102:103], v[88:89], v[80:81]
	s_wait_loadcnt 0x4
	v_fmac_f64_e32 v[102:103], v[98:99], v[82:83]
	scratch_load_b128 v[80:83], off, off offset:192
	ds_load_2addr_b64 v[84:87], v2 offset0:47 offset1:48
	ds_load_2addr_b64 v[88:91], v2 offset0:49 offset1:50
	s_wait_dscnt 0x1
	v_fmac_f64_e32 v[102:103], v[100:101], v[84:85]
	s_wait_loadcnt 0x4
	s_delay_alu instid0(VALU_DEP_1)
	v_fmac_f64_e32 v[102:103], v[68:69], v[86:87]
	scratch_load_b128 v[84:87], off, off offset:208
	s_wait_dscnt 0x0
	v_fmac_f64_e32 v[102:103], v[70:71], v[88:89]
	scratch_load_b128 v[68:71], off, off offset:224
	s_wait_loadcnt 0x5
	v_fmac_f64_e32 v[102:103], v[94:95], v[90:91]
	ds_load_2addr_b64 v[88:91], v2 offset0:51 offset1:52
	ds_load_2addr_b64 v[92:95], v2 offset0:53 offset1:54
	s_wait_dscnt 0x1
	v_fmac_f64_e32 v[102:103], v[96:97], v[88:89]
	scratch_load_b64 v[96:97], off, off offset:240
	s_wait_loadcnt 0x5
	v_fmac_f64_e32 v[102:103], v[72:73], v[90:91]
	s_wait_dscnt 0x0
	s_delay_alu instid0(VALU_DEP_1)
	v_fmac_f64_e32 v[102:103], v[74:75], v[92:93]
	ds_load_2addr_b64 v[72:75], v2 offset0:55 offset1:56
	ds_load_2addr_b64 v[88:91], v2 offset0:57 offset1:58
	s_wait_loadcnt 0x4
	v_fmac_f64_e32 v[102:103], v[76:77], v[94:95]
	s_wait_dscnt 0x1
	s_delay_alu instid0(VALU_DEP_1) | instskip(SKIP_1) | instid1(VALU_DEP_1)
	v_fmac_f64_e32 v[102:103], v[78:79], v[72:73]
	s_wait_loadcnt 0x3
	v_fmac_f64_e32 v[102:103], v[80:81], v[74:75]
	ds_load_2addr_b64 v[72:75], v2 offset0:59 offset1:60
	ds_load_2addr_b64 v[76:79], v2 offset0:61 offset1:62
	s_wait_dscnt 0x2
	v_fmac_f64_e32 v[102:103], v[82:83], v[88:89]
	s_wait_loadcnt 0x2
	s_delay_alu instid0(VALU_DEP_1) | instskip(SKIP_1) | instid1(VALU_DEP_1)
	v_fmac_f64_e32 v[102:103], v[84:85], v[90:91]
	s_wait_dscnt 0x1
	v_fmac_f64_e32 v[102:103], v[86:87], v[72:73]
	s_wait_loadcnt 0x1
	s_delay_alu instid0(VALU_DEP_1) | instskip(SKIP_1) | instid1(VALU_DEP_1)
	v_fmac_f64_e32 v[102:103], v[68:69], v[74:75]
	s_wait_dscnt 0x0
	v_fmac_f64_e32 v[102:103], v[70:71], v[76:77]
	s_wait_loadcnt 0x0
	s_delay_alu instid0(VALU_DEP_1) | instskip(NEXT) | instid1(VALU_DEP_1)
	v_fmac_f64_e32 v[102:103], v[96:97], v[78:79]
	v_add_f64_e64 v[2:3], v[66:67], -v[102:103]
	scratch_store_b64 off, v[2:3], off offset:16
	s_wait_xcnt 0x0
	v_cmpx_lt_u32_e32 1, v0
	s_cbranch_execz .LBB94_193
; %bb.192:
	scratch_load_b64 v[2:3], off, off offset:8
	v_mov_b64_e32 v[66:67], 0
	scratch_store_b64 off, v[66:67], off offset:8
	s_wait_loadcnt 0x0
	ds_store_b64 v1, v[2:3]
.LBB94_193:
	s_wait_xcnt 0x0
	s_or_b32 exec_lo, exec_lo, s0
	s_wait_storecnt_dscnt 0x0
	s_barrier_signal -1
	s_barrier_wait -1
	s_clause 0x3
	scratch_load_b128 v[68:71], off, off offset:8
	scratch_load_b128 v[72:75], off, off offset:24
	;; [unrolled: 1-line block ×4, first 2 shown]
	v_dual_mov_b32 v66, 0 :: v_dual_ashrrev_i32 v9, 31, v8
	ds_load_b128 v[84:87], v66 offset:272
	ds_load_b128 v[88:91], v66 offset:288
	scratch_load_b128 v[92:95], off, off offset:72
	v_dual_ashrrev_i32 v11, 31, v10 :: v_dual_ashrrev_i32 v13, 31, v12
	v_dual_ashrrev_i32 v15, 31, v14 :: v_dual_ashrrev_i32 v21, 31, v20
	;; [unrolled: 1-line block ×13, first 2 shown]
	v_ashrrev_i32_e32 v63, 31, v62
	s_mov_b32 s0, exec_lo
	v_ashrrev_i32_e32 v17, 31, v16
	s_wait_loadcnt_dscnt 0x401
	v_fma_f64 v[2:3], v[70:71], v[84:85], 0
	s_wait_loadcnt 0x3
	s_delay_alu instid0(VALU_DEP_1) | instskip(SKIP_4) | instid1(VALU_DEP_1)
	v_fmac_f64_e32 v[2:3], v[72:73], v[86:87]
	scratch_load_b128 v[70:73], off, off offset:88
	s_wait_dscnt 0x0
	v_fmac_f64_e32 v[2:3], v[74:75], v[88:89]
	s_wait_loadcnt 0x3
	v_fmac_f64_e32 v[2:3], v[76:77], v[90:91]
	ds_load_b128 v[74:77], v66 offset:304
	ds_load_b128 v[84:87], v66 offset:320
	scratch_load_b128 v[88:91], off, off offset:104
	s_wait_dscnt 0x1
	v_fmac_f64_e32 v[2:3], v[78:79], v[74:75]
	s_wait_loadcnt 0x3
	s_delay_alu instid0(VALU_DEP_1)
	v_fmac_f64_e32 v[2:3], v[80:81], v[76:77]
	scratch_load_b128 v[74:77], off, off offset:120
	s_wait_dscnt 0x0
	v_fmac_f64_e32 v[2:3], v[82:83], v[84:85]
	ds_load_b128 v[78:81], v66 offset:336
	ds_load_b128 v[82:85], v66 offset:352
	s_wait_loadcnt 0x3
	v_fmac_f64_e32 v[2:3], v[92:93], v[86:87]
	s_wait_dscnt 0x1
	s_delay_alu instid0(VALU_DEP_1) | instskip(SKIP_4) | instid1(VALU_DEP_1)
	v_fmac_f64_e32 v[2:3], v[94:95], v[78:79]
	scratch_load_b128 v[92:95], off, off offset:136
	s_wait_loadcnt 0x3
	v_fmac_f64_e32 v[2:3], v[70:71], v[80:81]
	s_wait_dscnt 0x0
	v_fmac_f64_e32 v[2:3], v[72:73], v[82:83]
	scratch_load_b128 v[70:73], off, off offset:152
	s_wait_loadcnt 0x3
	v_fmac_f64_e32 v[2:3], v[88:89], v[84:85]
	ds_load_b128 v[78:81], v66 offset:368
	ds_load_b128 v[82:85], v66 offset:384
	scratch_load_b128 v[86:89], off, off offset:168
	s_wait_dscnt 0x1
	v_fmac_f64_e32 v[2:3], v[90:91], v[78:79]
	s_wait_loadcnt 0x3
	s_delay_alu instid0(VALU_DEP_1) | instskip(SKIP_1) | instid1(VALU_DEP_1)
	v_fmac_f64_e32 v[2:3], v[74:75], v[80:81]
	s_wait_dscnt 0x0
	v_fmac_f64_e32 v[2:3], v[76:77], v[82:83]
	scratch_load_b128 v[74:77], off, off offset:184
	s_wait_loadcnt 0x3
	v_fmac_f64_e32 v[2:3], v[92:93], v[84:85]
	ds_load_b128 v[78:81], v66 offset:400
	ds_load_b128 v[82:85], v66 offset:416
	scratch_load_b128 v[90:93], off, off offset:200
	s_wait_dscnt 0x1
	v_fmac_f64_e32 v[2:3], v[94:95], v[78:79]
	s_wait_loadcnt 0x3
	s_delay_alu instid0(VALU_DEP_1) | instskip(SKIP_1) | instid1(VALU_DEP_1)
	v_fmac_f64_e32 v[2:3], v[70:71], v[80:81]
	s_wait_dscnt 0x0
	v_fmac_f64_e32 v[2:3], v[72:73], v[82:83]
	scratch_load_b128 v[70:73], off, off offset:216
	s_wait_loadcnt 0x3
	v_fmac_f64_e32 v[2:3], v[86:87], v[84:85]
	ds_load_b128 v[78:81], v66 offset:432
	ds_load_b128 v[82:85], v66 offset:448
	s_wait_dscnt 0x1
	v_fmac_f64_e32 v[2:3], v[88:89], v[78:79]
	scratch_load_b128 v[86:89], off, off offset:232
	s_wait_loadcnt 0x3
	v_fmac_f64_e32 v[2:3], v[74:75], v[80:81]
	s_wait_dscnt 0x0
	s_delay_alu instid0(VALU_DEP_1)
	v_fmac_f64_e32 v[2:3], v[76:77], v[82:83]
	ds_load_b128 v[74:77], v66 offset:464
	ds_load_b128 v[78:81], v66 offset:480
	s_wait_loadcnt 0x2
	v_fmac_f64_e32 v[2:3], v[90:91], v[84:85]
	s_wait_dscnt 0x1
	s_delay_alu instid0(VALU_DEP_1) | instskip(SKIP_1) | instid1(VALU_DEP_1)
	v_fmac_f64_e32 v[2:3], v[92:93], v[74:75]
	s_wait_loadcnt 0x1
	v_fmac_f64_e32 v[2:3], v[70:71], v[76:77]
	ds_load_b64 v[70:71], v66 offset:496
	s_wait_dscnt 0x1
	v_fmac_f64_e32 v[2:3], v[72:73], v[78:79]
	s_wait_loadcnt 0x0
	s_delay_alu instid0(VALU_DEP_1) | instskip(SKIP_1) | instid1(VALU_DEP_1)
	v_fmac_f64_e32 v[2:3], v[86:87], v[80:81]
	s_wait_dscnt 0x0
	v_fmac_f64_e32 v[2:3], v[88:89], v[70:71]
	s_delay_alu instid0(VALU_DEP_1)
	v_add_f64_e64 v[2:3], v[68:69], -v[2:3]
	scratch_store_b64 off, v[2:3], off offset:8
	s_wait_xcnt 0x0
	v_cmpx_ne_u32_e32 0, v0
	s_cbranch_execz .LBB94_195
; %bb.194:
	scratch_load_b64 v[2:3], off, off
	v_mov_b64_e32 v[68:69], 0
	scratch_store_b64 off, v[68:69], off
	s_wait_loadcnt 0x0
	ds_store_b64 v1, v[2:3]
.LBB94_195:
	s_wait_xcnt 0x0
	s_or_b32 exec_lo, exec_lo, s0
	s_wait_storecnt_dscnt 0x0
	s_barrier_signal -1
	s_barrier_wait -1
	s_clause 0x5
	scratch_load_b128 v[68:71], off, off
	scratch_load_b128 v[0:3], off, off offset:16
	scratch_load_b128 v[72:75], off, off offset:32
	;; [unrolled: 1-line block ×5, first 2 shown]
	ds_load_2addr_b64 v[88:91], v66 offset0:33 offset1:34
	scratch_load_b128 v[92:95], off, off offset:96
	s_and_b32 vcc_lo, exec_lo, s12
	scratch_load_b128 v[96:99], off, off offset:208
	s_wait_loadcnt_dscnt 0x700
	v_fma_f64 v[100:101], v[70:71], v[88:89], 0
	s_wait_loadcnt 0x6
	s_delay_alu instid0(VALU_DEP_1)
	v_fmac_f64_e32 v[100:101], v[0:1], v[90:91]
	ds_load_2addr_b64 v[88:91], v66 offset0:35 offset1:36
	s_wait_dscnt 0x0
	v_fmac_f64_e32 v[100:101], v[2:3], v[88:89]
	scratch_load_b128 v[0:3], off, off offset:112
	s_wait_loadcnt 0x6
	v_fmac_f64_e32 v[100:101], v[72:73], v[90:91]
	ds_load_2addr_b64 v[70:73], v66 offset0:37 offset1:38
	scratch_load_b128 v[88:91], off, off offset:128
	s_wait_dscnt 0x0
	v_fmac_f64_e32 v[100:101], v[74:75], v[70:71]
	s_wait_loadcnt 0x6
	s_delay_alu instid0(VALU_DEP_1)
	v_fmac_f64_e32 v[100:101], v[76:77], v[72:73]
	ds_load_2addr_b64 v[70:73], v66 offset0:39 offset1:40
	scratch_load_b128 v[74:77], off, off offset:144
	s_wait_dscnt 0x0
	v_fmac_f64_e32 v[100:101], v[78:79], v[70:71]
	s_wait_loadcnt 0x6
	s_delay_alu instid0(VALU_DEP_1)
	;; [unrolled: 7-line block ×4, first 2 shown]
	v_fmac_f64_e32 v[100:101], v[92:93], v[72:73]
	ds_load_2addr_b64 v[70:73], v66 offset0:45 offset1:46
	s_wait_dscnt 0x0
	v_fmac_f64_e32 v[100:101], v[94:95], v[70:71]
	scratch_load_b128 v[92:95], off, off offset:192
	s_wait_loadcnt 0x5
	v_fmac_f64_e32 v[100:101], v[0:1], v[72:73]
	ds_load_2addr_b64 v[70:73], v66 offset0:47 offset1:48
	s_wait_dscnt 0x0
	v_fmac_f64_e32 v[100:101], v[2:3], v[70:71]
	scratch_load_b128 v[0:3], off, off offset:224
	s_wait_loadcnt 0x5
	v_fmac_f64_e32 v[100:101], v[88:89], v[72:73]
	ds_load_2addr_b64 v[70:73], v66 offset0:49 offset1:50
	s_wait_dscnt 0x0
	v_fmac_f64_e32 v[100:101], v[90:91], v[70:71]
	s_wait_loadcnt 0x4
	s_delay_alu instid0(VALU_DEP_1)
	v_fmac_f64_e32 v[100:101], v[74:75], v[72:73]
	ds_load_2addr_b64 v[70:73], v66 offset0:51 offset1:52
	scratch_load_b64 v[74:75], off, off offset:240
	s_wait_dscnt 0x0
	v_fmac_f64_e32 v[100:101], v[76:77], v[70:71]
	s_wait_loadcnt 0x4
	s_delay_alu instid0(VALU_DEP_1) | instskip(SKIP_4) | instid1(VALU_DEP_1)
	v_fmac_f64_e32 v[100:101], v[78:79], v[72:73]
	ds_load_2addr_b64 v[70:73], v66 offset0:53 offset1:54
	s_wait_dscnt 0x0
	v_fmac_f64_e32 v[100:101], v[80:81], v[70:71]
	s_wait_loadcnt 0x3
	v_fmac_f64_e32 v[100:101], v[82:83], v[72:73]
	ds_load_2addr_b64 v[70:73], v66 offset0:55 offset1:56
	s_wait_dscnt 0x0
	v_fmac_f64_e32 v[100:101], v[84:85], v[70:71]
	s_wait_loadcnt 0x2
	s_delay_alu instid0(VALU_DEP_1) | instskip(SKIP_3) | instid1(VALU_DEP_1)
	v_fmac_f64_e32 v[100:101], v[92:93], v[72:73]
	ds_load_2addr_b64 v[70:73], v66 offset0:57 offset1:58
	s_wait_dscnt 0x0
	v_fmac_f64_e32 v[100:101], v[94:95], v[70:71]
	v_fmac_f64_e32 v[100:101], v[96:97], v[72:73]
	ds_load_2addr_b64 v[70:73], v66 offset0:59 offset1:60
	s_wait_dscnt 0x0
	v_fmac_f64_e32 v[100:101], v[98:99], v[70:71]
	s_wait_loadcnt 0x1
	s_delay_alu instid0(VALU_DEP_1) | instskip(SKIP_4) | instid1(VALU_DEP_1)
	v_fmac_f64_e32 v[100:101], v[0:1], v[72:73]
	ds_load_2addr_b64 v[70:73], v66 offset0:61 offset1:62
	s_wait_dscnt 0x0
	v_fmac_f64_e32 v[100:101], v[2:3], v[70:71]
	s_wait_loadcnt 0x0
	v_fmac_f64_e32 v[100:101], v[74:75], v[72:73]
	s_delay_alu instid0(VALU_DEP_1)
	v_add_f64_e64 v[66:67], v[68:69], -v[100:101]
	scratch_store_b64 off, v[66:67], off
	s_cbranch_vccz .LBB94_256
; %bb.196:
	v_mov_b32_e32 v0, 0
	global_load_b32 v1, v0, s[8:9] offset:116
	s_wait_loadcnt 0x0
	v_cmp_ne_u32_e32 vcc_lo, 30, v1
	s_cbranch_vccz .LBB94_198
; %bb.197:
	v_lshlrev_b32_e32 v1, 3, v1
	scratch_load_b64 v[66:67], v1, off offset:-8
	s_wait_loadcnt 0x0
	scratch_store_b64 off, v[66:67], off offset:232
	scratch_store_b64 v1, v[2:3], off offset:-8
.LBB94_198:
	global_load_b32 v0, v0, s[8:9] offset:112
	s_wait_loadcnt 0x0
	v_cmp_eq_u32_e32 vcc_lo, 29, v0
	s_cbranch_vccnz .LBB94_200
; %bb.199:
	s_wait_xcnt 0x0
	v_lshlrev_b32_e32 v0, 3, v0
	s_delay_alu instid0(VALU_DEP_1)
	v_mov_b32_e32 v66, v0
	scratch_load_b64 v[0:1], v66, off offset:-8
	scratch_load_b64 v[2:3], off, off offset:224
	s_wait_loadcnt 0x1
	scratch_store_b64 off, v[0:1], off offset:224
	s_wait_loadcnt 0x0
	scratch_store_b64 v66, v[2:3], off offset:-8
.LBB94_200:
	s_wait_xcnt 0x0
	v_mov_b32_e32 v0, 0
	global_load_b32 v1, v0, s[8:9] offset:108
	s_wait_loadcnt 0x0
	v_cmp_eq_u32_e32 vcc_lo, 28, v1
	s_cbranch_vccnz .LBB94_202
; %bb.201:
	v_lshlrev_b32_e32 v1, 3, v1
	scratch_load_b64 v[2:3], v1, off offset:-8
	scratch_load_b64 v[66:67], off, off offset:216
	s_wait_loadcnt 0x1
	scratch_store_b64 off, v[2:3], off offset:216
	s_wait_loadcnt 0x0
	scratch_store_b64 v1, v[66:67], off offset:-8
.LBB94_202:
	global_load_b32 v0, v0, s[8:9] offset:104
	s_wait_loadcnt 0x0
	v_cmp_eq_u32_e32 vcc_lo, 27, v0
	s_cbranch_vccnz .LBB94_204
; %bb.203:
	s_wait_xcnt 0x0
	v_lshlrev_b32_e32 v0, 3, v0
	s_delay_alu instid0(VALU_DEP_1)
	v_mov_b32_e32 v66, v0
	scratch_load_b64 v[0:1], v66, off offset:-8
	scratch_load_b64 v[2:3], off, off offset:208
	s_wait_loadcnt 0x1
	scratch_store_b64 off, v[0:1], off offset:208
	s_wait_loadcnt 0x0
	scratch_store_b64 v66, v[2:3], off offset:-8
.LBB94_204:
	s_wait_xcnt 0x0
	v_mov_b32_e32 v0, 0
	global_load_b32 v1, v0, s[8:9] offset:100
	s_wait_loadcnt 0x0
	v_cmp_eq_u32_e32 vcc_lo, 26, v1
	s_cbranch_vccnz .LBB94_206
; %bb.205:
	v_lshlrev_b32_e32 v1, 3, v1
	scratch_load_b64 v[2:3], v1, off offset:-8
	scratch_load_b64 v[66:67], off, off offset:200
	s_wait_loadcnt 0x1
	scratch_store_b64 off, v[2:3], off offset:200
	s_wait_loadcnt 0x0
	scratch_store_b64 v1, v[66:67], off offset:-8
.LBB94_206:
	;; [unrolled: 31-line block ×14, first 2 shown]
	global_load_b32 v0, v0, s[8:9]
	scratch_load_b64 v[66:67], off, off
	s_wait_loadcnt 0x1
	v_cmp_eq_u32_e32 vcc_lo, 1, v0
	s_cbranch_vccnz .LBB94_256
; %bb.255:
	s_wait_xcnt 0x1
	v_lshlrev_b32_e32 v0, 3, v0
	s_delay_alu instid0(VALU_DEP_1)
	v_mov_b32_e32 v2, v0
	scratch_load_b64 v[0:1], v2, off offset:-8
	s_wait_loadcnt 0x0
	scratch_store_b64 off, v[0:1], off
	scratch_store_b64 v2, v[66:67], off offset:-8
	scratch_load_b64 v[66:67], off, off
.LBB94_256:
	s_wait_loadcnt 0x0
	flat_store_b64 v[4:5], v[66:67]
	scratch_load_b64 v[4:5], off, off offset:8
	v_lshl_add_u64 v[92:93], v[8:9], 3, s[2:3]
	v_lshl_add_u64 v[90:91], v[10:11], 3, s[2:3]
	;; [unrolled: 1-line block ×29, first 2 shown]
	s_wait_loadcnt 0x0
	flat_store_b64 v[6:7], v[4:5]
	scratch_load_b64 v[4:5], off, off offset:16
	s_wait_loadcnt 0x0
	flat_store_b64 v[92:93], v[4:5]
	scratch_load_b64 v[4:5], off, off offset:24
	;; [unrolled: 3-line block ×29, first 2 shown]
	s_wait_loadcnt 0x0
	flat_store_b64 v[0:1], v[2:3]
	s_sendmsg sendmsg(MSG_DEALLOC_VGPRS)
	s_endpgm
	.section	.rodata,"a",@progbits
	.p2align	6, 0x0
	.amdhsa_kernel _ZN9rocsolver6v33100L18getri_kernel_smallILi31EdPKPdEEvT1_iilPiilS6_bb
		.amdhsa_group_segment_fixed_size 504
		.amdhsa_private_segment_fixed_size 256
		.amdhsa_kernarg_size 60
		.amdhsa_user_sgpr_count 2
		.amdhsa_user_sgpr_dispatch_ptr 0
		.amdhsa_user_sgpr_queue_ptr 0
		.amdhsa_user_sgpr_kernarg_segment_ptr 1
		.amdhsa_user_sgpr_dispatch_id 0
		.amdhsa_user_sgpr_kernarg_preload_length 0
		.amdhsa_user_sgpr_kernarg_preload_offset 0
		.amdhsa_user_sgpr_private_segment_size 0
		.amdhsa_wavefront_size32 1
		.amdhsa_uses_dynamic_stack 0
		.amdhsa_enable_private_segment 1
		.amdhsa_system_sgpr_workgroup_id_x 1
		.amdhsa_system_sgpr_workgroup_id_y 0
		.amdhsa_system_sgpr_workgroup_id_z 0
		.amdhsa_system_sgpr_workgroup_info 0
		.amdhsa_system_vgpr_workitem_id 0
		.amdhsa_next_free_vgpr 104
		.amdhsa_next_free_sgpr 19
		.amdhsa_named_barrier_count 0
		.amdhsa_reserve_vcc 1
		.amdhsa_float_round_mode_32 0
		.amdhsa_float_round_mode_16_64 0
		.amdhsa_float_denorm_mode_32 3
		.amdhsa_float_denorm_mode_16_64 3
		.amdhsa_fp16_overflow 0
		.amdhsa_memory_ordered 1
		.amdhsa_forward_progress 1
		.amdhsa_inst_pref_size 192
		.amdhsa_round_robin_scheduling 0
		.amdhsa_exception_fp_ieee_invalid_op 0
		.amdhsa_exception_fp_denorm_src 0
		.amdhsa_exception_fp_ieee_div_zero 0
		.amdhsa_exception_fp_ieee_overflow 0
		.amdhsa_exception_fp_ieee_underflow 0
		.amdhsa_exception_fp_ieee_inexact 0
		.amdhsa_exception_int_div_zero 0
	.end_amdhsa_kernel
	.section	.text._ZN9rocsolver6v33100L18getri_kernel_smallILi31EdPKPdEEvT1_iilPiilS6_bb,"axG",@progbits,_ZN9rocsolver6v33100L18getri_kernel_smallILi31EdPKPdEEvT1_iilPiilS6_bb,comdat
.Lfunc_end94:
	.size	_ZN9rocsolver6v33100L18getri_kernel_smallILi31EdPKPdEEvT1_iilPiilS6_bb, .Lfunc_end94-_ZN9rocsolver6v33100L18getri_kernel_smallILi31EdPKPdEEvT1_iilPiilS6_bb
                                        ; -- End function
	.set _ZN9rocsolver6v33100L18getri_kernel_smallILi31EdPKPdEEvT1_iilPiilS6_bb.num_vgpr, 104
	.set _ZN9rocsolver6v33100L18getri_kernel_smallILi31EdPKPdEEvT1_iilPiilS6_bb.num_agpr, 0
	.set _ZN9rocsolver6v33100L18getri_kernel_smallILi31EdPKPdEEvT1_iilPiilS6_bb.numbered_sgpr, 19
	.set _ZN9rocsolver6v33100L18getri_kernel_smallILi31EdPKPdEEvT1_iilPiilS6_bb.num_named_barrier, 0
	.set _ZN9rocsolver6v33100L18getri_kernel_smallILi31EdPKPdEEvT1_iilPiilS6_bb.private_seg_size, 256
	.set _ZN9rocsolver6v33100L18getri_kernel_smallILi31EdPKPdEEvT1_iilPiilS6_bb.uses_vcc, 1
	.set _ZN9rocsolver6v33100L18getri_kernel_smallILi31EdPKPdEEvT1_iilPiilS6_bb.uses_flat_scratch, 1
	.set _ZN9rocsolver6v33100L18getri_kernel_smallILi31EdPKPdEEvT1_iilPiilS6_bb.has_dyn_sized_stack, 0
	.set _ZN9rocsolver6v33100L18getri_kernel_smallILi31EdPKPdEEvT1_iilPiilS6_bb.has_recursion, 0
	.set _ZN9rocsolver6v33100L18getri_kernel_smallILi31EdPKPdEEvT1_iilPiilS6_bb.has_indirect_call, 0
	.section	.AMDGPU.csdata,"",@progbits
; Kernel info:
; codeLenInByte = 24456
; TotalNumSgprs: 21
; NumVgprs: 104
; ScratchSize: 256
; MemoryBound: 0
; FloatMode: 240
; IeeeMode: 1
; LDSByteSize: 504 bytes/workgroup (compile time only)
; SGPRBlocks: 0
; VGPRBlocks: 6
; NumSGPRsForWavesPerEU: 21
; NumVGPRsForWavesPerEU: 104
; NamedBarCnt: 0
; Occupancy: 9
; WaveLimiterHint : 1
; COMPUTE_PGM_RSRC2:SCRATCH_EN: 1
; COMPUTE_PGM_RSRC2:USER_SGPR: 2
; COMPUTE_PGM_RSRC2:TRAP_HANDLER: 0
; COMPUTE_PGM_RSRC2:TGID_X_EN: 1
; COMPUTE_PGM_RSRC2:TGID_Y_EN: 0
; COMPUTE_PGM_RSRC2:TGID_Z_EN: 0
; COMPUTE_PGM_RSRC2:TIDIG_COMP_CNT: 0
	.section	.text._ZN9rocsolver6v33100L18getri_kernel_smallILi32EdPKPdEEvT1_iilPiilS6_bb,"axG",@progbits,_ZN9rocsolver6v33100L18getri_kernel_smallILi32EdPKPdEEvT1_iilPiilS6_bb,comdat
	.globl	_ZN9rocsolver6v33100L18getri_kernel_smallILi32EdPKPdEEvT1_iilPiilS6_bb ; -- Begin function _ZN9rocsolver6v33100L18getri_kernel_smallILi32EdPKPdEEvT1_iilPiilS6_bb
	.p2align	8
	.type	_ZN9rocsolver6v33100L18getri_kernel_smallILi32EdPKPdEEvT1_iilPiilS6_bb,@function
_ZN9rocsolver6v33100L18getri_kernel_smallILi32EdPKPdEEvT1_iilPiilS6_bb: ; @_ZN9rocsolver6v33100L18getri_kernel_smallILi32EdPKPdEEvT1_iilPiilS6_bb
; %bb.0:
	s_mov_b32 s2, exec_lo
	v_cmpx_gt_u32_e32 32, v0
	s_cbranch_execz .LBB95_138
; %bb.1:
	s_clause 0x1
	s_load_b32 s13, s[0:1], 0x38
	s_load_b64 s[2:3], s[0:1], 0x0
	s_getreg_b32 s6, hwreg(HW_REG_IB_STS2, 6, 4)
	s_wait_kmcnt 0x0
	s_bitcmp1_b32 s13, 8
	s_cselect_b32 s12, -1, 0
	s_bfe_u32 s4, ttmp6, 0x4000c
	s_and_b32 s5, ttmp6, 15
	s_add_co_i32 s4, s4, 1
	s_delay_alu instid0(SALU_CYCLE_1) | instskip(NEXT) | instid1(SALU_CYCLE_1)
	s_mul_i32 s4, ttmp9, s4
	s_add_co_i32 s5, s5, s4
	s_cmp_eq_u32 s6, 0
	s_cselect_b32 s10, ttmp9, s5
	s_load_b128 s[4:7], s[0:1], 0x28
	s_ashr_i32 s11, s10, 31
	s_delay_alu instid0(SALU_CYCLE_1) | instskip(NEXT) | instid1(SALU_CYCLE_1)
	s_lshl_b64 s[8:9], s[10:11], 3
	s_add_nc_u64 s[2:3], s[2:3], s[8:9]
	s_bfe_u32 s8, s13, 0x10008
	s_load_b64 s[2:3], s[2:3], 0x0
	s_cmp_eq_u32 s8, 0
                                        ; implicit-def: $sgpr8_sgpr9
	s_cbranch_scc1 .LBB95_3
; %bb.2:
	s_load_b96 s[16:18], s[0:1], 0x18
	s_wait_kmcnt 0x0
	s_mul_u64 s[4:5], s[4:5], s[10:11]
	s_delay_alu instid0(SALU_CYCLE_1) | instskip(SKIP_4) | instid1(SALU_CYCLE_1)
	s_lshl_b64 s[4:5], s[4:5], 2
	s_ashr_i32 s9, s18, 31
	s_mov_b32 s8, s18
	s_add_nc_u64 s[4:5], s[16:17], s[4:5]
	s_lshl_b64 s[8:9], s[8:9], 2
	s_add_nc_u64 s[8:9], s[4:5], s[8:9]
.LBB95_3:
	s_wait_kmcnt 0x0
	s_clause 0x1
	s_load_b64 s[4:5], s[0:1], 0x8
	s_load_b32 s13, s[0:1], 0x38
	v_dual_mov_b32 v3, 0 :: v_dual_lshlrev_b32 v2, 3, v0
	s_wait_kmcnt 0x0
	s_ashr_i32 s1, s4, 31
	s_mov_b32 s0, s4
	s_delay_alu instid0(SALU_CYCLE_1) | instskip(NEXT) | instid1(SALU_CYCLE_1)
	s_lshl_b64 s[0:1], s[0:1], 3
	s_add_nc_u64 s[2:3], s[2:3], s[0:1]
	s_ashr_i32 s1, s5, 31
	flat_load_b64 v[8:9], v0, s[2:3] scale_offset
	v_add_nc_u64_e32 v[4:5], s[2:3], v[2:3]
	s_mov_b32 s0, s5
	s_bitcmp0_b32 s13, 0
	s_delay_alu instid0(VALU_DEP_1)
	v_lshl_add_u64 v[6:7], s[0:1], 3, v[4:5]
	s_mov_b32 s1, -1
	s_wait_loadcnt_dscnt 0x0
	scratch_store_b64 off, v[8:9], off
	flat_load_b64 v[10:11], v[6:7]
	s_wait_xcnt 0x1
	v_add3_u32 v8, s5, s5, v0
	s_wait_loadcnt_dscnt 0x0
	scratch_store_b64 off, v[10:11], off offset:8
	flat_load_b64 v[12:13], v8, s[2:3] scale_offset
	s_wait_xcnt 0x1
	v_add_nc_u32_e32 v10, s5, v8
	s_wait_loadcnt_dscnt 0x0
	scratch_store_b64 off, v[12:13], off offset:16
	flat_load_b64 v[14:15], v10, s[2:3] scale_offset
	s_wait_xcnt 0x1
	v_add_nc_u32_e32 v12, s5, v10
	;; [unrolled: 5-line block ×29, first 2 shown]
	s_wait_loadcnt_dscnt 0x0
	scratch_store_b64 off, v[68:69], off offset:240
	flat_load_b64 v[68:69], v66, s[2:3] scale_offset
	s_wait_loadcnt_dscnt 0x0
	scratch_store_b64 off, v[68:69], off offset:248
	s_cbranch_scc1 .LBB95_136
; %bb.4:
	v_cmp_eq_u32_e64 s0, 0, v0
	s_wait_xcnt 0x0
	s_and_saveexec_b32 s1, s0
; %bb.5:
	v_mov_b32_e32 v1, 0
	ds_store_b32 v1, v1 offset:512
; %bb.6:
	s_or_b32 exec_lo, exec_lo, s1
	s_wait_storecnt_dscnt 0x0
	s_barrier_signal -1
	s_barrier_wait -1
	scratch_load_b64 v[68:69], v0, off scale_offset
	s_mov_b32 s4, exec_lo
	s_wait_loadcnt 0x0
	v_cmpx_eq_f64_e32 0, v[68:69]
	s_cbranch_execz .LBB95_10
; %bb.7:
	v_mov_b32_e32 v1, 0
	s_mov_b32 s5, 0
	ds_load_b32 v3, v1 offset:512
	s_wait_dscnt 0x0
	v_readfirstlane_b32 s1, v3
	v_add_nc_u32_e32 v3, 1, v0
	s_cmp_eq_u32 s1, 0
	s_delay_alu instid0(VALU_DEP_1) | instskip(SKIP_1) | instid1(SALU_CYCLE_1)
	v_cmp_gt_i32_e32 vcc_lo, s1, v3
	s_cselect_b32 s13, -1, 0
	s_or_b32 s13, s13, vcc_lo
	s_delay_alu instid0(SALU_CYCLE_1)
	s_and_b32 exec_lo, exec_lo, s13
	s_cbranch_execz .LBB95_10
; %bb.8:
	v_mov_b32_e32 v9, s1
.LBB95_9:                               ; =>This Inner Loop Header: Depth=1
	ds_cmpstore_rtn_b32 v9, v1, v3, v9 offset:512
	s_wait_dscnt 0x0
	v_cmp_ne_u32_e32 vcc_lo, 0, v9
	v_cmp_le_i32_e64 s1, v9, v3
	s_and_b32 s1, vcc_lo, s1
	s_delay_alu instid0(SALU_CYCLE_1) | instskip(NEXT) | instid1(SALU_CYCLE_1)
	s_and_b32 s1, exec_lo, s1
	s_or_b32 s5, s1, s5
	s_delay_alu instid0(SALU_CYCLE_1)
	s_and_not1_b32 exec_lo, exec_lo, s5
	s_cbranch_execnz .LBB95_9
.LBB95_10:
	s_or_b32 exec_lo, exec_lo, s4
	v_mov_b32_e32 v1, 0
	s_barrier_signal -1
	s_barrier_wait -1
	ds_load_b32 v3, v1 offset:512
	s_and_saveexec_b32 s1, s0
	s_cbranch_execz .LBB95_12
; %bb.11:
	s_lshl_b64 s[4:5], s[10:11], 2
	s_delay_alu instid0(SALU_CYCLE_1)
	s_add_nc_u64 s[4:5], s[6:7], s[4:5]
	s_wait_dscnt 0x0
	global_store_b32 v1, v3, s[4:5]
.LBB95_12:
	s_wait_xcnt 0x0
	s_or_b32 exec_lo, exec_lo, s1
	s_wait_dscnt 0x0
	v_cmp_ne_u32_e32 vcc_lo, 0, v3
	s_mov_b32 s1, 0
	s_cbranch_vccnz .LBB95_136
; %bb.13:
	v_lshl_add_u32 v3, v0, 3, 0
	v_add_nc_u32_e32 v1, 0x100, v2
	scratch_load_b64 v[68:69], v3, off
	s_wait_loadcnt 0x0
	v_div_scale_f64 v[70:71], null, v[68:69], v[68:69], 1.0
	v_div_scale_f64 v[76:77], vcc_lo, 1.0, v[68:69], 1.0
	s_delay_alu instid0(VALU_DEP_2) | instskip(SKIP_1) | instid1(TRANS32_DEP_1)
	v_rcp_f64_e32 v[72:73], v[70:71]
	v_nop
	v_fma_f64 v[74:75], -v[70:71], v[72:73], 1.0
	s_delay_alu instid0(VALU_DEP_1) | instskip(NEXT) | instid1(VALU_DEP_1)
	v_fmac_f64_e32 v[72:73], v[72:73], v[74:75]
	v_fma_f64 v[74:75], -v[70:71], v[72:73], 1.0
	s_delay_alu instid0(VALU_DEP_1) | instskip(NEXT) | instid1(VALU_DEP_1)
	v_fmac_f64_e32 v[72:73], v[72:73], v[74:75]
	v_mul_f64_e32 v[74:75], v[76:77], v[72:73]
	s_delay_alu instid0(VALU_DEP_1) | instskip(NEXT) | instid1(VALU_DEP_1)
	v_fma_f64 v[70:71], -v[70:71], v[74:75], v[76:77]
	v_div_fmas_f64 v[70:71], v[70:71], v[72:73], v[74:75]
	s_delay_alu instid0(VALU_DEP_1)
	v_div_fixup_f64 v[68:69], v[70:71], v[68:69], 1.0
	scratch_store_b64 v3, v[68:69], off
	scratch_load_b64 v[70:71], off, off offset:8
	s_wait_xcnt 0x1
	v_xor_b32_e32 v69, 0x80000000, v69
	s_wait_loadcnt 0x0
	ds_store_2addr_b64 v2, v[68:69], v[70:71] offset1:32
	s_wait_storecnt_dscnt 0x0
	s_barrier_signal -1
	s_barrier_wait -1
	s_wait_xcnt 0x0
	s_and_saveexec_b32 s1, s0
	s_cbranch_execz .LBB95_15
; %bb.14:
	scratch_load_b64 v[68:69], v3, off
	ds_load_b64 v[70:71], v1
	s_wait_loadcnt_dscnt 0x0
	v_fma_f64 v[68:69], v[68:69], v[70:71], 0
	v_mov_b32_e32 v9, 0
	ds_load_b64 v[72:73], v9 offset:8
	s_wait_dscnt 0x0
	v_mul_f64_e32 v[68:69], v[68:69], v[72:73]
	scratch_store_b64 off, v[68:69], off offset:8
.LBB95_15:
	s_wait_xcnt 0x0
	s_or_b32 exec_lo, exec_lo, s1
	s_wait_storecnt 0x0
	s_barrier_signal -1
	s_barrier_wait -1
	scratch_load_b64 v[68:69], off, off offset:16
	s_mov_b32 s1, exec_lo
	s_wait_loadcnt 0x0
	ds_store_b64 v1, v[68:69]
	s_wait_dscnt 0x0
	s_barrier_signal -1
	s_barrier_wait -1
	v_cmpx_gt_u32_e32 2, v0
	s_cbranch_execz .LBB95_19
; %bb.16:
	scratch_load_b64 v[68:69], v3, off
	ds_load_b64 v[70:71], v1
	s_wait_loadcnt_dscnt 0x0
	v_fma_f64 v[68:69], v[68:69], v[70:71], 0
	s_and_saveexec_b32 s4, s0
	s_cbranch_execz .LBB95_18
; %bb.17:
	scratch_load_b64 v[70:71], off, off offset:8
	v_mov_b32_e32 v3, 0
	ds_load_b64 v[72:73], v3 offset:264
	s_wait_loadcnt_dscnt 0x0
	v_fmac_f64_e32 v[68:69], v[70:71], v[72:73]
.LBB95_18:
	s_or_b32 exec_lo, exec_lo, s4
	v_mov_b32_e32 v3, 0
	ds_load_b64 v[70:71], v3 offset:16
	s_wait_dscnt 0x0
	v_mul_f64_e32 v[68:69], v[68:69], v[70:71]
	scratch_store_b64 off, v[68:69], off offset:16
.LBB95_19:
	s_wait_xcnt 0x0
	s_or_b32 exec_lo, exec_lo, s1
	s_wait_storecnt 0x0
	s_barrier_signal -1
	s_barrier_wait -1
	scratch_load_b64 v[68:69], off, off offset:24
	v_add_nc_u32_e32 v3, -1, v0
	s_mov_b32 s0, exec_lo
	s_wait_loadcnt 0x0
	ds_store_b64 v1, v[68:69]
	s_wait_dscnt 0x0
	s_barrier_signal -1
	s_barrier_wait -1
	v_cmpx_gt_u32_e32 3, v0
	s_cbranch_execz .LBB95_23
; %bb.20:
	v_mov_b64_e32 v[68:69], 0
	v_dual_add_nc_u32 v9, -1, v0 :: v_dual_mov_b32 v13, v2
	v_add_nc_u32_e32 v11, 0x100, v2
	s_mov_b32 s1, 0
.LBB95_21:                              ; =>This Inner Loop Header: Depth=1
	scratch_load_b64 v[70:71], v13, off
	ds_load_b64 v[72:73], v11
	v_dual_add_nc_u32 v9, 1, v9 :: v_dual_add_nc_u32 v11, 8, v11
	s_wait_xcnt 0x0
	v_add_nc_u32_e32 v13, 8, v13
	s_delay_alu instid0(VALU_DEP_2)
	v_cmp_lt_u32_e32 vcc_lo, 1, v9
	s_or_b32 s1, vcc_lo, s1
	s_wait_loadcnt_dscnt 0x0
	v_fmac_f64_e32 v[68:69], v[70:71], v[72:73]
	s_and_not1_b32 exec_lo, exec_lo, s1
	s_cbranch_execnz .LBB95_21
; %bb.22:
	s_or_b32 exec_lo, exec_lo, s1
	v_mov_b32_e32 v9, 0
	ds_load_b64 v[70:71], v9 offset:24
	s_wait_dscnt 0x0
	v_mul_f64_e32 v[68:69], v[68:69], v[70:71]
	scratch_store_b64 off, v[68:69], off offset:24
.LBB95_23:
	s_wait_xcnt 0x0
	s_or_b32 exec_lo, exec_lo, s0
	s_wait_storecnt 0x0
	s_barrier_signal -1
	s_barrier_wait -1
	scratch_load_b64 v[68:69], off, off offset:32
	s_mov_b32 s0, exec_lo
	s_wait_loadcnt 0x0
	ds_store_b64 v1, v[68:69]
	s_wait_dscnt 0x0
	s_barrier_signal -1
	s_barrier_wait -1
	v_cmpx_gt_u32_e32 4, v0
	s_cbranch_execz .LBB95_27
; %bb.24:
	v_mov_b64_e32 v[68:69], 0
	v_dual_add_nc_u32 v9, -1, v0 :: v_dual_mov_b32 v13, v2
	v_add_nc_u32_e32 v11, 0x100, v2
	s_mov_b32 s1, 0
.LBB95_25:                              ; =>This Inner Loop Header: Depth=1
	scratch_load_b64 v[70:71], v13, off
	ds_load_b64 v[72:73], v11
	v_dual_add_nc_u32 v9, 1, v9 :: v_dual_add_nc_u32 v11, 8, v11
	s_wait_xcnt 0x0
	v_add_nc_u32_e32 v13, 8, v13
	s_delay_alu instid0(VALU_DEP_2)
	v_cmp_lt_u32_e32 vcc_lo, 2, v9
	s_or_b32 s1, vcc_lo, s1
	s_wait_loadcnt_dscnt 0x0
	v_fmac_f64_e32 v[68:69], v[70:71], v[72:73]
	s_and_not1_b32 exec_lo, exec_lo, s1
	s_cbranch_execnz .LBB95_25
; %bb.26:
	s_or_b32 exec_lo, exec_lo, s1
	v_mov_b32_e32 v9, 0
	ds_load_b64 v[70:71], v9 offset:32
	s_wait_dscnt 0x0
	v_mul_f64_e32 v[68:69], v[68:69], v[70:71]
	scratch_store_b64 off, v[68:69], off offset:32
.LBB95_27:
	s_wait_xcnt 0x0
	s_or_b32 exec_lo, exec_lo, s0
	s_wait_storecnt 0x0
	s_barrier_signal -1
	s_barrier_wait -1
	scratch_load_b64 v[68:69], off, off offset:40
	;; [unrolled: 40-line block ×20, first 2 shown]
	s_mov_b32 s0, exec_lo
	s_wait_loadcnt 0x0
	ds_store_b64 v1, v[68:69]
	s_wait_dscnt 0x0
	s_barrier_signal -1
	s_barrier_wait -1
	v_cmpx_gt_u32_e32 23, v0
	s_cbranch_execz .LBB95_103
; %bb.100:
	v_mov_b64_e32 v[68:69], 0
	v_dual_add_nc_u32 v9, -1, v0 :: v_dual_mov_b32 v13, v2
	v_add_nc_u32_e32 v11, 0x100, v2
	s_mov_b32 s1, 0
.LBB95_101:                             ; =>This Inner Loop Header: Depth=1
	scratch_load_b64 v[70:71], v13, off
	ds_load_b64 v[72:73], v11
	v_dual_add_nc_u32 v9, 1, v9 :: v_dual_add_nc_u32 v11, 8, v11
	s_wait_xcnt 0x0
	v_add_nc_u32_e32 v13, 8, v13
	s_delay_alu instid0(VALU_DEP_2)
	v_cmp_lt_u32_e32 vcc_lo, 21, v9
	s_or_b32 s1, vcc_lo, s1
	s_wait_loadcnt_dscnt 0x0
	v_fmac_f64_e32 v[68:69], v[70:71], v[72:73]
	s_and_not1_b32 exec_lo, exec_lo, s1
	s_cbranch_execnz .LBB95_101
; %bb.102:
	s_or_b32 exec_lo, exec_lo, s1
	v_mov_b32_e32 v9, 0
	ds_load_b64 v[70:71], v9 offset:184
	s_wait_dscnt 0x0
	v_mul_f64_e32 v[68:69], v[68:69], v[70:71]
	scratch_store_b64 off, v[68:69], off offset:184
.LBB95_103:
	s_wait_xcnt 0x0
	s_or_b32 exec_lo, exec_lo, s0
	s_wait_storecnt 0x0
	s_barrier_signal -1
	s_barrier_wait -1
	scratch_load_b64 v[68:69], off, off offset:192
	s_mov_b32 s0, exec_lo
	s_wait_loadcnt 0x0
	ds_store_b64 v1, v[68:69]
	s_wait_dscnt 0x0
	s_barrier_signal -1
	s_barrier_wait -1
	v_cmpx_gt_u32_e32 24, v0
	s_cbranch_execz .LBB95_107
; %bb.104:
	v_mov_b64_e32 v[68:69], 0
	v_dual_add_nc_u32 v9, -1, v0 :: v_dual_mov_b32 v13, v2
	v_add_nc_u32_e32 v11, 0x100, v2
	s_mov_b32 s1, 0
.LBB95_105:                             ; =>This Inner Loop Header: Depth=1
	scratch_load_b64 v[70:71], v13, off
	ds_load_b64 v[72:73], v11
	v_dual_add_nc_u32 v9, 1, v9 :: v_dual_add_nc_u32 v11, 8, v11
	s_wait_xcnt 0x0
	v_add_nc_u32_e32 v13, 8, v13
	s_delay_alu instid0(VALU_DEP_2)
	v_cmp_lt_u32_e32 vcc_lo, 22, v9
	s_or_b32 s1, vcc_lo, s1
	s_wait_loadcnt_dscnt 0x0
	v_fmac_f64_e32 v[68:69], v[70:71], v[72:73]
	s_and_not1_b32 exec_lo, exec_lo, s1
	s_cbranch_execnz .LBB95_105
; %bb.106:
	s_or_b32 exec_lo, exec_lo, s1
	v_mov_b32_e32 v9, 0
	ds_load_b64 v[70:71], v9 offset:192
	s_wait_dscnt 0x0
	v_mul_f64_e32 v[68:69], v[68:69], v[70:71]
	scratch_store_b64 off, v[68:69], off offset:192
.LBB95_107:
	s_wait_xcnt 0x0
	s_or_b32 exec_lo, exec_lo, s0
	s_wait_storecnt 0x0
	s_barrier_signal -1
	s_barrier_wait -1
	scratch_load_b64 v[68:69], off, off offset:200
	;; [unrolled: 40-line block ×8, first 2 shown]
	s_mov_b32 s0, exec_lo
	s_wait_loadcnt 0x0
	ds_store_b64 v1, v[68:69]
	s_wait_dscnt 0x0
	s_barrier_signal -1
	s_barrier_wait -1
	v_cmpx_ne_u32_e32 31, v0
	s_cbranch_execz .LBB95_135
; %bb.132:
	v_mov_b64_e32 v[68:69], 0
	s_mov_b32 s1, 0
.LBB95_133:                             ; =>This Inner Loop Header: Depth=1
	scratch_load_b64 v[70:71], v2, off
	ds_load_b64 v[72:73], v1
	v_dual_add_nc_u32 v3, 1, v3 :: v_dual_add_nc_u32 v1, 8, v1
	s_wait_xcnt 0x0
	v_add_nc_u32_e32 v2, 8, v2
	s_delay_alu instid0(VALU_DEP_2)
	v_cmp_lt_u32_e32 vcc_lo, 29, v3
	s_or_b32 s1, vcc_lo, s1
	s_wait_loadcnt_dscnt 0x0
	v_fmac_f64_e32 v[68:69], v[70:71], v[72:73]
	s_and_not1_b32 exec_lo, exec_lo, s1
	s_cbranch_execnz .LBB95_133
; %bb.134:
	s_or_b32 exec_lo, exec_lo, s1
	v_mov_b32_e32 v1, 0
	ds_load_b64 v[2:3], v1 offset:248
	s_wait_dscnt 0x0
	v_mul_f64_e32 v[2:3], v[68:69], v[2:3]
	scratch_store_b64 off, v[2:3], off offset:248
.LBB95_135:
	s_wait_xcnt 0x0
	s_or_b32 exec_lo, exec_lo, s0
	s_mov_b32 s1, -1
	s_wait_storecnt 0x0
	s_barrier_signal -1
	s_barrier_wait -1
.LBB95_136:
	s_and_b32 vcc_lo, exec_lo, s1
	s_cbranch_vccz .LBB95_138
; %bb.137:
	v_mov_b32_e32 v1, 0
	s_lshl_b64 s[0:1], s[10:11], 2
	s_delay_alu instid0(SALU_CYCLE_1)
	s_add_nc_u64 s[0:1], s[6:7], s[0:1]
	global_load_b32 v1, v1, s[0:1]
	s_wait_loadcnt 0x0
	v_cmp_ne_u32_e32 vcc_lo, 0, v1
	s_cbranch_vccz .LBB95_139
.LBB95_138:
	s_sendmsg sendmsg(MSG_DEALLOC_VGPRS)
	s_endpgm
.LBB95_139:
	s_wait_xcnt 0x0
	v_lshl_add_u32 v1, v0, 3, 0x100
	s_mov_b32 s0, exec_lo
	v_cmpx_eq_u32_e32 31, v0
	s_cbranch_execz .LBB95_141
; %bb.140:
	scratch_load_b64 v[2:3], off, off offset:240
	v_mov_b64_e32 v[68:69], 0
	scratch_store_b64 off, v[68:69], off offset:240
	s_wait_loadcnt 0x0
	ds_store_b64 v1, v[2:3]
.LBB95_141:
	s_wait_xcnt 0x0
	s_or_b32 exec_lo, exec_lo, s0
	s_wait_storecnt_dscnt 0x0
	s_barrier_signal -1
	s_barrier_wait -1
	scratch_load_b128 v[68:71], off, off offset:240
	v_mov_b32_e32 v2, 0
	s_mov_b32 s0, exec_lo
	ds_load_b64 v[72:73], v2 offset:504
	s_wait_loadcnt_dscnt 0x0
	v_fma_f64 v[70:71], v[70:71], v[72:73], 0
	s_delay_alu instid0(VALU_DEP_1)
	v_add_f64_e64 v[68:69], v[68:69], -v[70:71]
	scratch_store_b64 off, v[68:69], off offset:240
	s_wait_xcnt 0x0
	v_cmpx_lt_u32_e32 29, v0
	s_cbranch_execz .LBB95_143
; %bb.142:
	scratch_load_b64 v[68:69], off, off offset:232
	v_mov_b64_e32 v[70:71], 0
	scratch_store_b64 off, v[70:71], off offset:232
	s_wait_loadcnt 0x0
	ds_store_b64 v1, v[68:69]
.LBB95_143:
	s_wait_xcnt 0x0
	s_or_b32 exec_lo, exec_lo, s0
	s_wait_storecnt_dscnt 0x0
	s_barrier_signal -1
	s_barrier_wait -1
	s_clause 0x1
	scratch_load_b128 v[68:71], off, off offset:232
	scratch_load_b64 v[76:77], off, off offset:248
	ds_load_b128 v[72:75], v2 offset:496
	s_mov_b32 s0, exec_lo
	s_wait_loadcnt_dscnt 0x100
	v_fma_f64 v[2:3], v[70:71], v[72:73], 0
	s_wait_loadcnt 0x0
	s_delay_alu instid0(VALU_DEP_1) | instskip(NEXT) | instid1(VALU_DEP_1)
	v_fmac_f64_e32 v[2:3], v[76:77], v[74:75]
	v_add_f64_e64 v[2:3], v[68:69], -v[2:3]
	scratch_store_b64 off, v[2:3], off offset:232
	s_wait_xcnt 0x0
	v_cmpx_lt_u32_e32 28, v0
	s_cbranch_execz .LBB95_145
; %bb.144:
	scratch_load_b64 v[2:3], off, off offset:224
	v_mov_b64_e32 v[68:69], 0
	scratch_store_b64 off, v[68:69], off offset:224
	s_wait_loadcnt 0x0
	ds_store_b64 v1, v[2:3]
.LBB95_145:
	s_wait_xcnt 0x0
	s_or_b32 exec_lo, exec_lo, s0
	s_wait_storecnt_dscnt 0x0
	s_barrier_signal -1
	s_barrier_wait -1
	s_clause 0x1
	scratch_load_b128 v[68:71], off, off offset:224
	scratch_load_b128 v[72:75], off, off offset:240
	v_mov_b32_e32 v2, 0
	ds_load_2addr_b64 v[76:79], v2 offset0:61 offset1:62
	ds_load_b64 v[80:81], v2 offset:504
	s_mov_b32 s0, exec_lo
	s_wait_loadcnt_dscnt 0x101
	v_fma_f64 v[70:71], v[70:71], v[76:77], 0
	s_wait_loadcnt 0x0
	s_delay_alu instid0(VALU_DEP_1) | instskip(SKIP_1) | instid1(VALU_DEP_1)
	v_fmac_f64_e32 v[70:71], v[72:73], v[78:79]
	s_wait_dscnt 0x0
	v_fmac_f64_e32 v[70:71], v[74:75], v[80:81]
	s_delay_alu instid0(VALU_DEP_1)
	v_add_f64_e64 v[68:69], v[68:69], -v[70:71]
	scratch_store_b64 off, v[68:69], off offset:224
	s_wait_xcnt 0x0
	v_cmpx_lt_u32_e32 27, v0
	s_cbranch_execz .LBB95_147
; %bb.146:
	scratch_load_b64 v[68:69], off, off offset:216
	v_mov_b64_e32 v[70:71], 0
	scratch_store_b64 off, v[70:71], off offset:216
	s_wait_loadcnt 0x0
	ds_store_b64 v1, v[68:69]
.LBB95_147:
	s_wait_xcnt 0x0
	s_or_b32 exec_lo, exec_lo, s0
	s_wait_storecnt_dscnt 0x0
	s_barrier_signal -1
	s_barrier_wait -1
	s_clause 0x2
	scratch_load_b128 v[68:71], off, off offset:216
	scratch_load_b128 v[72:75], off, off offset:232
	scratch_load_b64 v[84:85], off, off offset:248
	ds_load_b128 v[76:79], v2 offset:480
	ds_load_b128 v[80:83], v2 offset:496
	s_mov_b32 s0, exec_lo
	s_wait_loadcnt_dscnt 0x201
	v_fma_f64 v[2:3], v[70:71], v[76:77], 0
	s_wait_loadcnt 0x1
	s_delay_alu instid0(VALU_DEP_1) | instskip(SKIP_1) | instid1(VALU_DEP_1)
	v_fmac_f64_e32 v[2:3], v[72:73], v[78:79]
	s_wait_dscnt 0x0
	v_fmac_f64_e32 v[2:3], v[74:75], v[80:81]
	s_wait_loadcnt 0x0
	s_delay_alu instid0(VALU_DEP_1) | instskip(NEXT) | instid1(VALU_DEP_1)
	v_fmac_f64_e32 v[2:3], v[84:85], v[82:83]
	v_add_f64_e64 v[2:3], v[68:69], -v[2:3]
	scratch_store_b64 off, v[2:3], off offset:216
	s_wait_xcnt 0x0
	v_cmpx_lt_u32_e32 26, v0
	s_cbranch_execz .LBB95_149
; %bb.148:
	scratch_load_b64 v[2:3], off, off offset:208
	v_mov_b64_e32 v[68:69], 0
	scratch_store_b64 off, v[68:69], off offset:208
	s_wait_loadcnt 0x0
	ds_store_b64 v1, v[2:3]
.LBB95_149:
	s_wait_xcnt 0x0
	s_or_b32 exec_lo, exec_lo, s0
	s_wait_storecnt_dscnt 0x0
	s_barrier_signal -1
	s_barrier_wait -1
	s_clause 0x2
	scratch_load_b128 v[68:71], off, off offset:208
	scratch_load_b128 v[72:75], off, off offset:224
	;; [unrolled: 1-line block ×3, first 2 shown]
	v_mov_b32_e32 v2, 0
	ds_load_2addr_b64 v[80:83], v2 offset0:59 offset1:60
	ds_load_2addr_b64 v[84:87], v2 offset0:61 offset1:62
	s_mov_b32 s0, exec_lo
	s_wait_loadcnt_dscnt 0x201
	v_fma_f64 v[70:71], v[70:71], v[80:81], 0
	s_wait_loadcnt 0x1
	s_delay_alu instid0(VALU_DEP_1) | instskip(SKIP_4) | instid1(VALU_DEP_1)
	v_fmac_f64_e32 v[70:71], v[72:73], v[82:83]
	ds_load_b64 v[72:73], v2 offset:504
	s_wait_dscnt 0x1
	v_fmac_f64_e32 v[70:71], v[74:75], v[84:85]
	s_wait_loadcnt 0x0
	v_fmac_f64_e32 v[70:71], v[76:77], v[86:87]
	s_wait_dscnt 0x0
	s_delay_alu instid0(VALU_DEP_1) | instskip(NEXT) | instid1(VALU_DEP_1)
	v_fmac_f64_e32 v[70:71], v[78:79], v[72:73]
	v_add_f64_e64 v[68:69], v[68:69], -v[70:71]
	scratch_store_b64 off, v[68:69], off offset:208
	s_wait_xcnt 0x0
	v_cmpx_lt_u32_e32 25, v0
	s_cbranch_execz .LBB95_151
; %bb.150:
	scratch_load_b64 v[68:69], off, off offset:200
	v_mov_b64_e32 v[70:71], 0
	scratch_store_b64 off, v[70:71], off offset:200
	s_wait_loadcnt 0x0
	ds_store_b64 v1, v[68:69]
.LBB95_151:
	s_wait_xcnt 0x0
	s_or_b32 exec_lo, exec_lo, s0
	s_wait_storecnt_dscnt 0x0
	s_barrier_signal -1
	s_barrier_wait -1
	s_clause 0x3
	scratch_load_b128 v[68:71], off, off offset:200
	scratch_load_b128 v[72:75], off, off offset:216
	;; [unrolled: 1-line block ×3, first 2 shown]
	scratch_load_b64 v[88:89], off, off offset:248
	ds_load_b128 v[80:83], v2 offset:464
	ds_load_b128 v[84:87], v2 offset:480
	s_mov_b32 s0, exec_lo
	s_wait_loadcnt_dscnt 0x301
	v_fma_f64 v[80:81], v[70:71], v[80:81], 0
	s_wait_loadcnt 0x2
	s_delay_alu instid0(VALU_DEP_1) | instskip(SKIP_4) | instid1(VALU_DEP_1)
	v_fmac_f64_e32 v[80:81], v[72:73], v[82:83]
	ds_load_b128 v[70:73], v2 offset:496
	s_wait_dscnt 0x1
	v_fmac_f64_e32 v[80:81], v[74:75], v[84:85]
	s_wait_loadcnt 0x1
	v_fmac_f64_e32 v[80:81], v[76:77], v[86:87]
	s_wait_dscnt 0x0
	s_delay_alu instid0(VALU_DEP_1) | instskip(SKIP_1) | instid1(VALU_DEP_1)
	v_fmac_f64_e32 v[80:81], v[78:79], v[70:71]
	s_wait_loadcnt 0x0
	v_fmac_f64_e32 v[80:81], v[88:89], v[72:73]
	s_delay_alu instid0(VALU_DEP_1)
	v_add_f64_e64 v[2:3], v[68:69], -v[80:81]
	scratch_store_b64 off, v[2:3], off offset:200
	s_wait_xcnt 0x0
	v_cmpx_lt_u32_e32 24, v0
	s_cbranch_execz .LBB95_153
; %bb.152:
	scratch_load_b64 v[2:3], off, off offset:192
	v_mov_b64_e32 v[68:69], 0
	scratch_store_b64 off, v[68:69], off offset:192
	s_wait_loadcnt 0x0
	ds_store_b64 v1, v[2:3]
.LBB95_153:
	s_wait_xcnt 0x0
	s_or_b32 exec_lo, exec_lo, s0
	s_wait_storecnt_dscnt 0x0
	s_barrier_signal -1
	s_barrier_wait -1
	s_clause 0x3
	scratch_load_b128 v[68:71], off, off offset:192
	scratch_load_b128 v[72:75], off, off offset:208
	;; [unrolled: 1-line block ×4, first 2 shown]
	v_mov_b32_e32 v2, 0
	ds_load_2addr_b64 v[84:87], v2 offset0:57 offset1:58
	ds_load_2addr_b64 v[88:91], v2 offset0:59 offset1:60
	s_mov_b32 s0, exec_lo
	s_wait_loadcnt_dscnt 0x301
	v_fma_f64 v[84:85], v[70:71], v[84:85], 0
	s_wait_loadcnt 0x2
	s_delay_alu instid0(VALU_DEP_1) | instskip(SKIP_1) | instid1(VALU_DEP_1)
	v_fmac_f64_e32 v[84:85], v[72:73], v[86:87]
	s_wait_dscnt 0x0
	v_fmac_f64_e32 v[84:85], v[74:75], v[88:89]
	ds_load_2addr_b64 v[70:73], v2 offset0:61 offset1:62
	ds_load_b64 v[74:75], v2 offset:504
	s_wait_loadcnt 0x1
	v_fmac_f64_e32 v[84:85], v[76:77], v[90:91]
	s_wait_dscnt 0x1
	s_delay_alu instid0(VALU_DEP_1) | instskip(SKIP_1) | instid1(VALU_DEP_1)
	v_fmac_f64_e32 v[84:85], v[78:79], v[70:71]
	s_wait_loadcnt 0x0
	v_fmac_f64_e32 v[84:85], v[80:81], v[72:73]
	s_wait_dscnt 0x0
	s_delay_alu instid0(VALU_DEP_1) | instskip(NEXT) | instid1(VALU_DEP_1)
	v_fmac_f64_e32 v[84:85], v[82:83], v[74:75]
	v_add_f64_e64 v[68:69], v[68:69], -v[84:85]
	scratch_store_b64 off, v[68:69], off offset:192
	s_wait_xcnt 0x0
	v_cmpx_lt_u32_e32 23, v0
	s_cbranch_execz .LBB95_155
; %bb.154:
	scratch_load_b64 v[68:69], off, off offset:184
	v_mov_b64_e32 v[70:71], 0
	scratch_store_b64 off, v[70:71], off offset:184
	s_wait_loadcnt 0x0
	ds_store_b64 v1, v[68:69]
.LBB95_155:
	s_wait_xcnt 0x0
	s_or_b32 exec_lo, exec_lo, s0
	s_wait_storecnt_dscnt 0x0
	s_barrier_signal -1
	s_barrier_wait -1
	s_clause 0x4
	scratch_load_b128 v[68:71], off, off offset:184
	scratch_load_b128 v[72:75], off, off offset:200
	;; [unrolled: 1-line block ×4, first 2 shown]
	scratch_load_b64 v[92:93], off, off offset:248
	ds_load_b128 v[84:87], v2 offset:448
	ds_load_b128 v[88:91], v2 offset:464
	s_mov_b32 s0, exec_lo
	s_wait_loadcnt_dscnt 0x401
	v_fma_f64 v[84:85], v[70:71], v[84:85], 0
	s_wait_loadcnt 0x3
	s_delay_alu instid0(VALU_DEP_1) | instskip(SKIP_1) | instid1(VALU_DEP_1)
	v_fmac_f64_e32 v[84:85], v[72:73], v[86:87]
	s_wait_dscnt 0x0
	v_fmac_f64_e32 v[84:85], v[74:75], v[88:89]
	s_wait_loadcnt 0x2
	s_delay_alu instid0(VALU_DEP_1)
	v_fmac_f64_e32 v[84:85], v[76:77], v[90:91]
	ds_load_b128 v[70:73], v2 offset:480
	ds_load_b128 v[74:77], v2 offset:496
	s_wait_dscnt 0x1
	v_fmac_f64_e32 v[84:85], v[78:79], v[70:71]
	s_wait_loadcnt 0x1
	s_delay_alu instid0(VALU_DEP_1) | instskip(SKIP_1) | instid1(VALU_DEP_1)
	v_fmac_f64_e32 v[84:85], v[80:81], v[72:73]
	s_wait_dscnt 0x0
	v_fmac_f64_e32 v[84:85], v[82:83], v[74:75]
	s_wait_loadcnt 0x0
	s_delay_alu instid0(VALU_DEP_1) | instskip(NEXT) | instid1(VALU_DEP_1)
	v_fmac_f64_e32 v[84:85], v[92:93], v[76:77]
	v_add_f64_e64 v[2:3], v[68:69], -v[84:85]
	scratch_store_b64 off, v[2:3], off offset:184
	s_wait_xcnt 0x0
	v_cmpx_lt_u32_e32 22, v0
	s_cbranch_execz .LBB95_157
; %bb.156:
	scratch_load_b64 v[2:3], off, off offset:176
	v_mov_b64_e32 v[68:69], 0
	scratch_store_b64 off, v[68:69], off offset:176
	s_wait_loadcnt 0x0
	ds_store_b64 v1, v[2:3]
.LBB95_157:
	s_wait_xcnt 0x0
	s_or_b32 exec_lo, exec_lo, s0
	s_wait_storecnt_dscnt 0x0
	s_barrier_signal -1
	s_barrier_wait -1
	s_clause 0x4
	scratch_load_b128 v[68:71], off, off offset:176
	scratch_load_b128 v[72:75], off, off offset:192
	;; [unrolled: 1-line block ×5, first 2 shown]
	v_mov_b32_e32 v2, 0
	ds_load_2addr_b64 v[88:91], v2 offset0:55 offset1:56
	ds_load_2addr_b64 v[92:95], v2 offset0:57 offset1:58
	s_mov_b32 s0, exec_lo
	s_wait_loadcnt_dscnt 0x401
	v_fma_f64 v[88:89], v[70:71], v[88:89], 0
	s_wait_loadcnt 0x3
	s_delay_alu instid0(VALU_DEP_1) | instskip(SKIP_1) | instid1(VALU_DEP_1)
	v_fmac_f64_e32 v[88:89], v[72:73], v[90:91]
	s_wait_dscnt 0x0
	v_fmac_f64_e32 v[88:89], v[74:75], v[92:93]
	s_wait_loadcnt 0x2
	s_delay_alu instid0(VALU_DEP_1)
	v_fmac_f64_e32 v[88:89], v[76:77], v[94:95]
	ds_load_2addr_b64 v[70:73], v2 offset0:59 offset1:60
	ds_load_2addr_b64 v[74:77], v2 offset0:61 offset1:62
	s_wait_dscnt 0x1
	v_fmac_f64_e32 v[88:89], v[78:79], v[70:71]
	ds_load_b64 v[70:71], v2 offset:504
	s_wait_loadcnt 0x1
	v_fmac_f64_e32 v[88:89], v[80:81], v[72:73]
	s_wait_dscnt 0x1
	s_delay_alu instid0(VALU_DEP_1) | instskip(SKIP_1) | instid1(VALU_DEP_1)
	v_fmac_f64_e32 v[88:89], v[82:83], v[74:75]
	s_wait_loadcnt 0x0
	v_fmac_f64_e32 v[88:89], v[84:85], v[76:77]
	s_wait_dscnt 0x0
	s_delay_alu instid0(VALU_DEP_1) | instskip(NEXT) | instid1(VALU_DEP_1)
	v_fmac_f64_e32 v[88:89], v[86:87], v[70:71]
	v_add_f64_e64 v[68:69], v[68:69], -v[88:89]
	scratch_store_b64 off, v[68:69], off offset:176
	s_wait_xcnt 0x0
	v_cmpx_lt_u32_e32 21, v0
	s_cbranch_execz .LBB95_159
; %bb.158:
	scratch_load_b64 v[68:69], off, off offset:168
	v_mov_b64_e32 v[70:71], 0
	scratch_store_b64 off, v[70:71], off offset:168
	s_wait_loadcnt 0x0
	ds_store_b64 v1, v[68:69]
.LBB95_159:
	s_wait_xcnt 0x0
	s_or_b32 exec_lo, exec_lo, s0
	s_wait_storecnt_dscnt 0x0
	s_barrier_signal -1
	s_barrier_wait -1
	s_clause 0x5
	scratch_load_b128 v[68:71], off, off offset:168
	scratch_load_b128 v[72:75], off, off offset:184
	;; [unrolled: 1-line block ×5, first 2 shown]
	scratch_load_b64 v[96:97], off, off offset:248
	ds_load_b128 v[88:91], v2 offset:432
	ds_load_b128 v[92:95], v2 offset:448
	s_mov_b32 s0, exec_lo
	s_wait_loadcnt_dscnt 0x501
	v_fma_f64 v[88:89], v[70:71], v[88:89], 0
	s_wait_loadcnt 0x4
	s_delay_alu instid0(VALU_DEP_1) | instskip(SKIP_1) | instid1(VALU_DEP_1)
	v_fmac_f64_e32 v[88:89], v[72:73], v[90:91]
	s_wait_dscnt 0x0
	v_fmac_f64_e32 v[88:89], v[74:75], v[92:93]
	s_wait_loadcnt 0x3
	s_delay_alu instid0(VALU_DEP_1)
	v_fmac_f64_e32 v[88:89], v[76:77], v[94:95]
	ds_load_b128 v[70:73], v2 offset:464
	ds_load_b128 v[74:77], v2 offset:480
	s_wait_dscnt 0x1
	v_fmac_f64_e32 v[88:89], v[78:79], v[70:71]
	s_wait_loadcnt 0x2
	s_delay_alu instid0(VALU_DEP_1) | instskip(SKIP_4) | instid1(VALU_DEP_1)
	v_fmac_f64_e32 v[88:89], v[80:81], v[72:73]
	ds_load_b128 v[70:73], v2 offset:496
	s_wait_dscnt 0x1
	v_fmac_f64_e32 v[88:89], v[82:83], v[74:75]
	s_wait_loadcnt 0x1
	v_fmac_f64_e32 v[88:89], v[84:85], v[76:77]
	s_wait_dscnt 0x0
	s_delay_alu instid0(VALU_DEP_1) | instskip(SKIP_1) | instid1(VALU_DEP_1)
	v_fmac_f64_e32 v[88:89], v[86:87], v[70:71]
	s_wait_loadcnt 0x0
	v_fmac_f64_e32 v[88:89], v[96:97], v[72:73]
	s_delay_alu instid0(VALU_DEP_1)
	v_add_f64_e64 v[2:3], v[68:69], -v[88:89]
	scratch_store_b64 off, v[2:3], off offset:168
	s_wait_xcnt 0x0
	v_cmpx_lt_u32_e32 20, v0
	s_cbranch_execz .LBB95_161
; %bb.160:
	scratch_load_b64 v[2:3], off, off offset:160
	v_mov_b64_e32 v[68:69], 0
	scratch_store_b64 off, v[68:69], off offset:160
	s_wait_loadcnt 0x0
	ds_store_b64 v1, v[2:3]
.LBB95_161:
	s_wait_xcnt 0x0
	s_or_b32 exec_lo, exec_lo, s0
	s_wait_storecnt_dscnt 0x0
	s_barrier_signal -1
	s_barrier_wait -1
	s_clause 0x5
	scratch_load_b128 v[68:71], off, off offset:160
	scratch_load_b128 v[72:75], off, off offset:176
	;; [unrolled: 1-line block ×6, first 2 shown]
	v_mov_b32_e32 v2, 0
	ds_load_2addr_b64 v[92:95], v2 offset0:53 offset1:54
	ds_load_2addr_b64 v[96:99], v2 offset0:55 offset1:56
	s_mov_b32 s0, exec_lo
	s_wait_loadcnt_dscnt 0x501
	v_fma_f64 v[92:93], v[70:71], v[92:93], 0
	s_wait_loadcnt 0x4
	s_delay_alu instid0(VALU_DEP_1) | instskip(SKIP_1) | instid1(VALU_DEP_1)
	v_fmac_f64_e32 v[92:93], v[72:73], v[94:95]
	s_wait_dscnt 0x0
	v_fmac_f64_e32 v[92:93], v[74:75], v[96:97]
	s_wait_loadcnt 0x3
	s_delay_alu instid0(VALU_DEP_1)
	v_fmac_f64_e32 v[92:93], v[76:77], v[98:99]
	ds_load_2addr_b64 v[70:73], v2 offset0:57 offset1:58
	ds_load_2addr_b64 v[74:77], v2 offset0:59 offset1:60
	s_wait_dscnt 0x1
	v_fmac_f64_e32 v[92:93], v[78:79], v[70:71]
	s_wait_loadcnt 0x2
	s_delay_alu instid0(VALU_DEP_1) | instskip(SKIP_1) | instid1(VALU_DEP_1)
	v_fmac_f64_e32 v[92:93], v[80:81], v[72:73]
	s_wait_dscnt 0x0
	v_fmac_f64_e32 v[92:93], v[82:83], v[74:75]
	ds_load_2addr_b64 v[70:73], v2 offset0:61 offset1:62
	ds_load_b64 v[74:75], v2 offset:504
	s_wait_loadcnt 0x1
	v_fmac_f64_e32 v[92:93], v[84:85], v[76:77]
	s_wait_dscnt 0x1
	s_delay_alu instid0(VALU_DEP_1) | instskip(SKIP_1) | instid1(VALU_DEP_1)
	v_fmac_f64_e32 v[92:93], v[86:87], v[70:71]
	s_wait_loadcnt 0x0
	v_fmac_f64_e32 v[92:93], v[88:89], v[72:73]
	s_wait_dscnt 0x0
	s_delay_alu instid0(VALU_DEP_1) | instskip(NEXT) | instid1(VALU_DEP_1)
	v_fmac_f64_e32 v[92:93], v[90:91], v[74:75]
	v_add_f64_e64 v[68:69], v[68:69], -v[92:93]
	scratch_store_b64 off, v[68:69], off offset:160
	s_wait_xcnt 0x0
	v_cmpx_lt_u32_e32 19, v0
	s_cbranch_execz .LBB95_163
; %bb.162:
	scratch_load_b64 v[68:69], off, off offset:152
	v_mov_b64_e32 v[70:71], 0
	scratch_store_b64 off, v[70:71], off offset:152
	s_wait_loadcnt 0x0
	ds_store_b64 v1, v[68:69]
.LBB95_163:
	s_wait_xcnt 0x0
	s_or_b32 exec_lo, exec_lo, s0
	s_wait_storecnt_dscnt 0x0
	s_barrier_signal -1
	s_barrier_wait -1
	s_clause 0x5
	scratch_load_b128 v[68:71], off, off offset:152
	scratch_load_b128 v[72:75], off, off offset:168
	;; [unrolled: 1-line block ×6, first 2 shown]
	ds_load_b128 v[92:95], v2 offset:416
	ds_load_b128 v[96:99], v2 offset:432
	s_mov_b32 s0, exec_lo
	s_wait_loadcnt_dscnt 0x501
	v_fma_f64 v[92:93], v[70:71], v[92:93], 0
	s_wait_loadcnt 0x4
	s_delay_alu instid0(VALU_DEP_1) | instskip(SKIP_4) | instid1(VALU_DEP_1)
	v_fmac_f64_e32 v[92:93], v[72:73], v[94:95]
	scratch_load_b64 v[94:95], off, off offset:248
	s_wait_dscnt 0x0
	v_fmac_f64_e32 v[92:93], v[74:75], v[96:97]
	s_wait_loadcnt 0x4
	v_fmac_f64_e32 v[92:93], v[76:77], v[98:99]
	ds_load_b128 v[70:73], v2 offset:448
	ds_load_b128 v[74:77], v2 offset:464
	s_wait_dscnt 0x1
	v_fmac_f64_e32 v[92:93], v[78:79], v[70:71]
	s_wait_loadcnt 0x3
	s_delay_alu instid0(VALU_DEP_1) | instskip(SKIP_1) | instid1(VALU_DEP_1)
	v_fmac_f64_e32 v[92:93], v[80:81], v[72:73]
	s_wait_dscnt 0x0
	v_fmac_f64_e32 v[92:93], v[82:83], v[74:75]
	s_wait_loadcnt 0x2
	s_delay_alu instid0(VALU_DEP_1)
	v_fmac_f64_e32 v[92:93], v[84:85], v[76:77]
	ds_load_b128 v[70:73], v2 offset:480
	ds_load_b128 v[74:77], v2 offset:496
	s_wait_dscnt 0x1
	v_fmac_f64_e32 v[92:93], v[86:87], v[70:71]
	s_wait_loadcnt 0x1
	s_delay_alu instid0(VALU_DEP_1) | instskip(SKIP_1) | instid1(VALU_DEP_1)
	v_fmac_f64_e32 v[92:93], v[88:89], v[72:73]
	s_wait_dscnt 0x0
	v_fmac_f64_e32 v[92:93], v[90:91], v[74:75]
	s_wait_loadcnt 0x0
	s_delay_alu instid0(VALU_DEP_1) | instskip(NEXT) | instid1(VALU_DEP_1)
	v_fmac_f64_e32 v[92:93], v[94:95], v[76:77]
	v_add_f64_e64 v[2:3], v[68:69], -v[92:93]
	scratch_store_b64 off, v[2:3], off offset:152
	s_wait_xcnt 0x0
	v_cmpx_lt_u32_e32 18, v0
	s_cbranch_execz .LBB95_165
; %bb.164:
	scratch_load_b64 v[2:3], off, off offset:144
	v_mov_b64_e32 v[68:69], 0
	scratch_store_b64 off, v[68:69], off offset:144
	s_wait_loadcnt 0x0
	ds_store_b64 v1, v[2:3]
.LBB95_165:
	s_wait_xcnt 0x0
	s_or_b32 exec_lo, exec_lo, s0
	s_wait_storecnt_dscnt 0x0
	s_barrier_signal -1
	s_barrier_wait -1
	s_clause 0x5
	scratch_load_b128 v[68:71], off, off offset:144
	scratch_load_b128 v[72:75], off, off offset:160
	;; [unrolled: 1-line block ×6, first 2 shown]
	v_mov_b32_e32 v2, 0
	ds_load_2addr_b64 v[92:95], v2 offset0:51 offset1:52
	ds_load_2addr_b64 v[96:99], v2 offset0:53 offset1:54
	s_mov_b32 s0, exec_lo
	s_wait_loadcnt_dscnt 0x501
	v_fma_f64 v[100:101], v[70:71], v[92:93], 0
	s_wait_loadcnt 0x4
	s_delay_alu instid0(VALU_DEP_1) | instskip(SKIP_4) | instid1(VALU_DEP_1)
	v_fmac_f64_e32 v[100:101], v[72:73], v[94:95]
	scratch_load_b128 v[70:73], off, off offset:240
	s_wait_dscnt 0x0
	v_fmac_f64_e32 v[100:101], v[74:75], v[96:97]
	s_wait_loadcnt 0x4
	v_fmac_f64_e32 v[100:101], v[76:77], v[98:99]
	ds_load_2addr_b64 v[74:77], v2 offset0:55 offset1:56
	ds_load_2addr_b64 v[92:95], v2 offset0:57 offset1:58
	s_wait_dscnt 0x1
	v_fmac_f64_e32 v[100:101], v[78:79], v[74:75]
	s_wait_loadcnt 0x3
	s_delay_alu instid0(VALU_DEP_1)
	v_fmac_f64_e32 v[100:101], v[80:81], v[76:77]
	ds_load_2addr_b64 v[74:77], v2 offset0:59 offset1:60
	ds_load_2addr_b64 v[78:81], v2 offset0:61 offset1:62
	s_wait_dscnt 0x2
	v_fmac_f64_e32 v[100:101], v[82:83], v[92:93]
	s_wait_loadcnt 0x2
	s_delay_alu instid0(VALU_DEP_1) | instskip(SKIP_1) | instid1(VALU_DEP_1)
	v_fmac_f64_e32 v[100:101], v[84:85], v[94:95]
	s_wait_dscnt 0x1
	v_fmac_f64_e32 v[100:101], v[86:87], v[74:75]
	s_wait_loadcnt 0x1
	s_delay_alu instid0(VALU_DEP_1) | instskip(SKIP_1) | instid1(VALU_DEP_1)
	v_fmac_f64_e32 v[100:101], v[88:89], v[76:77]
	s_wait_dscnt 0x0
	v_fmac_f64_e32 v[100:101], v[90:91], v[78:79]
	s_wait_loadcnt 0x0
	s_delay_alu instid0(VALU_DEP_1) | instskip(SKIP_3) | instid1(VALU_DEP_1)
	v_fmac_f64_e32 v[100:101], v[70:71], v[80:81]
	ds_load_b64 v[70:71], v2 offset:504
	s_wait_dscnt 0x0
	v_fmac_f64_e32 v[100:101], v[72:73], v[70:71]
	v_add_f64_e64 v[68:69], v[68:69], -v[100:101]
	scratch_store_b64 off, v[68:69], off offset:144
	s_wait_xcnt 0x0
	v_cmpx_lt_u32_e32 17, v0
	s_cbranch_execz .LBB95_167
; %bb.166:
	scratch_load_b64 v[68:69], off, off offset:136
	v_mov_b64_e32 v[70:71], 0
	scratch_store_b64 off, v[70:71], off offset:136
	s_wait_loadcnt 0x0
	ds_store_b64 v1, v[68:69]
.LBB95_167:
	s_wait_xcnt 0x0
	s_or_b32 exec_lo, exec_lo, s0
	s_wait_storecnt_dscnt 0x0
	s_barrier_signal -1
	s_barrier_wait -1
	s_clause 0x5
	scratch_load_b128 v[68:71], off, off offset:136
	scratch_load_b128 v[72:75], off, off offset:152
	scratch_load_b128 v[76:79], off, off offset:168
	scratch_load_b128 v[80:83], off, off offset:184
	scratch_load_b128 v[84:87], off, off offset:200
	scratch_load_b128 v[88:91], off, off offset:216
	ds_load_b128 v[92:95], v2 offset:400
	ds_load_b128 v[96:99], v2 offset:416
	s_mov_b32 s0, exec_lo
	s_wait_loadcnt_dscnt 0x501
	v_fma_f64 v[100:101], v[70:71], v[92:93], 0
	s_wait_loadcnt 0x4
	s_delay_alu instid0(VALU_DEP_1)
	v_fmac_f64_e32 v[100:101], v[72:73], v[94:95]
	scratch_load_b128 v[70:73], off, off offset:232
	s_wait_dscnt 0x0
	v_fmac_f64_e32 v[100:101], v[74:75], v[96:97]
	scratch_load_b64 v[96:97], off, off offset:248
	s_wait_loadcnt 0x5
	v_fmac_f64_e32 v[100:101], v[76:77], v[98:99]
	ds_load_b128 v[74:77], v2 offset:432
	ds_load_b128 v[92:95], v2 offset:448
	s_wait_dscnt 0x1
	v_fmac_f64_e32 v[100:101], v[78:79], v[74:75]
	s_wait_loadcnt 0x4
	s_delay_alu instid0(VALU_DEP_1)
	v_fmac_f64_e32 v[100:101], v[80:81], v[76:77]
	ds_load_b128 v[74:77], v2 offset:464
	ds_load_b128 v[78:81], v2 offset:480
	s_wait_dscnt 0x2
	v_fmac_f64_e32 v[100:101], v[82:83], v[92:93]
	s_wait_loadcnt 0x3
	s_delay_alu instid0(VALU_DEP_1) | instskip(SKIP_1) | instid1(VALU_DEP_1)
	v_fmac_f64_e32 v[100:101], v[84:85], v[94:95]
	s_wait_dscnt 0x1
	v_fmac_f64_e32 v[100:101], v[86:87], v[74:75]
	s_wait_loadcnt 0x2
	s_delay_alu instid0(VALU_DEP_1) | instskip(SKIP_4) | instid1(VALU_DEP_1)
	v_fmac_f64_e32 v[100:101], v[88:89], v[76:77]
	ds_load_b128 v[74:77], v2 offset:496
	s_wait_dscnt 0x1
	v_fmac_f64_e32 v[100:101], v[90:91], v[78:79]
	s_wait_loadcnt 0x1
	v_fmac_f64_e32 v[100:101], v[70:71], v[80:81]
	s_wait_dscnt 0x0
	s_delay_alu instid0(VALU_DEP_1) | instskip(SKIP_1) | instid1(VALU_DEP_1)
	v_fmac_f64_e32 v[100:101], v[72:73], v[74:75]
	s_wait_loadcnt 0x0
	v_fmac_f64_e32 v[100:101], v[96:97], v[76:77]
	s_delay_alu instid0(VALU_DEP_1)
	v_add_f64_e64 v[2:3], v[68:69], -v[100:101]
	scratch_store_b64 off, v[2:3], off offset:136
	s_wait_xcnt 0x0
	v_cmpx_lt_u32_e32 16, v0
	s_cbranch_execz .LBB95_169
; %bb.168:
	scratch_load_b64 v[2:3], off, off offset:128
	v_mov_b64_e32 v[68:69], 0
	scratch_store_b64 off, v[68:69], off offset:128
	s_wait_loadcnt 0x0
	ds_store_b64 v1, v[2:3]
.LBB95_169:
	s_wait_xcnt 0x0
	s_or_b32 exec_lo, exec_lo, s0
	s_wait_storecnt_dscnt 0x0
	s_barrier_signal -1
	s_barrier_wait -1
	s_clause 0x5
	scratch_load_b128 v[68:71], off, off offset:128
	scratch_load_b128 v[72:75], off, off offset:144
	;; [unrolled: 1-line block ×6, first 2 shown]
	v_mov_b32_e32 v2, 0
	ds_load_2addr_b64 v[92:95], v2 offset0:49 offset1:50
	ds_load_2addr_b64 v[96:99], v2 offset0:51 offset1:52
	s_mov_b32 s0, exec_lo
	s_wait_loadcnt_dscnt 0x501
	v_fma_f64 v[100:101], v[70:71], v[92:93], 0
	s_wait_loadcnt 0x4
	s_delay_alu instid0(VALU_DEP_1) | instskip(SKIP_4) | instid1(VALU_DEP_1)
	v_fmac_f64_e32 v[100:101], v[72:73], v[94:95]
	scratch_load_b128 v[70:73], off, off offset:224
	s_wait_dscnt 0x0
	v_fmac_f64_e32 v[100:101], v[74:75], v[96:97]
	s_wait_loadcnt 0x4
	v_fmac_f64_e32 v[100:101], v[76:77], v[98:99]
	scratch_load_b128 v[74:77], off, off offset:240
	ds_load_2addr_b64 v[92:95], v2 offset0:53 offset1:54
	ds_load_2addr_b64 v[96:99], v2 offset0:55 offset1:56
	s_wait_dscnt 0x1
	v_fmac_f64_e32 v[100:101], v[78:79], v[92:93]
	s_wait_loadcnt 0x4
	s_delay_alu instid0(VALU_DEP_1) | instskip(SKIP_1) | instid1(VALU_DEP_1)
	v_fmac_f64_e32 v[100:101], v[80:81], v[94:95]
	s_wait_dscnt 0x0
	v_fmac_f64_e32 v[100:101], v[82:83], v[96:97]
	s_wait_loadcnt 0x3
	s_delay_alu instid0(VALU_DEP_1)
	v_fmac_f64_e32 v[100:101], v[84:85], v[98:99]
	ds_load_2addr_b64 v[78:81], v2 offset0:57 offset1:58
	ds_load_2addr_b64 v[82:85], v2 offset0:59 offset1:60
	s_wait_dscnt 0x1
	v_fmac_f64_e32 v[100:101], v[86:87], v[78:79]
	s_wait_loadcnt 0x2
	s_delay_alu instid0(VALU_DEP_1) | instskip(SKIP_1) | instid1(VALU_DEP_1)
	v_fmac_f64_e32 v[100:101], v[88:89], v[80:81]
	s_wait_dscnt 0x0
	v_fmac_f64_e32 v[100:101], v[90:91], v[82:83]
	s_wait_loadcnt 0x1
	s_delay_alu instid0(VALU_DEP_1)
	v_fmac_f64_e32 v[100:101], v[70:71], v[84:85]
	ds_load_2addr_b64 v[78:81], v2 offset0:61 offset1:62
	ds_load_b64 v[70:71], v2 offset:504
	s_wait_dscnt 0x1
	v_fmac_f64_e32 v[100:101], v[72:73], v[78:79]
	s_wait_loadcnt 0x0
	s_delay_alu instid0(VALU_DEP_1) | instskip(SKIP_1) | instid1(VALU_DEP_1)
	v_fmac_f64_e32 v[100:101], v[74:75], v[80:81]
	s_wait_dscnt 0x0
	v_fmac_f64_e32 v[100:101], v[76:77], v[70:71]
	s_delay_alu instid0(VALU_DEP_1)
	v_add_f64_e64 v[68:69], v[68:69], -v[100:101]
	scratch_store_b64 off, v[68:69], off offset:128
	s_wait_xcnt 0x0
	v_cmpx_lt_u32_e32 15, v0
	s_cbranch_execz .LBB95_171
; %bb.170:
	scratch_load_b64 v[68:69], off, off offset:120
	v_mov_b64_e32 v[70:71], 0
	scratch_store_b64 off, v[70:71], off offset:120
	s_wait_loadcnt 0x0
	ds_store_b64 v1, v[68:69]
.LBB95_171:
	s_wait_xcnt 0x0
	s_or_b32 exec_lo, exec_lo, s0
	s_wait_storecnt_dscnt 0x0
	s_barrier_signal -1
	s_barrier_wait -1
	s_clause 0x5
	scratch_load_b128 v[68:71], off, off offset:120
	scratch_load_b128 v[72:75], off, off offset:136
	;; [unrolled: 1-line block ×6, first 2 shown]
	ds_load_b128 v[92:95], v2 offset:384
	ds_load_b128 v[96:99], v2 offset:400
	s_mov_b32 s0, exec_lo
	s_wait_loadcnt_dscnt 0x501
	v_fma_f64 v[100:101], v[70:71], v[92:93], 0
	s_wait_loadcnt 0x4
	s_delay_alu instid0(VALU_DEP_1) | instskip(SKIP_4) | instid1(VALU_DEP_1)
	v_fmac_f64_e32 v[100:101], v[72:73], v[94:95]
	scratch_load_b128 v[70:73], off, off offset:216
	s_wait_dscnt 0x0
	v_fmac_f64_e32 v[100:101], v[74:75], v[96:97]
	s_wait_loadcnt 0x4
	v_fmac_f64_e32 v[100:101], v[76:77], v[98:99]
	scratch_load_b128 v[74:77], off, off offset:232
	ds_load_b128 v[92:95], v2 offset:416
	ds_load_b128 v[96:99], v2 offset:432
	s_wait_dscnt 0x1
	v_fmac_f64_e32 v[100:101], v[78:79], v[92:93]
	scratch_load_b64 v[92:93], off, off offset:248
	s_wait_loadcnt 0x5
	v_fmac_f64_e32 v[100:101], v[80:81], v[94:95]
	s_wait_dscnt 0x0
	s_delay_alu instid0(VALU_DEP_1) | instskip(SKIP_1) | instid1(VALU_DEP_1)
	v_fmac_f64_e32 v[100:101], v[82:83], v[96:97]
	s_wait_loadcnt 0x4
	v_fmac_f64_e32 v[100:101], v[84:85], v[98:99]
	ds_load_b128 v[78:81], v2 offset:448
	ds_load_b128 v[82:85], v2 offset:464
	s_wait_dscnt 0x1
	v_fmac_f64_e32 v[100:101], v[86:87], v[78:79]
	s_wait_loadcnt 0x3
	s_delay_alu instid0(VALU_DEP_1) | instskip(SKIP_1) | instid1(VALU_DEP_1)
	v_fmac_f64_e32 v[100:101], v[88:89], v[80:81]
	s_wait_dscnt 0x0
	v_fmac_f64_e32 v[100:101], v[90:91], v[82:83]
	s_wait_loadcnt 0x2
	s_delay_alu instid0(VALU_DEP_1)
	v_fmac_f64_e32 v[100:101], v[70:71], v[84:85]
	ds_load_b128 v[78:81], v2 offset:480
	ds_load_b128 v[82:85], v2 offset:496
	s_wait_dscnt 0x1
	v_fmac_f64_e32 v[100:101], v[72:73], v[78:79]
	s_wait_loadcnt 0x1
	s_delay_alu instid0(VALU_DEP_1) | instskip(SKIP_1) | instid1(VALU_DEP_1)
	v_fmac_f64_e32 v[100:101], v[74:75], v[80:81]
	s_wait_dscnt 0x0
	v_fmac_f64_e32 v[100:101], v[76:77], v[82:83]
	s_wait_loadcnt 0x0
	s_delay_alu instid0(VALU_DEP_1) | instskip(NEXT) | instid1(VALU_DEP_1)
	v_fmac_f64_e32 v[100:101], v[92:93], v[84:85]
	v_add_f64_e64 v[2:3], v[68:69], -v[100:101]
	scratch_store_b64 off, v[2:3], off offset:120
	s_wait_xcnt 0x0
	v_cmpx_lt_u32_e32 14, v0
	s_cbranch_execz .LBB95_173
; %bb.172:
	scratch_load_b64 v[2:3], off, off offset:112
	v_mov_b64_e32 v[68:69], 0
	scratch_store_b64 off, v[68:69], off offset:112
	s_wait_loadcnt 0x0
	ds_store_b64 v1, v[2:3]
.LBB95_173:
	s_wait_xcnt 0x0
	s_or_b32 exec_lo, exec_lo, s0
	s_wait_storecnt_dscnt 0x0
	s_barrier_signal -1
	s_barrier_wait -1
	s_clause 0x5
	scratch_load_b128 v[68:71], off, off offset:112
	scratch_load_b128 v[72:75], off, off offset:128
	;; [unrolled: 1-line block ×6, first 2 shown]
	v_mov_b32_e32 v2, 0
	ds_load_2addr_b64 v[92:95], v2 offset0:47 offset1:48
	ds_load_2addr_b64 v[96:99], v2 offset0:49 offset1:50
	s_mov_b32 s0, exec_lo
	s_wait_loadcnt_dscnt 0x501
	v_fma_f64 v[100:101], v[70:71], v[92:93], 0
	s_wait_loadcnt 0x4
	s_delay_alu instid0(VALU_DEP_1) | instskip(SKIP_4) | instid1(VALU_DEP_1)
	v_fmac_f64_e32 v[100:101], v[72:73], v[94:95]
	scratch_load_b128 v[70:73], off, off offset:208
	s_wait_dscnt 0x0
	v_fmac_f64_e32 v[100:101], v[74:75], v[96:97]
	s_wait_loadcnt 0x4
	v_fmac_f64_e32 v[100:101], v[76:77], v[98:99]
	scratch_load_b128 v[74:77], off, off offset:224
	ds_load_2addr_b64 v[92:95], v2 offset0:51 offset1:52
	ds_load_2addr_b64 v[96:99], v2 offset0:53 offset1:54
	s_wait_dscnt 0x1
	v_fmac_f64_e32 v[100:101], v[78:79], v[92:93]
	s_wait_loadcnt 0x4
	s_delay_alu instid0(VALU_DEP_1) | instskip(SKIP_4) | instid1(VALU_DEP_1)
	v_fmac_f64_e32 v[100:101], v[80:81], v[94:95]
	scratch_load_b128 v[78:81], off, off offset:240
	s_wait_dscnt 0x0
	v_fmac_f64_e32 v[100:101], v[82:83], v[96:97]
	s_wait_loadcnt 0x4
	v_fmac_f64_e32 v[100:101], v[84:85], v[98:99]
	ds_load_2addr_b64 v[82:85], v2 offset0:55 offset1:56
	ds_load_2addr_b64 v[92:95], v2 offset0:57 offset1:58
	s_wait_dscnt 0x1
	v_fmac_f64_e32 v[100:101], v[86:87], v[82:83]
	s_wait_loadcnt 0x3
	s_delay_alu instid0(VALU_DEP_1)
	v_fmac_f64_e32 v[100:101], v[88:89], v[84:85]
	ds_load_2addr_b64 v[82:85], v2 offset0:59 offset1:60
	ds_load_2addr_b64 v[86:89], v2 offset0:61 offset1:62
	s_wait_dscnt 0x2
	v_fmac_f64_e32 v[100:101], v[90:91], v[92:93]
	s_wait_loadcnt 0x2
	s_delay_alu instid0(VALU_DEP_1) | instskip(SKIP_4) | instid1(VALU_DEP_1)
	v_fmac_f64_e32 v[100:101], v[70:71], v[94:95]
	ds_load_b64 v[70:71], v2 offset:504
	s_wait_dscnt 0x2
	v_fmac_f64_e32 v[100:101], v[72:73], v[82:83]
	s_wait_loadcnt 0x1
	v_fmac_f64_e32 v[100:101], v[74:75], v[84:85]
	s_wait_dscnt 0x1
	s_delay_alu instid0(VALU_DEP_1) | instskip(SKIP_1) | instid1(VALU_DEP_1)
	v_fmac_f64_e32 v[100:101], v[76:77], v[86:87]
	s_wait_loadcnt 0x0
	v_fmac_f64_e32 v[100:101], v[78:79], v[88:89]
	s_wait_dscnt 0x0
	s_delay_alu instid0(VALU_DEP_1) | instskip(NEXT) | instid1(VALU_DEP_1)
	v_fmac_f64_e32 v[100:101], v[80:81], v[70:71]
	v_add_f64_e64 v[68:69], v[68:69], -v[100:101]
	scratch_store_b64 off, v[68:69], off offset:112
	s_wait_xcnt 0x0
	v_cmpx_lt_u32_e32 13, v0
	s_cbranch_execz .LBB95_175
; %bb.174:
	scratch_load_b64 v[68:69], off, off offset:104
	v_mov_b64_e32 v[70:71], 0
	scratch_store_b64 off, v[70:71], off offset:104
	s_wait_loadcnt 0x0
	ds_store_b64 v1, v[68:69]
.LBB95_175:
	s_wait_xcnt 0x0
	s_or_b32 exec_lo, exec_lo, s0
	s_wait_storecnt_dscnt 0x0
	s_barrier_signal -1
	s_barrier_wait -1
	s_clause 0x5
	scratch_load_b128 v[68:71], off, off offset:104
	scratch_load_b128 v[72:75], off, off offset:120
	;; [unrolled: 1-line block ×6, first 2 shown]
	ds_load_b128 v[92:95], v2 offset:368
	ds_load_b128 v[96:99], v2 offset:384
	s_mov_b32 s0, exec_lo
	s_wait_loadcnt_dscnt 0x501
	v_fma_f64 v[100:101], v[70:71], v[92:93], 0
	s_wait_loadcnt 0x4
	s_delay_alu instid0(VALU_DEP_1) | instskip(SKIP_4) | instid1(VALU_DEP_1)
	v_fmac_f64_e32 v[100:101], v[72:73], v[94:95]
	scratch_load_b128 v[70:73], off, off offset:200
	s_wait_dscnt 0x0
	v_fmac_f64_e32 v[100:101], v[74:75], v[96:97]
	s_wait_loadcnt 0x4
	v_fmac_f64_e32 v[100:101], v[76:77], v[98:99]
	scratch_load_b128 v[74:77], off, off offset:216
	ds_load_b128 v[92:95], v2 offset:400
	ds_load_b128 v[96:99], v2 offset:416
	s_wait_dscnt 0x1
	v_fmac_f64_e32 v[100:101], v[78:79], v[92:93]
	s_wait_loadcnt 0x4
	s_delay_alu instid0(VALU_DEP_1)
	v_fmac_f64_e32 v[100:101], v[80:81], v[94:95]
	scratch_load_b128 v[78:81], off, off offset:232
	s_wait_dscnt 0x0
	v_fmac_f64_e32 v[100:101], v[82:83], v[96:97]
	scratch_load_b64 v[96:97], off, off offset:248
	s_wait_loadcnt 0x5
	v_fmac_f64_e32 v[100:101], v[84:85], v[98:99]
	ds_load_b128 v[82:85], v2 offset:432
	ds_load_b128 v[92:95], v2 offset:448
	s_wait_dscnt 0x1
	v_fmac_f64_e32 v[100:101], v[86:87], v[82:83]
	s_wait_loadcnt 0x4
	s_delay_alu instid0(VALU_DEP_1)
	v_fmac_f64_e32 v[100:101], v[88:89], v[84:85]
	ds_load_b128 v[82:85], v2 offset:464
	ds_load_b128 v[86:89], v2 offset:480
	s_wait_dscnt 0x2
	v_fmac_f64_e32 v[100:101], v[90:91], v[92:93]
	s_wait_loadcnt 0x3
	s_delay_alu instid0(VALU_DEP_1) | instskip(SKIP_1) | instid1(VALU_DEP_1)
	v_fmac_f64_e32 v[100:101], v[70:71], v[94:95]
	s_wait_dscnt 0x1
	v_fmac_f64_e32 v[100:101], v[72:73], v[82:83]
	ds_load_b128 v[70:73], v2 offset:496
	s_wait_loadcnt 0x2
	v_fmac_f64_e32 v[100:101], v[74:75], v[84:85]
	s_wait_dscnt 0x1
	s_delay_alu instid0(VALU_DEP_1) | instskip(SKIP_1) | instid1(VALU_DEP_1)
	v_fmac_f64_e32 v[100:101], v[76:77], v[86:87]
	s_wait_loadcnt 0x1
	v_fmac_f64_e32 v[100:101], v[78:79], v[88:89]
	s_wait_dscnt 0x0
	s_delay_alu instid0(VALU_DEP_1) | instskip(SKIP_1) | instid1(VALU_DEP_1)
	v_fmac_f64_e32 v[100:101], v[80:81], v[70:71]
	s_wait_loadcnt 0x0
	v_fmac_f64_e32 v[100:101], v[96:97], v[72:73]
	s_delay_alu instid0(VALU_DEP_1)
	v_add_f64_e64 v[2:3], v[68:69], -v[100:101]
	scratch_store_b64 off, v[2:3], off offset:104
	s_wait_xcnt 0x0
	v_cmpx_lt_u32_e32 12, v0
	s_cbranch_execz .LBB95_177
; %bb.176:
	scratch_load_b64 v[2:3], off, off offset:96
	v_mov_b64_e32 v[68:69], 0
	scratch_store_b64 off, v[68:69], off offset:96
	s_wait_loadcnt 0x0
	ds_store_b64 v1, v[2:3]
.LBB95_177:
	s_wait_xcnt 0x0
	s_or_b32 exec_lo, exec_lo, s0
	s_wait_storecnt_dscnt 0x0
	s_barrier_signal -1
	s_barrier_wait -1
	s_clause 0x5
	scratch_load_b128 v[68:71], off, off offset:96
	scratch_load_b128 v[72:75], off, off offset:112
	scratch_load_b128 v[76:79], off, off offset:128
	scratch_load_b128 v[80:83], off, off offset:144
	scratch_load_b128 v[84:87], off, off offset:160
	scratch_load_b128 v[88:91], off, off offset:176
	v_mov_b32_e32 v2, 0
	ds_load_2addr_b64 v[92:95], v2 offset0:45 offset1:46
	ds_load_2addr_b64 v[96:99], v2 offset0:47 offset1:48
	s_mov_b32 s0, exec_lo
	s_wait_loadcnt_dscnt 0x501
	v_fma_f64 v[100:101], v[70:71], v[92:93], 0
	s_wait_loadcnt 0x4
	s_delay_alu instid0(VALU_DEP_1) | instskip(SKIP_4) | instid1(VALU_DEP_1)
	v_fmac_f64_e32 v[100:101], v[72:73], v[94:95]
	scratch_load_b128 v[70:73], off, off offset:192
	s_wait_dscnt 0x0
	v_fmac_f64_e32 v[100:101], v[74:75], v[96:97]
	s_wait_loadcnt 0x4
	v_fmac_f64_e32 v[100:101], v[76:77], v[98:99]
	scratch_load_b128 v[74:77], off, off offset:208
	ds_load_2addr_b64 v[92:95], v2 offset0:49 offset1:50
	ds_load_2addr_b64 v[96:99], v2 offset0:51 offset1:52
	s_wait_dscnt 0x1
	v_fmac_f64_e32 v[100:101], v[78:79], v[92:93]
	s_wait_loadcnt 0x4
	s_delay_alu instid0(VALU_DEP_1) | instskip(SKIP_4) | instid1(VALU_DEP_1)
	v_fmac_f64_e32 v[100:101], v[80:81], v[94:95]
	scratch_load_b128 v[78:81], off, off offset:224
	s_wait_dscnt 0x0
	v_fmac_f64_e32 v[100:101], v[82:83], v[96:97]
	s_wait_loadcnt 0x4
	v_fmac_f64_e32 v[100:101], v[84:85], v[98:99]
	scratch_load_b128 v[82:85], off, off offset:240
	ds_load_2addr_b64 v[92:95], v2 offset0:53 offset1:54
	ds_load_2addr_b64 v[96:99], v2 offset0:55 offset1:56
	s_wait_dscnt 0x1
	v_fmac_f64_e32 v[100:101], v[86:87], v[92:93]
	s_wait_loadcnt 0x4
	s_delay_alu instid0(VALU_DEP_1) | instskip(SKIP_1) | instid1(VALU_DEP_1)
	v_fmac_f64_e32 v[100:101], v[88:89], v[94:95]
	s_wait_dscnt 0x0
	v_fmac_f64_e32 v[100:101], v[90:91], v[96:97]
	ds_load_2addr_b64 v[86:89], v2 offset0:57 offset1:58
	ds_load_2addr_b64 v[90:93], v2 offset0:59 offset1:60
	s_wait_loadcnt 0x3
	v_fmac_f64_e32 v[100:101], v[70:71], v[98:99]
	s_wait_dscnt 0x1
	s_delay_alu instid0(VALU_DEP_1) | instskip(SKIP_1) | instid1(VALU_DEP_1)
	v_fmac_f64_e32 v[100:101], v[72:73], v[86:87]
	s_wait_loadcnt 0x2
	v_fmac_f64_e32 v[100:101], v[74:75], v[88:89]
	ds_load_2addr_b64 v[70:73], v2 offset0:61 offset1:62
	ds_load_b64 v[74:75], v2 offset:504
	s_wait_dscnt 0x2
	v_fmac_f64_e32 v[100:101], v[76:77], v[90:91]
	s_wait_loadcnt 0x1
	s_delay_alu instid0(VALU_DEP_1) | instskip(SKIP_1) | instid1(VALU_DEP_1)
	v_fmac_f64_e32 v[100:101], v[78:79], v[92:93]
	s_wait_dscnt 0x1
	v_fmac_f64_e32 v[100:101], v[80:81], v[70:71]
	s_wait_loadcnt 0x0
	s_delay_alu instid0(VALU_DEP_1) | instskip(SKIP_1) | instid1(VALU_DEP_1)
	v_fmac_f64_e32 v[100:101], v[82:83], v[72:73]
	s_wait_dscnt 0x0
	v_fmac_f64_e32 v[100:101], v[84:85], v[74:75]
	s_delay_alu instid0(VALU_DEP_1)
	v_add_f64_e64 v[68:69], v[68:69], -v[100:101]
	scratch_store_b64 off, v[68:69], off offset:96
	s_wait_xcnt 0x0
	v_cmpx_lt_u32_e32 11, v0
	s_cbranch_execz .LBB95_179
; %bb.178:
	scratch_load_b64 v[68:69], off, off offset:88
	v_mov_b64_e32 v[70:71], 0
	scratch_store_b64 off, v[70:71], off offset:88
	s_wait_loadcnt 0x0
	ds_store_b64 v1, v[68:69]
.LBB95_179:
	s_wait_xcnt 0x0
	s_or_b32 exec_lo, exec_lo, s0
	s_wait_storecnt_dscnt 0x0
	s_barrier_signal -1
	s_barrier_wait -1
	s_clause 0x5
	scratch_load_b128 v[68:71], off, off offset:88
	scratch_load_b128 v[72:75], off, off offset:104
	;; [unrolled: 1-line block ×6, first 2 shown]
	ds_load_b128 v[92:95], v2 offset:352
	ds_load_b128 v[96:99], v2 offset:368
	s_mov_b32 s0, exec_lo
	s_wait_loadcnt_dscnt 0x501
	v_fma_f64 v[100:101], v[70:71], v[92:93], 0
	s_wait_loadcnt 0x4
	s_delay_alu instid0(VALU_DEP_1) | instskip(SKIP_4) | instid1(VALU_DEP_1)
	v_fmac_f64_e32 v[100:101], v[72:73], v[94:95]
	scratch_load_b128 v[70:73], off, off offset:184
	s_wait_dscnt 0x0
	v_fmac_f64_e32 v[100:101], v[74:75], v[96:97]
	s_wait_loadcnt 0x4
	v_fmac_f64_e32 v[100:101], v[76:77], v[98:99]
	scratch_load_b128 v[74:77], off, off offset:200
	ds_load_b128 v[92:95], v2 offset:384
	ds_load_b128 v[96:99], v2 offset:400
	s_wait_dscnt 0x1
	v_fmac_f64_e32 v[100:101], v[78:79], v[92:93]
	s_wait_loadcnt 0x4
	s_delay_alu instid0(VALU_DEP_1) | instskip(SKIP_4) | instid1(VALU_DEP_1)
	v_fmac_f64_e32 v[100:101], v[80:81], v[94:95]
	scratch_load_b128 v[78:81], off, off offset:216
	s_wait_dscnt 0x0
	v_fmac_f64_e32 v[100:101], v[82:83], v[96:97]
	s_wait_loadcnt 0x4
	v_fmac_f64_e32 v[100:101], v[84:85], v[98:99]
	scratch_load_b128 v[82:85], off, off offset:232
	ds_load_b128 v[92:95], v2 offset:416
	ds_load_b128 v[96:99], v2 offset:432
	s_wait_dscnt 0x1
	v_fmac_f64_e32 v[100:101], v[86:87], v[92:93]
	s_wait_loadcnt 0x4
	s_delay_alu instid0(VALU_DEP_1)
	v_fmac_f64_e32 v[100:101], v[88:89], v[94:95]
	scratch_load_b64 v[94:95], off, off offset:248
	s_wait_dscnt 0x0
	v_fmac_f64_e32 v[100:101], v[90:91], v[96:97]
	ds_load_b128 v[86:89], v2 offset:448
	ds_load_b128 v[90:93], v2 offset:464
	s_wait_loadcnt 0x4
	v_fmac_f64_e32 v[100:101], v[70:71], v[98:99]
	s_wait_dscnt 0x1
	s_delay_alu instid0(VALU_DEP_1) | instskip(SKIP_1) | instid1(VALU_DEP_1)
	v_fmac_f64_e32 v[100:101], v[72:73], v[86:87]
	s_wait_loadcnt 0x3
	v_fmac_f64_e32 v[100:101], v[74:75], v[88:89]
	s_wait_dscnt 0x0
	s_delay_alu instid0(VALU_DEP_1)
	v_fmac_f64_e32 v[100:101], v[76:77], v[90:91]
	ds_load_b128 v[70:73], v2 offset:480
	ds_load_b128 v[74:77], v2 offset:496
	s_wait_loadcnt 0x2
	v_fmac_f64_e32 v[100:101], v[78:79], v[92:93]
	s_wait_dscnt 0x1
	s_delay_alu instid0(VALU_DEP_1) | instskip(SKIP_1) | instid1(VALU_DEP_1)
	v_fmac_f64_e32 v[100:101], v[80:81], v[70:71]
	s_wait_loadcnt 0x1
	v_fmac_f64_e32 v[100:101], v[82:83], v[72:73]
	s_wait_dscnt 0x0
	s_delay_alu instid0(VALU_DEP_1) | instskip(SKIP_1) | instid1(VALU_DEP_1)
	v_fmac_f64_e32 v[100:101], v[84:85], v[74:75]
	s_wait_loadcnt 0x0
	v_fmac_f64_e32 v[100:101], v[94:95], v[76:77]
	s_delay_alu instid0(VALU_DEP_1)
	v_add_f64_e64 v[2:3], v[68:69], -v[100:101]
	scratch_store_b64 off, v[2:3], off offset:88
	s_wait_xcnt 0x0
	v_cmpx_lt_u32_e32 10, v0
	s_cbranch_execz .LBB95_181
; %bb.180:
	scratch_load_b64 v[2:3], off, off offset:80
	v_mov_b64_e32 v[68:69], 0
	scratch_store_b64 off, v[68:69], off offset:80
	s_wait_loadcnt 0x0
	ds_store_b64 v1, v[2:3]
.LBB95_181:
	s_wait_xcnt 0x0
	s_or_b32 exec_lo, exec_lo, s0
	s_wait_storecnt_dscnt 0x0
	s_barrier_signal -1
	s_barrier_wait -1
	s_clause 0x5
	scratch_load_b128 v[68:71], off, off offset:80
	scratch_load_b128 v[72:75], off, off offset:96
	;; [unrolled: 1-line block ×6, first 2 shown]
	v_mov_b32_e32 v2, 0
	ds_load_2addr_b64 v[92:95], v2 offset0:43 offset1:44
	ds_load_2addr_b64 v[96:99], v2 offset0:45 offset1:46
	s_mov_b32 s0, exec_lo
	s_wait_loadcnt_dscnt 0x501
	v_fma_f64 v[100:101], v[70:71], v[92:93], 0
	s_wait_loadcnt 0x4
	s_delay_alu instid0(VALU_DEP_1) | instskip(SKIP_4) | instid1(VALU_DEP_1)
	v_fmac_f64_e32 v[100:101], v[72:73], v[94:95]
	scratch_load_b128 v[70:73], off, off offset:176
	s_wait_dscnt 0x0
	v_fmac_f64_e32 v[100:101], v[74:75], v[96:97]
	s_wait_loadcnt 0x4
	v_fmac_f64_e32 v[100:101], v[76:77], v[98:99]
	scratch_load_b128 v[74:77], off, off offset:192
	ds_load_2addr_b64 v[92:95], v2 offset0:47 offset1:48
	ds_load_2addr_b64 v[96:99], v2 offset0:49 offset1:50
	s_wait_dscnt 0x1
	v_fmac_f64_e32 v[100:101], v[78:79], v[92:93]
	s_wait_loadcnt 0x4
	s_delay_alu instid0(VALU_DEP_1) | instskip(SKIP_4) | instid1(VALU_DEP_1)
	v_fmac_f64_e32 v[100:101], v[80:81], v[94:95]
	scratch_load_b128 v[78:81], off, off offset:208
	s_wait_dscnt 0x0
	v_fmac_f64_e32 v[100:101], v[82:83], v[96:97]
	s_wait_loadcnt 0x4
	v_fmac_f64_e32 v[100:101], v[84:85], v[98:99]
	scratch_load_b128 v[82:85], off, off offset:224
	ds_load_2addr_b64 v[92:95], v2 offset0:51 offset1:52
	ds_load_2addr_b64 v[96:99], v2 offset0:53 offset1:54
	s_wait_dscnt 0x1
	v_fmac_f64_e32 v[100:101], v[86:87], v[92:93]
	s_wait_loadcnt 0x4
	s_delay_alu instid0(VALU_DEP_1)
	v_fmac_f64_e32 v[100:101], v[88:89], v[94:95]
	scratch_load_b128 v[86:89], off, off offset:240
	s_wait_dscnt 0x0
	v_fmac_f64_e32 v[100:101], v[90:91], v[96:97]
	ds_load_2addr_b64 v[90:93], v2 offset0:55 offset1:56
	ds_load_2addr_b64 v[94:97], v2 offset0:57 offset1:58
	s_wait_loadcnt 0x4
	v_fmac_f64_e32 v[100:101], v[70:71], v[98:99]
	s_wait_dscnt 0x1
	s_delay_alu instid0(VALU_DEP_1) | instskip(SKIP_1) | instid1(VALU_DEP_1)
	v_fmac_f64_e32 v[100:101], v[72:73], v[90:91]
	s_wait_loadcnt 0x3
	v_fmac_f64_e32 v[100:101], v[74:75], v[92:93]
	s_wait_dscnt 0x0
	s_delay_alu instid0(VALU_DEP_1)
	v_fmac_f64_e32 v[100:101], v[76:77], v[94:95]
	ds_load_2addr_b64 v[70:73], v2 offset0:59 offset1:60
	ds_load_2addr_b64 v[74:77], v2 offset0:61 offset1:62
	s_wait_loadcnt 0x2
	v_fmac_f64_e32 v[100:101], v[78:79], v[96:97]
	s_wait_dscnt 0x1
	s_delay_alu instid0(VALU_DEP_1) | instskip(SKIP_4) | instid1(VALU_DEP_1)
	v_fmac_f64_e32 v[100:101], v[80:81], v[70:71]
	ds_load_b64 v[70:71], v2 offset:504
	s_wait_loadcnt 0x1
	v_fmac_f64_e32 v[100:101], v[82:83], v[72:73]
	s_wait_dscnt 0x1
	v_fmac_f64_e32 v[100:101], v[84:85], v[74:75]
	s_wait_loadcnt 0x0
	s_delay_alu instid0(VALU_DEP_1) | instskip(SKIP_1) | instid1(VALU_DEP_1)
	v_fmac_f64_e32 v[100:101], v[86:87], v[76:77]
	s_wait_dscnt 0x0
	v_fmac_f64_e32 v[100:101], v[88:89], v[70:71]
	s_delay_alu instid0(VALU_DEP_1)
	v_add_f64_e64 v[68:69], v[68:69], -v[100:101]
	scratch_store_b64 off, v[68:69], off offset:80
	s_wait_xcnt 0x0
	v_cmpx_lt_u32_e32 9, v0
	s_cbranch_execz .LBB95_183
; %bb.182:
	scratch_load_b64 v[68:69], off, off offset:72
	v_mov_b64_e32 v[70:71], 0
	scratch_store_b64 off, v[70:71], off offset:72
	s_wait_loadcnt 0x0
	ds_store_b64 v1, v[68:69]
.LBB95_183:
	s_wait_xcnt 0x0
	s_or_b32 exec_lo, exec_lo, s0
	s_wait_storecnt_dscnt 0x0
	s_barrier_signal -1
	s_barrier_wait -1
	s_clause 0x5
	scratch_load_b128 v[68:71], off, off offset:72
	scratch_load_b128 v[72:75], off, off offset:88
	;; [unrolled: 1-line block ×6, first 2 shown]
	ds_load_b128 v[92:95], v2 offset:336
	ds_load_b128 v[96:99], v2 offset:352
	scratch_load_b128 v[100:103], off, off offset:168
	s_mov_b32 s0, exec_lo
	s_wait_loadcnt_dscnt 0x601
	v_fma_f64 v[104:105], v[70:71], v[92:93], 0
	s_wait_loadcnt 0x5
	s_delay_alu instid0(VALU_DEP_1) | instskip(SKIP_4) | instid1(VALU_DEP_1)
	v_fmac_f64_e32 v[104:105], v[72:73], v[94:95]
	scratch_load_b128 v[70:73], off, off offset:184
	s_wait_dscnt 0x0
	v_fmac_f64_e32 v[104:105], v[74:75], v[96:97]
	s_wait_loadcnt 0x5
	v_fmac_f64_e32 v[104:105], v[76:77], v[98:99]
	ds_load_b128 v[74:77], v2 offset:368
	ds_load_b128 v[92:95], v2 offset:384
	s_wait_dscnt 0x1
	v_fmac_f64_e32 v[104:105], v[78:79], v[74:75]
	s_wait_loadcnt 0x4
	s_delay_alu instid0(VALU_DEP_1)
	v_fmac_f64_e32 v[104:105], v[80:81], v[76:77]
	s_clause 0x1
	scratch_load_b128 v[74:77], off, off offset:200
	scratch_load_b128 v[78:81], off, off offset:216
	s_wait_dscnt 0x0
	v_fmac_f64_e32 v[104:105], v[82:83], v[92:93]
	s_wait_loadcnt 0x5
	s_delay_alu instid0(VALU_DEP_1)
	v_fmac_f64_e32 v[104:105], v[84:85], v[94:95]
	ds_load_b128 v[82:85], v2 offset:400
	ds_load_b128 v[92:95], v2 offset:416
	s_wait_dscnt 0x1
	v_fmac_f64_e32 v[104:105], v[86:87], v[82:83]
	s_wait_loadcnt 0x4
	s_delay_alu instid0(VALU_DEP_1) | instskip(SKIP_4) | instid1(VALU_DEP_1)
	v_fmac_f64_e32 v[104:105], v[88:89], v[84:85]
	scratch_load_b128 v[82:85], off, off offset:232
	s_wait_dscnt 0x0
	v_fmac_f64_e32 v[104:105], v[90:91], v[92:93]
	s_wait_loadcnt 0x4
	v_fmac_f64_e32 v[104:105], v[100:101], v[94:95]
	scratch_load_b64 v[94:95], off, off offset:248
	ds_load_b128 v[86:89], v2 offset:432
	ds_load_b128 v[90:93], v2 offset:448
	s_wait_dscnt 0x1
	v_fmac_f64_e32 v[104:105], v[102:103], v[86:87]
	s_wait_loadcnt 0x4
	s_delay_alu instid0(VALU_DEP_1) | instskip(SKIP_1) | instid1(VALU_DEP_1)
	v_fmac_f64_e32 v[104:105], v[70:71], v[88:89]
	s_wait_dscnt 0x0
	v_fmac_f64_e32 v[104:105], v[72:73], v[90:91]
	ds_load_b128 v[70:73], v2 offset:464
	ds_load_b128 v[86:89], v2 offset:480
	s_wait_loadcnt 0x3
	v_fmac_f64_e32 v[104:105], v[74:75], v[92:93]
	s_wait_dscnt 0x1
	s_delay_alu instid0(VALU_DEP_1) | instskip(SKIP_1) | instid1(VALU_DEP_1)
	v_fmac_f64_e32 v[104:105], v[76:77], v[70:71]
	s_wait_loadcnt 0x2
	v_fmac_f64_e32 v[104:105], v[78:79], v[72:73]
	ds_load_b128 v[70:73], v2 offset:496
	s_wait_dscnt 0x1
	v_fmac_f64_e32 v[104:105], v[80:81], v[86:87]
	s_wait_loadcnt 0x1
	s_delay_alu instid0(VALU_DEP_1) | instskip(SKIP_1) | instid1(VALU_DEP_1)
	v_fmac_f64_e32 v[104:105], v[82:83], v[88:89]
	s_wait_dscnt 0x0
	v_fmac_f64_e32 v[104:105], v[84:85], v[70:71]
	s_wait_loadcnt 0x0
	s_delay_alu instid0(VALU_DEP_1) | instskip(NEXT) | instid1(VALU_DEP_1)
	v_fmac_f64_e32 v[104:105], v[94:95], v[72:73]
	v_add_f64_e64 v[2:3], v[68:69], -v[104:105]
	scratch_store_b64 off, v[2:3], off offset:72
	s_wait_xcnt 0x0
	v_cmpx_lt_u32_e32 8, v0
	s_cbranch_execz .LBB95_185
; %bb.184:
	scratch_load_b64 v[2:3], off, off offset:64
	v_mov_b64_e32 v[68:69], 0
	scratch_store_b64 off, v[68:69], off offset:64
	s_wait_loadcnt 0x0
	ds_store_b64 v1, v[2:3]
.LBB95_185:
	s_wait_xcnt 0x0
	s_or_b32 exec_lo, exec_lo, s0
	s_wait_storecnt_dscnt 0x0
	s_barrier_signal -1
	s_barrier_wait -1
	s_clause 0x5
	scratch_load_b128 v[68:71], off, off offset:64
	scratch_load_b128 v[72:75], off, off offset:80
	;; [unrolled: 1-line block ×6, first 2 shown]
	v_mov_b32_e32 v2, 0
	ds_load_2addr_b64 v[92:95], v2 offset0:41 offset1:42
	ds_load_2addr_b64 v[96:99], v2 offset0:43 offset1:44
	scratch_load_b128 v[100:103], off, off offset:160
	s_mov_b32 s0, exec_lo
	s_wait_loadcnt_dscnt 0x601
	v_fma_f64 v[104:105], v[70:71], v[92:93], 0
	s_wait_loadcnt 0x5
	s_delay_alu instid0(VALU_DEP_1) | instskip(SKIP_4) | instid1(VALU_DEP_1)
	v_fmac_f64_e32 v[104:105], v[72:73], v[94:95]
	scratch_load_b128 v[70:73], off, off offset:176
	s_wait_dscnt 0x0
	v_fmac_f64_e32 v[104:105], v[74:75], v[96:97]
	s_wait_loadcnt 0x5
	v_fmac_f64_e32 v[104:105], v[76:77], v[98:99]
	ds_load_2addr_b64 v[74:77], v2 offset0:45 offset1:46
	ds_load_2addr_b64 v[92:95], v2 offset0:47 offset1:48
	s_wait_dscnt 0x1
	v_fmac_f64_e32 v[104:105], v[78:79], v[74:75]
	s_wait_loadcnt 0x4
	s_delay_alu instid0(VALU_DEP_1)
	v_fmac_f64_e32 v[104:105], v[80:81], v[76:77]
	s_clause 0x1
	scratch_load_b128 v[74:77], off, off offset:192
	scratch_load_b128 v[78:81], off, off offset:208
	s_wait_dscnt 0x0
	v_fmac_f64_e32 v[104:105], v[82:83], v[92:93]
	s_wait_loadcnt 0x5
	s_delay_alu instid0(VALU_DEP_1)
	v_fmac_f64_e32 v[104:105], v[84:85], v[94:95]
	ds_load_2addr_b64 v[82:85], v2 offset0:49 offset1:50
	ds_load_2addr_b64 v[92:95], v2 offset0:51 offset1:52
	s_wait_dscnt 0x1
	v_fmac_f64_e32 v[104:105], v[86:87], v[82:83]
	s_wait_loadcnt 0x4
	s_delay_alu instid0(VALU_DEP_1)
	v_fmac_f64_e32 v[104:105], v[88:89], v[84:85]
	s_clause 0x1
	scratch_load_b128 v[82:85], off, off offset:224
	scratch_load_b128 v[86:89], off, off offset:240
	s_wait_dscnt 0x0
	v_fmac_f64_e32 v[104:105], v[90:91], v[92:93]
	s_wait_loadcnt 0x5
	s_delay_alu instid0(VALU_DEP_1)
	v_fmac_f64_e32 v[104:105], v[100:101], v[94:95]
	ds_load_2addr_b64 v[90:93], v2 offset0:53 offset1:54
	ds_load_2addr_b64 v[94:97], v2 offset0:55 offset1:56
	s_wait_dscnt 0x1
	v_fmac_f64_e32 v[104:105], v[102:103], v[90:91]
	s_wait_loadcnt 0x4
	s_delay_alu instid0(VALU_DEP_1) | instskip(SKIP_1) | instid1(VALU_DEP_1)
	v_fmac_f64_e32 v[104:105], v[70:71], v[92:93]
	s_wait_dscnt 0x0
	v_fmac_f64_e32 v[104:105], v[72:73], v[94:95]
	ds_load_2addr_b64 v[70:73], v2 offset0:57 offset1:58
	ds_load_2addr_b64 v[90:93], v2 offset0:59 offset1:60
	s_wait_loadcnt 0x3
	v_fmac_f64_e32 v[104:105], v[74:75], v[96:97]
	s_wait_dscnt 0x1
	s_delay_alu instid0(VALU_DEP_1) | instskip(SKIP_1) | instid1(VALU_DEP_1)
	v_fmac_f64_e32 v[104:105], v[76:77], v[70:71]
	s_wait_loadcnt 0x2
	v_fmac_f64_e32 v[104:105], v[78:79], v[72:73]
	ds_load_2addr_b64 v[70:73], v2 offset0:61 offset1:62
	ds_load_b64 v[74:75], v2 offset:504
	s_wait_dscnt 0x2
	v_fmac_f64_e32 v[104:105], v[80:81], v[90:91]
	s_wait_loadcnt 0x1
	s_delay_alu instid0(VALU_DEP_1) | instskip(SKIP_1) | instid1(VALU_DEP_1)
	v_fmac_f64_e32 v[104:105], v[82:83], v[92:93]
	s_wait_dscnt 0x1
	v_fmac_f64_e32 v[104:105], v[84:85], v[70:71]
	s_wait_loadcnt 0x0
	s_delay_alu instid0(VALU_DEP_1) | instskip(SKIP_1) | instid1(VALU_DEP_1)
	v_fmac_f64_e32 v[104:105], v[86:87], v[72:73]
	s_wait_dscnt 0x0
	v_fmac_f64_e32 v[104:105], v[88:89], v[74:75]
	s_delay_alu instid0(VALU_DEP_1)
	v_add_f64_e64 v[68:69], v[68:69], -v[104:105]
	scratch_store_b64 off, v[68:69], off offset:64
	s_wait_xcnt 0x0
	v_cmpx_lt_u32_e32 7, v0
	s_cbranch_execz .LBB95_187
; %bb.186:
	scratch_load_b64 v[68:69], off, off offset:56
	v_mov_b64_e32 v[70:71], 0
	scratch_store_b64 off, v[70:71], off offset:56
	s_wait_loadcnt 0x0
	ds_store_b64 v1, v[68:69]
.LBB95_187:
	s_wait_xcnt 0x0
	s_or_b32 exec_lo, exec_lo, s0
	s_wait_storecnt_dscnt 0x0
	s_barrier_signal -1
	s_barrier_wait -1
	s_clause 0x5
	scratch_load_b128 v[68:71], off, off offset:56
	scratch_load_b128 v[72:75], off, off offset:72
	;; [unrolled: 1-line block ×6, first 2 shown]
	ds_load_b128 v[92:95], v2 offset:320
	ds_load_b128 v[96:99], v2 offset:336
	scratch_load_b128 v[100:103], off, off offset:152
	s_mov_b32 s0, exec_lo
	s_wait_loadcnt_dscnt 0x601
	v_fma_f64 v[104:105], v[70:71], v[92:93], 0
	s_wait_loadcnt 0x5
	s_delay_alu instid0(VALU_DEP_1) | instskip(SKIP_4) | instid1(VALU_DEP_1)
	v_fmac_f64_e32 v[104:105], v[72:73], v[94:95]
	scratch_load_b128 v[70:73], off, off offset:168
	s_wait_dscnt 0x0
	v_fmac_f64_e32 v[104:105], v[74:75], v[96:97]
	s_wait_loadcnt 0x5
	v_fmac_f64_e32 v[104:105], v[76:77], v[98:99]
	ds_load_b128 v[74:77], v2 offset:352
	ds_load_b128 v[92:95], v2 offset:368
	s_wait_dscnt 0x1
	v_fmac_f64_e32 v[104:105], v[78:79], v[74:75]
	s_wait_loadcnt 0x4
	s_delay_alu instid0(VALU_DEP_1)
	v_fmac_f64_e32 v[104:105], v[80:81], v[76:77]
	s_clause 0x1
	scratch_load_b128 v[74:77], off, off offset:184
	scratch_load_b128 v[78:81], off, off offset:200
	s_wait_dscnt 0x0
	v_fmac_f64_e32 v[104:105], v[82:83], v[92:93]
	s_wait_loadcnt 0x5
	s_delay_alu instid0(VALU_DEP_1)
	v_fmac_f64_e32 v[104:105], v[84:85], v[94:95]
	ds_load_b128 v[82:85], v2 offset:384
	ds_load_b128 v[92:95], v2 offset:400
	s_wait_dscnt 0x1
	v_fmac_f64_e32 v[104:105], v[86:87], v[82:83]
	s_wait_loadcnt 0x4
	s_delay_alu instid0(VALU_DEP_1)
	v_fmac_f64_e32 v[104:105], v[88:89], v[84:85]
	s_clause 0x1
	scratch_load_b128 v[82:85], off, off offset:216
	scratch_load_b128 v[86:89], off, off offset:232
	s_wait_dscnt 0x0
	v_fmac_f64_e32 v[104:105], v[90:91], v[92:93]
	s_wait_loadcnt 0x5
	s_delay_alu instid0(VALU_DEP_1)
	v_fmac_f64_e32 v[104:105], v[100:101], v[94:95]
	ds_load_b128 v[90:93], v2 offset:416
	ds_load_b128 v[94:97], v2 offset:432
	scratch_load_b64 v[98:99], off, off offset:248
	s_wait_dscnt 0x1
	v_fmac_f64_e32 v[104:105], v[102:103], v[90:91]
	s_wait_loadcnt 0x5
	s_delay_alu instid0(VALU_DEP_1) | instskip(SKIP_1) | instid1(VALU_DEP_1)
	v_fmac_f64_e32 v[104:105], v[70:71], v[92:93]
	s_wait_dscnt 0x0
	v_fmac_f64_e32 v[104:105], v[72:73], v[94:95]
	ds_load_b128 v[70:73], v2 offset:448
	ds_load_b128 v[90:93], v2 offset:464
	s_wait_loadcnt 0x4
	v_fmac_f64_e32 v[104:105], v[74:75], v[96:97]
	s_wait_dscnt 0x1
	s_delay_alu instid0(VALU_DEP_1) | instskip(SKIP_1) | instid1(VALU_DEP_1)
	v_fmac_f64_e32 v[104:105], v[76:77], v[70:71]
	s_wait_loadcnt 0x3
	v_fmac_f64_e32 v[104:105], v[78:79], v[72:73]
	ds_load_b128 v[70:73], v2 offset:480
	ds_load_b128 v[74:77], v2 offset:496
	s_wait_dscnt 0x2
	v_fmac_f64_e32 v[104:105], v[80:81], v[90:91]
	s_wait_loadcnt 0x2
	s_delay_alu instid0(VALU_DEP_1) | instskip(SKIP_1) | instid1(VALU_DEP_1)
	v_fmac_f64_e32 v[104:105], v[82:83], v[92:93]
	s_wait_dscnt 0x1
	v_fmac_f64_e32 v[104:105], v[84:85], v[70:71]
	s_wait_loadcnt 0x1
	s_delay_alu instid0(VALU_DEP_1) | instskip(SKIP_1) | instid1(VALU_DEP_1)
	v_fmac_f64_e32 v[104:105], v[86:87], v[72:73]
	s_wait_dscnt 0x0
	v_fmac_f64_e32 v[104:105], v[88:89], v[74:75]
	s_wait_loadcnt 0x0
	s_delay_alu instid0(VALU_DEP_1) | instskip(NEXT) | instid1(VALU_DEP_1)
	v_fmac_f64_e32 v[104:105], v[98:99], v[76:77]
	v_add_f64_e64 v[2:3], v[68:69], -v[104:105]
	scratch_store_b64 off, v[2:3], off offset:56
	s_wait_xcnt 0x0
	v_cmpx_lt_u32_e32 6, v0
	s_cbranch_execz .LBB95_189
; %bb.188:
	scratch_load_b64 v[2:3], off, off offset:48
	v_mov_b64_e32 v[68:69], 0
	scratch_store_b64 off, v[68:69], off offset:48
	s_wait_loadcnt 0x0
	ds_store_b64 v1, v[2:3]
.LBB95_189:
	s_wait_xcnt 0x0
	s_or_b32 exec_lo, exec_lo, s0
	s_wait_storecnt_dscnt 0x0
	s_barrier_signal -1
	s_barrier_wait -1
	s_clause 0x5
	scratch_load_b128 v[68:71], off, off offset:48
	scratch_load_b128 v[72:75], off, off offset:64
	;; [unrolled: 1-line block ×6, first 2 shown]
	v_mov_b32_e32 v2, 0
	ds_load_2addr_b64 v[92:95], v2 offset0:39 offset1:40
	ds_load_2addr_b64 v[96:99], v2 offset0:41 offset1:42
	scratch_load_b128 v[100:103], off, off offset:144
	s_mov_b32 s0, exec_lo
	s_wait_loadcnt_dscnt 0x601
	v_fma_f64 v[104:105], v[70:71], v[92:93], 0
	s_wait_loadcnt 0x5
	s_delay_alu instid0(VALU_DEP_1) | instskip(SKIP_4) | instid1(VALU_DEP_1)
	v_fmac_f64_e32 v[104:105], v[72:73], v[94:95]
	scratch_load_b128 v[70:73], off, off offset:160
	s_wait_dscnt 0x0
	v_fmac_f64_e32 v[104:105], v[74:75], v[96:97]
	s_wait_loadcnt 0x5
	v_fmac_f64_e32 v[104:105], v[76:77], v[98:99]
	ds_load_2addr_b64 v[74:77], v2 offset0:43 offset1:44
	ds_load_2addr_b64 v[92:95], v2 offset0:45 offset1:46
	s_wait_dscnt 0x1
	v_fmac_f64_e32 v[104:105], v[78:79], v[74:75]
	s_wait_loadcnt 0x4
	s_delay_alu instid0(VALU_DEP_1)
	v_fmac_f64_e32 v[104:105], v[80:81], v[76:77]
	s_clause 0x1
	scratch_load_b128 v[74:77], off, off offset:176
	scratch_load_b128 v[78:81], off, off offset:192
	s_wait_dscnt 0x0
	v_fmac_f64_e32 v[104:105], v[82:83], v[92:93]
	s_wait_loadcnt 0x5
	s_delay_alu instid0(VALU_DEP_1)
	v_fmac_f64_e32 v[104:105], v[84:85], v[94:95]
	ds_load_2addr_b64 v[82:85], v2 offset0:47 offset1:48
	ds_load_2addr_b64 v[92:95], v2 offset0:49 offset1:50
	s_wait_dscnt 0x1
	v_fmac_f64_e32 v[104:105], v[86:87], v[82:83]
	s_wait_loadcnt 0x4
	s_delay_alu instid0(VALU_DEP_1)
	v_fmac_f64_e32 v[104:105], v[88:89], v[84:85]
	s_clause 0x1
	scratch_load_b128 v[82:85], off, off offset:208
	scratch_load_b128 v[86:89], off, off offset:224
	s_wait_dscnt 0x0
	v_fmac_f64_e32 v[104:105], v[90:91], v[92:93]
	s_wait_loadcnt 0x5
	s_delay_alu instid0(VALU_DEP_1)
	v_fmac_f64_e32 v[104:105], v[100:101], v[94:95]
	ds_load_2addr_b64 v[90:93], v2 offset0:51 offset1:52
	ds_load_2addr_b64 v[94:97], v2 offset0:53 offset1:54
	s_wait_dscnt 0x1
	v_fmac_f64_e32 v[104:105], v[102:103], v[90:91]
	s_wait_loadcnt 0x4
	s_delay_alu instid0(VALU_DEP_1) | instskip(SKIP_4) | instid1(VALU_DEP_1)
	v_fmac_f64_e32 v[104:105], v[70:71], v[92:93]
	scratch_load_b128 v[90:93], off, off offset:240
	s_wait_dscnt 0x0
	v_fmac_f64_e32 v[104:105], v[72:73], v[94:95]
	s_wait_loadcnt 0x4
	v_fmac_f64_e32 v[104:105], v[74:75], v[96:97]
	ds_load_2addr_b64 v[70:73], v2 offset0:55 offset1:56
	ds_load_2addr_b64 v[94:97], v2 offset0:57 offset1:58
	s_wait_dscnt 0x1
	v_fmac_f64_e32 v[104:105], v[76:77], v[70:71]
	s_wait_loadcnt 0x3
	s_delay_alu instid0(VALU_DEP_1)
	v_fmac_f64_e32 v[104:105], v[78:79], v[72:73]
	ds_load_2addr_b64 v[70:73], v2 offset0:59 offset1:60
	ds_load_2addr_b64 v[74:77], v2 offset0:61 offset1:62
	s_wait_dscnt 0x2
	v_fmac_f64_e32 v[104:105], v[80:81], v[94:95]
	s_wait_loadcnt 0x2
	s_delay_alu instid0(VALU_DEP_1) | instskip(SKIP_1) | instid1(VALU_DEP_1)
	v_fmac_f64_e32 v[104:105], v[82:83], v[96:97]
	s_wait_dscnt 0x1
	v_fmac_f64_e32 v[104:105], v[84:85], v[70:71]
	ds_load_b64 v[70:71], v2 offset:504
	s_wait_loadcnt 0x1
	v_fmac_f64_e32 v[104:105], v[86:87], v[72:73]
	s_wait_dscnt 0x1
	s_delay_alu instid0(VALU_DEP_1) | instskip(SKIP_1) | instid1(VALU_DEP_1)
	v_fmac_f64_e32 v[104:105], v[88:89], v[74:75]
	s_wait_loadcnt 0x0
	v_fmac_f64_e32 v[104:105], v[90:91], v[76:77]
	s_wait_dscnt 0x0
	s_delay_alu instid0(VALU_DEP_1) | instskip(NEXT) | instid1(VALU_DEP_1)
	v_fmac_f64_e32 v[104:105], v[92:93], v[70:71]
	v_add_f64_e64 v[68:69], v[68:69], -v[104:105]
	scratch_store_b64 off, v[68:69], off offset:48
	s_wait_xcnt 0x0
	v_cmpx_lt_u32_e32 5, v0
	s_cbranch_execz .LBB95_191
; %bb.190:
	scratch_load_b64 v[68:69], off, off offset:40
	v_mov_b64_e32 v[70:71], 0
	scratch_store_b64 off, v[70:71], off offset:40
	s_wait_loadcnt 0x0
	ds_store_b64 v1, v[68:69]
.LBB95_191:
	s_wait_xcnt 0x0
	s_or_b32 exec_lo, exec_lo, s0
	s_wait_storecnt_dscnt 0x0
	s_barrier_signal -1
	s_barrier_wait -1
	s_clause 0x5
	scratch_load_b128 v[68:71], off, off offset:40
	scratch_load_b128 v[72:75], off, off offset:56
	;; [unrolled: 1-line block ×6, first 2 shown]
	ds_load_b128 v[92:95], v2 offset:304
	ds_load_b128 v[96:99], v2 offset:320
	scratch_load_b128 v[100:103], off, off offset:136
	s_mov_b32 s0, exec_lo
	s_wait_loadcnt_dscnt 0x601
	v_fma_f64 v[104:105], v[70:71], v[92:93], 0
	s_wait_loadcnt 0x5
	s_delay_alu instid0(VALU_DEP_1) | instskip(SKIP_4) | instid1(VALU_DEP_1)
	v_fmac_f64_e32 v[104:105], v[72:73], v[94:95]
	scratch_load_b128 v[70:73], off, off offset:152
	s_wait_dscnt 0x0
	v_fmac_f64_e32 v[104:105], v[74:75], v[96:97]
	s_wait_loadcnt 0x5
	v_fmac_f64_e32 v[104:105], v[76:77], v[98:99]
	ds_load_b128 v[74:77], v2 offset:336
	ds_load_b128 v[92:95], v2 offset:352
	scratch_load_b128 v[96:99], off, off offset:168
	s_wait_dscnt 0x1
	v_fmac_f64_e32 v[104:105], v[78:79], v[74:75]
	s_wait_loadcnt 0x5
	s_delay_alu instid0(VALU_DEP_1) | instskip(SKIP_4) | instid1(VALU_DEP_1)
	v_fmac_f64_e32 v[104:105], v[80:81], v[76:77]
	scratch_load_b128 v[74:77], off, off offset:184
	s_wait_dscnt 0x0
	v_fmac_f64_e32 v[104:105], v[82:83], v[92:93]
	s_wait_loadcnt 0x5
	v_fmac_f64_e32 v[104:105], v[84:85], v[94:95]
	ds_load_b128 v[78:81], v2 offset:368
	ds_load_b128 v[82:85], v2 offset:384
	s_wait_dscnt 0x1
	v_fmac_f64_e32 v[104:105], v[86:87], v[78:79]
	s_wait_loadcnt 0x4
	s_delay_alu instid0(VALU_DEP_1) | instskip(SKIP_4) | instid1(VALU_DEP_1)
	v_fmac_f64_e32 v[104:105], v[88:89], v[80:81]
	scratch_load_b128 v[78:81], off, off offset:200
	s_wait_dscnt 0x0
	v_fmac_f64_e32 v[104:105], v[90:91], v[82:83]
	s_wait_loadcnt 0x4
	v_fmac_f64_e32 v[104:105], v[100:101], v[84:85]
	scratch_load_b128 v[82:85], off, off offset:216
	ds_load_b128 v[86:89], v2 offset:400
	ds_load_b128 v[90:93], v2 offset:416
	scratch_load_b64 v[94:95], off, off offset:248
	s_wait_dscnt 0x1
	v_fmac_f64_e32 v[104:105], v[102:103], v[86:87]
	s_wait_loadcnt 0x5
	s_delay_alu instid0(VALU_DEP_1) | instskip(SKIP_4) | instid1(VALU_DEP_1)
	v_fmac_f64_e32 v[104:105], v[70:71], v[88:89]
	scratch_load_b128 v[86:89], off, off offset:232
	s_wait_dscnt 0x0
	v_fmac_f64_e32 v[104:105], v[72:73], v[90:91]
	s_wait_loadcnt 0x5
	v_fmac_f64_e32 v[104:105], v[96:97], v[92:93]
	ds_load_b128 v[70:73], v2 offset:432
	ds_load_b128 v[90:93], v2 offset:448
	s_wait_dscnt 0x1
	v_fmac_f64_e32 v[104:105], v[98:99], v[70:71]
	s_wait_loadcnt 0x4
	s_delay_alu instid0(VALU_DEP_1) | instskip(SKIP_1) | instid1(VALU_DEP_1)
	v_fmac_f64_e32 v[104:105], v[74:75], v[72:73]
	s_wait_dscnt 0x0
	v_fmac_f64_e32 v[104:105], v[76:77], v[90:91]
	ds_load_b128 v[70:73], v2 offset:464
	ds_load_b128 v[74:77], v2 offset:480
	s_wait_loadcnt 0x3
	v_fmac_f64_e32 v[104:105], v[78:79], v[92:93]
	s_wait_dscnt 0x1
	s_delay_alu instid0(VALU_DEP_1) | instskip(SKIP_1) | instid1(VALU_DEP_1)
	v_fmac_f64_e32 v[104:105], v[80:81], v[70:71]
	s_wait_loadcnt 0x2
	v_fmac_f64_e32 v[104:105], v[82:83], v[72:73]
	ds_load_b128 v[70:73], v2 offset:496
	s_wait_dscnt 0x1
	v_fmac_f64_e32 v[104:105], v[84:85], v[74:75]
	s_wait_loadcnt 0x0
	s_delay_alu instid0(VALU_DEP_1) | instskip(SKIP_1) | instid1(VALU_DEP_1)
	v_fmac_f64_e32 v[104:105], v[86:87], v[76:77]
	s_wait_dscnt 0x0
	v_fmac_f64_e32 v[104:105], v[88:89], v[70:71]
	s_delay_alu instid0(VALU_DEP_1) | instskip(NEXT) | instid1(VALU_DEP_1)
	v_fmac_f64_e32 v[104:105], v[94:95], v[72:73]
	v_add_f64_e64 v[2:3], v[68:69], -v[104:105]
	scratch_store_b64 off, v[2:3], off offset:40
	s_wait_xcnt 0x0
	v_cmpx_lt_u32_e32 4, v0
	s_cbranch_execz .LBB95_193
; %bb.192:
	scratch_load_b64 v[2:3], off, off offset:32
	v_mov_b64_e32 v[68:69], 0
	scratch_store_b64 off, v[68:69], off offset:32
	s_wait_loadcnt 0x0
	ds_store_b64 v1, v[2:3]
.LBB95_193:
	s_wait_xcnt 0x0
	s_or_b32 exec_lo, exec_lo, s0
	s_wait_storecnt_dscnt 0x0
	s_barrier_signal -1
	s_barrier_wait -1
	s_clause 0x5
	scratch_load_b128 v[68:71], off, off offset:32
	scratch_load_b128 v[72:75], off, off offset:48
	;; [unrolled: 1-line block ×6, first 2 shown]
	v_mov_b32_e32 v2, 0
	ds_load_2addr_b64 v[92:95], v2 offset0:37 offset1:38
	ds_load_2addr_b64 v[96:99], v2 offset0:39 offset1:40
	scratch_load_b128 v[100:103], off, off offset:128
	s_mov_b32 s0, exec_lo
	s_wait_loadcnt_dscnt 0x601
	v_fma_f64 v[104:105], v[70:71], v[92:93], 0
	s_wait_loadcnt 0x5
	s_delay_alu instid0(VALU_DEP_1) | instskip(SKIP_4) | instid1(VALU_DEP_1)
	v_fmac_f64_e32 v[104:105], v[72:73], v[94:95]
	scratch_load_b128 v[70:73], off, off offset:144
	s_wait_dscnt 0x0
	v_fmac_f64_e32 v[104:105], v[74:75], v[96:97]
	s_wait_loadcnt 0x5
	v_fmac_f64_e32 v[104:105], v[76:77], v[98:99]
	ds_load_2addr_b64 v[74:77], v2 offset0:41 offset1:42
	ds_load_2addr_b64 v[92:95], v2 offset0:43 offset1:44
	scratch_load_b128 v[96:99], off, off offset:160
	s_wait_dscnt 0x1
	v_fmac_f64_e32 v[104:105], v[78:79], v[74:75]
	s_wait_loadcnt 0x5
	s_delay_alu instid0(VALU_DEP_1) | instskip(SKIP_4) | instid1(VALU_DEP_1)
	v_fmac_f64_e32 v[104:105], v[80:81], v[76:77]
	scratch_load_b128 v[74:77], off, off offset:176
	s_wait_dscnt 0x0
	v_fmac_f64_e32 v[104:105], v[82:83], v[92:93]
	s_wait_loadcnt 0x5
	v_fmac_f64_e32 v[104:105], v[84:85], v[94:95]
	ds_load_2addr_b64 v[78:81], v2 offset0:45 offset1:46
	ds_load_2addr_b64 v[82:85], v2 offset0:47 offset1:48
	s_wait_dscnt 0x1
	v_fmac_f64_e32 v[104:105], v[86:87], v[78:79]
	s_wait_loadcnt 0x4
	s_delay_alu instid0(VALU_DEP_1) | instskip(SKIP_4) | instid1(VALU_DEP_1)
	v_fmac_f64_e32 v[104:105], v[88:89], v[80:81]
	scratch_load_b128 v[78:81], off, off offset:192
	s_wait_dscnt 0x0
	v_fmac_f64_e32 v[104:105], v[90:91], v[82:83]
	s_wait_loadcnt 0x4
	v_fmac_f64_e32 v[104:105], v[100:101], v[84:85]
	scratch_load_b128 v[82:85], off, off offset:208
	ds_load_2addr_b64 v[86:89], v2 offset0:49 offset1:50
	ds_load_2addr_b64 v[90:93], v2 offset0:51 offset1:52
	s_wait_dscnt 0x1
	v_fmac_f64_e32 v[104:105], v[102:103], v[86:87]
	s_wait_loadcnt 0x4
	s_delay_alu instid0(VALU_DEP_1)
	v_fmac_f64_e32 v[104:105], v[70:71], v[88:89]
	scratch_load_b128 v[86:89], off, off offset:224
	s_wait_dscnt 0x0
	v_fmac_f64_e32 v[104:105], v[72:73], v[90:91]
	scratch_load_b128 v[70:73], off, off offset:240
	s_wait_loadcnt 0x5
	v_fmac_f64_e32 v[104:105], v[96:97], v[92:93]
	ds_load_2addr_b64 v[90:93], v2 offset0:53 offset1:54
	ds_load_2addr_b64 v[94:97], v2 offset0:55 offset1:56
	s_wait_dscnt 0x1
	v_fmac_f64_e32 v[104:105], v[98:99], v[90:91]
	s_wait_loadcnt 0x4
	s_delay_alu instid0(VALU_DEP_1) | instskip(SKIP_1) | instid1(VALU_DEP_1)
	v_fmac_f64_e32 v[104:105], v[74:75], v[92:93]
	s_wait_dscnt 0x0
	v_fmac_f64_e32 v[104:105], v[76:77], v[94:95]
	ds_load_2addr_b64 v[74:77], v2 offset0:57 offset1:58
	ds_load_2addr_b64 v[90:93], v2 offset0:59 offset1:60
	s_wait_loadcnt 0x3
	v_fmac_f64_e32 v[104:105], v[78:79], v[96:97]
	s_wait_dscnt 0x1
	s_delay_alu instid0(VALU_DEP_1) | instskip(SKIP_1) | instid1(VALU_DEP_1)
	v_fmac_f64_e32 v[104:105], v[80:81], v[74:75]
	s_wait_loadcnt 0x2
	v_fmac_f64_e32 v[104:105], v[82:83], v[76:77]
	ds_load_2addr_b64 v[74:77], v2 offset0:61 offset1:62
	ds_load_b64 v[78:79], v2 offset:504
	s_wait_dscnt 0x2
	v_fmac_f64_e32 v[104:105], v[84:85], v[90:91]
	s_wait_loadcnt 0x1
	s_delay_alu instid0(VALU_DEP_1) | instskip(SKIP_1) | instid1(VALU_DEP_1)
	v_fmac_f64_e32 v[104:105], v[86:87], v[92:93]
	s_wait_dscnt 0x1
	v_fmac_f64_e32 v[104:105], v[88:89], v[74:75]
	s_wait_loadcnt 0x0
	s_delay_alu instid0(VALU_DEP_1) | instskip(SKIP_1) | instid1(VALU_DEP_1)
	v_fmac_f64_e32 v[104:105], v[70:71], v[76:77]
	s_wait_dscnt 0x0
	v_fmac_f64_e32 v[104:105], v[72:73], v[78:79]
	s_delay_alu instid0(VALU_DEP_1)
	v_add_f64_e64 v[68:69], v[68:69], -v[104:105]
	scratch_store_b64 off, v[68:69], off offset:32
	s_wait_xcnt 0x0
	v_cmpx_lt_u32_e32 3, v0
	s_cbranch_execz .LBB95_195
; %bb.194:
	scratch_load_b64 v[68:69], off, off offset:24
	v_mov_b64_e32 v[70:71], 0
	scratch_store_b64 off, v[70:71], off offset:24
	s_wait_loadcnt 0x0
	ds_store_b64 v1, v[68:69]
.LBB95_195:
	s_wait_xcnt 0x0
	s_or_b32 exec_lo, exec_lo, s0
	s_wait_storecnt_dscnt 0x0
	s_barrier_signal -1
	s_barrier_wait -1
	s_clause 0x5
	scratch_load_b128 v[68:71], off, off offset:24
	scratch_load_b128 v[72:75], off, off offset:40
	;; [unrolled: 1-line block ×6, first 2 shown]
	ds_load_b128 v[92:95], v2 offset:288
	ds_load_b128 v[96:99], v2 offset:304
	scratch_load_b128 v[100:103], off, off offset:120
	s_mov_b32 s0, exec_lo
	s_wait_loadcnt_dscnt 0x601
	v_fma_f64 v[104:105], v[70:71], v[92:93], 0
	s_wait_loadcnt 0x5
	s_delay_alu instid0(VALU_DEP_1) | instskip(SKIP_4) | instid1(VALU_DEP_1)
	v_fmac_f64_e32 v[104:105], v[72:73], v[94:95]
	scratch_load_b128 v[70:73], off, off offset:136
	s_wait_dscnt 0x0
	v_fmac_f64_e32 v[104:105], v[74:75], v[96:97]
	s_wait_loadcnt 0x5
	v_fmac_f64_e32 v[104:105], v[76:77], v[98:99]
	ds_load_b128 v[74:77], v2 offset:320
	ds_load_b128 v[92:95], v2 offset:336
	scratch_load_b128 v[96:99], off, off offset:152
	s_wait_dscnt 0x1
	v_fmac_f64_e32 v[104:105], v[78:79], v[74:75]
	s_wait_loadcnt 0x5
	s_delay_alu instid0(VALU_DEP_1) | instskip(SKIP_4) | instid1(VALU_DEP_1)
	v_fmac_f64_e32 v[104:105], v[80:81], v[76:77]
	scratch_load_b128 v[74:77], off, off offset:168
	s_wait_dscnt 0x0
	v_fmac_f64_e32 v[104:105], v[82:83], v[92:93]
	s_wait_loadcnt 0x5
	v_fmac_f64_e32 v[104:105], v[84:85], v[94:95]
	ds_load_b128 v[78:81], v2 offset:352
	ds_load_b128 v[82:85], v2 offset:368
	s_wait_dscnt 0x1
	v_fmac_f64_e32 v[104:105], v[86:87], v[78:79]
	s_wait_loadcnt 0x4
	s_delay_alu instid0(VALU_DEP_1) | instskip(SKIP_4) | instid1(VALU_DEP_1)
	v_fmac_f64_e32 v[104:105], v[88:89], v[80:81]
	scratch_load_b128 v[78:81], off, off offset:184
	s_wait_dscnt 0x0
	v_fmac_f64_e32 v[104:105], v[90:91], v[82:83]
	s_wait_loadcnt 0x4
	v_fmac_f64_e32 v[104:105], v[100:101], v[84:85]
	scratch_load_b128 v[82:85], off, off offset:200
	ds_load_b128 v[86:89], v2 offset:384
	ds_load_b128 v[90:93], v2 offset:400
	s_wait_dscnt 0x1
	v_fmac_f64_e32 v[104:105], v[102:103], v[86:87]
	s_wait_loadcnt 0x4
	s_delay_alu instid0(VALU_DEP_1)
	v_fmac_f64_e32 v[104:105], v[70:71], v[88:89]
	scratch_load_b128 v[86:89], off, off offset:216
	s_wait_dscnt 0x0
	v_fmac_f64_e32 v[104:105], v[72:73], v[90:91]
	scratch_load_b128 v[70:73], off, off offset:232
	s_wait_loadcnt 0x5
	v_fmac_f64_e32 v[104:105], v[96:97], v[92:93]
	ds_load_b128 v[90:93], v2 offset:416
	ds_load_b128 v[94:97], v2 offset:432
	s_wait_dscnt 0x1
	v_fmac_f64_e32 v[104:105], v[98:99], v[90:91]
	scratch_load_b64 v[98:99], off, off offset:248
	s_wait_loadcnt 0x5
	v_fmac_f64_e32 v[104:105], v[74:75], v[92:93]
	s_wait_dscnt 0x0
	s_delay_alu instid0(VALU_DEP_1)
	v_fmac_f64_e32 v[104:105], v[76:77], v[94:95]
	ds_load_b128 v[74:77], v2 offset:448
	ds_load_b128 v[90:93], v2 offset:464
	s_wait_loadcnt 0x4
	v_fmac_f64_e32 v[104:105], v[78:79], v[96:97]
	s_wait_dscnt 0x1
	s_delay_alu instid0(VALU_DEP_1) | instskip(SKIP_1) | instid1(VALU_DEP_1)
	v_fmac_f64_e32 v[104:105], v[80:81], v[74:75]
	s_wait_loadcnt 0x3
	v_fmac_f64_e32 v[104:105], v[82:83], v[76:77]
	ds_load_b128 v[74:77], v2 offset:480
	ds_load_b128 v[78:81], v2 offset:496
	s_wait_dscnt 0x2
	v_fmac_f64_e32 v[104:105], v[84:85], v[90:91]
	s_wait_loadcnt 0x2
	s_delay_alu instid0(VALU_DEP_1) | instskip(SKIP_1) | instid1(VALU_DEP_1)
	v_fmac_f64_e32 v[104:105], v[86:87], v[92:93]
	s_wait_dscnt 0x1
	v_fmac_f64_e32 v[104:105], v[88:89], v[74:75]
	s_wait_loadcnt 0x1
	s_delay_alu instid0(VALU_DEP_1) | instskip(SKIP_1) | instid1(VALU_DEP_1)
	v_fmac_f64_e32 v[104:105], v[70:71], v[76:77]
	s_wait_dscnt 0x0
	v_fmac_f64_e32 v[104:105], v[72:73], v[78:79]
	s_wait_loadcnt 0x0
	s_delay_alu instid0(VALU_DEP_1) | instskip(NEXT) | instid1(VALU_DEP_1)
	v_fmac_f64_e32 v[104:105], v[98:99], v[80:81]
	v_add_f64_e64 v[2:3], v[68:69], -v[104:105]
	scratch_store_b64 off, v[2:3], off offset:24
	s_wait_xcnt 0x0
	v_cmpx_lt_u32_e32 2, v0
	s_cbranch_execz .LBB95_197
; %bb.196:
	scratch_load_b64 v[2:3], off, off offset:16
	v_mov_b64_e32 v[68:69], 0
	scratch_store_b64 off, v[68:69], off offset:16
	s_wait_loadcnt 0x0
	ds_store_b64 v1, v[2:3]
.LBB95_197:
	s_wait_xcnt 0x0
	s_or_b32 exec_lo, exec_lo, s0
	s_wait_storecnt_dscnt 0x0
	s_barrier_signal -1
	s_barrier_wait -1
	s_clause 0x5
	scratch_load_b128 v[68:71], off, off offset:16
	scratch_load_b128 v[72:75], off, off offset:32
	;; [unrolled: 1-line block ×6, first 2 shown]
	v_mov_b32_e32 v2, 0
	ds_load_2addr_b64 v[92:95], v2 offset0:35 offset1:36
	ds_load_2addr_b64 v[96:99], v2 offset0:37 offset1:38
	scratch_load_b128 v[100:103], off, off offset:112
	s_mov_b32 s0, exec_lo
	s_wait_loadcnt_dscnt 0x601
	v_fma_f64 v[104:105], v[70:71], v[92:93], 0
	s_wait_loadcnt 0x5
	s_delay_alu instid0(VALU_DEP_1) | instskip(SKIP_4) | instid1(VALU_DEP_1)
	v_fmac_f64_e32 v[104:105], v[72:73], v[94:95]
	scratch_load_b128 v[70:73], off, off offset:128
	s_wait_dscnt 0x0
	v_fmac_f64_e32 v[104:105], v[74:75], v[96:97]
	s_wait_loadcnt 0x5
	v_fmac_f64_e32 v[104:105], v[76:77], v[98:99]
	ds_load_2addr_b64 v[74:77], v2 offset0:39 offset1:40
	ds_load_2addr_b64 v[92:95], v2 offset0:41 offset1:42
	scratch_load_b128 v[96:99], off, off offset:144
	s_wait_dscnt 0x1
	v_fmac_f64_e32 v[104:105], v[78:79], v[74:75]
	s_wait_loadcnt 0x5
	s_delay_alu instid0(VALU_DEP_1) | instskip(SKIP_4) | instid1(VALU_DEP_1)
	v_fmac_f64_e32 v[104:105], v[80:81], v[76:77]
	scratch_load_b128 v[74:77], off, off offset:160
	s_wait_dscnt 0x0
	v_fmac_f64_e32 v[104:105], v[82:83], v[92:93]
	s_wait_loadcnt 0x5
	v_fmac_f64_e32 v[104:105], v[84:85], v[94:95]
	ds_load_2addr_b64 v[78:81], v2 offset0:43 offset1:44
	ds_load_2addr_b64 v[82:85], v2 offset0:45 offset1:46
	s_wait_dscnt 0x1
	v_fmac_f64_e32 v[104:105], v[86:87], v[78:79]
	s_wait_loadcnt 0x4
	s_delay_alu instid0(VALU_DEP_1) | instskip(SKIP_4) | instid1(VALU_DEP_1)
	v_fmac_f64_e32 v[104:105], v[88:89], v[80:81]
	scratch_load_b128 v[78:81], off, off offset:176
	s_wait_dscnt 0x0
	v_fmac_f64_e32 v[104:105], v[90:91], v[82:83]
	s_wait_loadcnt 0x4
	v_fmac_f64_e32 v[104:105], v[100:101], v[84:85]
	scratch_load_b128 v[82:85], off, off offset:192
	ds_load_2addr_b64 v[86:89], v2 offset0:47 offset1:48
	ds_load_2addr_b64 v[90:93], v2 offset0:49 offset1:50
	s_wait_dscnt 0x1
	v_fmac_f64_e32 v[104:105], v[102:103], v[86:87]
	s_wait_loadcnt 0x4
	s_delay_alu instid0(VALU_DEP_1)
	v_fmac_f64_e32 v[104:105], v[70:71], v[88:89]
	scratch_load_b128 v[86:89], off, off offset:208
	s_wait_dscnt 0x0
	v_fmac_f64_e32 v[104:105], v[72:73], v[90:91]
	scratch_load_b128 v[70:73], off, off offset:224
	s_wait_loadcnt 0x5
	v_fmac_f64_e32 v[104:105], v[96:97], v[92:93]
	ds_load_2addr_b64 v[90:93], v2 offset0:51 offset1:52
	ds_load_2addr_b64 v[94:97], v2 offset0:53 offset1:54
	s_wait_dscnt 0x1
	v_fmac_f64_e32 v[104:105], v[98:99], v[90:91]
	s_wait_loadcnt 0x4
	s_delay_alu instid0(VALU_DEP_1) | instskip(SKIP_4) | instid1(VALU_DEP_1)
	v_fmac_f64_e32 v[104:105], v[74:75], v[92:93]
	scratch_load_b128 v[90:93], off, off offset:240
	s_wait_dscnt 0x0
	v_fmac_f64_e32 v[104:105], v[76:77], v[94:95]
	s_wait_loadcnt 0x4
	v_fmac_f64_e32 v[104:105], v[78:79], v[96:97]
	ds_load_2addr_b64 v[74:77], v2 offset0:55 offset1:56
	ds_load_2addr_b64 v[94:97], v2 offset0:57 offset1:58
	s_wait_dscnt 0x1
	v_fmac_f64_e32 v[104:105], v[80:81], v[74:75]
	s_wait_loadcnt 0x3
	s_delay_alu instid0(VALU_DEP_1)
	v_fmac_f64_e32 v[104:105], v[82:83], v[76:77]
	ds_load_2addr_b64 v[74:77], v2 offset0:59 offset1:60
	ds_load_2addr_b64 v[78:81], v2 offset0:61 offset1:62
	s_wait_dscnt 0x2
	v_fmac_f64_e32 v[104:105], v[84:85], v[94:95]
	s_wait_loadcnt 0x2
	s_delay_alu instid0(VALU_DEP_1) | instskip(SKIP_1) | instid1(VALU_DEP_1)
	v_fmac_f64_e32 v[104:105], v[86:87], v[96:97]
	s_wait_dscnt 0x1
	v_fmac_f64_e32 v[104:105], v[88:89], v[74:75]
	s_wait_loadcnt 0x1
	s_delay_alu instid0(VALU_DEP_1) | instskip(SKIP_4) | instid1(VALU_DEP_1)
	v_fmac_f64_e32 v[104:105], v[70:71], v[76:77]
	ds_load_b64 v[70:71], v2 offset:504
	s_wait_dscnt 0x1
	v_fmac_f64_e32 v[104:105], v[72:73], v[78:79]
	s_wait_loadcnt 0x0
	v_fmac_f64_e32 v[104:105], v[90:91], v[80:81]
	s_wait_dscnt 0x0
	s_delay_alu instid0(VALU_DEP_1) | instskip(NEXT) | instid1(VALU_DEP_1)
	v_fmac_f64_e32 v[104:105], v[92:93], v[70:71]
	v_add_f64_e64 v[68:69], v[68:69], -v[104:105]
	scratch_store_b64 off, v[68:69], off offset:16
	s_wait_xcnt 0x0
	v_cmpx_lt_u32_e32 1, v0
	s_cbranch_execz .LBB95_199
; %bb.198:
	scratch_load_b64 v[68:69], off, off offset:8
	v_mov_b64_e32 v[70:71], 0
	scratch_store_b64 off, v[70:71], off offset:8
	s_wait_loadcnt 0x0
	ds_store_b64 v1, v[68:69]
.LBB95_199:
	s_wait_xcnt 0x0
	s_or_b32 exec_lo, exec_lo, s0
	s_wait_storecnt_dscnt 0x0
	s_barrier_signal -1
	s_barrier_wait -1
	s_clause 0x3
	scratch_load_b128 v[68:71], off, off offset:8
	scratch_load_b128 v[72:75], off, off offset:24
	;; [unrolled: 1-line block ×4, first 2 shown]
	ds_load_b128 v[84:87], v2 offset:272
	ds_load_b128 v[88:91], v2 offset:288
	scratch_load_b128 v[92:95], off, off offset:72
	v_dual_ashrrev_i32 v9, 31, v8 :: v_dual_ashrrev_i32 v11, 31, v10
	v_dual_ashrrev_i32 v13, 31, v12 :: v_dual_ashrrev_i32 v15, 31, v14
	;; [unrolled: 1-line block ×14, first 2 shown]
	v_ashrrev_i32_e32 v65, 31, v64
	s_mov_b32 s0, exec_lo
	v_ashrrev_i32_e32 v19, 31, v18
	s_wait_loadcnt_dscnt 0x401
	v_fma_f64 v[96:97], v[70:71], v[84:85], 0
	s_wait_loadcnt 0x3
	s_delay_alu instid0(VALU_DEP_1) | instskip(SKIP_4) | instid1(VALU_DEP_1)
	v_fmac_f64_e32 v[96:97], v[72:73], v[86:87]
	scratch_load_b128 v[70:73], off, off offset:88
	s_wait_dscnt 0x0
	v_fmac_f64_e32 v[96:97], v[74:75], v[88:89]
	s_wait_loadcnt 0x3
	v_fmac_f64_e32 v[96:97], v[76:77], v[90:91]
	ds_load_b128 v[74:77], v2 offset:304
	ds_load_b128 v[84:87], v2 offset:320
	scratch_load_b128 v[88:91], off, off offset:104
	s_wait_dscnt 0x1
	v_fmac_f64_e32 v[96:97], v[78:79], v[74:75]
	s_wait_loadcnt 0x3
	s_delay_alu instid0(VALU_DEP_1)
	v_fmac_f64_e32 v[96:97], v[80:81], v[76:77]
	scratch_load_b128 v[74:77], off, off offset:120
	s_wait_dscnt 0x0
	v_fmac_f64_e32 v[96:97], v[82:83], v[84:85]
	ds_load_b128 v[78:81], v2 offset:336
	ds_load_b128 v[82:85], v2 offset:352
	s_wait_loadcnt 0x3
	v_fmac_f64_e32 v[96:97], v[92:93], v[86:87]
	s_wait_dscnt 0x1
	s_delay_alu instid0(VALU_DEP_1) | instskip(SKIP_4) | instid1(VALU_DEP_1)
	v_fmac_f64_e32 v[96:97], v[94:95], v[78:79]
	scratch_load_b128 v[92:95], off, off offset:136
	s_wait_loadcnt 0x3
	v_fmac_f64_e32 v[96:97], v[70:71], v[80:81]
	s_wait_dscnt 0x0
	v_fmac_f64_e32 v[96:97], v[72:73], v[82:83]
	scratch_load_b128 v[70:73], off, off offset:152
	s_wait_loadcnt 0x3
	v_fmac_f64_e32 v[96:97], v[88:89], v[84:85]
	ds_load_b128 v[78:81], v2 offset:368
	ds_load_b128 v[82:85], v2 offset:384
	scratch_load_b128 v[86:89], off, off offset:168
	s_wait_dscnt 0x1
	v_fmac_f64_e32 v[96:97], v[90:91], v[78:79]
	s_wait_loadcnt 0x3
	s_delay_alu instid0(VALU_DEP_1) | instskip(SKIP_4) | instid1(VALU_DEP_1)
	v_fmac_f64_e32 v[96:97], v[74:75], v[80:81]
	scratch_load_b128 v[78:81], off, off offset:184
	s_wait_dscnt 0x0
	v_fmac_f64_e32 v[96:97], v[76:77], v[82:83]
	s_wait_loadcnt 0x3
	v_fmac_f64_e32 v[96:97], v[92:93], v[84:85]
	ds_load_b128 v[74:77], v2 offset:400
	ds_load_b128 v[82:85], v2 offset:416
	scratch_load_b128 v[90:93], off, off offset:200
	s_wait_dscnt 0x1
	v_fmac_f64_e32 v[96:97], v[94:95], v[74:75]
	s_wait_loadcnt 0x3
	s_delay_alu instid0(VALU_DEP_1) | instskip(SKIP_1) | instid1(VALU_DEP_1)
	v_fmac_f64_e32 v[96:97], v[70:71], v[76:77]
	s_wait_dscnt 0x0
	v_fmac_f64_e32 v[96:97], v[72:73], v[82:83]
	scratch_load_b128 v[70:73], off, off offset:216
	s_wait_loadcnt 0x3
	v_fmac_f64_e32 v[96:97], v[86:87], v[84:85]
	ds_load_b128 v[74:77], v2 offset:432
	ds_load_b128 v[82:85], v2 offset:448
	scratch_load_b64 v[94:95], off, off offset:248
	s_wait_dscnt 0x1
	v_fmac_f64_e32 v[96:97], v[88:89], v[74:75]
	scratch_load_b128 v[86:89], off, off offset:232
	s_wait_loadcnt 0x4
	v_fmac_f64_e32 v[96:97], v[78:79], v[76:77]
	s_wait_dscnt 0x0
	s_delay_alu instid0(VALU_DEP_1)
	v_fmac_f64_e32 v[96:97], v[80:81], v[82:83]
	ds_load_b128 v[74:77], v2 offset:464
	ds_load_b128 v[78:81], v2 offset:480
	s_wait_loadcnt 0x3
	v_fmac_f64_e32 v[96:97], v[90:91], v[84:85]
	s_wait_dscnt 0x1
	s_delay_alu instid0(VALU_DEP_1) | instskip(SKIP_1) | instid1(VALU_DEP_1)
	v_fmac_f64_e32 v[96:97], v[92:93], v[74:75]
	s_wait_loadcnt 0x2
	v_fmac_f64_e32 v[96:97], v[70:71], v[76:77]
	s_wait_dscnt 0x0
	s_delay_alu instid0(VALU_DEP_1) | instskip(SKIP_4) | instid1(VALU_DEP_1)
	v_fmac_f64_e32 v[96:97], v[72:73], v[78:79]
	ds_load_b128 v[70:73], v2 offset:496
	s_wait_loadcnt 0x0
	v_fmac_f64_e32 v[96:97], v[86:87], v[80:81]
	s_wait_dscnt 0x0
	v_fmac_f64_e32 v[96:97], v[88:89], v[70:71]
	s_delay_alu instid0(VALU_DEP_1) | instskip(NEXT) | instid1(VALU_DEP_1)
	v_fmac_f64_e32 v[96:97], v[94:95], v[72:73]
	v_add_f64_e64 v[2:3], v[68:69], -v[96:97]
	scratch_store_b64 off, v[2:3], off offset:8
	s_wait_xcnt 0x0
	v_cmpx_ne_u32_e32 0, v0
	s_cbranch_execz .LBB95_201
; %bb.200:
	scratch_load_b64 v[2:3], off, off
	v_mov_b64_e32 v[68:69], 0
	scratch_store_b64 off, v[68:69], off
	s_wait_loadcnt 0x0
	ds_store_b64 v1, v[2:3]
.LBB95_201:
	s_wait_xcnt 0x0
	s_or_b32 exec_lo, exec_lo, s0
	s_wait_storecnt_dscnt 0x0
	s_barrier_signal -1
	s_barrier_wait -1
	s_clause 0x5
	scratch_load_b128 v[72:75], off, off
	scratch_load_b128 v[0:3], off, off offset:16
	scratch_load_b128 v[76:79], off, off offset:32
	;; [unrolled: 1-line block ×5, first 2 shown]
	v_mov_b32_e32 v70, 0
	scratch_load_b128 v[96:99], off, off offset:96
	s_and_b32 vcc_lo, exec_lo, s12
	scratch_load_b128 v[100:103], off, off offset:208
	ds_load_2addr_b64 v[92:95], v70 offset0:33 offset1:34
	s_wait_loadcnt_dscnt 0x700
	v_fma_f64 v[68:69], v[74:75], v[92:93], 0
	s_wait_loadcnt 0x6
	s_delay_alu instid0(VALU_DEP_1)
	v_fmac_f64_e32 v[68:69], v[0:1], v[94:95]
	ds_load_2addr_b64 v[92:95], v70 offset0:35 offset1:36
	s_wait_dscnt 0x0
	v_fmac_f64_e32 v[68:69], v[2:3], v[92:93]
	scratch_load_b128 v[0:3], off, off offset:112
	s_wait_loadcnt 0x6
	v_fmac_f64_e32 v[68:69], v[76:77], v[94:95]
	ds_load_2addr_b64 v[74:77], v70 offset0:37 offset1:38
	scratch_load_b128 v[92:95], off, off offset:128
	s_wait_dscnt 0x0
	v_fmac_f64_e32 v[68:69], v[78:79], v[74:75]
	s_wait_loadcnt 0x6
	s_delay_alu instid0(VALU_DEP_1)
	v_fmac_f64_e32 v[68:69], v[80:81], v[76:77]
	ds_load_2addr_b64 v[74:77], v70 offset0:39 offset1:40
	scratch_load_b128 v[78:81], off, off offset:144
	s_wait_dscnt 0x0
	v_fmac_f64_e32 v[68:69], v[82:83], v[74:75]
	s_wait_loadcnt 0x6
	s_delay_alu instid0(VALU_DEP_1)
	;; [unrolled: 7-line block ×4, first 2 shown]
	v_fmac_f64_e32 v[68:69], v[96:97], v[76:77]
	ds_load_2addr_b64 v[74:77], v70 offset0:45 offset1:46
	s_wait_dscnt 0x0
	v_fmac_f64_e32 v[68:69], v[98:99], v[74:75]
	scratch_load_b128 v[96:99], off, off offset:192
	s_wait_loadcnt 0x5
	v_fmac_f64_e32 v[68:69], v[0:1], v[76:77]
	ds_load_2addr_b64 v[74:77], v70 offset0:47 offset1:48
	s_wait_dscnt 0x0
	v_fmac_f64_e32 v[68:69], v[2:3], v[74:75]
	ds_load_2addr_b64 v[0:3], v70 offset0:49 offset1:50
	s_wait_loadcnt 0x4
	v_fmac_f64_e32 v[68:69], v[92:93], v[76:77]
	ds_load_2addr_b64 v[90:93], v70 offset0:51 offset1:52
	scratch_load_b128 v[74:77], off, off offset:224
	s_wait_dscnt 0x1
	v_fmac_f64_e32 v[68:69], v[94:95], v[0:1]
	s_wait_loadcnt 0x4
	s_delay_alu instid0(VALU_DEP_1)
	v_fmac_f64_e32 v[68:69], v[78:79], v[2:3]
	scratch_load_b128 v[0:3], off, off offset:240
	s_wait_dscnt 0x0
	v_fmac_f64_e32 v[68:69], v[80:81], v[90:91]
	ds_load_2addr_b64 v[78:81], v70 offset0:53 offset1:54
	s_wait_loadcnt 0x4
	v_fmac_f64_e32 v[68:69], v[82:83], v[92:93]
	s_wait_dscnt 0x0
	s_delay_alu instid0(VALU_DEP_1) | instskip(SKIP_1) | instid1(VALU_DEP_1)
	v_fmac_f64_e32 v[68:69], v[84:85], v[78:79]
	s_wait_loadcnt 0x3
	v_fmac_f64_e32 v[68:69], v[86:87], v[80:81]
	ds_load_2addr_b64 v[78:81], v70 offset0:55 offset1:56
	s_wait_dscnt 0x0
	v_fmac_f64_e32 v[68:69], v[88:89], v[78:79]
	s_wait_loadcnt 0x2
	s_delay_alu instid0(VALU_DEP_1) | instskip(SKIP_3) | instid1(VALU_DEP_1)
	v_fmac_f64_e32 v[68:69], v[96:97], v[80:81]
	ds_load_2addr_b64 v[78:81], v70 offset0:57 offset1:58
	s_wait_dscnt 0x0
	v_fmac_f64_e32 v[68:69], v[98:99], v[78:79]
	v_fmac_f64_e32 v[68:69], v[100:101], v[80:81]
	ds_load_2addr_b64 v[78:81], v70 offset0:59 offset1:60
	s_wait_dscnt 0x0
	v_fmac_f64_e32 v[68:69], v[102:103], v[78:79]
	s_wait_loadcnt 0x1
	s_delay_alu instid0(VALU_DEP_1)
	v_fmac_f64_e32 v[68:69], v[74:75], v[80:81]
	ds_load_2addr_b64 v[78:81], v70 offset0:61 offset1:62
	ds_load_b64 v[74:75], v70 offset:504
	s_wait_dscnt 0x1
	v_fmac_f64_e32 v[68:69], v[76:77], v[78:79]
	s_wait_loadcnt 0x0
	s_delay_alu instid0(VALU_DEP_1) | instskip(SKIP_1) | instid1(VALU_DEP_1)
	v_fmac_f64_e32 v[68:69], v[0:1], v[80:81]
	s_wait_dscnt 0x0
	v_fmac_f64_e32 v[68:69], v[2:3], v[74:75]
	s_delay_alu instid0(VALU_DEP_1)
	v_add_f64_e64 v[68:69], v[72:73], -v[68:69]
	scratch_store_b64 off, v[68:69], off
	s_cbranch_vccz .LBB95_264
; %bb.202:
	global_load_b32 v2, v70, s[8:9] offset:120
	s_wait_loadcnt 0x0
	v_cmp_ne_u32_e32 vcc_lo, 31, v2
	s_cbranch_vccz .LBB95_204
; %bb.203:
	v_lshlrev_b32_e32 v2, 3, v2
	s_wait_xcnt 0x1
	s_delay_alu instid0(VALU_DEP_1)
	v_mov_b32_e32 v68, v2
	scratch_load_b64 v[2:3], v68, off offset:-8
	s_wait_loadcnt 0x0
	scratch_store_b64 off, v[2:3], off offset:240
	scratch_store_b64 v68, v[0:1], off offset:-8
.LBB95_204:
	s_wait_xcnt 0x0
	v_mov_b32_e32 v0, 0
	global_load_b32 v1, v0, s[8:9] offset:116
	s_wait_loadcnt 0x0
	v_cmp_eq_u32_e32 vcc_lo, 30, v1
	s_cbranch_vccnz .LBB95_206
; %bb.205:
	v_lshlrev_b32_e32 v1, 3, v1
	scratch_load_b64 v[2:3], v1, off offset:-8
	scratch_load_b64 v[68:69], off, off offset:232
	s_wait_loadcnt 0x1
	scratch_store_b64 off, v[2:3], off offset:232
	s_wait_loadcnt 0x0
	scratch_store_b64 v1, v[68:69], off offset:-8
.LBB95_206:
	global_load_b32 v0, v0, s[8:9] offset:112
	s_wait_loadcnt 0x0
	v_cmp_eq_u32_e32 vcc_lo, 29, v0
	s_cbranch_vccnz .LBB95_208
; %bb.207:
	s_wait_xcnt 0x0
	v_lshlrev_b32_e32 v0, 3, v0
	s_delay_alu instid0(VALU_DEP_1)
	v_mov_b32_e32 v68, v0
	scratch_load_b64 v[0:1], v68, off offset:-8
	scratch_load_b64 v[2:3], off, off offset:224
	s_wait_loadcnt 0x1
	scratch_store_b64 off, v[0:1], off offset:224
	s_wait_loadcnt 0x0
	scratch_store_b64 v68, v[2:3], off offset:-8
.LBB95_208:
	s_wait_xcnt 0x0
	v_mov_b32_e32 v0, 0
	global_load_b32 v1, v0, s[8:9] offset:108
	s_wait_loadcnt 0x0
	v_cmp_eq_u32_e32 vcc_lo, 28, v1
	s_cbranch_vccnz .LBB95_210
; %bb.209:
	v_lshlrev_b32_e32 v1, 3, v1
	scratch_load_b64 v[2:3], v1, off offset:-8
	scratch_load_b64 v[68:69], off, off offset:216
	s_wait_loadcnt 0x1
	scratch_store_b64 off, v[2:3], off offset:216
	s_wait_loadcnt 0x0
	scratch_store_b64 v1, v[68:69], off offset:-8
.LBB95_210:
	global_load_b32 v0, v0, s[8:9] offset:104
	s_wait_loadcnt 0x0
	v_cmp_eq_u32_e32 vcc_lo, 27, v0
	s_cbranch_vccnz .LBB95_212
; %bb.211:
	s_wait_xcnt 0x0
	v_lshlrev_b32_e32 v0, 3, v0
	s_delay_alu instid0(VALU_DEP_1)
	v_mov_b32_e32 v68, v0
	scratch_load_b64 v[0:1], v68, off offset:-8
	scratch_load_b64 v[2:3], off, off offset:208
	s_wait_loadcnt 0x1
	scratch_store_b64 off, v[0:1], off offset:208
	s_wait_loadcnt 0x0
	scratch_store_b64 v68, v[2:3], off offset:-8
.LBB95_212:
	;; [unrolled: 31-line block ×14, first 2 shown]
	s_wait_xcnt 0x0
	v_mov_b32_e32 v0, 0
	global_load_b32 v1, v0, s[8:9] offset:4
	s_wait_loadcnt 0x0
	v_cmp_eq_u32_e32 vcc_lo, 2, v1
	s_cbranch_vccnz .LBB95_262
; %bb.261:
	v_lshlrev_b32_e32 v1, 3, v1
	scratch_load_b64 v[2:3], v1, off offset:-8
	scratch_load_b64 v[68:69], off, off offset:8
	s_wait_loadcnt 0x1
	scratch_store_b64 off, v[2:3], off offset:8
	s_wait_loadcnt 0x0
	scratch_store_b64 v1, v[68:69], off offset:-8
.LBB95_262:
	global_load_b32 v0, v0, s[8:9]
	scratch_load_b64 v[68:69], off, off
	s_wait_loadcnt 0x1
	v_cmp_eq_u32_e32 vcc_lo, 1, v0
	s_cbranch_vccnz .LBB95_264
; %bb.263:
	s_wait_xcnt 0x1
	v_lshlrev_b32_e32 v0, 3, v0
	s_delay_alu instid0(VALU_DEP_1)
	v_mov_b32_e32 v2, v0
	scratch_load_b64 v[0:1], v2, off offset:-8
	s_wait_loadcnt 0x0
	scratch_store_b64 off, v[0:1], off
	scratch_store_b64 v2, v[68:69], off offset:-8
	scratch_load_b64 v[68:69], off, off
.LBB95_264:
	s_wait_loadcnt 0x0
	flat_store_b64 v[4:5], v[68:69]
	scratch_load_b64 v[4:5], off, off offset:8
	v_lshl_add_u64 v[96:97], v[8:9], 3, s[2:3]
	v_lshl_add_u64 v[94:95], v[10:11], 3, s[2:3]
	;; [unrolled: 1-line block ×30, first 2 shown]
	s_wait_loadcnt 0x0
	flat_store_b64 v[6:7], v[4:5]
	scratch_load_b64 v[4:5], off, off offset:16
	s_wait_loadcnt 0x0
	flat_store_b64 v[96:97], v[4:5]
	scratch_load_b64 v[4:5], off, off offset:24
	;; [unrolled: 3-line block ×30, first 2 shown]
	s_wait_loadcnt 0x0
	flat_store_b64 v[0:1], v[2:3]
	s_sendmsg sendmsg(MSG_DEALLOC_VGPRS)
	s_endpgm
	.section	.rodata,"a",@progbits
	.p2align	6, 0x0
	.amdhsa_kernel _ZN9rocsolver6v33100L18getri_kernel_smallILi32EdPKPdEEvT1_iilPiilS6_bb
		.amdhsa_group_segment_fixed_size 520
		.amdhsa_private_segment_fixed_size 272
		.amdhsa_kernarg_size 60
		.amdhsa_user_sgpr_count 2
		.amdhsa_user_sgpr_dispatch_ptr 0
		.amdhsa_user_sgpr_queue_ptr 0
		.amdhsa_user_sgpr_kernarg_segment_ptr 1
		.amdhsa_user_sgpr_dispatch_id 0
		.amdhsa_user_sgpr_kernarg_preload_length 0
		.amdhsa_user_sgpr_kernarg_preload_offset 0
		.amdhsa_user_sgpr_private_segment_size 0
		.amdhsa_wavefront_size32 1
		.amdhsa_uses_dynamic_stack 0
		.amdhsa_enable_private_segment 1
		.amdhsa_system_sgpr_workgroup_id_x 1
		.amdhsa_system_sgpr_workgroup_id_y 0
		.amdhsa_system_sgpr_workgroup_id_z 0
		.amdhsa_system_sgpr_workgroup_info 0
		.amdhsa_system_vgpr_workitem_id 0
		.amdhsa_next_free_vgpr 106
		.amdhsa_next_free_sgpr 19
		.amdhsa_named_barrier_count 0
		.amdhsa_reserve_vcc 1
		.amdhsa_float_round_mode_32 0
		.amdhsa_float_round_mode_16_64 0
		.amdhsa_float_denorm_mode_32 3
		.amdhsa_float_denorm_mode_16_64 3
		.amdhsa_fp16_overflow 0
		.amdhsa_memory_ordered 1
		.amdhsa_forward_progress 1
		.amdhsa_inst_pref_size 200
		.amdhsa_round_robin_scheduling 0
		.amdhsa_exception_fp_ieee_invalid_op 0
		.amdhsa_exception_fp_denorm_src 0
		.amdhsa_exception_fp_ieee_div_zero 0
		.amdhsa_exception_fp_ieee_overflow 0
		.amdhsa_exception_fp_ieee_underflow 0
		.amdhsa_exception_fp_ieee_inexact 0
		.amdhsa_exception_int_div_zero 0
	.end_amdhsa_kernel
	.section	.text._ZN9rocsolver6v33100L18getri_kernel_smallILi32EdPKPdEEvT1_iilPiilS6_bb,"axG",@progbits,_ZN9rocsolver6v33100L18getri_kernel_smallILi32EdPKPdEEvT1_iilPiilS6_bb,comdat
.Lfunc_end95:
	.size	_ZN9rocsolver6v33100L18getri_kernel_smallILi32EdPKPdEEvT1_iilPiilS6_bb, .Lfunc_end95-_ZN9rocsolver6v33100L18getri_kernel_smallILi32EdPKPdEEvT1_iilPiilS6_bb
                                        ; -- End function
	.set _ZN9rocsolver6v33100L18getri_kernel_smallILi32EdPKPdEEvT1_iilPiilS6_bb.num_vgpr, 106
	.set _ZN9rocsolver6v33100L18getri_kernel_smallILi32EdPKPdEEvT1_iilPiilS6_bb.num_agpr, 0
	.set _ZN9rocsolver6v33100L18getri_kernel_smallILi32EdPKPdEEvT1_iilPiilS6_bb.numbered_sgpr, 19
	.set _ZN9rocsolver6v33100L18getri_kernel_smallILi32EdPKPdEEvT1_iilPiilS6_bb.num_named_barrier, 0
	.set _ZN9rocsolver6v33100L18getri_kernel_smallILi32EdPKPdEEvT1_iilPiilS6_bb.private_seg_size, 272
	.set _ZN9rocsolver6v33100L18getri_kernel_smallILi32EdPKPdEEvT1_iilPiilS6_bb.uses_vcc, 1
	.set _ZN9rocsolver6v33100L18getri_kernel_smallILi32EdPKPdEEvT1_iilPiilS6_bb.uses_flat_scratch, 1
	.set _ZN9rocsolver6v33100L18getri_kernel_smallILi32EdPKPdEEvT1_iilPiilS6_bb.has_dyn_sized_stack, 0
	.set _ZN9rocsolver6v33100L18getri_kernel_smallILi32EdPKPdEEvT1_iilPiilS6_bb.has_recursion, 0
	.set _ZN9rocsolver6v33100L18getri_kernel_smallILi32EdPKPdEEvT1_iilPiilS6_bb.has_indirect_call, 0
	.section	.AMDGPU.csdata,"",@progbits
; Kernel info:
; codeLenInByte = 25548
; TotalNumSgprs: 21
; NumVgprs: 106
; ScratchSize: 272
; MemoryBound: 0
; FloatMode: 240
; IeeeMode: 1
; LDSByteSize: 520 bytes/workgroup (compile time only)
; SGPRBlocks: 0
; VGPRBlocks: 6
; NumSGPRsForWavesPerEU: 21
; NumVGPRsForWavesPerEU: 106
; NamedBarCnt: 0
; Occupancy: 9
; WaveLimiterHint : 1
; COMPUTE_PGM_RSRC2:SCRATCH_EN: 1
; COMPUTE_PGM_RSRC2:USER_SGPR: 2
; COMPUTE_PGM_RSRC2:TRAP_HANDLER: 0
; COMPUTE_PGM_RSRC2:TGID_X_EN: 1
; COMPUTE_PGM_RSRC2:TGID_Y_EN: 0
; COMPUTE_PGM_RSRC2:TGID_Z_EN: 0
; COMPUTE_PGM_RSRC2:TIDIG_COMP_CNT: 0
	.section	.text._ZN9rocsolver6v33100L18getri_kernel_smallILi33EdPKPdEEvT1_iilPiilS6_bb,"axG",@progbits,_ZN9rocsolver6v33100L18getri_kernel_smallILi33EdPKPdEEvT1_iilPiilS6_bb,comdat
	.globl	_ZN9rocsolver6v33100L18getri_kernel_smallILi33EdPKPdEEvT1_iilPiilS6_bb ; -- Begin function _ZN9rocsolver6v33100L18getri_kernel_smallILi33EdPKPdEEvT1_iilPiilS6_bb
	.p2align	8
	.type	_ZN9rocsolver6v33100L18getri_kernel_smallILi33EdPKPdEEvT1_iilPiilS6_bb,@function
_ZN9rocsolver6v33100L18getri_kernel_smallILi33EdPKPdEEvT1_iilPiilS6_bb: ; @_ZN9rocsolver6v33100L18getri_kernel_smallILi33EdPKPdEEvT1_iilPiilS6_bb
; %bb.0:
	s_mov_b32 s2, exec_lo
	v_cmpx_gt_u32_e32 33, v0
	s_cbranch_execz .LBB96_142
; %bb.1:
	s_clause 0x1
	s_load_b32 s13, s[0:1], 0x38
	s_load_b64 s[2:3], s[0:1], 0x0
	s_getreg_b32 s6, hwreg(HW_REG_IB_STS2, 6, 4)
	s_wait_kmcnt 0x0
	s_bitcmp1_b32 s13, 8
	s_cselect_b32 s12, -1, 0
	s_bfe_u32 s4, ttmp6, 0x4000c
	s_and_b32 s5, ttmp6, 15
	s_add_co_i32 s4, s4, 1
	s_delay_alu instid0(SALU_CYCLE_1) | instskip(NEXT) | instid1(SALU_CYCLE_1)
	s_mul_i32 s4, ttmp9, s4
	s_add_co_i32 s5, s5, s4
	s_cmp_eq_u32 s6, 0
	s_cselect_b32 s10, ttmp9, s5
	s_load_b128 s[4:7], s[0:1], 0x28
	s_ashr_i32 s11, s10, 31
	s_delay_alu instid0(SALU_CYCLE_1) | instskip(NEXT) | instid1(SALU_CYCLE_1)
	s_lshl_b64 s[8:9], s[10:11], 3
	s_add_nc_u64 s[2:3], s[2:3], s[8:9]
	s_bfe_u32 s8, s13, 0x10008
	s_load_b64 s[2:3], s[2:3], 0x0
	s_cmp_eq_u32 s8, 0
                                        ; implicit-def: $sgpr8_sgpr9
	s_cbranch_scc1 .LBB96_3
; %bb.2:
	s_load_b96 s[16:18], s[0:1], 0x18
	s_wait_kmcnt 0x0
	s_mul_u64 s[4:5], s[4:5], s[10:11]
	s_delay_alu instid0(SALU_CYCLE_1) | instskip(SKIP_4) | instid1(SALU_CYCLE_1)
	s_lshl_b64 s[4:5], s[4:5], 2
	s_ashr_i32 s9, s18, 31
	s_mov_b32 s8, s18
	s_add_nc_u64 s[4:5], s[16:17], s[4:5]
	s_lshl_b64 s[8:9], s[8:9], 2
	s_add_nc_u64 s[8:9], s[4:5], s[8:9]
.LBB96_3:
	s_wait_kmcnt 0x0
	s_clause 0x1
	s_load_b64 s[4:5], s[0:1], 0x8
	s_load_b32 s13, s[0:1], 0x38
	v_dual_mov_b32 v3, 0 :: v_dual_lshlrev_b32 v2, 3, v0
	s_wait_kmcnt 0x0
	s_ashr_i32 s1, s4, 31
	s_mov_b32 s0, s4
	s_delay_alu instid0(SALU_CYCLE_1) | instskip(NEXT) | instid1(SALU_CYCLE_1)
	s_lshl_b64 s[0:1], s[0:1], 3
	s_add_nc_u64 s[2:3], s[2:3], s[0:1]
	s_ashr_i32 s1, s5, 31
	flat_load_b64 v[8:9], v0, s[2:3] scale_offset
	v_add_nc_u64_e32 v[4:5], s[2:3], v[2:3]
	s_mov_b32 s0, s5
	s_bitcmp0_b32 s13, 0
	s_delay_alu instid0(VALU_DEP_1)
	v_lshl_add_u64 v[6:7], s[0:1], 3, v[4:5]
	s_mov_b32 s1, -1
	s_wait_loadcnt_dscnt 0x0
	scratch_store_b64 off, v[8:9], off
	flat_load_b64 v[10:11], v[6:7]
	s_wait_xcnt 0x1
	v_add3_u32 v8, s5, s5, v0
	s_wait_loadcnt_dscnt 0x0
	scratch_store_b64 off, v[10:11], off offset:8
	flat_load_b64 v[12:13], v8, s[2:3] scale_offset
	s_wait_xcnt 0x1
	v_add_nc_u32_e32 v10, s5, v8
	s_wait_loadcnt_dscnt 0x0
	scratch_store_b64 off, v[12:13], off offset:16
	flat_load_b64 v[14:15], v10, s[2:3] scale_offset
	s_wait_xcnt 0x1
	v_add_nc_u32_e32 v12, s5, v10
	;; [unrolled: 5-line block ×30, first 2 shown]
	s_wait_loadcnt_dscnt 0x0
	scratch_store_b64 off, v[70:71], off offset:248
	flat_load_b64 v[70:71], v68, s[2:3] scale_offset
	s_wait_loadcnt_dscnt 0x0
	scratch_store_b64 off, v[70:71], off offset:256
	s_cbranch_scc1 .LBB96_140
; %bb.4:
	v_cmp_eq_u32_e64 s0, 0, v0
	s_wait_xcnt 0x0
	s_and_saveexec_b32 s1, s0
; %bb.5:
	v_mov_b32_e32 v1, 0
	ds_store_b32 v1, v1 offset:264
; %bb.6:
	s_or_b32 exec_lo, exec_lo, s1
	s_wait_storecnt_dscnt 0x0
	s_barrier_signal -1
	s_barrier_wait -1
	scratch_load_b64 v[70:71], v0, off scale_offset
	s_mov_b32 s4, exec_lo
	s_wait_loadcnt 0x0
	v_cmpx_eq_f64_e32 0, v[70:71]
	s_cbranch_execz .LBB96_10
; %bb.7:
	v_mov_b32_e32 v1, 0
	s_mov_b32 s5, 0
	ds_load_b32 v3, v1 offset:264
	s_wait_dscnt 0x0
	v_readfirstlane_b32 s1, v3
	v_add_nc_u32_e32 v3, 1, v0
	s_cmp_eq_u32 s1, 0
	s_delay_alu instid0(VALU_DEP_1) | instskip(SKIP_1) | instid1(SALU_CYCLE_1)
	v_cmp_gt_i32_e32 vcc_lo, s1, v3
	s_cselect_b32 s13, -1, 0
	s_or_b32 s13, s13, vcc_lo
	s_delay_alu instid0(SALU_CYCLE_1)
	s_and_b32 exec_lo, exec_lo, s13
	s_cbranch_execz .LBB96_10
; %bb.8:
	v_mov_b32_e32 v9, s1
.LBB96_9:                               ; =>This Inner Loop Header: Depth=1
	ds_cmpstore_rtn_b32 v9, v1, v3, v9 offset:264
	s_wait_dscnt 0x0
	v_cmp_ne_u32_e32 vcc_lo, 0, v9
	v_cmp_le_i32_e64 s1, v9, v3
	s_and_b32 s1, vcc_lo, s1
	s_delay_alu instid0(SALU_CYCLE_1) | instskip(NEXT) | instid1(SALU_CYCLE_1)
	s_and_b32 s1, exec_lo, s1
	s_or_b32 s5, s1, s5
	s_delay_alu instid0(SALU_CYCLE_1)
	s_and_not1_b32 exec_lo, exec_lo, s5
	s_cbranch_execnz .LBB96_9
.LBB96_10:
	s_or_b32 exec_lo, exec_lo, s4
	v_mov_b32_e32 v1, 0
	s_barrier_signal -1
	s_barrier_wait -1
	ds_load_b32 v3, v1 offset:264
	s_and_saveexec_b32 s1, s0
	s_cbranch_execz .LBB96_12
; %bb.11:
	s_lshl_b64 s[4:5], s[10:11], 2
	s_delay_alu instid0(SALU_CYCLE_1)
	s_add_nc_u64 s[4:5], s[6:7], s[4:5]
	s_wait_dscnt 0x0
	global_store_b32 v1, v3, s[4:5]
.LBB96_12:
	s_wait_xcnt 0x0
	s_or_b32 exec_lo, exec_lo, s1
	s_wait_dscnt 0x0
	v_cmp_ne_u32_e32 vcc_lo, 0, v3
	s_mov_b32 s1, 0
	s_cbranch_vccnz .LBB96_140
; %bb.13:
	v_lshl_add_u32 v3, v0, 3, 0
	v_add_nc_u32_e32 v1, 0x110, v2
	scratch_load_b64 v[70:71], v3, off
	s_wait_loadcnt 0x0
	v_div_scale_f64 v[72:73], null, v[70:71], v[70:71], 1.0
	v_div_scale_f64 v[78:79], vcc_lo, 1.0, v[70:71], 1.0
	s_delay_alu instid0(VALU_DEP_2) | instskip(SKIP_1) | instid1(TRANS32_DEP_1)
	v_rcp_f64_e32 v[74:75], v[72:73]
	v_nop
	v_fma_f64 v[76:77], -v[72:73], v[74:75], 1.0
	s_delay_alu instid0(VALU_DEP_1) | instskip(NEXT) | instid1(VALU_DEP_1)
	v_fmac_f64_e32 v[74:75], v[74:75], v[76:77]
	v_fma_f64 v[76:77], -v[72:73], v[74:75], 1.0
	s_delay_alu instid0(VALU_DEP_1) | instskip(NEXT) | instid1(VALU_DEP_1)
	v_fmac_f64_e32 v[74:75], v[74:75], v[76:77]
	v_mul_f64_e32 v[76:77], v[78:79], v[74:75]
	s_delay_alu instid0(VALU_DEP_1) | instskip(NEXT) | instid1(VALU_DEP_1)
	v_fma_f64 v[72:73], -v[72:73], v[76:77], v[78:79]
	v_div_fmas_f64 v[72:73], v[72:73], v[74:75], v[76:77]
	s_delay_alu instid0(VALU_DEP_1)
	v_div_fixup_f64 v[70:71], v[72:73], v[70:71], 1.0
	scratch_store_b64 v3, v[70:71], off
	scratch_load_b64 v[72:73], off, off offset:8
	s_wait_xcnt 0x1
	v_xor_b32_e32 v71, 0x80000000, v71
	s_wait_loadcnt 0x0
	ds_store_2addr_b64 v2, v[70:71], v[72:73] offset1:34
	s_wait_storecnt_dscnt 0x0
	s_barrier_signal -1
	s_barrier_wait -1
	s_wait_xcnt 0x0
	s_and_saveexec_b32 s1, s0
	s_cbranch_execz .LBB96_15
; %bb.14:
	scratch_load_b64 v[70:71], v3, off
	ds_load_b64 v[72:73], v1
	s_wait_loadcnt_dscnt 0x0
	v_fma_f64 v[70:71], v[70:71], v[72:73], 0
	v_mov_b32_e32 v9, 0
	ds_load_b64 v[74:75], v9 offset:8
	s_wait_dscnt 0x0
	v_mul_f64_e32 v[70:71], v[70:71], v[74:75]
	scratch_store_b64 off, v[70:71], off offset:8
.LBB96_15:
	s_wait_xcnt 0x0
	s_or_b32 exec_lo, exec_lo, s1
	s_wait_storecnt 0x0
	s_barrier_signal -1
	s_barrier_wait -1
	scratch_load_b64 v[70:71], off, off offset:16
	s_mov_b32 s1, exec_lo
	s_wait_loadcnt 0x0
	ds_store_b64 v1, v[70:71]
	s_wait_dscnt 0x0
	s_barrier_signal -1
	s_barrier_wait -1
	v_cmpx_gt_u32_e32 2, v0
	s_cbranch_execz .LBB96_19
; %bb.16:
	scratch_load_b64 v[70:71], v3, off
	ds_load_b64 v[72:73], v1
	s_wait_loadcnt_dscnt 0x0
	v_fma_f64 v[70:71], v[70:71], v[72:73], 0
	s_and_saveexec_b32 s4, s0
	s_cbranch_execz .LBB96_18
; %bb.17:
	scratch_load_b64 v[72:73], off, off offset:8
	v_mov_b32_e32 v3, 0
	ds_load_b64 v[74:75], v3 offset:280
	s_wait_loadcnt_dscnt 0x0
	v_fmac_f64_e32 v[70:71], v[72:73], v[74:75]
.LBB96_18:
	s_or_b32 exec_lo, exec_lo, s4
	v_mov_b32_e32 v3, 0
	ds_load_b64 v[72:73], v3 offset:16
	s_wait_dscnt 0x0
	v_mul_f64_e32 v[70:71], v[70:71], v[72:73]
	scratch_store_b64 off, v[70:71], off offset:16
.LBB96_19:
	s_wait_xcnt 0x0
	s_or_b32 exec_lo, exec_lo, s1
	s_wait_storecnt 0x0
	s_barrier_signal -1
	s_barrier_wait -1
	scratch_load_b64 v[70:71], off, off offset:24
	v_add_nc_u32_e32 v3, -1, v0
	s_mov_b32 s0, exec_lo
	s_wait_loadcnt 0x0
	ds_store_b64 v1, v[70:71]
	s_wait_dscnt 0x0
	s_barrier_signal -1
	s_barrier_wait -1
	v_cmpx_gt_u32_e32 3, v0
	s_cbranch_execz .LBB96_23
; %bb.20:
	v_mov_b64_e32 v[70:71], 0
	v_dual_add_nc_u32 v9, -1, v0 :: v_dual_mov_b32 v13, v2
	v_add_nc_u32_e32 v11, 0x110, v2
	s_mov_b32 s1, 0
.LBB96_21:                              ; =>This Inner Loop Header: Depth=1
	scratch_load_b64 v[72:73], v13, off
	ds_load_b64 v[74:75], v11
	v_dual_add_nc_u32 v9, 1, v9 :: v_dual_add_nc_u32 v11, 8, v11
	s_wait_xcnt 0x0
	v_add_nc_u32_e32 v13, 8, v13
	s_delay_alu instid0(VALU_DEP_2)
	v_cmp_lt_u32_e32 vcc_lo, 1, v9
	s_or_b32 s1, vcc_lo, s1
	s_wait_loadcnt_dscnt 0x0
	v_fmac_f64_e32 v[70:71], v[72:73], v[74:75]
	s_and_not1_b32 exec_lo, exec_lo, s1
	s_cbranch_execnz .LBB96_21
; %bb.22:
	s_or_b32 exec_lo, exec_lo, s1
	v_mov_b32_e32 v9, 0
	ds_load_b64 v[72:73], v9 offset:24
	s_wait_dscnt 0x0
	v_mul_f64_e32 v[70:71], v[70:71], v[72:73]
	scratch_store_b64 off, v[70:71], off offset:24
.LBB96_23:
	s_wait_xcnt 0x0
	s_or_b32 exec_lo, exec_lo, s0
	s_wait_storecnt 0x0
	s_barrier_signal -1
	s_barrier_wait -1
	scratch_load_b64 v[70:71], off, off offset:32
	s_mov_b32 s0, exec_lo
	s_wait_loadcnt 0x0
	ds_store_b64 v1, v[70:71]
	s_wait_dscnt 0x0
	s_barrier_signal -1
	s_barrier_wait -1
	v_cmpx_gt_u32_e32 4, v0
	s_cbranch_execz .LBB96_27
; %bb.24:
	v_mov_b64_e32 v[70:71], 0
	v_dual_add_nc_u32 v9, -1, v0 :: v_dual_mov_b32 v13, v2
	v_add_nc_u32_e32 v11, 0x110, v2
	s_mov_b32 s1, 0
.LBB96_25:                              ; =>This Inner Loop Header: Depth=1
	scratch_load_b64 v[72:73], v13, off
	ds_load_b64 v[74:75], v11
	v_dual_add_nc_u32 v9, 1, v9 :: v_dual_add_nc_u32 v11, 8, v11
	s_wait_xcnt 0x0
	v_add_nc_u32_e32 v13, 8, v13
	s_delay_alu instid0(VALU_DEP_2)
	v_cmp_lt_u32_e32 vcc_lo, 2, v9
	s_or_b32 s1, vcc_lo, s1
	s_wait_loadcnt_dscnt 0x0
	v_fmac_f64_e32 v[70:71], v[72:73], v[74:75]
	s_and_not1_b32 exec_lo, exec_lo, s1
	s_cbranch_execnz .LBB96_25
; %bb.26:
	s_or_b32 exec_lo, exec_lo, s1
	v_mov_b32_e32 v9, 0
	ds_load_b64 v[72:73], v9 offset:32
	s_wait_dscnt 0x0
	v_mul_f64_e32 v[70:71], v[70:71], v[72:73]
	scratch_store_b64 off, v[70:71], off offset:32
.LBB96_27:
	s_wait_xcnt 0x0
	s_or_b32 exec_lo, exec_lo, s0
	s_wait_storecnt 0x0
	s_barrier_signal -1
	s_barrier_wait -1
	scratch_load_b64 v[70:71], off, off offset:40
	;; [unrolled: 40-line block ×20, first 2 shown]
	s_mov_b32 s0, exec_lo
	s_wait_loadcnt 0x0
	ds_store_b64 v1, v[70:71]
	s_wait_dscnt 0x0
	s_barrier_signal -1
	s_barrier_wait -1
	v_cmpx_gt_u32_e32 23, v0
	s_cbranch_execz .LBB96_103
; %bb.100:
	v_mov_b64_e32 v[70:71], 0
	v_dual_add_nc_u32 v9, -1, v0 :: v_dual_mov_b32 v13, v2
	v_add_nc_u32_e32 v11, 0x110, v2
	s_mov_b32 s1, 0
.LBB96_101:                             ; =>This Inner Loop Header: Depth=1
	scratch_load_b64 v[72:73], v13, off
	ds_load_b64 v[74:75], v11
	v_dual_add_nc_u32 v9, 1, v9 :: v_dual_add_nc_u32 v11, 8, v11
	s_wait_xcnt 0x0
	v_add_nc_u32_e32 v13, 8, v13
	s_delay_alu instid0(VALU_DEP_2)
	v_cmp_lt_u32_e32 vcc_lo, 21, v9
	s_or_b32 s1, vcc_lo, s1
	s_wait_loadcnt_dscnt 0x0
	v_fmac_f64_e32 v[70:71], v[72:73], v[74:75]
	s_and_not1_b32 exec_lo, exec_lo, s1
	s_cbranch_execnz .LBB96_101
; %bb.102:
	s_or_b32 exec_lo, exec_lo, s1
	v_mov_b32_e32 v9, 0
	ds_load_b64 v[72:73], v9 offset:184
	s_wait_dscnt 0x0
	v_mul_f64_e32 v[70:71], v[70:71], v[72:73]
	scratch_store_b64 off, v[70:71], off offset:184
.LBB96_103:
	s_wait_xcnt 0x0
	s_or_b32 exec_lo, exec_lo, s0
	s_wait_storecnt 0x0
	s_barrier_signal -1
	s_barrier_wait -1
	scratch_load_b64 v[70:71], off, off offset:192
	s_mov_b32 s0, exec_lo
	s_wait_loadcnt 0x0
	ds_store_b64 v1, v[70:71]
	s_wait_dscnt 0x0
	s_barrier_signal -1
	s_barrier_wait -1
	v_cmpx_gt_u32_e32 24, v0
	s_cbranch_execz .LBB96_107
; %bb.104:
	v_mov_b64_e32 v[70:71], 0
	v_dual_add_nc_u32 v9, -1, v0 :: v_dual_mov_b32 v13, v2
	v_add_nc_u32_e32 v11, 0x110, v2
	s_mov_b32 s1, 0
.LBB96_105:                             ; =>This Inner Loop Header: Depth=1
	scratch_load_b64 v[72:73], v13, off
	ds_load_b64 v[74:75], v11
	v_dual_add_nc_u32 v9, 1, v9 :: v_dual_add_nc_u32 v11, 8, v11
	s_wait_xcnt 0x0
	v_add_nc_u32_e32 v13, 8, v13
	s_delay_alu instid0(VALU_DEP_2)
	v_cmp_lt_u32_e32 vcc_lo, 22, v9
	s_or_b32 s1, vcc_lo, s1
	s_wait_loadcnt_dscnt 0x0
	v_fmac_f64_e32 v[70:71], v[72:73], v[74:75]
	s_and_not1_b32 exec_lo, exec_lo, s1
	s_cbranch_execnz .LBB96_105
; %bb.106:
	s_or_b32 exec_lo, exec_lo, s1
	v_mov_b32_e32 v9, 0
	ds_load_b64 v[72:73], v9 offset:192
	s_wait_dscnt 0x0
	v_mul_f64_e32 v[70:71], v[70:71], v[72:73]
	scratch_store_b64 off, v[70:71], off offset:192
.LBB96_107:
	s_wait_xcnt 0x0
	s_or_b32 exec_lo, exec_lo, s0
	s_wait_storecnt 0x0
	s_barrier_signal -1
	s_barrier_wait -1
	scratch_load_b64 v[70:71], off, off offset:200
	;; [unrolled: 40-line block ×9, first 2 shown]
	s_mov_b32 s0, exec_lo
	s_wait_loadcnt 0x0
	ds_store_b64 v1, v[70:71]
	s_wait_dscnt 0x0
	s_barrier_signal -1
	s_barrier_wait -1
	v_cmpx_ne_u32_e32 32, v0
	s_cbranch_execz .LBB96_139
; %bb.136:
	v_mov_b64_e32 v[70:71], 0
	s_mov_b32 s1, 0
.LBB96_137:                             ; =>This Inner Loop Header: Depth=1
	scratch_load_b64 v[72:73], v2, off
	ds_load_b64 v[74:75], v1
	v_dual_add_nc_u32 v3, 1, v3 :: v_dual_add_nc_u32 v1, 8, v1
	s_wait_xcnt 0x0
	v_add_nc_u32_e32 v2, 8, v2
	s_delay_alu instid0(VALU_DEP_2)
	v_cmp_lt_u32_e32 vcc_lo, 30, v3
	s_or_b32 s1, vcc_lo, s1
	s_wait_loadcnt_dscnt 0x0
	v_fmac_f64_e32 v[70:71], v[72:73], v[74:75]
	s_and_not1_b32 exec_lo, exec_lo, s1
	s_cbranch_execnz .LBB96_137
; %bb.138:
	s_or_b32 exec_lo, exec_lo, s1
	v_mov_b32_e32 v1, 0
	ds_load_b64 v[2:3], v1 offset:256
	s_wait_dscnt 0x0
	v_mul_f64_e32 v[2:3], v[70:71], v[2:3]
	scratch_store_b64 off, v[2:3], off offset:256
.LBB96_139:
	s_wait_xcnt 0x0
	s_or_b32 exec_lo, exec_lo, s0
	s_mov_b32 s1, -1
	s_wait_storecnt 0x0
	s_barrier_signal -1
	s_barrier_wait -1
.LBB96_140:
	s_and_b32 vcc_lo, exec_lo, s1
	s_cbranch_vccz .LBB96_142
; %bb.141:
	v_mov_b32_e32 v1, 0
	s_lshl_b64 s[0:1], s[10:11], 2
	s_delay_alu instid0(SALU_CYCLE_1)
	s_add_nc_u64 s[0:1], s[6:7], s[0:1]
	global_load_b32 v1, v1, s[0:1]
	s_wait_loadcnt 0x0
	v_cmp_ne_u32_e32 vcc_lo, 0, v1
	s_cbranch_vccz .LBB96_143
.LBB96_142:
	s_sendmsg sendmsg(MSG_DEALLOC_VGPRS)
	s_endpgm
.LBB96_143:
	s_wait_xcnt 0x0
	v_lshl_add_u32 v1, v0, 3, 0x110
	s_mov_b32 s0, exec_lo
	v_cmpx_eq_u32_e32 32, v0
	s_cbranch_execz .LBB96_145
; %bb.144:
	scratch_load_b64 v[2:3], off, off offset:248
	v_mov_b64_e32 v[70:71], 0
	scratch_store_b64 off, v[70:71], off offset:248
	s_wait_loadcnt 0x0
	ds_store_b64 v1, v[2:3]
.LBB96_145:
	s_wait_xcnt 0x0
	s_or_b32 exec_lo, exec_lo, s0
	s_wait_storecnt_dscnt 0x0
	s_barrier_signal -1
	s_barrier_wait -1
	scratch_load_b128 v[70:73], off, off offset:248
	v_mov_b32_e32 v2, 0
	s_mov_b32 s0, exec_lo
	ds_load_b64 v[74:75], v2 offset:528
	s_wait_loadcnt_dscnt 0x0
	v_fma_f64 v[72:73], v[72:73], v[74:75], 0
	s_delay_alu instid0(VALU_DEP_1)
	v_add_f64_e64 v[70:71], v[70:71], -v[72:73]
	scratch_store_b64 off, v[70:71], off offset:248
	s_wait_xcnt 0x0
	v_cmpx_lt_u32_e32 30, v0
	s_cbranch_execz .LBB96_147
; %bb.146:
	scratch_load_b64 v[70:71], off, off offset:240
	v_mov_b64_e32 v[72:73], 0
	scratch_store_b64 off, v[72:73], off offset:240
	s_wait_loadcnt 0x0
	ds_store_b64 v1, v[70:71]
.LBB96_147:
	s_wait_xcnt 0x0
	s_or_b32 exec_lo, exec_lo, s0
	s_wait_storecnt_dscnt 0x0
	s_barrier_signal -1
	s_barrier_wait -1
	s_clause 0x1
	scratch_load_b128 v[70:73], off, off offset:240
	scratch_load_b64 v[78:79], off, off offset:256
	ds_load_2addr_b64 v[74:77], v2 offset0:65 offset1:66
	s_mov_b32 s0, exec_lo
	s_wait_loadcnt_dscnt 0x100
	v_fma_f64 v[2:3], v[72:73], v[74:75], 0
	s_wait_loadcnt 0x0
	s_delay_alu instid0(VALU_DEP_1) | instskip(NEXT) | instid1(VALU_DEP_1)
	v_fmac_f64_e32 v[2:3], v[78:79], v[76:77]
	v_add_f64_e64 v[2:3], v[70:71], -v[2:3]
	scratch_store_b64 off, v[2:3], off offset:240
	s_wait_xcnt 0x0
	v_cmpx_lt_u32_e32 29, v0
	s_cbranch_execz .LBB96_149
; %bb.148:
	scratch_load_b64 v[2:3], off, off offset:232
	v_mov_b64_e32 v[70:71], 0
	scratch_store_b64 off, v[70:71], off offset:232
	s_wait_loadcnt 0x0
	ds_store_b64 v1, v[2:3]
.LBB96_149:
	s_wait_xcnt 0x0
	s_or_b32 exec_lo, exec_lo, s0
	s_wait_storecnt_dscnt 0x0
	s_barrier_signal -1
	s_barrier_wait -1
	s_clause 0x1
	scratch_load_b128 v[70:73], off, off offset:232
	scratch_load_b128 v[74:77], off, off offset:248
	v_mov_b32_e32 v2, 0
	ds_load_b128 v[78:81], v2 offset:512
	ds_load_b64 v[82:83], v2 offset:528
	s_mov_b32 s0, exec_lo
	s_wait_loadcnt_dscnt 0x101
	v_fma_f64 v[72:73], v[72:73], v[78:79], 0
	s_wait_loadcnt 0x0
	s_delay_alu instid0(VALU_DEP_1) | instskip(SKIP_1) | instid1(VALU_DEP_1)
	v_fmac_f64_e32 v[72:73], v[74:75], v[80:81]
	s_wait_dscnt 0x0
	v_fmac_f64_e32 v[72:73], v[76:77], v[82:83]
	s_delay_alu instid0(VALU_DEP_1)
	v_add_f64_e64 v[70:71], v[70:71], -v[72:73]
	scratch_store_b64 off, v[70:71], off offset:232
	s_wait_xcnt 0x0
	v_cmpx_lt_u32_e32 28, v0
	s_cbranch_execz .LBB96_151
; %bb.150:
	scratch_load_b64 v[70:71], off, off offset:224
	v_mov_b64_e32 v[72:73], 0
	scratch_store_b64 off, v[72:73], off offset:224
	s_wait_loadcnt 0x0
	ds_store_b64 v1, v[70:71]
.LBB96_151:
	s_wait_xcnt 0x0
	s_or_b32 exec_lo, exec_lo, s0
	s_wait_storecnt_dscnt 0x0
	s_barrier_signal -1
	s_barrier_wait -1
	s_clause 0x2
	scratch_load_b128 v[70:73], off, off offset:224
	scratch_load_b128 v[74:77], off, off offset:240
	scratch_load_b64 v[86:87], off, off offset:256
	ds_load_2addr_b64 v[78:81], v2 offset0:63 offset1:64
	ds_load_2addr_b64 v[82:85], v2 offset0:65 offset1:66
	s_mov_b32 s0, exec_lo
	s_wait_loadcnt_dscnt 0x201
	v_fma_f64 v[2:3], v[72:73], v[78:79], 0
	s_wait_loadcnt 0x1
	s_delay_alu instid0(VALU_DEP_1) | instskip(SKIP_1) | instid1(VALU_DEP_1)
	v_fmac_f64_e32 v[2:3], v[74:75], v[80:81]
	s_wait_dscnt 0x0
	v_fmac_f64_e32 v[2:3], v[76:77], v[82:83]
	s_wait_loadcnt 0x0
	s_delay_alu instid0(VALU_DEP_1) | instskip(NEXT) | instid1(VALU_DEP_1)
	v_fmac_f64_e32 v[2:3], v[86:87], v[84:85]
	v_add_f64_e64 v[2:3], v[70:71], -v[2:3]
	scratch_store_b64 off, v[2:3], off offset:224
	s_wait_xcnt 0x0
	v_cmpx_lt_u32_e32 27, v0
	s_cbranch_execz .LBB96_153
; %bb.152:
	scratch_load_b64 v[2:3], off, off offset:216
	v_mov_b64_e32 v[70:71], 0
	scratch_store_b64 off, v[70:71], off offset:216
	s_wait_loadcnt 0x0
	ds_store_b64 v1, v[2:3]
.LBB96_153:
	s_wait_xcnt 0x0
	s_or_b32 exec_lo, exec_lo, s0
	s_wait_storecnt_dscnt 0x0
	s_barrier_signal -1
	s_barrier_wait -1
	s_clause 0x2
	scratch_load_b128 v[70:73], off, off offset:216
	scratch_load_b128 v[74:77], off, off offset:232
	;; [unrolled: 1-line block ×3, first 2 shown]
	v_mov_b32_e32 v2, 0
	ds_load_b128 v[82:85], v2 offset:496
	ds_load_b128 v[86:89], v2 offset:512
	s_mov_b32 s0, exec_lo
	s_wait_loadcnt_dscnt 0x201
	v_fma_f64 v[72:73], v[72:73], v[82:83], 0
	s_wait_loadcnt 0x1
	s_delay_alu instid0(VALU_DEP_1) | instskip(SKIP_4) | instid1(VALU_DEP_1)
	v_fmac_f64_e32 v[72:73], v[74:75], v[84:85]
	ds_load_b64 v[74:75], v2 offset:528
	s_wait_dscnt 0x1
	v_fmac_f64_e32 v[72:73], v[76:77], v[86:87]
	s_wait_loadcnt 0x0
	v_fmac_f64_e32 v[72:73], v[78:79], v[88:89]
	s_wait_dscnt 0x0
	s_delay_alu instid0(VALU_DEP_1) | instskip(NEXT) | instid1(VALU_DEP_1)
	v_fmac_f64_e32 v[72:73], v[80:81], v[74:75]
	v_add_f64_e64 v[70:71], v[70:71], -v[72:73]
	scratch_store_b64 off, v[70:71], off offset:216
	s_wait_xcnt 0x0
	v_cmpx_lt_u32_e32 26, v0
	s_cbranch_execz .LBB96_155
; %bb.154:
	scratch_load_b64 v[70:71], off, off offset:208
	v_mov_b64_e32 v[72:73], 0
	scratch_store_b64 off, v[72:73], off offset:208
	s_wait_loadcnt 0x0
	ds_store_b64 v1, v[70:71]
.LBB96_155:
	s_wait_xcnt 0x0
	s_or_b32 exec_lo, exec_lo, s0
	s_wait_storecnt_dscnt 0x0
	s_barrier_signal -1
	s_barrier_wait -1
	s_clause 0x3
	scratch_load_b128 v[70:73], off, off offset:208
	scratch_load_b128 v[74:77], off, off offset:224
	;; [unrolled: 1-line block ×3, first 2 shown]
	scratch_load_b64 v[90:91], off, off offset:256
	ds_load_2addr_b64 v[82:85], v2 offset0:61 offset1:62
	ds_load_2addr_b64 v[86:89], v2 offset0:63 offset1:64
	s_mov_b32 s0, exec_lo
	s_wait_loadcnt_dscnt 0x301
	v_fma_f64 v[82:83], v[72:73], v[82:83], 0
	s_wait_loadcnt 0x2
	s_delay_alu instid0(VALU_DEP_1) | instskip(SKIP_4) | instid1(VALU_DEP_1)
	v_fmac_f64_e32 v[82:83], v[74:75], v[84:85]
	ds_load_2addr_b64 v[72:75], v2 offset0:65 offset1:66
	s_wait_dscnt 0x1
	v_fmac_f64_e32 v[82:83], v[76:77], v[86:87]
	s_wait_loadcnt 0x1
	v_fmac_f64_e32 v[82:83], v[78:79], v[88:89]
	s_wait_dscnt 0x0
	s_delay_alu instid0(VALU_DEP_1) | instskip(SKIP_1) | instid1(VALU_DEP_1)
	v_fmac_f64_e32 v[82:83], v[80:81], v[72:73]
	s_wait_loadcnt 0x0
	v_fmac_f64_e32 v[82:83], v[90:91], v[74:75]
	s_delay_alu instid0(VALU_DEP_1)
	v_add_f64_e64 v[2:3], v[70:71], -v[82:83]
	scratch_store_b64 off, v[2:3], off offset:208
	s_wait_xcnt 0x0
	v_cmpx_lt_u32_e32 25, v0
	s_cbranch_execz .LBB96_157
; %bb.156:
	scratch_load_b64 v[2:3], off, off offset:200
	v_mov_b64_e32 v[70:71], 0
	scratch_store_b64 off, v[70:71], off offset:200
	s_wait_loadcnt 0x0
	ds_store_b64 v1, v[2:3]
.LBB96_157:
	s_wait_xcnt 0x0
	s_or_b32 exec_lo, exec_lo, s0
	s_wait_storecnt_dscnt 0x0
	s_barrier_signal -1
	s_barrier_wait -1
	s_clause 0x3
	scratch_load_b128 v[70:73], off, off offset:200
	scratch_load_b128 v[74:77], off, off offset:216
	;; [unrolled: 1-line block ×4, first 2 shown]
	v_mov_b32_e32 v2, 0
	ds_load_b128 v[86:89], v2 offset:480
	ds_load_b128 v[90:93], v2 offset:496
	s_mov_b32 s0, exec_lo
	s_wait_loadcnt_dscnt 0x301
	v_fma_f64 v[86:87], v[72:73], v[86:87], 0
	s_wait_loadcnt 0x2
	s_delay_alu instid0(VALU_DEP_1) | instskip(SKIP_1) | instid1(VALU_DEP_1)
	v_fmac_f64_e32 v[86:87], v[74:75], v[88:89]
	s_wait_dscnt 0x0
	v_fmac_f64_e32 v[86:87], v[76:77], v[90:91]
	ds_load_b128 v[72:75], v2 offset:512
	ds_load_b64 v[76:77], v2 offset:528
	s_wait_loadcnt 0x1
	v_fmac_f64_e32 v[86:87], v[78:79], v[92:93]
	s_wait_dscnt 0x1
	s_delay_alu instid0(VALU_DEP_1) | instskip(SKIP_1) | instid1(VALU_DEP_1)
	v_fmac_f64_e32 v[86:87], v[80:81], v[72:73]
	s_wait_loadcnt 0x0
	v_fmac_f64_e32 v[86:87], v[82:83], v[74:75]
	s_wait_dscnt 0x0
	s_delay_alu instid0(VALU_DEP_1) | instskip(NEXT) | instid1(VALU_DEP_1)
	v_fmac_f64_e32 v[86:87], v[84:85], v[76:77]
	v_add_f64_e64 v[70:71], v[70:71], -v[86:87]
	scratch_store_b64 off, v[70:71], off offset:200
	s_wait_xcnt 0x0
	v_cmpx_lt_u32_e32 24, v0
	s_cbranch_execz .LBB96_159
; %bb.158:
	scratch_load_b64 v[70:71], off, off offset:192
	v_mov_b64_e32 v[72:73], 0
	scratch_store_b64 off, v[72:73], off offset:192
	s_wait_loadcnt 0x0
	ds_store_b64 v1, v[70:71]
.LBB96_159:
	s_wait_xcnt 0x0
	s_or_b32 exec_lo, exec_lo, s0
	s_wait_storecnt_dscnt 0x0
	s_barrier_signal -1
	s_barrier_wait -1
	s_clause 0x4
	scratch_load_b128 v[70:73], off, off offset:192
	scratch_load_b128 v[74:77], off, off offset:208
	;; [unrolled: 1-line block ×4, first 2 shown]
	scratch_load_b64 v[94:95], off, off offset:256
	ds_load_2addr_b64 v[86:89], v2 offset0:59 offset1:60
	ds_load_2addr_b64 v[90:93], v2 offset0:61 offset1:62
	s_mov_b32 s0, exec_lo
	s_wait_loadcnt_dscnt 0x401
	v_fma_f64 v[86:87], v[72:73], v[86:87], 0
	s_wait_loadcnt 0x3
	s_delay_alu instid0(VALU_DEP_1) | instskip(SKIP_1) | instid1(VALU_DEP_1)
	v_fmac_f64_e32 v[86:87], v[74:75], v[88:89]
	s_wait_dscnt 0x0
	v_fmac_f64_e32 v[86:87], v[76:77], v[90:91]
	s_wait_loadcnt 0x2
	s_delay_alu instid0(VALU_DEP_1)
	v_fmac_f64_e32 v[86:87], v[78:79], v[92:93]
	ds_load_2addr_b64 v[72:75], v2 offset0:63 offset1:64
	ds_load_2addr_b64 v[76:79], v2 offset0:65 offset1:66
	s_wait_dscnt 0x1
	v_fmac_f64_e32 v[86:87], v[80:81], v[72:73]
	s_wait_loadcnt 0x1
	s_delay_alu instid0(VALU_DEP_1) | instskip(SKIP_1) | instid1(VALU_DEP_1)
	v_fmac_f64_e32 v[86:87], v[82:83], v[74:75]
	s_wait_dscnt 0x0
	v_fmac_f64_e32 v[86:87], v[84:85], v[76:77]
	s_wait_loadcnt 0x0
	s_delay_alu instid0(VALU_DEP_1) | instskip(NEXT) | instid1(VALU_DEP_1)
	v_fmac_f64_e32 v[86:87], v[94:95], v[78:79]
	v_add_f64_e64 v[2:3], v[70:71], -v[86:87]
	scratch_store_b64 off, v[2:3], off offset:192
	s_wait_xcnt 0x0
	v_cmpx_lt_u32_e32 23, v0
	s_cbranch_execz .LBB96_161
; %bb.160:
	scratch_load_b64 v[2:3], off, off offset:184
	v_mov_b64_e32 v[70:71], 0
	scratch_store_b64 off, v[70:71], off offset:184
	s_wait_loadcnt 0x0
	ds_store_b64 v1, v[2:3]
.LBB96_161:
	s_wait_xcnt 0x0
	s_or_b32 exec_lo, exec_lo, s0
	s_wait_storecnt_dscnt 0x0
	s_barrier_signal -1
	s_barrier_wait -1
	s_clause 0x4
	scratch_load_b128 v[70:73], off, off offset:184
	scratch_load_b128 v[74:77], off, off offset:200
	;; [unrolled: 1-line block ×5, first 2 shown]
	v_mov_b32_e32 v2, 0
	ds_load_b128 v[90:93], v2 offset:464
	ds_load_b128 v[94:97], v2 offset:480
	s_mov_b32 s0, exec_lo
	s_wait_loadcnt_dscnt 0x401
	v_fma_f64 v[90:91], v[72:73], v[90:91], 0
	s_wait_loadcnt 0x3
	s_delay_alu instid0(VALU_DEP_1) | instskip(SKIP_1) | instid1(VALU_DEP_1)
	v_fmac_f64_e32 v[90:91], v[74:75], v[92:93]
	s_wait_dscnt 0x0
	v_fmac_f64_e32 v[90:91], v[76:77], v[94:95]
	s_wait_loadcnt 0x2
	s_delay_alu instid0(VALU_DEP_1)
	v_fmac_f64_e32 v[90:91], v[78:79], v[96:97]
	ds_load_b128 v[72:75], v2 offset:496
	ds_load_b128 v[76:79], v2 offset:512
	s_wait_dscnt 0x1
	v_fmac_f64_e32 v[90:91], v[80:81], v[72:73]
	ds_load_b64 v[72:73], v2 offset:528
	s_wait_loadcnt 0x1
	v_fmac_f64_e32 v[90:91], v[82:83], v[74:75]
	s_wait_dscnt 0x1
	s_delay_alu instid0(VALU_DEP_1) | instskip(SKIP_1) | instid1(VALU_DEP_1)
	v_fmac_f64_e32 v[90:91], v[84:85], v[76:77]
	s_wait_loadcnt 0x0
	v_fmac_f64_e32 v[90:91], v[86:87], v[78:79]
	s_wait_dscnt 0x0
	s_delay_alu instid0(VALU_DEP_1) | instskip(NEXT) | instid1(VALU_DEP_1)
	v_fmac_f64_e32 v[90:91], v[88:89], v[72:73]
	v_add_f64_e64 v[70:71], v[70:71], -v[90:91]
	scratch_store_b64 off, v[70:71], off offset:184
	s_wait_xcnt 0x0
	v_cmpx_lt_u32_e32 22, v0
	s_cbranch_execz .LBB96_163
; %bb.162:
	scratch_load_b64 v[70:71], off, off offset:176
	v_mov_b64_e32 v[72:73], 0
	scratch_store_b64 off, v[72:73], off offset:176
	s_wait_loadcnt 0x0
	ds_store_b64 v1, v[70:71]
.LBB96_163:
	s_wait_xcnt 0x0
	s_or_b32 exec_lo, exec_lo, s0
	s_wait_storecnt_dscnt 0x0
	s_barrier_signal -1
	s_barrier_wait -1
	s_clause 0x5
	scratch_load_b128 v[70:73], off, off offset:176
	scratch_load_b128 v[74:77], off, off offset:192
	;; [unrolled: 1-line block ×5, first 2 shown]
	scratch_load_b64 v[98:99], off, off offset:256
	ds_load_2addr_b64 v[90:93], v2 offset0:57 offset1:58
	ds_load_2addr_b64 v[94:97], v2 offset0:59 offset1:60
	s_mov_b32 s0, exec_lo
	s_wait_loadcnt_dscnt 0x501
	v_fma_f64 v[90:91], v[72:73], v[90:91], 0
	s_wait_loadcnt 0x4
	s_delay_alu instid0(VALU_DEP_1) | instskip(SKIP_1) | instid1(VALU_DEP_1)
	v_fmac_f64_e32 v[90:91], v[74:75], v[92:93]
	s_wait_dscnt 0x0
	v_fmac_f64_e32 v[90:91], v[76:77], v[94:95]
	s_wait_loadcnt 0x3
	s_delay_alu instid0(VALU_DEP_1)
	v_fmac_f64_e32 v[90:91], v[78:79], v[96:97]
	ds_load_2addr_b64 v[72:75], v2 offset0:61 offset1:62
	ds_load_2addr_b64 v[76:79], v2 offset0:63 offset1:64
	s_wait_dscnt 0x1
	v_fmac_f64_e32 v[90:91], v[80:81], v[72:73]
	s_wait_loadcnt 0x2
	s_delay_alu instid0(VALU_DEP_1) | instskip(SKIP_4) | instid1(VALU_DEP_1)
	v_fmac_f64_e32 v[90:91], v[82:83], v[74:75]
	ds_load_2addr_b64 v[72:75], v2 offset0:65 offset1:66
	s_wait_dscnt 0x1
	v_fmac_f64_e32 v[90:91], v[84:85], v[76:77]
	s_wait_loadcnt 0x1
	v_fmac_f64_e32 v[90:91], v[86:87], v[78:79]
	s_wait_dscnt 0x0
	s_delay_alu instid0(VALU_DEP_1) | instskip(SKIP_1) | instid1(VALU_DEP_1)
	v_fmac_f64_e32 v[90:91], v[88:89], v[72:73]
	s_wait_loadcnt 0x0
	v_fmac_f64_e32 v[90:91], v[98:99], v[74:75]
	s_delay_alu instid0(VALU_DEP_1)
	v_add_f64_e64 v[2:3], v[70:71], -v[90:91]
	scratch_store_b64 off, v[2:3], off offset:176
	s_wait_xcnt 0x0
	v_cmpx_lt_u32_e32 21, v0
	s_cbranch_execz .LBB96_165
; %bb.164:
	scratch_load_b64 v[2:3], off, off offset:168
	v_mov_b64_e32 v[70:71], 0
	scratch_store_b64 off, v[70:71], off offset:168
	s_wait_loadcnt 0x0
	ds_store_b64 v1, v[2:3]
.LBB96_165:
	s_wait_xcnt 0x0
	s_or_b32 exec_lo, exec_lo, s0
	s_wait_storecnt_dscnt 0x0
	s_barrier_signal -1
	s_barrier_wait -1
	s_clause 0x5
	scratch_load_b128 v[70:73], off, off offset:168
	scratch_load_b128 v[74:77], off, off offset:184
	;; [unrolled: 1-line block ×6, first 2 shown]
	v_mov_b32_e32 v2, 0
	ds_load_b128 v[94:97], v2 offset:448
	ds_load_b128 v[98:101], v2 offset:464
	s_mov_b32 s0, exec_lo
	s_wait_loadcnt_dscnt 0x501
	v_fma_f64 v[94:95], v[72:73], v[94:95], 0
	s_wait_loadcnt 0x4
	s_delay_alu instid0(VALU_DEP_1) | instskip(SKIP_1) | instid1(VALU_DEP_1)
	v_fmac_f64_e32 v[94:95], v[74:75], v[96:97]
	s_wait_dscnt 0x0
	v_fmac_f64_e32 v[94:95], v[76:77], v[98:99]
	s_wait_loadcnt 0x3
	s_delay_alu instid0(VALU_DEP_1)
	v_fmac_f64_e32 v[94:95], v[78:79], v[100:101]
	ds_load_b128 v[72:75], v2 offset:480
	ds_load_b128 v[76:79], v2 offset:496
	s_wait_dscnt 0x1
	v_fmac_f64_e32 v[94:95], v[80:81], v[72:73]
	s_wait_loadcnt 0x2
	s_delay_alu instid0(VALU_DEP_1) | instskip(SKIP_1) | instid1(VALU_DEP_1)
	v_fmac_f64_e32 v[94:95], v[82:83], v[74:75]
	s_wait_dscnt 0x0
	v_fmac_f64_e32 v[94:95], v[84:85], v[76:77]
	ds_load_b128 v[72:75], v2 offset:512
	ds_load_b64 v[76:77], v2 offset:528
	s_wait_loadcnt 0x1
	v_fmac_f64_e32 v[94:95], v[86:87], v[78:79]
	s_wait_dscnt 0x1
	s_delay_alu instid0(VALU_DEP_1) | instskip(SKIP_1) | instid1(VALU_DEP_1)
	v_fmac_f64_e32 v[94:95], v[88:89], v[72:73]
	s_wait_loadcnt 0x0
	v_fmac_f64_e32 v[94:95], v[90:91], v[74:75]
	s_wait_dscnt 0x0
	s_delay_alu instid0(VALU_DEP_1) | instskip(NEXT) | instid1(VALU_DEP_1)
	v_fmac_f64_e32 v[94:95], v[92:93], v[76:77]
	v_add_f64_e64 v[70:71], v[70:71], -v[94:95]
	scratch_store_b64 off, v[70:71], off offset:168
	s_wait_xcnt 0x0
	v_cmpx_lt_u32_e32 20, v0
	s_cbranch_execz .LBB96_167
; %bb.166:
	scratch_load_b64 v[70:71], off, off offset:160
	v_mov_b64_e32 v[72:73], 0
	scratch_store_b64 off, v[72:73], off offset:160
	s_wait_loadcnt 0x0
	ds_store_b64 v1, v[70:71]
.LBB96_167:
	s_wait_xcnt 0x0
	s_or_b32 exec_lo, exec_lo, s0
	s_wait_storecnt_dscnt 0x0
	s_barrier_signal -1
	s_barrier_wait -1
	s_clause 0x5
	scratch_load_b128 v[70:73], off, off offset:160
	scratch_load_b128 v[74:77], off, off offset:176
	;; [unrolled: 1-line block ×6, first 2 shown]
	ds_load_2addr_b64 v[94:97], v2 offset0:55 offset1:56
	ds_load_2addr_b64 v[98:101], v2 offset0:57 offset1:58
	s_mov_b32 s0, exec_lo
	s_wait_loadcnt_dscnt 0x501
	v_fma_f64 v[94:95], v[72:73], v[94:95], 0
	s_wait_loadcnt 0x4
	s_delay_alu instid0(VALU_DEP_1) | instskip(SKIP_4) | instid1(VALU_DEP_1)
	v_fmac_f64_e32 v[94:95], v[74:75], v[96:97]
	scratch_load_b64 v[96:97], off, off offset:256
	s_wait_dscnt 0x0
	v_fmac_f64_e32 v[94:95], v[76:77], v[98:99]
	s_wait_loadcnt 0x4
	v_fmac_f64_e32 v[94:95], v[78:79], v[100:101]
	ds_load_2addr_b64 v[72:75], v2 offset0:59 offset1:60
	ds_load_2addr_b64 v[76:79], v2 offset0:61 offset1:62
	s_wait_dscnt 0x1
	v_fmac_f64_e32 v[94:95], v[80:81], v[72:73]
	s_wait_loadcnt 0x3
	s_delay_alu instid0(VALU_DEP_1) | instskip(SKIP_1) | instid1(VALU_DEP_1)
	v_fmac_f64_e32 v[94:95], v[82:83], v[74:75]
	s_wait_dscnt 0x0
	v_fmac_f64_e32 v[94:95], v[84:85], v[76:77]
	s_wait_loadcnt 0x2
	s_delay_alu instid0(VALU_DEP_1)
	v_fmac_f64_e32 v[94:95], v[86:87], v[78:79]
	ds_load_2addr_b64 v[72:75], v2 offset0:63 offset1:64
	ds_load_2addr_b64 v[76:79], v2 offset0:65 offset1:66
	s_wait_dscnt 0x1
	v_fmac_f64_e32 v[94:95], v[88:89], v[72:73]
	s_wait_loadcnt 0x1
	s_delay_alu instid0(VALU_DEP_1) | instskip(SKIP_1) | instid1(VALU_DEP_1)
	v_fmac_f64_e32 v[94:95], v[90:91], v[74:75]
	s_wait_dscnt 0x0
	v_fmac_f64_e32 v[94:95], v[92:93], v[76:77]
	s_wait_loadcnt 0x0
	s_delay_alu instid0(VALU_DEP_1) | instskip(NEXT) | instid1(VALU_DEP_1)
	v_fmac_f64_e32 v[94:95], v[96:97], v[78:79]
	v_add_f64_e64 v[2:3], v[70:71], -v[94:95]
	scratch_store_b64 off, v[2:3], off offset:160
	s_wait_xcnt 0x0
	v_cmpx_lt_u32_e32 19, v0
	s_cbranch_execz .LBB96_169
; %bb.168:
	scratch_load_b64 v[2:3], off, off offset:152
	v_mov_b64_e32 v[70:71], 0
	scratch_store_b64 off, v[70:71], off offset:152
	s_wait_loadcnt 0x0
	ds_store_b64 v1, v[2:3]
.LBB96_169:
	s_wait_xcnt 0x0
	s_or_b32 exec_lo, exec_lo, s0
	s_wait_storecnt_dscnt 0x0
	s_barrier_signal -1
	s_barrier_wait -1
	s_clause 0x5
	scratch_load_b128 v[70:73], off, off offset:152
	scratch_load_b128 v[74:77], off, off offset:168
	scratch_load_b128 v[78:81], off, off offset:184
	scratch_load_b128 v[82:85], off, off offset:200
	scratch_load_b128 v[86:89], off, off offset:216
	scratch_load_b128 v[90:93], off, off offset:232
	v_mov_b32_e32 v2, 0
	ds_load_b128 v[94:97], v2 offset:432
	ds_load_b128 v[98:101], v2 offset:448
	s_mov_b32 s0, exec_lo
	s_wait_loadcnt_dscnt 0x501
	v_fma_f64 v[102:103], v[72:73], v[94:95], 0
	s_wait_loadcnt 0x4
	s_delay_alu instid0(VALU_DEP_1) | instskip(SKIP_4) | instid1(VALU_DEP_1)
	v_fmac_f64_e32 v[102:103], v[74:75], v[96:97]
	scratch_load_b128 v[72:75], off, off offset:248
	s_wait_dscnt 0x0
	v_fmac_f64_e32 v[102:103], v[76:77], v[98:99]
	s_wait_loadcnt 0x4
	v_fmac_f64_e32 v[102:103], v[78:79], v[100:101]
	ds_load_b128 v[76:79], v2 offset:464
	ds_load_b128 v[94:97], v2 offset:480
	s_wait_dscnt 0x1
	v_fmac_f64_e32 v[102:103], v[80:81], v[76:77]
	s_wait_loadcnt 0x3
	s_delay_alu instid0(VALU_DEP_1)
	v_fmac_f64_e32 v[102:103], v[82:83], v[78:79]
	ds_load_b128 v[76:79], v2 offset:496
	ds_load_b128 v[80:83], v2 offset:512
	s_wait_dscnt 0x2
	v_fmac_f64_e32 v[102:103], v[84:85], v[94:95]
	s_wait_loadcnt 0x2
	s_delay_alu instid0(VALU_DEP_1) | instskip(SKIP_1) | instid1(VALU_DEP_1)
	v_fmac_f64_e32 v[102:103], v[86:87], v[96:97]
	s_wait_dscnt 0x1
	v_fmac_f64_e32 v[102:103], v[88:89], v[76:77]
	s_wait_loadcnt 0x1
	s_delay_alu instid0(VALU_DEP_1) | instskip(SKIP_1) | instid1(VALU_DEP_1)
	v_fmac_f64_e32 v[102:103], v[90:91], v[78:79]
	s_wait_dscnt 0x0
	v_fmac_f64_e32 v[102:103], v[92:93], v[80:81]
	s_wait_loadcnt 0x0
	s_delay_alu instid0(VALU_DEP_1) | instskip(SKIP_3) | instid1(VALU_DEP_1)
	v_fmac_f64_e32 v[102:103], v[72:73], v[82:83]
	ds_load_b64 v[72:73], v2 offset:528
	s_wait_dscnt 0x0
	v_fmac_f64_e32 v[102:103], v[74:75], v[72:73]
	v_add_f64_e64 v[70:71], v[70:71], -v[102:103]
	scratch_store_b64 off, v[70:71], off offset:152
	s_wait_xcnt 0x0
	v_cmpx_lt_u32_e32 18, v0
	s_cbranch_execz .LBB96_171
; %bb.170:
	scratch_load_b64 v[70:71], off, off offset:144
	v_mov_b64_e32 v[72:73], 0
	scratch_store_b64 off, v[72:73], off offset:144
	s_wait_loadcnt 0x0
	ds_store_b64 v1, v[70:71]
.LBB96_171:
	s_wait_xcnt 0x0
	s_or_b32 exec_lo, exec_lo, s0
	s_wait_storecnt_dscnt 0x0
	s_barrier_signal -1
	s_barrier_wait -1
	s_clause 0x5
	scratch_load_b128 v[70:73], off, off offset:144
	scratch_load_b128 v[74:77], off, off offset:160
	;; [unrolled: 1-line block ×6, first 2 shown]
	ds_load_2addr_b64 v[94:97], v2 offset0:53 offset1:54
	ds_load_2addr_b64 v[98:101], v2 offset0:55 offset1:56
	s_mov_b32 s0, exec_lo
	s_wait_loadcnt_dscnt 0x501
	v_fma_f64 v[102:103], v[72:73], v[94:95], 0
	s_wait_loadcnt 0x4
	s_delay_alu instid0(VALU_DEP_1)
	v_fmac_f64_e32 v[102:103], v[74:75], v[96:97]
	scratch_load_b128 v[72:75], off, off offset:240
	s_wait_dscnt 0x0
	v_fmac_f64_e32 v[102:103], v[76:77], v[98:99]
	scratch_load_b64 v[98:99], off, off offset:256
	s_wait_loadcnt 0x5
	v_fmac_f64_e32 v[102:103], v[78:79], v[100:101]
	ds_load_2addr_b64 v[76:79], v2 offset0:57 offset1:58
	ds_load_2addr_b64 v[94:97], v2 offset0:59 offset1:60
	s_wait_dscnt 0x1
	v_fmac_f64_e32 v[102:103], v[80:81], v[76:77]
	s_wait_loadcnt 0x4
	s_delay_alu instid0(VALU_DEP_1)
	v_fmac_f64_e32 v[102:103], v[82:83], v[78:79]
	ds_load_2addr_b64 v[76:79], v2 offset0:61 offset1:62
	ds_load_2addr_b64 v[80:83], v2 offset0:63 offset1:64
	s_wait_dscnt 0x2
	v_fmac_f64_e32 v[102:103], v[84:85], v[94:95]
	s_wait_loadcnt 0x3
	s_delay_alu instid0(VALU_DEP_1) | instskip(SKIP_1) | instid1(VALU_DEP_1)
	v_fmac_f64_e32 v[102:103], v[86:87], v[96:97]
	s_wait_dscnt 0x1
	v_fmac_f64_e32 v[102:103], v[88:89], v[76:77]
	s_wait_loadcnt 0x2
	s_delay_alu instid0(VALU_DEP_1) | instskip(SKIP_4) | instid1(VALU_DEP_1)
	v_fmac_f64_e32 v[102:103], v[90:91], v[78:79]
	ds_load_2addr_b64 v[76:79], v2 offset0:65 offset1:66
	s_wait_dscnt 0x1
	v_fmac_f64_e32 v[102:103], v[92:93], v[80:81]
	s_wait_loadcnt 0x1
	v_fmac_f64_e32 v[102:103], v[72:73], v[82:83]
	s_wait_dscnt 0x0
	s_delay_alu instid0(VALU_DEP_1) | instskip(SKIP_1) | instid1(VALU_DEP_1)
	v_fmac_f64_e32 v[102:103], v[74:75], v[76:77]
	s_wait_loadcnt 0x0
	v_fmac_f64_e32 v[102:103], v[98:99], v[78:79]
	s_delay_alu instid0(VALU_DEP_1)
	v_add_f64_e64 v[2:3], v[70:71], -v[102:103]
	scratch_store_b64 off, v[2:3], off offset:144
	s_wait_xcnt 0x0
	v_cmpx_lt_u32_e32 17, v0
	s_cbranch_execz .LBB96_173
; %bb.172:
	scratch_load_b64 v[2:3], off, off offset:136
	v_mov_b64_e32 v[70:71], 0
	scratch_store_b64 off, v[70:71], off offset:136
	s_wait_loadcnt 0x0
	ds_store_b64 v1, v[2:3]
.LBB96_173:
	s_wait_xcnt 0x0
	s_or_b32 exec_lo, exec_lo, s0
	s_wait_storecnt_dscnt 0x0
	s_barrier_signal -1
	s_barrier_wait -1
	s_clause 0x5
	scratch_load_b128 v[70:73], off, off offset:136
	scratch_load_b128 v[74:77], off, off offset:152
	;; [unrolled: 1-line block ×6, first 2 shown]
	v_mov_b32_e32 v2, 0
	ds_load_b128 v[94:97], v2 offset:416
	ds_load_b128 v[98:101], v2 offset:432
	s_mov_b32 s0, exec_lo
	s_wait_loadcnt_dscnt 0x501
	v_fma_f64 v[102:103], v[72:73], v[94:95], 0
	s_wait_loadcnt 0x4
	s_delay_alu instid0(VALU_DEP_1) | instskip(SKIP_4) | instid1(VALU_DEP_1)
	v_fmac_f64_e32 v[102:103], v[74:75], v[96:97]
	scratch_load_b128 v[72:75], off, off offset:232
	s_wait_dscnt 0x0
	v_fmac_f64_e32 v[102:103], v[76:77], v[98:99]
	s_wait_loadcnt 0x4
	v_fmac_f64_e32 v[102:103], v[78:79], v[100:101]
	scratch_load_b128 v[76:79], off, off offset:248
	ds_load_b128 v[94:97], v2 offset:448
	ds_load_b128 v[98:101], v2 offset:464
	s_wait_dscnt 0x1
	v_fmac_f64_e32 v[102:103], v[80:81], v[94:95]
	s_wait_loadcnt 0x4
	s_delay_alu instid0(VALU_DEP_1) | instskip(SKIP_1) | instid1(VALU_DEP_1)
	v_fmac_f64_e32 v[102:103], v[82:83], v[96:97]
	s_wait_dscnt 0x0
	v_fmac_f64_e32 v[102:103], v[84:85], v[98:99]
	s_wait_loadcnt 0x3
	s_delay_alu instid0(VALU_DEP_1)
	v_fmac_f64_e32 v[102:103], v[86:87], v[100:101]
	ds_load_b128 v[80:83], v2 offset:480
	ds_load_b128 v[84:87], v2 offset:496
	s_wait_dscnt 0x1
	v_fmac_f64_e32 v[102:103], v[88:89], v[80:81]
	s_wait_loadcnt 0x2
	s_delay_alu instid0(VALU_DEP_1) | instskip(SKIP_1) | instid1(VALU_DEP_1)
	v_fmac_f64_e32 v[102:103], v[90:91], v[82:83]
	s_wait_dscnt 0x0
	v_fmac_f64_e32 v[102:103], v[92:93], v[84:85]
	s_wait_loadcnt 0x1
	s_delay_alu instid0(VALU_DEP_1)
	v_fmac_f64_e32 v[102:103], v[72:73], v[86:87]
	ds_load_b128 v[80:83], v2 offset:512
	ds_load_b64 v[72:73], v2 offset:528
	s_wait_dscnt 0x1
	v_fmac_f64_e32 v[102:103], v[74:75], v[80:81]
	s_wait_loadcnt 0x0
	s_delay_alu instid0(VALU_DEP_1) | instskip(SKIP_1) | instid1(VALU_DEP_1)
	v_fmac_f64_e32 v[102:103], v[76:77], v[82:83]
	s_wait_dscnt 0x0
	v_fmac_f64_e32 v[102:103], v[78:79], v[72:73]
	s_delay_alu instid0(VALU_DEP_1)
	v_add_f64_e64 v[70:71], v[70:71], -v[102:103]
	scratch_store_b64 off, v[70:71], off offset:136
	s_wait_xcnt 0x0
	v_cmpx_lt_u32_e32 16, v0
	s_cbranch_execz .LBB96_175
; %bb.174:
	scratch_load_b64 v[70:71], off, off offset:128
	v_mov_b64_e32 v[72:73], 0
	scratch_store_b64 off, v[72:73], off offset:128
	s_wait_loadcnt 0x0
	ds_store_b64 v1, v[70:71]
.LBB96_175:
	s_wait_xcnt 0x0
	s_or_b32 exec_lo, exec_lo, s0
	s_wait_storecnt_dscnt 0x0
	s_barrier_signal -1
	s_barrier_wait -1
	s_clause 0x5
	scratch_load_b128 v[70:73], off, off offset:128
	scratch_load_b128 v[74:77], off, off offset:144
	;; [unrolled: 1-line block ×6, first 2 shown]
	ds_load_2addr_b64 v[94:97], v2 offset0:51 offset1:52
	ds_load_2addr_b64 v[98:101], v2 offset0:53 offset1:54
	s_mov_b32 s0, exec_lo
	s_wait_loadcnt_dscnt 0x501
	v_fma_f64 v[102:103], v[72:73], v[94:95], 0
	s_wait_loadcnt 0x4
	s_delay_alu instid0(VALU_DEP_1) | instskip(SKIP_4) | instid1(VALU_DEP_1)
	v_fmac_f64_e32 v[102:103], v[74:75], v[96:97]
	scratch_load_b128 v[72:75], off, off offset:224
	s_wait_dscnt 0x0
	v_fmac_f64_e32 v[102:103], v[76:77], v[98:99]
	s_wait_loadcnt 0x4
	v_fmac_f64_e32 v[102:103], v[78:79], v[100:101]
	scratch_load_b128 v[76:79], off, off offset:240
	ds_load_2addr_b64 v[94:97], v2 offset0:55 offset1:56
	ds_load_2addr_b64 v[98:101], v2 offset0:57 offset1:58
	s_wait_dscnt 0x1
	v_fmac_f64_e32 v[102:103], v[80:81], v[94:95]
	scratch_load_b64 v[94:95], off, off offset:256
	s_wait_loadcnt 0x5
	v_fmac_f64_e32 v[102:103], v[82:83], v[96:97]
	s_wait_dscnt 0x0
	s_delay_alu instid0(VALU_DEP_1) | instskip(SKIP_1) | instid1(VALU_DEP_1)
	v_fmac_f64_e32 v[102:103], v[84:85], v[98:99]
	s_wait_loadcnt 0x4
	v_fmac_f64_e32 v[102:103], v[86:87], v[100:101]
	ds_load_2addr_b64 v[80:83], v2 offset0:59 offset1:60
	ds_load_2addr_b64 v[84:87], v2 offset0:61 offset1:62
	s_wait_dscnt 0x1
	v_fmac_f64_e32 v[102:103], v[88:89], v[80:81]
	s_wait_loadcnt 0x3
	s_delay_alu instid0(VALU_DEP_1) | instskip(SKIP_1) | instid1(VALU_DEP_1)
	v_fmac_f64_e32 v[102:103], v[90:91], v[82:83]
	s_wait_dscnt 0x0
	v_fmac_f64_e32 v[102:103], v[92:93], v[84:85]
	s_wait_loadcnt 0x2
	s_delay_alu instid0(VALU_DEP_1)
	v_fmac_f64_e32 v[102:103], v[72:73], v[86:87]
	ds_load_2addr_b64 v[80:83], v2 offset0:63 offset1:64
	ds_load_2addr_b64 v[84:87], v2 offset0:65 offset1:66
	s_wait_dscnt 0x1
	v_fmac_f64_e32 v[102:103], v[74:75], v[80:81]
	s_wait_loadcnt 0x1
	s_delay_alu instid0(VALU_DEP_1) | instskip(SKIP_1) | instid1(VALU_DEP_1)
	v_fmac_f64_e32 v[102:103], v[76:77], v[82:83]
	s_wait_dscnt 0x0
	v_fmac_f64_e32 v[102:103], v[78:79], v[84:85]
	s_wait_loadcnt 0x0
	s_delay_alu instid0(VALU_DEP_1) | instskip(NEXT) | instid1(VALU_DEP_1)
	v_fmac_f64_e32 v[102:103], v[94:95], v[86:87]
	v_add_f64_e64 v[2:3], v[70:71], -v[102:103]
	scratch_store_b64 off, v[2:3], off offset:128
	s_wait_xcnt 0x0
	v_cmpx_lt_u32_e32 15, v0
	s_cbranch_execz .LBB96_177
; %bb.176:
	scratch_load_b64 v[2:3], off, off offset:120
	v_mov_b64_e32 v[70:71], 0
	scratch_store_b64 off, v[70:71], off offset:120
	s_wait_loadcnt 0x0
	ds_store_b64 v1, v[2:3]
.LBB96_177:
	s_wait_xcnt 0x0
	s_or_b32 exec_lo, exec_lo, s0
	s_wait_storecnt_dscnt 0x0
	s_barrier_signal -1
	s_barrier_wait -1
	s_clause 0x5
	scratch_load_b128 v[70:73], off, off offset:120
	scratch_load_b128 v[74:77], off, off offset:136
	;; [unrolled: 1-line block ×6, first 2 shown]
	v_mov_b32_e32 v2, 0
	ds_load_b128 v[94:97], v2 offset:400
	ds_load_b128 v[98:101], v2 offset:416
	s_mov_b32 s0, exec_lo
	s_wait_loadcnt_dscnt 0x501
	v_fma_f64 v[102:103], v[72:73], v[94:95], 0
	s_wait_loadcnt 0x4
	s_delay_alu instid0(VALU_DEP_1) | instskip(SKIP_4) | instid1(VALU_DEP_1)
	v_fmac_f64_e32 v[102:103], v[74:75], v[96:97]
	scratch_load_b128 v[72:75], off, off offset:216
	s_wait_dscnt 0x0
	v_fmac_f64_e32 v[102:103], v[76:77], v[98:99]
	s_wait_loadcnt 0x4
	v_fmac_f64_e32 v[102:103], v[78:79], v[100:101]
	scratch_load_b128 v[76:79], off, off offset:232
	ds_load_b128 v[94:97], v2 offset:432
	ds_load_b128 v[98:101], v2 offset:448
	s_wait_dscnt 0x1
	v_fmac_f64_e32 v[102:103], v[80:81], v[94:95]
	s_wait_loadcnt 0x4
	s_delay_alu instid0(VALU_DEP_1) | instskip(SKIP_4) | instid1(VALU_DEP_1)
	v_fmac_f64_e32 v[102:103], v[82:83], v[96:97]
	scratch_load_b128 v[80:83], off, off offset:248
	s_wait_dscnt 0x0
	v_fmac_f64_e32 v[102:103], v[84:85], v[98:99]
	s_wait_loadcnt 0x4
	v_fmac_f64_e32 v[102:103], v[86:87], v[100:101]
	ds_load_b128 v[84:87], v2 offset:464
	ds_load_b128 v[94:97], v2 offset:480
	s_wait_dscnt 0x1
	v_fmac_f64_e32 v[102:103], v[88:89], v[84:85]
	s_wait_loadcnt 0x3
	s_delay_alu instid0(VALU_DEP_1)
	v_fmac_f64_e32 v[102:103], v[90:91], v[86:87]
	ds_load_b128 v[84:87], v2 offset:496
	ds_load_b128 v[88:91], v2 offset:512
	s_wait_dscnt 0x2
	v_fmac_f64_e32 v[102:103], v[92:93], v[94:95]
	s_wait_loadcnt 0x2
	s_delay_alu instid0(VALU_DEP_1) | instskip(SKIP_4) | instid1(VALU_DEP_1)
	v_fmac_f64_e32 v[102:103], v[72:73], v[96:97]
	ds_load_b64 v[72:73], v2 offset:528
	s_wait_dscnt 0x2
	v_fmac_f64_e32 v[102:103], v[74:75], v[84:85]
	s_wait_loadcnt 0x1
	v_fmac_f64_e32 v[102:103], v[76:77], v[86:87]
	s_wait_dscnt 0x1
	s_delay_alu instid0(VALU_DEP_1) | instskip(SKIP_1) | instid1(VALU_DEP_1)
	v_fmac_f64_e32 v[102:103], v[78:79], v[88:89]
	s_wait_loadcnt 0x0
	v_fmac_f64_e32 v[102:103], v[80:81], v[90:91]
	s_wait_dscnt 0x0
	s_delay_alu instid0(VALU_DEP_1) | instskip(NEXT) | instid1(VALU_DEP_1)
	v_fmac_f64_e32 v[102:103], v[82:83], v[72:73]
	v_add_f64_e64 v[70:71], v[70:71], -v[102:103]
	scratch_store_b64 off, v[70:71], off offset:120
	s_wait_xcnt 0x0
	v_cmpx_lt_u32_e32 14, v0
	s_cbranch_execz .LBB96_179
; %bb.178:
	scratch_load_b64 v[70:71], off, off offset:112
	v_mov_b64_e32 v[72:73], 0
	scratch_store_b64 off, v[72:73], off offset:112
	s_wait_loadcnt 0x0
	ds_store_b64 v1, v[70:71]
.LBB96_179:
	s_wait_xcnt 0x0
	s_or_b32 exec_lo, exec_lo, s0
	s_wait_storecnt_dscnt 0x0
	s_barrier_signal -1
	s_barrier_wait -1
	s_clause 0x5
	scratch_load_b128 v[70:73], off, off offset:112
	scratch_load_b128 v[74:77], off, off offset:128
	;; [unrolled: 1-line block ×6, first 2 shown]
	ds_load_2addr_b64 v[94:97], v2 offset0:49 offset1:50
	ds_load_2addr_b64 v[98:101], v2 offset0:51 offset1:52
	s_mov_b32 s0, exec_lo
	s_wait_loadcnt_dscnt 0x501
	v_fma_f64 v[102:103], v[72:73], v[94:95], 0
	s_wait_loadcnt 0x4
	s_delay_alu instid0(VALU_DEP_1) | instskip(SKIP_4) | instid1(VALU_DEP_1)
	v_fmac_f64_e32 v[102:103], v[74:75], v[96:97]
	scratch_load_b128 v[72:75], off, off offset:208
	s_wait_dscnt 0x0
	v_fmac_f64_e32 v[102:103], v[76:77], v[98:99]
	s_wait_loadcnt 0x4
	v_fmac_f64_e32 v[102:103], v[78:79], v[100:101]
	scratch_load_b128 v[76:79], off, off offset:224
	ds_load_2addr_b64 v[94:97], v2 offset0:53 offset1:54
	ds_load_2addr_b64 v[98:101], v2 offset0:55 offset1:56
	s_wait_dscnt 0x1
	v_fmac_f64_e32 v[102:103], v[80:81], v[94:95]
	s_wait_loadcnt 0x4
	s_delay_alu instid0(VALU_DEP_1)
	v_fmac_f64_e32 v[102:103], v[82:83], v[96:97]
	scratch_load_b128 v[80:83], off, off offset:240
	s_wait_dscnt 0x0
	v_fmac_f64_e32 v[102:103], v[84:85], v[98:99]
	scratch_load_b64 v[98:99], off, off offset:256
	s_wait_loadcnt 0x5
	v_fmac_f64_e32 v[102:103], v[86:87], v[100:101]
	ds_load_2addr_b64 v[84:87], v2 offset0:57 offset1:58
	ds_load_2addr_b64 v[94:97], v2 offset0:59 offset1:60
	s_wait_dscnt 0x1
	v_fmac_f64_e32 v[102:103], v[88:89], v[84:85]
	s_wait_loadcnt 0x4
	s_delay_alu instid0(VALU_DEP_1)
	v_fmac_f64_e32 v[102:103], v[90:91], v[86:87]
	ds_load_2addr_b64 v[84:87], v2 offset0:61 offset1:62
	ds_load_2addr_b64 v[88:91], v2 offset0:63 offset1:64
	s_wait_dscnt 0x2
	v_fmac_f64_e32 v[102:103], v[92:93], v[94:95]
	s_wait_loadcnt 0x3
	s_delay_alu instid0(VALU_DEP_1) | instskip(SKIP_1) | instid1(VALU_DEP_1)
	v_fmac_f64_e32 v[102:103], v[72:73], v[96:97]
	s_wait_dscnt 0x1
	v_fmac_f64_e32 v[102:103], v[74:75], v[84:85]
	ds_load_2addr_b64 v[72:75], v2 offset0:65 offset1:66
	s_wait_loadcnt 0x2
	v_fmac_f64_e32 v[102:103], v[76:77], v[86:87]
	s_wait_dscnt 0x1
	s_delay_alu instid0(VALU_DEP_1) | instskip(SKIP_1) | instid1(VALU_DEP_1)
	v_fmac_f64_e32 v[102:103], v[78:79], v[88:89]
	s_wait_loadcnt 0x1
	v_fmac_f64_e32 v[102:103], v[80:81], v[90:91]
	s_wait_dscnt 0x0
	s_delay_alu instid0(VALU_DEP_1) | instskip(SKIP_1) | instid1(VALU_DEP_1)
	v_fmac_f64_e32 v[102:103], v[82:83], v[72:73]
	s_wait_loadcnt 0x0
	v_fmac_f64_e32 v[102:103], v[98:99], v[74:75]
	s_delay_alu instid0(VALU_DEP_1)
	v_add_f64_e64 v[2:3], v[70:71], -v[102:103]
	scratch_store_b64 off, v[2:3], off offset:112
	s_wait_xcnt 0x0
	v_cmpx_lt_u32_e32 13, v0
	s_cbranch_execz .LBB96_181
; %bb.180:
	scratch_load_b64 v[2:3], off, off offset:104
	v_mov_b64_e32 v[70:71], 0
	scratch_store_b64 off, v[70:71], off offset:104
	s_wait_loadcnt 0x0
	ds_store_b64 v1, v[2:3]
.LBB96_181:
	s_wait_xcnt 0x0
	s_or_b32 exec_lo, exec_lo, s0
	s_wait_storecnt_dscnt 0x0
	s_barrier_signal -1
	s_barrier_wait -1
	s_clause 0x5
	scratch_load_b128 v[70:73], off, off offset:104
	scratch_load_b128 v[74:77], off, off offset:120
	scratch_load_b128 v[78:81], off, off offset:136
	scratch_load_b128 v[82:85], off, off offset:152
	scratch_load_b128 v[86:89], off, off offset:168
	scratch_load_b128 v[90:93], off, off offset:184
	v_mov_b32_e32 v2, 0
	ds_load_b128 v[94:97], v2 offset:384
	ds_load_b128 v[98:101], v2 offset:400
	s_mov_b32 s0, exec_lo
	s_wait_loadcnt_dscnt 0x501
	v_fma_f64 v[102:103], v[72:73], v[94:95], 0
	s_wait_loadcnt 0x4
	s_delay_alu instid0(VALU_DEP_1) | instskip(SKIP_4) | instid1(VALU_DEP_1)
	v_fmac_f64_e32 v[102:103], v[74:75], v[96:97]
	scratch_load_b128 v[72:75], off, off offset:200
	s_wait_dscnt 0x0
	v_fmac_f64_e32 v[102:103], v[76:77], v[98:99]
	s_wait_loadcnt 0x4
	v_fmac_f64_e32 v[102:103], v[78:79], v[100:101]
	scratch_load_b128 v[76:79], off, off offset:216
	ds_load_b128 v[94:97], v2 offset:416
	ds_load_b128 v[98:101], v2 offset:432
	s_wait_dscnt 0x1
	v_fmac_f64_e32 v[102:103], v[80:81], v[94:95]
	s_wait_loadcnt 0x4
	s_delay_alu instid0(VALU_DEP_1) | instskip(SKIP_4) | instid1(VALU_DEP_1)
	v_fmac_f64_e32 v[102:103], v[82:83], v[96:97]
	scratch_load_b128 v[80:83], off, off offset:232
	s_wait_dscnt 0x0
	v_fmac_f64_e32 v[102:103], v[84:85], v[98:99]
	s_wait_loadcnt 0x4
	v_fmac_f64_e32 v[102:103], v[86:87], v[100:101]
	scratch_load_b128 v[84:87], off, off offset:248
	ds_load_b128 v[94:97], v2 offset:448
	ds_load_b128 v[98:101], v2 offset:464
	s_wait_dscnt 0x1
	v_fmac_f64_e32 v[102:103], v[88:89], v[94:95]
	s_wait_loadcnt 0x4
	s_delay_alu instid0(VALU_DEP_1) | instskip(SKIP_1) | instid1(VALU_DEP_1)
	v_fmac_f64_e32 v[102:103], v[90:91], v[96:97]
	s_wait_dscnt 0x0
	v_fmac_f64_e32 v[102:103], v[92:93], v[98:99]
	ds_load_b128 v[88:91], v2 offset:480
	ds_load_b128 v[92:95], v2 offset:496
	s_wait_loadcnt 0x3
	v_fmac_f64_e32 v[102:103], v[72:73], v[100:101]
	s_wait_dscnt 0x1
	s_delay_alu instid0(VALU_DEP_1) | instskip(SKIP_1) | instid1(VALU_DEP_1)
	v_fmac_f64_e32 v[102:103], v[74:75], v[88:89]
	s_wait_loadcnt 0x2
	v_fmac_f64_e32 v[102:103], v[76:77], v[90:91]
	ds_load_b128 v[72:75], v2 offset:512
	ds_load_b64 v[76:77], v2 offset:528
	s_wait_dscnt 0x2
	v_fmac_f64_e32 v[102:103], v[78:79], v[92:93]
	s_wait_loadcnt 0x1
	s_delay_alu instid0(VALU_DEP_1) | instskip(SKIP_1) | instid1(VALU_DEP_1)
	v_fmac_f64_e32 v[102:103], v[80:81], v[94:95]
	s_wait_dscnt 0x1
	v_fmac_f64_e32 v[102:103], v[82:83], v[72:73]
	s_wait_loadcnt 0x0
	s_delay_alu instid0(VALU_DEP_1) | instskip(SKIP_1) | instid1(VALU_DEP_1)
	v_fmac_f64_e32 v[102:103], v[84:85], v[74:75]
	s_wait_dscnt 0x0
	v_fmac_f64_e32 v[102:103], v[86:87], v[76:77]
	s_delay_alu instid0(VALU_DEP_1)
	v_add_f64_e64 v[70:71], v[70:71], -v[102:103]
	scratch_store_b64 off, v[70:71], off offset:104
	s_wait_xcnt 0x0
	v_cmpx_lt_u32_e32 12, v0
	s_cbranch_execz .LBB96_183
; %bb.182:
	scratch_load_b64 v[70:71], off, off offset:96
	v_mov_b64_e32 v[72:73], 0
	scratch_store_b64 off, v[72:73], off offset:96
	s_wait_loadcnt 0x0
	ds_store_b64 v1, v[70:71]
.LBB96_183:
	s_wait_xcnt 0x0
	s_or_b32 exec_lo, exec_lo, s0
	s_wait_storecnt_dscnt 0x0
	s_barrier_signal -1
	s_barrier_wait -1
	s_clause 0x5
	scratch_load_b128 v[70:73], off, off offset:96
	scratch_load_b128 v[74:77], off, off offset:112
	;; [unrolled: 1-line block ×6, first 2 shown]
	ds_load_2addr_b64 v[94:97], v2 offset0:47 offset1:48
	ds_load_2addr_b64 v[98:101], v2 offset0:49 offset1:50
	s_mov_b32 s0, exec_lo
	s_wait_loadcnt_dscnt 0x501
	v_fma_f64 v[102:103], v[72:73], v[94:95], 0
	s_wait_loadcnt 0x4
	s_delay_alu instid0(VALU_DEP_1) | instskip(SKIP_4) | instid1(VALU_DEP_1)
	v_fmac_f64_e32 v[102:103], v[74:75], v[96:97]
	scratch_load_b128 v[72:75], off, off offset:192
	s_wait_dscnt 0x0
	v_fmac_f64_e32 v[102:103], v[76:77], v[98:99]
	s_wait_loadcnt 0x4
	v_fmac_f64_e32 v[102:103], v[78:79], v[100:101]
	scratch_load_b128 v[76:79], off, off offset:208
	ds_load_2addr_b64 v[94:97], v2 offset0:51 offset1:52
	ds_load_2addr_b64 v[98:101], v2 offset0:53 offset1:54
	s_wait_dscnt 0x1
	v_fmac_f64_e32 v[102:103], v[80:81], v[94:95]
	s_wait_loadcnt 0x4
	s_delay_alu instid0(VALU_DEP_1) | instskip(SKIP_4) | instid1(VALU_DEP_1)
	v_fmac_f64_e32 v[102:103], v[82:83], v[96:97]
	scratch_load_b128 v[80:83], off, off offset:224
	s_wait_dscnt 0x0
	v_fmac_f64_e32 v[102:103], v[84:85], v[98:99]
	s_wait_loadcnt 0x4
	v_fmac_f64_e32 v[102:103], v[86:87], v[100:101]
	scratch_load_b128 v[84:87], off, off offset:240
	ds_load_2addr_b64 v[94:97], v2 offset0:55 offset1:56
	ds_load_2addr_b64 v[98:101], v2 offset0:57 offset1:58
	s_wait_dscnt 0x1
	v_fmac_f64_e32 v[102:103], v[88:89], v[94:95]
	s_wait_loadcnt 0x4
	s_delay_alu instid0(VALU_DEP_1)
	v_fmac_f64_e32 v[102:103], v[90:91], v[96:97]
	scratch_load_b64 v[96:97], off, off offset:256
	s_wait_dscnt 0x0
	v_fmac_f64_e32 v[102:103], v[92:93], v[98:99]
	ds_load_2addr_b64 v[88:91], v2 offset0:59 offset1:60
	ds_load_2addr_b64 v[92:95], v2 offset0:61 offset1:62
	s_wait_loadcnt 0x4
	v_fmac_f64_e32 v[102:103], v[72:73], v[100:101]
	s_wait_dscnt 0x1
	s_delay_alu instid0(VALU_DEP_1) | instskip(SKIP_1) | instid1(VALU_DEP_1)
	v_fmac_f64_e32 v[102:103], v[74:75], v[88:89]
	s_wait_loadcnt 0x3
	v_fmac_f64_e32 v[102:103], v[76:77], v[90:91]
	s_wait_dscnt 0x0
	s_delay_alu instid0(VALU_DEP_1)
	v_fmac_f64_e32 v[102:103], v[78:79], v[92:93]
	ds_load_2addr_b64 v[72:75], v2 offset0:63 offset1:64
	ds_load_2addr_b64 v[76:79], v2 offset0:65 offset1:66
	s_wait_loadcnt 0x2
	v_fmac_f64_e32 v[102:103], v[80:81], v[94:95]
	s_wait_dscnt 0x1
	s_delay_alu instid0(VALU_DEP_1) | instskip(SKIP_1) | instid1(VALU_DEP_1)
	v_fmac_f64_e32 v[102:103], v[82:83], v[72:73]
	s_wait_loadcnt 0x1
	v_fmac_f64_e32 v[102:103], v[84:85], v[74:75]
	s_wait_dscnt 0x0
	s_delay_alu instid0(VALU_DEP_1) | instskip(SKIP_1) | instid1(VALU_DEP_1)
	v_fmac_f64_e32 v[102:103], v[86:87], v[76:77]
	s_wait_loadcnt 0x0
	v_fmac_f64_e32 v[102:103], v[96:97], v[78:79]
	s_delay_alu instid0(VALU_DEP_1)
	v_add_f64_e64 v[2:3], v[70:71], -v[102:103]
	scratch_store_b64 off, v[2:3], off offset:96
	s_wait_xcnt 0x0
	v_cmpx_lt_u32_e32 11, v0
	s_cbranch_execz .LBB96_185
; %bb.184:
	scratch_load_b64 v[2:3], off, off offset:88
	v_mov_b64_e32 v[70:71], 0
	scratch_store_b64 off, v[70:71], off offset:88
	s_wait_loadcnt 0x0
	ds_store_b64 v1, v[2:3]
.LBB96_185:
	s_wait_xcnt 0x0
	s_or_b32 exec_lo, exec_lo, s0
	s_wait_storecnt_dscnt 0x0
	s_barrier_signal -1
	s_barrier_wait -1
	s_clause 0x5
	scratch_load_b128 v[70:73], off, off offset:88
	scratch_load_b128 v[74:77], off, off offset:104
	;; [unrolled: 1-line block ×6, first 2 shown]
	v_mov_b32_e32 v2, 0
	ds_load_b128 v[94:97], v2 offset:368
	ds_load_b128 v[98:101], v2 offset:384
	s_mov_b32 s0, exec_lo
	s_wait_loadcnt_dscnt 0x501
	v_fma_f64 v[102:103], v[72:73], v[94:95], 0
	s_wait_loadcnt 0x4
	s_delay_alu instid0(VALU_DEP_1) | instskip(SKIP_4) | instid1(VALU_DEP_1)
	v_fmac_f64_e32 v[102:103], v[74:75], v[96:97]
	scratch_load_b128 v[72:75], off, off offset:184
	s_wait_dscnt 0x0
	v_fmac_f64_e32 v[102:103], v[76:77], v[98:99]
	s_wait_loadcnt 0x4
	v_fmac_f64_e32 v[102:103], v[78:79], v[100:101]
	scratch_load_b128 v[76:79], off, off offset:200
	ds_load_b128 v[94:97], v2 offset:400
	ds_load_b128 v[98:101], v2 offset:416
	s_wait_dscnt 0x1
	v_fmac_f64_e32 v[102:103], v[80:81], v[94:95]
	s_wait_loadcnt 0x4
	s_delay_alu instid0(VALU_DEP_1) | instskip(SKIP_4) | instid1(VALU_DEP_1)
	v_fmac_f64_e32 v[102:103], v[82:83], v[96:97]
	scratch_load_b128 v[80:83], off, off offset:216
	s_wait_dscnt 0x0
	v_fmac_f64_e32 v[102:103], v[84:85], v[98:99]
	s_wait_loadcnt 0x4
	v_fmac_f64_e32 v[102:103], v[86:87], v[100:101]
	scratch_load_b128 v[84:87], off, off offset:232
	ds_load_b128 v[94:97], v2 offset:432
	ds_load_b128 v[98:101], v2 offset:448
	s_wait_dscnt 0x1
	v_fmac_f64_e32 v[102:103], v[88:89], v[94:95]
	s_wait_loadcnt 0x4
	s_delay_alu instid0(VALU_DEP_1)
	v_fmac_f64_e32 v[102:103], v[90:91], v[96:97]
	scratch_load_b128 v[88:91], off, off offset:248
	s_wait_dscnt 0x0
	v_fmac_f64_e32 v[102:103], v[92:93], v[98:99]
	ds_load_b128 v[92:95], v2 offset:464
	ds_load_b128 v[96:99], v2 offset:480
	s_wait_loadcnt 0x4
	v_fmac_f64_e32 v[102:103], v[72:73], v[100:101]
	s_wait_dscnt 0x1
	s_delay_alu instid0(VALU_DEP_1) | instskip(SKIP_1) | instid1(VALU_DEP_1)
	v_fmac_f64_e32 v[102:103], v[74:75], v[92:93]
	s_wait_loadcnt 0x3
	v_fmac_f64_e32 v[102:103], v[76:77], v[94:95]
	s_wait_dscnt 0x0
	s_delay_alu instid0(VALU_DEP_1)
	v_fmac_f64_e32 v[102:103], v[78:79], v[96:97]
	ds_load_b128 v[72:75], v2 offset:496
	ds_load_b128 v[76:79], v2 offset:512
	s_wait_loadcnt 0x2
	v_fmac_f64_e32 v[102:103], v[80:81], v[98:99]
	s_wait_dscnt 0x1
	s_delay_alu instid0(VALU_DEP_1) | instskip(SKIP_4) | instid1(VALU_DEP_1)
	v_fmac_f64_e32 v[102:103], v[82:83], v[72:73]
	ds_load_b64 v[72:73], v2 offset:528
	s_wait_loadcnt 0x1
	v_fmac_f64_e32 v[102:103], v[84:85], v[74:75]
	s_wait_dscnt 0x1
	v_fmac_f64_e32 v[102:103], v[86:87], v[76:77]
	s_wait_loadcnt 0x0
	s_delay_alu instid0(VALU_DEP_1) | instskip(SKIP_1) | instid1(VALU_DEP_1)
	v_fmac_f64_e32 v[102:103], v[88:89], v[78:79]
	s_wait_dscnt 0x0
	v_fmac_f64_e32 v[102:103], v[90:91], v[72:73]
	s_delay_alu instid0(VALU_DEP_1)
	v_add_f64_e64 v[70:71], v[70:71], -v[102:103]
	scratch_store_b64 off, v[70:71], off offset:88
	s_wait_xcnt 0x0
	v_cmpx_lt_u32_e32 10, v0
	s_cbranch_execz .LBB96_187
; %bb.186:
	scratch_load_b64 v[70:71], off, off offset:80
	v_mov_b64_e32 v[72:73], 0
	scratch_store_b64 off, v[72:73], off offset:80
	s_wait_loadcnt 0x0
	ds_store_b64 v1, v[70:71]
.LBB96_187:
	s_wait_xcnt 0x0
	s_or_b32 exec_lo, exec_lo, s0
	s_wait_storecnt_dscnt 0x0
	s_barrier_signal -1
	s_barrier_wait -1
	s_clause 0x5
	scratch_load_b128 v[70:73], off, off offset:80
	scratch_load_b128 v[74:77], off, off offset:96
	;; [unrolled: 1-line block ×6, first 2 shown]
	ds_load_2addr_b64 v[94:97], v2 offset0:45 offset1:46
	ds_load_2addr_b64 v[98:101], v2 offset0:47 offset1:48
	scratch_load_b128 v[102:105], off, off offset:176
	s_mov_b32 s0, exec_lo
	s_wait_loadcnt_dscnt 0x601
	v_fma_f64 v[106:107], v[72:73], v[94:95], 0
	s_wait_loadcnt 0x5
	s_delay_alu instid0(VALU_DEP_1) | instskip(SKIP_4) | instid1(VALU_DEP_1)
	v_fmac_f64_e32 v[106:107], v[74:75], v[96:97]
	scratch_load_b128 v[72:75], off, off offset:192
	s_wait_dscnt 0x0
	v_fmac_f64_e32 v[106:107], v[76:77], v[98:99]
	s_wait_loadcnt 0x5
	v_fmac_f64_e32 v[106:107], v[78:79], v[100:101]
	ds_load_2addr_b64 v[76:79], v2 offset0:49 offset1:50
	ds_load_2addr_b64 v[94:97], v2 offset0:51 offset1:52
	s_wait_dscnt 0x1
	v_fmac_f64_e32 v[106:107], v[80:81], v[76:77]
	s_wait_loadcnt 0x4
	s_delay_alu instid0(VALU_DEP_1)
	v_fmac_f64_e32 v[106:107], v[82:83], v[78:79]
	s_clause 0x1
	scratch_load_b128 v[76:79], off, off offset:208
	scratch_load_b128 v[80:83], off, off offset:224
	s_wait_dscnt 0x0
	v_fmac_f64_e32 v[106:107], v[84:85], v[94:95]
	s_wait_loadcnt 0x5
	s_delay_alu instid0(VALU_DEP_1)
	v_fmac_f64_e32 v[106:107], v[86:87], v[96:97]
	ds_load_2addr_b64 v[84:87], v2 offset0:53 offset1:54
	ds_load_2addr_b64 v[94:97], v2 offset0:55 offset1:56
	s_wait_dscnt 0x1
	v_fmac_f64_e32 v[106:107], v[88:89], v[84:85]
	s_wait_loadcnt 0x4
	s_delay_alu instid0(VALU_DEP_1) | instskip(SKIP_4) | instid1(VALU_DEP_1)
	v_fmac_f64_e32 v[106:107], v[90:91], v[86:87]
	scratch_load_b128 v[84:87], off, off offset:240
	s_wait_dscnt 0x0
	v_fmac_f64_e32 v[106:107], v[92:93], v[94:95]
	s_wait_loadcnt 0x4
	v_fmac_f64_e32 v[106:107], v[102:103], v[96:97]
	scratch_load_b64 v[96:97], off, off offset:256
	ds_load_2addr_b64 v[88:91], v2 offset0:57 offset1:58
	ds_load_2addr_b64 v[92:95], v2 offset0:59 offset1:60
	s_wait_dscnt 0x1
	v_fmac_f64_e32 v[106:107], v[104:105], v[88:89]
	s_wait_loadcnt 0x4
	s_delay_alu instid0(VALU_DEP_1) | instskip(SKIP_1) | instid1(VALU_DEP_1)
	v_fmac_f64_e32 v[106:107], v[72:73], v[90:91]
	s_wait_dscnt 0x0
	v_fmac_f64_e32 v[106:107], v[74:75], v[92:93]
	ds_load_2addr_b64 v[72:75], v2 offset0:61 offset1:62
	ds_load_2addr_b64 v[88:91], v2 offset0:63 offset1:64
	s_wait_loadcnt 0x3
	v_fmac_f64_e32 v[106:107], v[76:77], v[94:95]
	s_wait_dscnt 0x1
	s_delay_alu instid0(VALU_DEP_1) | instskip(SKIP_1) | instid1(VALU_DEP_1)
	v_fmac_f64_e32 v[106:107], v[78:79], v[72:73]
	s_wait_loadcnt 0x2
	v_fmac_f64_e32 v[106:107], v[80:81], v[74:75]
	ds_load_2addr_b64 v[72:75], v2 offset0:65 offset1:66
	s_wait_dscnt 0x1
	v_fmac_f64_e32 v[106:107], v[82:83], v[88:89]
	s_wait_loadcnt 0x1
	s_delay_alu instid0(VALU_DEP_1) | instskip(SKIP_1) | instid1(VALU_DEP_1)
	v_fmac_f64_e32 v[106:107], v[84:85], v[90:91]
	s_wait_dscnt 0x0
	v_fmac_f64_e32 v[106:107], v[86:87], v[72:73]
	s_wait_loadcnt 0x0
	s_delay_alu instid0(VALU_DEP_1) | instskip(NEXT) | instid1(VALU_DEP_1)
	v_fmac_f64_e32 v[106:107], v[96:97], v[74:75]
	v_add_f64_e64 v[2:3], v[70:71], -v[106:107]
	scratch_store_b64 off, v[2:3], off offset:80
	s_wait_xcnt 0x0
	v_cmpx_lt_u32_e32 9, v0
	s_cbranch_execz .LBB96_189
; %bb.188:
	scratch_load_b64 v[2:3], off, off offset:72
	v_mov_b64_e32 v[70:71], 0
	scratch_store_b64 off, v[70:71], off offset:72
	s_wait_loadcnt 0x0
	ds_store_b64 v1, v[2:3]
.LBB96_189:
	s_wait_xcnt 0x0
	s_or_b32 exec_lo, exec_lo, s0
	s_wait_storecnt_dscnt 0x0
	s_barrier_signal -1
	s_barrier_wait -1
	s_clause 0x5
	scratch_load_b128 v[70:73], off, off offset:72
	scratch_load_b128 v[74:77], off, off offset:88
	;; [unrolled: 1-line block ×6, first 2 shown]
	v_mov_b32_e32 v2, 0
	ds_load_b128 v[94:97], v2 offset:352
	ds_load_b128 v[98:101], v2 offset:368
	scratch_load_b128 v[102:105], off, off offset:168
	s_mov_b32 s0, exec_lo
	s_wait_loadcnt_dscnt 0x601
	v_fma_f64 v[106:107], v[72:73], v[94:95], 0
	s_wait_loadcnt 0x5
	s_delay_alu instid0(VALU_DEP_1) | instskip(SKIP_4) | instid1(VALU_DEP_1)
	v_fmac_f64_e32 v[106:107], v[74:75], v[96:97]
	scratch_load_b128 v[72:75], off, off offset:184
	s_wait_dscnt 0x0
	v_fmac_f64_e32 v[106:107], v[76:77], v[98:99]
	s_wait_loadcnt 0x5
	v_fmac_f64_e32 v[106:107], v[78:79], v[100:101]
	ds_load_b128 v[76:79], v2 offset:384
	ds_load_b128 v[94:97], v2 offset:400
	s_wait_dscnt 0x1
	v_fmac_f64_e32 v[106:107], v[80:81], v[76:77]
	s_wait_loadcnt 0x4
	s_delay_alu instid0(VALU_DEP_1)
	v_fmac_f64_e32 v[106:107], v[82:83], v[78:79]
	s_clause 0x1
	scratch_load_b128 v[76:79], off, off offset:200
	scratch_load_b128 v[80:83], off, off offset:216
	s_wait_dscnt 0x0
	v_fmac_f64_e32 v[106:107], v[84:85], v[94:95]
	s_wait_loadcnt 0x5
	s_delay_alu instid0(VALU_DEP_1)
	v_fmac_f64_e32 v[106:107], v[86:87], v[96:97]
	ds_load_b128 v[84:87], v2 offset:416
	ds_load_b128 v[94:97], v2 offset:432
	s_wait_dscnt 0x1
	v_fmac_f64_e32 v[106:107], v[88:89], v[84:85]
	s_wait_loadcnt 0x4
	s_delay_alu instid0(VALU_DEP_1)
	v_fmac_f64_e32 v[106:107], v[90:91], v[86:87]
	s_clause 0x1
	scratch_load_b128 v[84:87], off, off offset:232
	scratch_load_b128 v[88:91], off, off offset:248
	s_wait_dscnt 0x0
	v_fmac_f64_e32 v[106:107], v[92:93], v[94:95]
	s_wait_loadcnt 0x5
	s_delay_alu instid0(VALU_DEP_1)
	v_fmac_f64_e32 v[106:107], v[102:103], v[96:97]
	ds_load_b128 v[92:95], v2 offset:448
	ds_load_b128 v[96:99], v2 offset:464
	s_wait_dscnt 0x1
	v_fmac_f64_e32 v[106:107], v[104:105], v[92:93]
	s_wait_loadcnt 0x4
	s_delay_alu instid0(VALU_DEP_1) | instskip(SKIP_1) | instid1(VALU_DEP_1)
	v_fmac_f64_e32 v[106:107], v[72:73], v[94:95]
	s_wait_dscnt 0x0
	v_fmac_f64_e32 v[106:107], v[74:75], v[96:97]
	ds_load_b128 v[72:75], v2 offset:480
	ds_load_b128 v[92:95], v2 offset:496
	s_wait_loadcnt 0x3
	v_fmac_f64_e32 v[106:107], v[76:77], v[98:99]
	s_wait_dscnt 0x1
	s_delay_alu instid0(VALU_DEP_1) | instskip(SKIP_1) | instid1(VALU_DEP_1)
	v_fmac_f64_e32 v[106:107], v[78:79], v[72:73]
	s_wait_loadcnt 0x2
	v_fmac_f64_e32 v[106:107], v[80:81], v[74:75]
	ds_load_b128 v[72:75], v2 offset:512
	ds_load_b64 v[76:77], v2 offset:528
	s_wait_dscnt 0x2
	v_fmac_f64_e32 v[106:107], v[82:83], v[92:93]
	s_wait_loadcnt 0x1
	s_delay_alu instid0(VALU_DEP_1) | instskip(SKIP_1) | instid1(VALU_DEP_1)
	v_fmac_f64_e32 v[106:107], v[84:85], v[94:95]
	s_wait_dscnt 0x1
	v_fmac_f64_e32 v[106:107], v[86:87], v[72:73]
	s_wait_loadcnt 0x0
	s_delay_alu instid0(VALU_DEP_1) | instskip(SKIP_1) | instid1(VALU_DEP_1)
	v_fmac_f64_e32 v[106:107], v[88:89], v[74:75]
	s_wait_dscnt 0x0
	v_fmac_f64_e32 v[106:107], v[90:91], v[76:77]
	s_delay_alu instid0(VALU_DEP_1)
	v_add_f64_e64 v[70:71], v[70:71], -v[106:107]
	scratch_store_b64 off, v[70:71], off offset:72
	s_wait_xcnt 0x0
	v_cmpx_lt_u32_e32 8, v0
	s_cbranch_execz .LBB96_191
; %bb.190:
	scratch_load_b64 v[70:71], off, off offset:64
	v_mov_b64_e32 v[72:73], 0
	scratch_store_b64 off, v[72:73], off offset:64
	s_wait_loadcnt 0x0
	ds_store_b64 v1, v[70:71]
.LBB96_191:
	s_wait_xcnt 0x0
	s_or_b32 exec_lo, exec_lo, s0
	s_wait_storecnt_dscnt 0x0
	s_barrier_signal -1
	s_barrier_wait -1
	s_clause 0x5
	scratch_load_b128 v[70:73], off, off offset:64
	scratch_load_b128 v[74:77], off, off offset:80
	;; [unrolled: 1-line block ×6, first 2 shown]
	ds_load_2addr_b64 v[94:97], v2 offset0:43 offset1:44
	ds_load_2addr_b64 v[98:101], v2 offset0:45 offset1:46
	scratch_load_b128 v[102:105], off, off offset:160
	s_mov_b32 s0, exec_lo
	s_wait_loadcnt_dscnt 0x601
	v_fma_f64 v[106:107], v[72:73], v[94:95], 0
	s_wait_loadcnt 0x5
	s_delay_alu instid0(VALU_DEP_1) | instskip(SKIP_4) | instid1(VALU_DEP_1)
	v_fmac_f64_e32 v[106:107], v[74:75], v[96:97]
	scratch_load_b128 v[72:75], off, off offset:176
	s_wait_dscnt 0x0
	v_fmac_f64_e32 v[106:107], v[76:77], v[98:99]
	s_wait_loadcnt 0x5
	v_fmac_f64_e32 v[106:107], v[78:79], v[100:101]
	ds_load_2addr_b64 v[76:79], v2 offset0:47 offset1:48
	ds_load_2addr_b64 v[94:97], v2 offset0:49 offset1:50
	s_wait_dscnt 0x1
	v_fmac_f64_e32 v[106:107], v[80:81], v[76:77]
	s_wait_loadcnt 0x4
	s_delay_alu instid0(VALU_DEP_1)
	v_fmac_f64_e32 v[106:107], v[82:83], v[78:79]
	s_clause 0x1
	scratch_load_b128 v[76:79], off, off offset:192
	scratch_load_b128 v[80:83], off, off offset:208
	s_wait_dscnt 0x0
	v_fmac_f64_e32 v[106:107], v[84:85], v[94:95]
	s_wait_loadcnt 0x5
	s_delay_alu instid0(VALU_DEP_1)
	v_fmac_f64_e32 v[106:107], v[86:87], v[96:97]
	ds_load_2addr_b64 v[84:87], v2 offset0:51 offset1:52
	ds_load_2addr_b64 v[94:97], v2 offset0:53 offset1:54
	s_wait_dscnt 0x1
	v_fmac_f64_e32 v[106:107], v[88:89], v[84:85]
	s_wait_loadcnt 0x4
	s_delay_alu instid0(VALU_DEP_1)
	v_fmac_f64_e32 v[106:107], v[90:91], v[86:87]
	s_clause 0x1
	scratch_load_b128 v[84:87], off, off offset:224
	scratch_load_b128 v[88:91], off, off offset:240
	s_wait_dscnt 0x0
	v_fmac_f64_e32 v[106:107], v[92:93], v[94:95]
	s_wait_loadcnt 0x5
	s_delay_alu instid0(VALU_DEP_1)
	v_fmac_f64_e32 v[106:107], v[102:103], v[96:97]
	ds_load_2addr_b64 v[92:95], v2 offset0:55 offset1:56
	ds_load_2addr_b64 v[96:99], v2 offset0:57 offset1:58
	scratch_load_b64 v[100:101], off, off offset:256
	s_wait_dscnt 0x1
	v_fmac_f64_e32 v[106:107], v[104:105], v[92:93]
	s_wait_loadcnt 0x5
	s_delay_alu instid0(VALU_DEP_1) | instskip(SKIP_1) | instid1(VALU_DEP_1)
	v_fmac_f64_e32 v[106:107], v[72:73], v[94:95]
	s_wait_dscnt 0x0
	v_fmac_f64_e32 v[106:107], v[74:75], v[96:97]
	ds_load_2addr_b64 v[72:75], v2 offset0:59 offset1:60
	ds_load_2addr_b64 v[92:95], v2 offset0:61 offset1:62
	s_wait_loadcnt 0x4
	v_fmac_f64_e32 v[106:107], v[76:77], v[98:99]
	s_wait_dscnt 0x1
	s_delay_alu instid0(VALU_DEP_1) | instskip(SKIP_1) | instid1(VALU_DEP_1)
	v_fmac_f64_e32 v[106:107], v[78:79], v[72:73]
	s_wait_loadcnt 0x3
	v_fmac_f64_e32 v[106:107], v[80:81], v[74:75]
	ds_load_2addr_b64 v[72:75], v2 offset0:63 offset1:64
	ds_load_2addr_b64 v[76:79], v2 offset0:65 offset1:66
	s_wait_dscnt 0x2
	v_fmac_f64_e32 v[106:107], v[82:83], v[92:93]
	s_wait_loadcnt 0x2
	s_delay_alu instid0(VALU_DEP_1) | instskip(SKIP_1) | instid1(VALU_DEP_1)
	v_fmac_f64_e32 v[106:107], v[84:85], v[94:95]
	s_wait_dscnt 0x1
	v_fmac_f64_e32 v[106:107], v[86:87], v[72:73]
	s_wait_loadcnt 0x1
	s_delay_alu instid0(VALU_DEP_1) | instskip(SKIP_1) | instid1(VALU_DEP_1)
	v_fmac_f64_e32 v[106:107], v[88:89], v[74:75]
	s_wait_dscnt 0x0
	v_fmac_f64_e32 v[106:107], v[90:91], v[76:77]
	s_wait_loadcnt 0x0
	s_delay_alu instid0(VALU_DEP_1) | instskip(NEXT) | instid1(VALU_DEP_1)
	v_fmac_f64_e32 v[106:107], v[100:101], v[78:79]
	v_add_f64_e64 v[2:3], v[70:71], -v[106:107]
	scratch_store_b64 off, v[2:3], off offset:64
	s_wait_xcnt 0x0
	v_cmpx_lt_u32_e32 7, v0
	s_cbranch_execz .LBB96_193
; %bb.192:
	scratch_load_b64 v[2:3], off, off offset:56
	v_mov_b64_e32 v[70:71], 0
	scratch_store_b64 off, v[70:71], off offset:56
	s_wait_loadcnt 0x0
	ds_store_b64 v1, v[2:3]
.LBB96_193:
	s_wait_xcnt 0x0
	s_or_b32 exec_lo, exec_lo, s0
	s_wait_storecnt_dscnt 0x0
	s_barrier_signal -1
	s_barrier_wait -1
	s_clause 0x5
	scratch_load_b128 v[70:73], off, off offset:56
	scratch_load_b128 v[74:77], off, off offset:72
	;; [unrolled: 1-line block ×6, first 2 shown]
	v_mov_b32_e32 v2, 0
	ds_load_b128 v[94:97], v2 offset:336
	ds_load_b128 v[98:101], v2 offset:352
	scratch_load_b128 v[102:105], off, off offset:152
	s_mov_b32 s0, exec_lo
	s_wait_loadcnt_dscnt 0x601
	v_fma_f64 v[106:107], v[72:73], v[94:95], 0
	s_wait_loadcnt 0x5
	s_delay_alu instid0(VALU_DEP_1) | instskip(SKIP_4) | instid1(VALU_DEP_1)
	v_fmac_f64_e32 v[106:107], v[74:75], v[96:97]
	scratch_load_b128 v[72:75], off, off offset:168
	s_wait_dscnt 0x0
	v_fmac_f64_e32 v[106:107], v[76:77], v[98:99]
	s_wait_loadcnt 0x5
	v_fmac_f64_e32 v[106:107], v[78:79], v[100:101]
	ds_load_b128 v[76:79], v2 offset:368
	ds_load_b128 v[94:97], v2 offset:384
	s_wait_dscnt 0x1
	v_fmac_f64_e32 v[106:107], v[80:81], v[76:77]
	s_wait_loadcnt 0x4
	s_delay_alu instid0(VALU_DEP_1)
	v_fmac_f64_e32 v[106:107], v[82:83], v[78:79]
	s_clause 0x1
	scratch_load_b128 v[76:79], off, off offset:184
	scratch_load_b128 v[80:83], off, off offset:200
	s_wait_dscnt 0x0
	v_fmac_f64_e32 v[106:107], v[84:85], v[94:95]
	s_wait_loadcnt 0x5
	s_delay_alu instid0(VALU_DEP_1)
	v_fmac_f64_e32 v[106:107], v[86:87], v[96:97]
	ds_load_b128 v[84:87], v2 offset:400
	ds_load_b128 v[94:97], v2 offset:416
	s_wait_dscnt 0x1
	v_fmac_f64_e32 v[106:107], v[88:89], v[84:85]
	s_wait_loadcnt 0x4
	s_delay_alu instid0(VALU_DEP_1)
	v_fmac_f64_e32 v[106:107], v[90:91], v[86:87]
	s_clause 0x1
	scratch_load_b128 v[84:87], off, off offset:216
	scratch_load_b128 v[88:91], off, off offset:232
	s_wait_dscnt 0x0
	v_fmac_f64_e32 v[106:107], v[92:93], v[94:95]
	s_wait_loadcnt 0x5
	s_delay_alu instid0(VALU_DEP_1)
	v_fmac_f64_e32 v[106:107], v[102:103], v[96:97]
	ds_load_b128 v[92:95], v2 offset:432
	ds_load_b128 v[96:99], v2 offset:448
	s_wait_dscnt 0x1
	v_fmac_f64_e32 v[106:107], v[104:105], v[92:93]
	s_wait_loadcnt 0x4
	s_delay_alu instid0(VALU_DEP_1) | instskip(SKIP_4) | instid1(VALU_DEP_1)
	v_fmac_f64_e32 v[106:107], v[72:73], v[94:95]
	scratch_load_b128 v[92:95], off, off offset:248
	s_wait_dscnt 0x0
	v_fmac_f64_e32 v[106:107], v[74:75], v[96:97]
	s_wait_loadcnt 0x4
	v_fmac_f64_e32 v[106:107], v[76:77], v[98:99]
	ds_load_b128 v[72:75], v2 offset:464
	ds_load_b128 v[96:99], v2 offset:480
	s_wait_dscnt 0x1
	v_fmac_f64_e32 v[106:107], v[78:79], v[72:73]
	s_wait_loadcnt 0x3
	s_delay_alu instid0(VALU_DEP_1)
	v_fmac_f64_e32 v[106:107], v[80:81], v[74:75]
	ds_load_b128 v[72:75], v2 offset:496
	ds_load_b128 v[76:79], v2 offset:512
	s_wait_dscnt 0x2
	v_fmac_f64_e32 v[106:107], v[82:83], v[96:97]
	s_wait_loadcnt 0x2
	s_delay_alu instid0(VALU_DEP_1) | instskip(SKIP_1) | instid1(VALU_DEP_1)
	v_fmac_f64_e32 v[106:107], v[84:85], v[98:99]
	s_wait_dscnt 0x1
	v_fmac_f64_e32 v[106:107], v[86:87], v[72:73]
	ds_load_b64 v[72:73], v2 offset:528
	s_wait_loadcnt 0x1
	v_fmac_f64_e32 v[106:107], v[88:89], v[74:75]
	s_wait_dscnt 0x1
	s_delay_alu instid0(VALU_DEP_1) | instskip(SKIP_1) | instid1(VALU_DEP_1)
	v_fmac_f64_e32 v[106:107], v[90:91], v[76:77]
	s_wait_loadcnt 0x0
	v_fmac_f64_e32 v[106:107], v[92:93], v[78:79]
	s_wait_dscnt 0x0
	s_delay_alu instid0(VALU_DEP_1) | instskip(NEXT) | instid1(VALU_DEP_1)
	v_fmac_f64_e32 v[106:107], v[94:95], v[72:73]
	v_add_f64_e64 v[70:71], v[70:71], -v[106:107]
	scratch_store_b64 off, v[70:71], off offset:56
	s_wait_xcnt 0x0
	v_cmpx_lt_u32_e32 6, v0
	s_cbranch_execz .LBB96_195
; %bb.194:
	scratch_load_b64 v[70:71], off, off offset:48
	v_mov_b64_e32 v[72:73], 0
	scratch_store_b64 off, v[72:73], off offset:48
	s_wait_loadcnt 0x0
	ds_store_b64 v1, v[70:71]
.LBB96_195:
	s_wait_xcnt 0x0
	s_or_b32 exec_lo, exec_lo, s0
	s_wait_storecnt_dscnt 0x0
	s_barrier_signal -1
	s_barrier_wait -1
	s_clause 0x5
	scratch_load_b128 v[70:73], off, off offset:48
	scratch_load_b128 v[74:77], off, off offset:64
	;; [unrolled: 1-line block ×6, first 2 shown]
	ds_load_2addr_b64 v[94:97], v2 offset0:41 offset1:42
	ds_load_2addr_b64 v[98:101], v2 offset0:43 offset1:44
	scratch_load_b128 v[102:105], off, off offset:144
	s_mov_b32 s0, exec_lo
	s_wait_loadcnt_dscnt 0x601
	v_fma_f64 v[106:107], v[72:73], v[94:95], 0
	s_wait_loadcnt 0x5
	s_delay_alu instid0(VALU_DEP_1) | instskip(SKIP_4) | instid1(VALU_DEP_1)
	v_fmac_f64_e32 v[106:107], v[74:75], v[96:97]
	scratch_load_b128 v[72:75], off, off offset:160
	s_wait_dscnt 0x0
	v_fmac_f64_e32 v[106:107], v[76:77], v[98:99]
	s_wait_loadcnt 0x5
	v_fmac_f64_e32 v[106:107], v[78:79], v[100:101]
	ds_load_2addr_b64 v[76:79], v2 offset0:45 offset1:46
	ds_load_2addr_b64 v[94:97], v2 offset0:47 offset1:48
	scratch_load_b128 v[98:101], off, off offset:176
	s_wait_dscnt 0x1
	v_fmac_f64_e32 v[106:107], v[80:81], v[76:77]
	s_wait_loadcnt 0x5
	s_delay_alu instid0(VALU_DEP_1) | instskip(SKIP_4) | instid1(VALU_DEP_1)
	v_fmac_f64_e32 v[106:107], v[82:83], v[78:79]
	scratch_load_b128 v[76:79], off, off offset:192
	s_wait_dscnt 0x0
	v_fmac_f64_e32 v[106:107], v[84:85], v[94:95]
	s_wait_loadcnt 0x5
	v_fmac_f64_e32 v[106:107], v[86:87], v[96:97]
	ds_load_2addr_b64 v[80:83], v2 offset0:49 offset1:50
	ds_load_2addr_b64 v[84:87], v2 offset0:51 offset1:52
	s_wait_dscnt 0x1
	v_fmac_f64_e32 v[106:107], v[88:89], v[80:81]
	s_wait_loadcnt 0x4
	s_delay_alu instid0(VALU_DEP_1) | instskip(SKIP_4) | instid1(VALU_DEP_1)
	v_fmac_f64_e32 v[106:107], v[90:91], v[82:83]
	scratch_load_b128 v[80:83], off, off offset:208
	s_wait_dscnt 0x0
	v_fmac_f64_e32 v[106:107], v[92:93], v[84:85]
	s_wait_loadcnt 0x4
	v_fmac_f64_e32 v[106:107], v[102:103], v[86:87]
	scratch_load_b128 v[84:87], off, off offset:224
	ds_load_2addr_b64 v[88:91], v2 offset0:53 offset1:54
	ds_load_2addr_b64 v[92:95], v2 offset0:55 offset1:56
	scratch_load_b64 v[96:97], off, off offset:256
	s_wait_dscnt 0x1
	v_fmac_f64_e32 v[106:107], v[104:105], v[88:89]
	s_wait_loadcnt 0x5
	s_delay_alu instid0(VALU_DEP_1) | instskip(SKIP_4) | instid1(VALU_DEP_1)
	v_fmac_f64_e32 v[106:107], v[72:73], v[90:91]
	scratch_load_b128 v[88:91], off, off offset:240
	s_wait_dscnt 0x0
	v_fmac_f64_e32 v[106:107], v[74:75], v[92:93]
	s_wait_loadcnt 0x5
	v_fmac_f64_e32 v[106:107], v[98:99], v[94:95]
	ds_load_2addr_b64 v[72:75], v2 offset0:57 offset1:58
	ds_load_2addr_b64 v[92:95], v2 offset0:59 offset1:60
	s_wait_dscnt 0x1
	v_fmac_f64_e32 v[106:107], v[100:101], v[72:73]
	s_wait_loadcnt 0x4
	s_delay_alu instid0(VALU_DEP_1) | instskip(SKIP_1) | instid1(VALU_DEP_1)
	v_fmac_f64_e32 v[106:107], v[76:77], v[74:75]
	s_wait_dscnt 0x0
	v_fmac_f64_e32 v[106:107], v[78:79], v[92:93]
	ds_load_2addr_b64 v[72:75], v2 offset0:61 offset1:62
	ds_load_2addr_b64 v[76:79], v2 offset0:63 offset1:64
	s_wait_loadcnt 0x3
	v_fmac_f64_e32 v[106:107], v[80:81], v[94:95]
	s_wait_dscnt 0x1
	s_delay_alu instid0(VALU_DEP_1) | instskip(SKIP_1) | instid1(VALU_DEP_1)
	v_fmac_f64_e32 v[106:107], v[82:83], v[72:73]
	s_wait_loadcnt 0x2
	v_fmac_f64_e32 v[106:107], v[84:85], v[74:75]
	ds_load_2addr_b64 v[72:75], v2 offset0:65 offset1:66
	s_wait_dscnt 0x1
	v_fmac_f64_e32 v[106:107], v[86:87], v[76:77]
	s_wait_loadcnt 0x0
	s_delay_alu instid0(VALU_DEP_1) | instskip(SKIP_1) | instid1(VALU_DEP_1)
	v_fmac_f64_e32 v[106:107], v[88:89], v[78:79]
	s_wait_dscnt 0x0
	v_fmac_f64_e32 v[106:107], v[90:91], v[72:73]
	s_delay_alu instid0(VALU_DEP_1) | instskip(NEXT) | instid1(VALU_DEP_1)
	v_fmac_f64_e32 v[106:107], v[96:97], v[74:75]
	v_add_f64_e64 v[2:3], v[70:71], -v[106:107]
	scratch_store_b64 off, v[2:3], off offset:48
	s_wait_xcnt 0x0
	v_cmpx_lt_u32_e32 5, v0
	s_cbranch_execz .LBB96_197
; %bb.196:
	scratch_load_b64 v[2:3], off, off offset:40
	v_mov_b64_e32 v[70:71], 0
	scratch_store_b64 off, v[70:71], off offset:40
	s_wait_loadcnt 0x0
	ds_store_b64 v1, v[2:3]
.LBB96_197:
	s_wait_xcnt 0x0
	s_or_b32 exec_lo, exec_lo, s0
	s_wait_storecnt_dscnt 0x0
	s_barrier_signal -1
	s_barrier_wait -1
	s_clause 0x5
	scratch_load_b128 v[70:73], off, off offset:40
	scratch_load_b128 v[74:77], off, off offset:56
	;; [unrolled: 1-line block ×6, first 2 shown]
	v_mov_b32_e32 v2, 0
	ds_load_b128 v[94:97], v2 offset:320
	ds_load_b128 v[98:101], v2 offset:336
	scratch_load_b128 v[102:105], off, off offset:136
	s_mov_b32 s0, exec_lo
	s_wait_loadcnt_dscnt 0x601
	v_fma_f64 v[106:107], v[72:73], v[94:95], 0
	s_wait_loadcnt 0x5
	s_delay_alu instid0(VALU_DEP_1) | instskip(SKIP_4) | instid1(VALU_DEP_1)
	v_fmac_f64_e32 v[106:107], v[74:75], v[96:97]
	scratch_load_b128 v[72:75], off, off offset:152
	s_wait_dscnt 0x0
	v_fmac_f64_e32 v[106:107], v[76:77], v[98:99]
	s_wait_loadcnt 0x5
	v_fmac_f64_e32 v[106:107], v[78:79], v[100:101]
	ds_load_b128 v[76:79], v2 offset:352
	ds_load_b128 v[94:97], v2 offset:368
	scratch_load_b128 v[98:101], off, off offset:168
	s_wait_dscnt 0x1
	v_fmac_f64_e32 v[106:107], v[80:81], v[76:77]
	s_wait_loadcnt 0x5
	s_delay_alu instid0(VALU_DEP_1) | instskip(SKIP_4) | instid1(VALU_DEP_1)
	v_fmac_f64_e32 v[106:107], v[82:83], v[78:79]
	scratch_load_b128 v[76:79], off, off offset:184
	s_wait_dscnt 0x0
	v_fmac_f64_e32 v[106:107], v[84:85], v[94:95]
	s_wait_loadcnt 0x5
	v_fmac_f64_e32 v[106:107], v[86:87], v[96:97]
	ds_load_b128 v[80:83], v2 offset:384
	ds_load_b128 v[84:87], v2 offset:400
	s_wait_dscnt 0x1
	v_fmac_f64_e32 v[106:107], v[88:89], v[80:81]
	s_wait_loadcnt 0x4
	s_delay_alu instid0(VALU_DEP_1) | instskip(SKIP_4) | instid1(VALU_DEP_1)
	v_fmac_f64_e32 v[106:107], v[90:91], v[82:83]
	scratch_load_b128 v[80:83], off, off offset:200
	s_wait_dscnt 0x0
	v_fmac_f64_e32 v[106:107], v[92:93], v[84:85]
	s_wait_loadcnt 0x4
	v_fmac_f64_e32 v[106:107], v[102:103], v[86:87]
	scratch_load_b128 v[84:87], off, off offset:216
	ds_load_b128 v[88:91], v2 offset:416
	ds_load_b128 v[92:95], v2 offset:432
	s_wait_dscnt 0x1
	v_fmac_f64_e32 v[106:107], v[104:105], v[88:89]
	s_wait_loadcnt 0x4
	s_delay_alu instid0(VALU_DEP_1)
	v_fmac_f64_e32 v[106:107], v[72:73], v[90:91]
	scratch_load_b128 v[88:91], off, off offset:232
	s_wait_dscnt 0x0
	v_fmac_f64_e32 v[106:107], v[74:75], v[92:93]
	scratch_load_b128 v[72:75], off, off offset:248
	s_wait_loadcnt 0x5
	v_fmac_f64_e32 v[106:107], v[98:99], v[94:95]
	ds_load_b128 v[92:95], v2 offset:448
	ds_load_b128 v[96:99], v2 offset:464
	s_wait_dscnt 0x1
	v_fmac_f64_e32 v[106:107], v[100:101], v[92:93]
	s_wait_loadcnt 0x4
	s_delay_alu instid0(VALU_DEP_1) | instskip(SKIP_1) | instid1(VALU_DEP_1)
	v_fmac_f64_e32 v[106:107], v[76:77], v[94:95]
	s_wait_dscnt 0x0
	v_fmac_f64_e32 v[106:107], v[78:79], v[96:97]
	ds_load_b128 v[76:79], v2 offset:480
	ds_load_b128 v[92:95], v2 offset:496
	s_wait_loadcnt 0x3
	v_fmac_f64_e32 v[106:107], v[80:81], v[98:99]
	s_wait_dscnt 0x1
	s_delay_alu instid0(VALU_DEP_1) | instskip(SKIP_1) | instid1(VALU_DEP_1)
	v_fmac_f64_e32 v[106:107], v[82:83], v[76:77]
	s_wait_loadcnt 0x2
	v_fmac_f64_e32 v[106:107], v[84:85], v[78:79]
	ds_load_b128 v[76:79], v2 offset:512
	ds_load_b64 v[80:81], v2 offset:528
	s_wait_dscnt 0x2
	v_fmac_f64_e32 v[106:107], v[86:87], v[92:93]
	s_wait_loadcnt 0x1
	s_delay_alu instid0(VALU_DEP_1) | instskip(SKIP_1) | instid1(VALU_DEP_1)
	v_fmac_f64_e32 v[106:107], v[88:89], v[94:95]
	s_wait_dscnt 0x1
	v_fmac_f64_e32 v[106:107], v[90:91], v[76:77]
	s_wait_loadcnt 0x0
	s_delay_alu instid0(VALU_DEP_1) | instskip(SKIP_1) | instid1(VALU_DEP_1)
	v_fmac_f64_e32 v[106:107], v[72:73], v[78:79]
	s_wait_dscnt 0x0
	v_fmac_f64_e32 v[106:107], v[74:75], v[80:81]
	s_delay_alu instid0(VALU_DEP_1)
	v_add_f64_e64 v[70:71], v[70:71], -v[106:107]
	scratch_store_b64 off, v[70:71], off offset:40
	s_wait_xcnt 0x0
	v_cmpx_lt_u32_e32 4, v0
	s_cbranch_execz .LBB96_199
; %bb.198:
	scratch_load_b64 v[70:71], off, off offset:32
	v_mov_b64_e32 v[72:73], 0
	scratch_store_b64 off, v[72:73], off offset:32
	s_wait_loadcnt 0x0
	ds_store_b64 v1, v[70:71]
.LBB96_199:
	s_wait_xcnt 0x0
	s_or_b32 exec_lo, exec_lo, s0
	s_wait_storecnt_dscnt 0x0
	s_barrier_signal -1
	s_barrier_wait -1
	s_clause 0x5
	scratch_load_b128 v[70:73], off, off offset:32
	scratch_load_b128 v[74:77], off, off offset:48
	;; [unrolled: 1-line block ×6, first 2 shown]
	ds_load_2addr_b64 v[94:97], v2 offset0:39 offset1:40
	ds_load_2addr_b64 v[98:101], v2 offset0:41 offset1:42
	scratch_load_b128 v[102:105], off, off offset:128
	s_mov_b32 s0, exec_lo
	s_wait_loadcnt_dscnt 0x601
	v_fma_f64 v[106:107], v[72:73], v[94:95], 0
	s_wait_loadcnt 0x5
	s_delay_alu instid0(VALU_DEP_1) | instskip(SKIP_4) | instid1(VALU_DEP_1)
	v_fmac_f64_e32 v[106:107], v[74:75], v[96:97]
	scratch_load_b128 v[72:75], off, off offset:144
	s_wait_dscnt 0x0
	v_fmac_f64_e32 v[106:107], v[76:77], v[98:99]
	s_wait_loadcnt 0x5
	v_fmac_f64_e32 v[106:107], v[78:79], v[100:101]
	ds_load_2addr_b64 v[76:79], v2 offset0:43 offset1:44
	ds_load_2addr_b64 v[94:97], v2 offset0:45 offset1:46
	scratch_load_b128 v[98:101], off, off offset:160
	s_wait_dscnt 0x1
	v_fmac_f64_e32 v[106:107], v[80:81], v[76:77]
	s_wait_loadcnt 0x5
	s_delay_alu instid0(VALU_DEP_1) | instskip(SKIP_4) | instid1(VALU_DEP_1)
	v_fmac_f64_e32 v[106:107], v[82:83], v[78:79]
	scratch_load_b128 v[76:79], off, off offset:176
	s_wait_dscnt 0x0
	v_fmac_f64_e32 v[106:107], v[84:85], v[94:95]
	s_wait_loadcnt 0x5
	v_fmac_f64_e32 v[106:107], v[86:87], v[96:97]
	ds_load_2addr_b64 v[80:83], v2 offset0:47 offset1:48
	ds_load_2addr_b64 v[84:87], v2 offset0:49 offset1:50
	s_wait_dscnt 0x1
	v_fmac_f64_e32 v[106:107], v[88:89], v[80:81]
	s_wait_loadcnt 0x4
	s_delay_alu instid0(VALU_DEP_1) | instskip(SKIP_4) | instid1(VALU_DEP_1)
	v_fmac_f64_e32 v[106:107], v[90:91], v[82:83]
	scratch_load_b128 v[80:83], off, off offset:192
	s_wait_dscnt 0x0
	v_fmac_f64_e32 v[106:107], v[92:93], v[84:85]
	s_wait_loadcnt 0x4
	v_fmac_f64_e32 v[106:107], v[102:103], v[86:87]
	scratch_load_b128 v[84:87], off, off offset:208
	ds_load_2addr_b64 v[88:91], v2 offset0:51 offset1:52
	ds_load_2addr_b64 v[92:95], v2 offset0:53 offset1:54
	s_wait_dscnt 0x1
	v_fmac_f64_e32 v[106:107], v[104:105], v[88:89]
	s_wait_loadcnt 0x4
	s_delay_alu instid0(VALU_DEP_1)
	v_fmac_f64_e32 v[106:107], v[72:73], v[90:91]
	scratch_load_b128 v[88:91], off, off offset:224
	s_wait_dscnt 0x0
	v_fmac_f64_e32 v[106:107], v[74:75], v[92:93]
	scratch_load_b128 v[72:75], off, off offset:240
	s_wait_loadcnt 0x5
	v_fmac_f64_e32 v[106:107], v[98:99], v[94:95]
	ds_load_2addr_b64 v[92:95], v2 offset0:55 offset1:56
	ds_load_2addr_b64 v[96:99], v2 offset0:57 offset1:58
	s_wait_dscnt 0x1
	v_fmac_f64_e32 v[106:107], v[100:101], v[92:93]
	scratch_load_b64 v[100:101], off, off offset:256
	s_wait_loadcnt 0x5
	v_fmac_f64_e32 v[106:107], v[76:77], v[94:95]
	s_wait_dscnt 0x0
	s_delay_alu instid0(VALU_DEP_1)
	v_fmac_f64_e32 v[106:107], v[78:79], v[96:97]
	ds_load_2addr_b64 v[76:79], v2 offset0:59 offset1:60
	ds_load_2addr_b64 v[92:95], v2 offset0:61 offset1:62
	s_wait_loadcnt 0x4
	v_fmac_f64_e32 v[106:107], v[80:81], v[98:99]
	s_wait_dscnt 0x1
	s_delay_alu instid0(VALU_DEP_1) | instskip(SKIP_1) | instid1(VALU_DEP_1)
	v_fmac_f64_e32 v[106:107], v[82:83], v[76:77]
	s_wait_loadcnt 0x3
	v_fmac_f64_e32 v[106:107], v[84:85], v[78:79]
	ds_load_2addr_b64 v[76:79], v2 offset0:63 offset1:64
	ds_load_2addr_b64 v[80:83], v2 offset0:65 offset1:66
	s_wait_dscnt 0x2
	v_fmac_f64_e32 v[106:107], v[86:87], v[92:93]
	s_wait_loadcnt 0x2
	s_delay_alu instid0(VALU_DEP_1) | instskip(SKIP_1) | instid1(VALU_DEP_1)
	v_fmac_f64_e32 v[106:107], v[88:89], v[94:95]
	s_wait_dscnt 0x1
	v_fmac_f64_e32 v[106:107], v[90:91], v[76:77]
	s_wait_loadcnt 0x1
	s_delay_alu instid0(VALU_DEP_1) | instskip(SKIP_1) | instid1(VALU_DEP_1)
	v_fmac_f64_e32 v[106:107], v[72:73], v[78:79]
	s_wait_dscnt 0x0
	v_fmac_f64_e32 v[106:107], v[74:75], v[80:81]
	s_wait_loadcnt 0x0
	s_delay_alu instid0(VALU_DEP_1) | instskip(NEXT) | instid1(VALU_DEP_1)
	v_fmac_f64_e32 v[106:107], v[100:101], v[82:83]
	v_add_f64_e64 v[2:3], v[70:71], -v[106:107]
	scratch_store_b64 off, v[2:3], off offset:32
	s_wait_xcnt 0x0
	v_cmpx_lt_u32_e32 3, v0
	s_cbranch_execz .LBB96_201
; %bb.200:
	scratch_load_b64 v[2:3], off, off offset:24
	v_mov_b64_e32 v[70:71], 0
	scratch_store_b64 off, v[70:71], off offset:24
	s_wait_loadcnt 0x0
	ds_store_b64 v1, v[2:3]
.LBB96_201:
	s_wait_xcnt 0x0
	s_or_b32 exec_lo, exec_lo, s0
	s_wait_storecnt_dscnt 0x0
	s_barrier_signal -1
	s_barrier_wait -1
	s_clause 0x5
	scratch_load_b128 v[70:73], off, off offset:24
	scratch_load_b128 v[74:77], off, off offset:40
	;; [unrolled: 1-line block ×6, first 2 shown]
	v_mov_b32_e32 v2, 0
	ds_load_b128 v[94:97], v2 offset:304
	ds_load_b128 v[98:101], v2 offset:320
	scratch_load_b128 v[102:105], off, off offset:120
	s_mov_b32 s0, exec_lo
	s_wait_loadcnt_dscnt 0x601
	v_fma_f64 v[106:107], v[72:73], v[94:95], 0
	s_wait_loadcnt 0x5
	s_delay_alu instid0(VALU_DEP_1) | instskip(SKIP_4) | instid1(VALU_DEP_1)
	v_fmac_f64_e32 v[106:107], v[74:75], v[96:97]
	scratch_load_b128 v[72:75], off, off offset:136
	s_wait_dscnt 0x0
	v_fmac_f64_e32 v[106:107], v[76:77], v[98:99]
	s_wait_loadcnt 0x5
	v_fmac_f64_e32 v[106:107], v[78:79], v[100:101]
	ds_load_b128 v[76:79], v2 offset:336
	ds_load_b128 v[94:97], v2 offset:352
	scratch_load_b128 v[98:101], off, off offset:152
	s_wait_dscnt 0x1
	v_fmac_f64_e32 v[106:107], v[80:81], v[76:77]
	s_wait_loadcnt 0x5
	s_delay_alu instid0(VALU_DEP_1) | instskip(SKIP_4) | instid1(VALU_DEP_1)
	v_fmac_f64_e32 v[106:107], v[82:83], v[78:79]
	scratch_load_b128 v[76:79], off, off offset:168
	s_wait_dscnt 0x0
	v_fmac_f64_e32 v[106:107], v[84:85], v[94:95]
	s_wait_loadcnt 0x5
	v_fmac_f64_e32 v[106:107], v[86:87], v[96:97]
	ds_load_b128 v[80:83], v2 offset:368
	ds_load_b128 v[84:87], v2 offset:384
	s_wait_dscnt 0x1
	v_fmac_f64_e32 v[106:107], v[88:89], v[80:81]
	s_wait_loadcnt 0x4
	s_delay_alu instid0(VALU_DEP_1) | instskip(SKIP_4) | instid1(VALU_DEP_1)
	v_fmac_f64_e32 v[106:107], v[90:91], v[82:83]
	scratch_load_b128 v[80:83], off, off offset:184
	s_wait_dscnt 0x0
	v_fmac_f64_e32 v[106:107], v[92:93], v[84:85]
	s_wait_loadcnt 0x4
	v_fmac_f64_e32 v[106:107], v[102:103], v[86:87]
	scratch_load_b128 v[84:87], off, off offset:200
	ds_load_b128 v[88:91], v2 offset:400
	ds_load_b128 v[92:95], v2 offset:416
	s_wait_dscnt 0x1
	v_fmac_f64_e32 v[106:107], v[104:105], v[88:89]
	s_wait_loadcnt 0x4
	s_delay_alu instid0(VALU_DEP_1)
	v_fmac_f64_e32 v[106:107], v[72:73], v[90:91]
	scratch_load_b128 v[88:91], off, off offset:216
	s_wait_dscnt 0x0
	v_fmac_f64_e32 v[106:107], v[74:75], v[92:93]
	scratch_load_b128 v[72:75], off, off offset:232
	s_wait_loadcnt 0x5
	v_fmac_f64_e32 v[106:107], v[98:99], v[94:95]
	ds_load_b128 v[92:95], v2 offset:432
	ds_load_b128 v[96:99], v2 offset:448
	s_wait_dscnt 0x1
	v_fmac_f64_e32 v[106:107], v[100:101], v[92:93]
	s_wait_loadcnt 0x4
	s_delay_alu instid0(VALU_DEP_1) | instskip(SKIP_4) | instid1(VALU_DEP_1)
	v_fmac_f64_e32 v[106:107], v[76:77], v[94:95]
	scratch_load_b128 v[92:95], off, off offset:248
	s_wait_dscnt 0x0
	v_fmac_f64_e32 v[106:107], v[78:79], v[96:97]
	s_wait_loadcnt 0x4
	v_fmac_f64_e32 v[106:107], v[80:81], v[98:99]
	ds_load_b128 v[76:79], v2 offset:464
	ds_load_b128 v[96:99], v2 offset:480
	s_wait_dscnt 0x1
	v_fmac_f64_e32 v[106:107], v[82:83], v[76:77]
	s_wait_loadcnt 0x3
	s_delay_alu instid0(VALU_DEP_1)
	v_fmac_f64_e32 v[106:107], v[84:85], v[78:79]
	ds_load_b128 v[76:79], v2 offset:496
	ds_load_b128 v[80:83], v2 offset:512
	s_wait_dscnt 0x2
	v_fmac_f64_e32 v[106:107], v[86:87], v[96:97]
	s_wait_loadcnt 0x2
	s_delay_alu instid0(VALU_DEP_1) | instskip(SKIP_1) | instid1(VALU_DEP_1)
	v_fmac_f64_e32 v[106:107], v[88:89], v[98:99]
	s_wait_dscnt 0x1
	v_fmac_f64_e32 v[106:107], v[90:91], v[76:77]
	s_wait_loadcnt 0x1
	s_delay_alu instid0(VALU_DEP_1) | instskip(SKIP_4) | instid1(VALU_DEP_1)
	v_fmac_f64_e32 v[106:107], v[72:73], v[78:79]
	ds_load_b64 v[72:73], v2 offset:528
	s_wait_dscnt 0x1
	v_fmac_f64_e32 v[106:107], v[74:75], v[80:81]
	s_wait_loadcnt 0x0
	v_fmac_f64_e32 v[106:107], v[92:93], v[82:83]
	s_wait_dscnt 0x0
	s_delay_alu instid0(VALU_DEP_1) | instskip(NEXT) | instid1(VALU_DEP_1)
	v_fmac_f64_e32 v[106:107], v[94:95], v[72:73]
	v_add_f64_e64 v[70:71], v[70:71], -v[106:107]
	scratch_store_b64 off, v[70:71], off offset:24
	s_wait_xcnt 0x0
	v_cmpx_lt_u32_e32 2, v0
	s_cbranch_execz .LBB96_203
; %bb.202:
	scratch_load_b64 v[70:71], off, off offset:16
	v_mov_b64_e32 v[72:73], 0
	scratch_store_b64 off, v[72:73], off offset:16
	s_wait_loadcnt 0x0
	ds_store_b64 v1, v[70:71]
.LBB96_203:
	s_wait_xcnt 0x0
	s_or_b32 exec_lo, exec_lo, s0
	s_wait_storecnt_dscnt 0x0
	s_barrier_signal -1
	s_barrier_wait -1
	s_clause 0x5
	scratch_load_b128 v[70:73], off, off offset:16
	scratch_load_b128 v[74:77], off, off offset:32
	;; [unrolled: 1-line block ×6, first 2 shown]
	ds_load_2addr_b64 v[94:97], v2 offset0:37 offset1:38
	ds_load_2addr_b64 v[98:101], v2 offset0:39 offset1:40
	scratch_load_b128 v[102:105], off, off offset:112
	s_mov_b32 s0, exec_lo
	s_wait_loadcnt_dscnt 0x601
	v_fma_f64 v[106:107], v[72:73], v[94:95], 0
	s_wait_loadcnt 0x5
	s_delay_alu instid0(VALU_DEP_1) | instskip(SKIP_4) | instid1(VALU_DEP_1)
	v_fmac_f64_e32 v[106:107], v[74:75], v[96:97]
	scratch_load_b128 v[72:75], off, off offset:128
	s_wait_dscnt 0x0
	v_fmac_f64_e32 v[106:107], v[76:77], v[98:99]
	s_wait_loadcnt 0x5
	v_fmac_f64_e32 v[106:107], v[78:79], v[100:101]
	ds_load_2addr_b64 v[76:79], v2 offset0:41 offset1:42
	ds_load_2addr_b64 v[94:97], v2 offset0:43 offset1:44
	scratch_load_b128 v[98:101], off, off offset:144
	s_wait_dscnt 0x1
	v_fmac_f64_e32 v[106:107], v[80:81], v[76:77]
	s_wait_loadcnt 0x5
	s_delay_alu instid0(VALU_DEP_1) | instskip(SKIP_4) | instid1(VALU_DEP_1)
	v_fmac_f64_e32 v[106:107], v[82:83], v[78:79]
	scratch_load_b128 v[76:79], off, off offset:160
	s_wait_dscnt 0x0
	v_fmac_f64_e32 v[106:107], v[84:85], v[94:95]
	s_wait_loadcnt 0x5
	v_fmac_f64_e32 v[106:107], v[86:87], v[96:97]
	ds_load_2addr_b64 v[80:83], v2 offset0:45 offset1:46
	ds_load_2addr_b64 v[84:87], v2 offset0:47 offset1:48
	scratch_load_b128 v[94:97], off, off offset:176
	s_wait_dscnt 0x1
	v_fmac_f64_e32 v[106:107], v[88:89], v[80:81]
	s_wait_loadcnt 0x5
	s_delay_alu instid0(VALU_DEP_1) | instskip(SKIP_4) | instid1(VALU_DEP_1)
	v_fmac_f64_e32 v[106:107], v[90:91], v[82:83]
	scratch_load_b128 v[80:83], off, off offset:192
	s_wait_dscnt 0x0
	v_fmac_f64_e32 v[106:107], v[92:93], v[84:85]
	s_wait_loadcnt 0x5
	v_fmac_f64_e32 v[106:107], v[102:103], v[86:87]
	ds_load_2addr_b64 v[84:87], v2 offset0:49 offset1:50
	ds_load_2addr_b64 v[88:91], v2 offset0:51 offset1:52
	s_wait_dscnt 0x1
	v_fmac_f64_e32 v[106:107], v[104:105], v[84:85]
	s_wait_loadcnt 0x4
	s_delay_alu instid0(VALU_DEP_1)
	v_fmac_f64_e32 v[106:107], v[72:73], v[86:87]
	scratch_load_b128 v[84:87], off, off offset:208
	s_wait_dscnt 0x0
	v_fmac_f64_e32 v[106:107], v[74:75], v[88:89]
	scratch_load_b128 v[72:75], off, off offset:224
	s_wait_loadcnt 0x5
	v_fmac_f64_e32 v[106:107], v[98:99], v[90:91]
	ds_load_2addr_b64 v[88:91], v2 offset0:53 offset1:54
	ds_load_2addr_b64 v[102:105], v2 offset0:55 offset1:56
	scratch_load_b64 v[98:99], off, off offset:256
	s_wait_dscnt 0x1
	v_fmac_f64_e32 v[106:107], v[100:101], v[88:89]
	s_wait_loadcnt 0x5
	s_delay_alu instid0(VALU_DEP_1) | instskip(SKIP_4) | instid1(VALU_DEP_1)
	v_fmac_f64_e32 v[106:107], v[76:77], v[90:91]
	scratch_load_b128 v[88:91], off, off offset:240
	s_wait_dscnt 0x0
	v_fmac_f64_e32 v[106:107], v[78:79], v[102:103]
	s_wait_loadcnt 0x5
	v_fmac_f64_e32 v[106:107], v[94:95], v[104:105]
	ds_load_2addr_b64 v[76:79], v2 offset0:57 offset1:58
	ds_load_2addr_b64 v[92:95], v2 offset0:59 offset1:60
	s_wait_dscnt 0x1
	v_fmac_f64_e32 v[106:107], v[96:97], v[76:77]
	s_wait_loadcnt 0x4
	s_delay_alu instid0(VALU_DEP_1) | instskip(SKIP_1) | instid1(VALU_DEP_1)
	v_fmac_f64_e32 v[106:107], v[80:81], v[78:79]
	s_wait_dscnt 0x0
	v_fmac_f64_e32 v[106:107], v[82:83], v[92:93]
	ds_load_2addr_b64 v[76:79], v2 offset0:61 offset1:62
	ds_load_2addr_b64 v[80:83], v2 offset0:63 offset1:64
	s_wait_loadcnt 0x3
	v_fmac_f64_e32 v[106:107], v[84:85], v[94:95]
	s_wait_dscnt 0x1
	s_delay_alu instid0(VALU_DEP_1) | instskip(SKIP_1) | instid1(VALU_DEP_1)
	v_fmac_f64_e32 v[106:107], v[86:87], v[76:77]
	s_wait_loadcnt 0x2
	v_fmac_f64_e32 v[106:107], v[72:73], v[78:79]
	s_wait_dscnt 0x0
	s_delay_alu instid0(VALU_DEP_1) | instskip(SKIP_4) | instid1(VALU_DEP_1)
	v_fmac_f64_e32 v[106:107], v[74:75], v[80:81]
	ds_load_2addr_b64 v[72:75], v2 offset0:65 offset1:66
	s_wait_loadcnt 0x0
	v_fmac_f64_e32 v[106:107], v[88:89], v[82:83]
	s_wait_dscnt 0x0
	v_fmac_f64_e32 v[106:107], v[90:91], v[72:73]
	s_delay_alu instid0(VALU_DEP_1) | instskip(NEXT) | instid1(VALU_DEP_1)
	v_fmac_f64_e32 v[106:107], v[98:99], v[74:75]
	v_add_f64_e64 v[2:3], v[70:71], -v[106:107]
	scratch_store_b64 off, v[2:3], off offset:16
	s_wait_xcnt 0x0
	v_cmpx_lt_u32_e32 1, v0
	s_cbranch_execz .LBB96_205
; %bb.204:
	scratch_load_b64 v[2:3], off, off offset:8
	v_mov_b64_e32 v[70:71], 0
	scratch_store_b64 off, v[70:71], off offset:8
	s_wait_loadcnt 0x0
	ds_store_b64 v1, v[2:3]
.LBB96_205:
	s_wait_xcnt 0x0
	s_or_b32 exec_lo, exec_lo, s0
	s_wait_storecnt_dscnt 0x0
	s_barrier_signal -1
	s_barrier_wait -1
	s_clause 0x5
	scratch_load_b128 v[72:75], off, off offset:8
	scratch_load_b128 v[76:79], off, off offset:24
	;; [unrolled: 1-line block ×6, first 2 shown]
	v_dual_mov_b32 v70, 0 :: v_dual_ashrrev_i32 v9, 31, v8
	ds_load_b128 v[96:99], v70 offset:288
	ds_load_b128 v[100:103], v70 offset:304
	scratch_load_b128 v[104:107], off, off offset:104
	v_dual_ashrrev_i32 v11, 31, v10 :: v_dual_ashrrev_i32 v13, 31, v12
	v_dual_ashrrev_i32 v15, 31, v14 :: v_dual_ashrrev_i32 v17, 31, v16
	;; [unrolled: 1-line block ×14, first 2 shown]
	v_ashrrev_i32_e32 v67, 31, v66
	s_mov_b32 s0, exec_lo
	v_ashrrev_i32_e32 v21, 31, v20
	s_wait_loadcnt_dscnt 0x601
	v_fma_f64 v[2:3], v[74:75], v[96:97], 0
	s_wait_loadcnt 0x5
	s_delay_alu instid0(VALU_DEP_1) | instskip(SKIP_4) | instid1(VALU_DEP_1)
	v_fmac_f64_e32 v[2:3], v[76:77], v[98:99]
	scratch_load_b128 v[74:77], off, off offset:120
	s_wait_dscnt 0x0
	v_fmac_f64_e32 v[2:3], v[78:79], v[100:101]
	s_wait_loadcnt 0x5
	v_fmac_f64_e32 v[2:3], v[80:81], v[102:103]
	ds_load_b128 v[78:81], v70 offset:320
	ds_load_b128 v[96:99], v70 offset:336
	scratch_load_b128 v[100:103], off, off offset:136
	s_wait_dscnt 0x1
	v_fmac_f64_e32 v[2:3], v[82:83], v[78:79]
	s_wait_loadcnt 0x5
	s_delay_alu instid0(VALU_DEP_1) | instskip(SKIP_4) | instid1(VALU_DEP_1)
	v_fmac_f64_e32 v[2:3], v[84:85], v[80:81]
	scratch_load_b128 v[78:81], off, off offset:152
	s_wait_dscnt 0x0
	v_fmac_f64_e32 v[2:3], v[86:87], v[96:97]
	s_wait_loadcnt 0x5
	v_fmac_f64_e32 v[2:3], v[88:89], v[98:99]
	ds_load_b128 v[82:85], v70 offset:352
	ds_load_b128 v[86:89], v70 offset:368
	scratch_load_b128 v[96:99], off, off offset:168
	s_wait_dscnt 0x1
	v_fmac_f64_e32 v[2:3], v[90:91], v[82:83]
	s_wait_loadcnt 0x5
	s_delay_alu instid0(VALU_DEP_1) | instskip(SKIP_4) | instid1(VALU_DEP_1)
	v_fmac_f64_e32 v[2:3], v[92:93], v[84:85]
	scratch_load_b128 v[82:85], off, off offset:184
	s_wait_dscnt 0x0
	v_fmac_f64_e32 v[2:3], v[94:95], v[86:87]
	s_wait_loadcnt 0x5
	v_fmac_f64_e32 v[2:3], v[104:105], v[88:89]
	ds_load_b128 v[86:89], v70 offset:384
	ds_load_b128 v[90:93], v70 offset:400
	s_wait_dscnt 0x1
	v_fmac_f64_e32 v[2:3], v[106:107], v[86:87]
	s_wait_loadcnt 0x4
	s_delay_alu instid0(VALU_DEP_1)
	v_fmac_f64_e32 v[2:3], v[74:75], v[88:89]
	scratch_load_b128 v[86:89], off, off offset:200
	s_wait_dscnt 0x0
	v_fmac_f64_e32 v[2:3], v[76:77], v[90:91]
	scratch_load_b128 v[74:77], off, off offset:216
	s_wait_loadcnt 0x5
	v_fmac_f64_e32 v[2:3], v[100:101], v[92:93]
	ds_load_b128 v[90:93], v70 offset:416
	ds_load_b128 v[104:107], v70 offset:432
	s_wait_dscnt 0x1
	v_fmac_f64_e32 v[2:3], v[102:103], v[90:91]
	s_wait_loadcnt 0x4
	s_delay_alu instid0(VALU_DEP_1)
	v_fmac_f64_e32 v[2:3], v[78:79], v[92:93]
	scratch_load_b128 v[90:93], off, off offset:232
	s_wait_dscnt 0x0
	v_fmac_f64_e32 v[2:3], v[80:81], v[104:105]
	scratch_load_b128 v[78:81], off, off offset:248
	s_wait_loadcnt 0x5
	v_fmac_f64_e32 v[2:3], v[96:97], v[106:107]
	ds_load_b128 v[94:97], v70 offset:448
	ds_load_b128 v[100:103], v70 offset:464
	s_wait_dscnt 0x1
	v_fmac_f64_e32 v[2:3], v[98:99], v[94:95]
	s_wait_loadcnt 0x4
	s_delay_alu instid0(VALU_DEP_1) | instskip(SKIP_1) | instid1(VALU_DEP_1)
	v_fmac_f64_e32 v[2:3], v[82:83], v[96:97]
	s_wait_dscnt 0x0
	v_fmac_f64_e32 v[2:3], v[84:85], v[100:101]
	ds_load_b128 v[82:85], v70 offset:480
	ds_load_b128 v[94:97], v70 offset:496
	s_wait_loadcnt 0x3
	v_fmac_f64_e32 v[2:3], v[86:87], v[102:103]
	s_wait_dscnt 0x1
	s_delay_alu instid0(VALU_DEP_1) | instskip(SKIP_1) | instid1(VALU_DEP_1)
	v_fmac_f64_e32 v[2:3], v[88:89], v[82:83]
	s_wait_loadcnt 0x2
	v_fmac_f64_e32 v[2:3], v[74:75], v[84:85]
	s_wait_dscnt 0x0
	s_delay_alu instid0(VALU_DEP_1) | instskip(SKIP_4) | instid1(VALU_DEP_1)
	v_fmac_f64_e32 v[2:3], v[76:77], v[94:95]
	ds_load_b128 v[74:77], v70 offset:512
	s_wait_loadcnt 0x1
	v_fmac_f64_e32 v[2:3], v[90:91], v[96:97]
	s_wait_dscnt 0x0
	v_fmac_f64_e32 v[2:3], v[92:93], v[74:75]
	ds_load_b64 v[74:75], v70 offset:528
	s_wait_loadcnt 0x0
	v_fmac_f64_e32 v[2:3], v[78:79], v[76:77]
	s_wait_dscnt 0x0
	s_delay_alu instid0(VALU_DEP_1) | instskip(NEXT) | instid1(VALU_DEP_1)
	v_fmac_f64_e32 v[2:3], v[80:81], v[74:75]
	v_add_f64_e64 v[2:3], v[72:73], -v[2:3]
	scratch_store_b64 off, v[2:3], off offset:8
	s_wait_xcnt 0x0
	v_cmpx_ne_u32_e32 0, v0
	s_cbranch_execz .LBB96_207
; %bb.206:
	scratch_load_b64 v[2:3], off, off
	v_mov_b64_e32 v[72:73], 0
	scratch_store_b64 off, v[72:73], off
	s_wait_loadcnt 0x0
	ds_store_b64 v1, v[2:3]
.LBB96_207:
	s_wait_xcnt 0x0
	s_or_b32 exec_lo, exec_lo, s0
	s_wait_storecnt_dscnt 0x0
	s_barrier_signal -1
	s_barrier_wait -1
	s_clause 0x5
	scratch_load_b128 v[72:75], off, off
	scratch_load_b128 v[0:3], off, off offset:16
	scratch_load_b128 v[76:79], off, off offset:32
	;; [unrolled: 1-line block ×5, first 2 shown]
	ds_load_2addr_b64 v[92:95], v70 offset0:35 offset1:36
	scratch_load_b128 v[96:99], off, off offset:96
	s_and_b32 vcc_lo, exec_lo, s12
	scratch_load_b128 v[100:103], off, off offset:208
	s_wait_loadcnt_dscnt 0x700
	v_fma_f64 v[104:105], v[74:75], v[92:93], 0
	s_wait_loadcnt 0x6
	s_delay_alu instid0(VALU_DEP_1)
	v_fmac_f64_e32 v[104:105], v[0:1], v[94:95]
	ds_load_2addr_b64 v[92:95], v70 offset0:37 offset1:38
	s_wait_dscnt 0x0
	v_fmac_f64_e32 v[104:105], v[2:3], v[92:93]
	scratch_load_b128 v[0:3], off, off offset:112
	s_wait_loadcnt 0x6
	v_fmac_f64_e32 v[104:105], v[76:77], v[94:95]
	ds_load_2addr_b64 v[74:77], v70 offset0:39 offset1:40
	scratch_load_b128 v[92:95], off, off offset:128
	s_wait_dscnt 0x0
	v_fmac_f64_e32 v[104:105], v[78:79], v[74:75]
	s_wait_loadcnt 0x6
	s_delay_alu instid0(VALU_DEP_1)
	v_fmac_f64_e32 v[104:105], v[80:81], v[76:77]
	ds_load_2addr_b64 v[74:77], v70 offset0:41 offset1:42
	scratch_load_b128 v[78:81], off, off offset:144
	s_wait_dscnt 0x0
	v_fmac_f64_e32 v[104:105], v[82:83], v[74:75]
	s_wait_loadcnt 0x6
	s_delay_alu instid0(VALU_DEP_1)
	;; [unrolled: 7-line block ×4, first 2 shown]
	v_fmac_f64_e32 v[104:105], v[96:97], v[76:77]
	ds_load_2addr_b64 v[74:77], v70 offset0:47 offset1:48
	s_wait_dscnt 0x0
	v_fmac_f64_e32 v[104:105], v[98:99], v[74:75]
	scratch_load_b128 v[96:99], off, off offset:192
	s_wait_loadcnt 0x5
	v_fmac_f64_e32 v[104:105], v[0:1], v[76:77]
	ds_load_2addr_b64 v[74:77], v70 offset0:49 offset1:50
	s_wait_dscnt 0x0
	v_fmac_f64_e32 v[104:105], v[2:3], v[74:75]
	ds_load_2addr_b64 v[0:3], v70 offset0:51 offset1:52
	s_wait_loadcnt 0x4
	v_fmac_f64_e32 v[104:105], v[92:93], v[76:77]
	ds_load_2addr_b64 v[90:93], v70 offset0:53 offset1:54
	scratch_load_b128 v[74:77], off, off offset:224
	s_wait_dscnt 0x1
	v_fmac_f64_e32 v[104:105], v[94:95], v[0:1]
	s_wait_loadcnt 0x4
	s_delay_alu instid0(VALU_DEP_1)
	v_fmac_f64_e32 v[104:105], v[78:79], v[2:3]
	scratch_load_b128 v[0:3], off, off offset:240
	s_wait_dscnt 0x0
	v_fmac_f64_e32 v[104:105], v[80:81], v[90:91]
	ds_load_2addr_b64 v[78:81], v70 offset0:55 offset1:56
	s_wait_loadcnt 0x4
	v_fmac_f64_e32 v[104:105], v[82:83], v[92:93]
	scratch_load_b64 v[82:83], off, off offset:256
	s_wait_dscnt 0x0
	v_fmac_f64_e32 v[104:105], v[84:85], v[78:79]
	s_wait_loadcnt 0x4
	s_delay_alu instid0(VALU_DEP_1) | instskip(SKIP_4) | instid1(VALU_DEP_1)
	v_fmac_f64_e32 v[104:105], v[86:87], v[80:81]
	ds_load_2addr_b64 v[78:81], v70 offset0:57 offset1:58
	s_wait_dscnt 0x0
	v_fmac_f64_e32 v[104:105], v[88:89], v[78:79]
	s_wait_loadcnt 0x3
	v_fmac_f64_e32 v[104:105], v[96:97], v[80:81]
	ds_load_2addr_b64 v[78:81], v70 offset0:59 offset1:60
	s_wait_dscnt 0x0
	v_fmac_f64_e32 v[104:105], v[98:99], v[78:79]
	s_delay_alu instid0(VALU_DEP_1) | instskip(SKIP_4) | instid1(VALU_DEP_1)
	v_fmac_f64_e32 v[104:105], v[100:101], v[80:81]
	ds_load_2addr_b64 v[78:81], v70 offset0:61 offset1:62
	s_wait_dscnt 0x0
	v_fmac_f64_e32 v[104:105], v[102:103], v[78:79]
	s_wait_loadcnt 0x2
	v_fmac_f64_e32 v[104:105], v[74:75], v[80:81]
	ds_load_2addr_b64 v[78:81], v70 offset0:63 offset1:64
	s_wait_dscnt 0x0
	v_fmac_f64_e32 v[104:105], v[76:77], v[78:79]
	ds_load_2addr_b64 v[74:77], v70 offset0:65 offset1:66
	s_wait_loadcnt 0x1
	v_fmac_f64_e32 v[104:105], v[0:1], v[80:81]
	s_wait_dscnt 0x0
	s_delay_alu instid0(VALU_DEP_1) | instskip(SKIP_1) | instid1(VALU_DEP_1)
	v_fmac_f64_e32 v[104:105], v[2:3], v[74:75]
	s_wait_loadcnt 0x0
	v_fmac_f64_e32 v[104:105], v[82:83], v[76:77]
	s_delay_alu instid0(VALU_DEP_1)
	v_add_f64_e64 v[70:71], v[72:73], -v[104:105]
	scratch_store_b64 off, v[70:71], off
	s_cbranch_vccz .LBB96_272
; %bb.208:
	v_mov_b32_e32 v0, 0
	global_load_b32 v1, v0, s[8:9] offset:124
	s_wait_loadcnt 0x0
	v_cmp_ne_u32_e32 vcc_lo, 32, v1
	s_cbranch_vccz .LBB96_210
; %bb.209:
	v_lshlrev_b32_e32 v1, 3, v1
	scratch_load_b64 v[70:71], v1, off offset:-8
	s_wait_loadcnt 0x0
	scratch_store_b64 off, v[70:71], off offset:248
	scratch_store_b64 v1, v[2:3], off offset:-8
.LBB96_210:
	global_load_b32 v0, v0, s[8:9] offset:120
	s_wait_loadcnt 0x0
	v_cmp_eq_u32_e32 vcc_lo, 31, v0
	s_cbranch_vccnz .LBB96_212
; %bb.211:
	s_wait_xcnt 0x0
	v_lshlrev_b32_e32 v0, 3, v0
	s_delay_alu instid0(VALU_DEP_1)
	v_mov_b32_e32 v70, v0
	scratch_load_b64 v[0:1], v70, off offset:-8
	scratch_load_b64 v[2:3], off, off offset:240
	s_wait_loadcnt 0x1
	scratch_store_b64 off, v[0:1], off offset:240
	s_wait_loadcnt 0x0
	scratch_store_b64 v70, v[2:3], off offset:-8
.LBB96_212:
	s_wait_xcnt 0x0
	v_mov_b32_e32 v0, 0
	global_load_b32 v1, v0, s[8:9] offset:116
	s_wait_loadcnt 0x0
	v_cmp_eq_u32_e32 vcc_lo, 30, v1
	s_cbranch_vccnz .LBB96_214
; %bb.213:
	v_lshlrev_b32_e32 v1, 3, v1
	scratch_load_b64 v[2:3], v1, off offset:-8
	scratch_load_b64 v[70:71], off, off offset:232
	s_wait_loadcnt 0x1
	scratch_store_b64 off, v[2:3], off offset:232
	s_wait_loadcnt 0x0
	scratch_store_b64 v1, v[70:71], off offset:-8
.LBB96_214:
	global_load_b32 v0, v0, s[8:9] offset:112
	s_wait_loadcnt 0x0
	v_cmp_eq_u32_e32 vcc_lo, 29, v0
	s_cbranch_vccnz .LBB96_216
; %bb.215:
	s_wait_xcnt 0x0
	v_lshlrev_b32_e32 v0, 3, v0
	s_delay_alu instid0(VALU_DEP_1)
	v_mov_b32_e32 v70, v0
	scratch_load_b64 v[0:1], v70, off offset:-8
	scratch_load_b64 v[2:3], off, off offset:224
	s_wait_loadcnt 0x1
	scratch_store_b64 off, v[0:1], off offset:224
	s_wait_loadcnt 0x0
	scratch_store_b64 v70, v[2:3], off offset:-8
.LBB96_216:
	s_wait_xcnt 0x0
	v_mov_b32_e32 v0, 0
	global_load_b32 v1, v0, s[8:9] offset:108
	s_wait_loadcnt 0x0
	v_cmp_eq_u32_e32 vcc_lo, 28, v1
	s_cbranch_vccnz .LBB96_218
; %bb.217:
	v_lshlrev_b32_e32 v1, 3, v1
	scratch_load_b64 v[2:3], v1, off offset:-8
	scratch_load_b64 v[70:71], off, off offset:216
	s_wait_loadcnt 0x1
	scratch_store_b64 off, v[2:3], off offset:216
	s_wait_loadcnt 0x0
	scratch_store_b64 v1, v[70:71], off offset:-8
.LBB96_218:
	;; [unrolled: 31-line block ×15, first 2 shown]
	global_load_b32 v0, v0, s[8:9]
	scratch_load_b64 v[70:71], off, off
	s_wait_loadcnt 0x1
	v_cmp_eq_u32_e32 vcc_lo, 1, v0
	s_cbranch_vccnz .LBB96_272
; %bb.271:
	s_wait_xcnt 0x1
	v_lshlrev_b32_e32 v0, 3, v0
	s_delay_alu instid0(VALU_DEP_1)
	v_mov_b32_e32 v2, v0
	scratch_load_b64 v[0:1], v2, off offset:-8
	s_wait_loadcnt 0x0
	scratch_store_b64 off, v[0:1], off
	scratch_store_b64 v2, v[70:71], off offset:-8
	scratch_load_b64 v[70:71], off, off
.LBB96_272:
	s_wait_loadcnt 0x0
	flat_store_b64 v[4:5], v[70:71]
	scratch_load_b64 v[4:5], off, off offset:8
	v_lshl_add_u64 v[98:99], v[8:9], 3, s[2:3]
	v_lshl_add_u64 v[96:97], v[10:11], 3, s[2:3]
	;; [unrolled: 1-line block ×31, first 2 shown]
	s_wait_loadcnt 0x0
	flat_store_b64 v[6:7], v[4:5]
	scratch_load_b64 v[4:5], off, off offset:16
	s_wait_loadcnt 0x0
	flat_store_b64 v[98:99], v[4:5]
	scratch_load_b64 v[4:5], off, off offset:24
	;; [unrolled: 3-line block ×31, first 2 shown]
	s_wait_loadcnt 0x0
	flat_store_b64 v[0:1], v[2:3]
	s_sendmsg sendmsg(MSG_DEALLOC_VGPRS)
	s_endpgm
	.section	.rodata,"a",@progbits
	.p2align	6, 0x0
	.amdhsa_kernel _ZN9rocsolver6v33100L18getri_kernel_smallILi33EdPKPdEEvT1_iilPiilS6_bb
		.amdhsa_group_segment_fixed_size 536
		.amdhsa_private_segment_fixed_size 272
		.amdhsa_kernarg_size 60
		.amdhsa_user_sgpr_count 2
		.amdhsa_user_sgpr_dispatch_ptr 0
		.amdhsa_user_sgpr_queue_ptr 0
		.amdhsa_user_sgpr_kernarg_segment_ptr 1
		.amdhsa_user_sgpr_dispatch_id 0
		.amdhsa_user_sgpr_kernarg_preload_length 0
		.amdhsa_user_sgpr_kernarg_preload_offset 0
		.amdhsa_user_sgpr_private_segment_size 0
		.amdhsa_wavefront_size32 1
		.amdhsa_uses_dynamic_stack 0
		.amdhsa_enable_private_segment 1
		.amdhsa_system_sgpr_workgroup_id_x 1
		.amdhsa_system_sgpr_workgroup_id_y 0
		.amdhsa_system_sgpr_workgroup_id_z 0
		.amdhsa_system_sgpr_workgroup_info 0
		.amdhsa_system_vgpr_workitem_id 0
		.amdhsa_next_free_vgpr 108
		.amdhsa_next_free_sgpr 19
		.amdhsa_named_barrier_count 0
		.amdhsa_reserve_vcc 1
		.amdhsa_float_round_mode_32 0
		.amdhsa_float_round_mode_16_64 0
		.amdhsa_float_denorm_mode_32 3
		.amdhsa_float_denorm_mode_16_64 3
		.amdhsa_fp16_overflow 0
		.amdhsa_memory_ordered 1
		.amdhsa_forward_progress 1
		.amdhsa_inst_pref_size 209
		.amdhsa_round_robin_scheduling 0
		.amdhsa_exception_fp_ieee_invalid_op 0
		.amdhsa_exception_fp_denorm_src 0
		.amdhsa_exception_fp_ieee_div_zero 0
		.amdhsa_exception_fp_ieee_overflow 0
		.amdhsa_exception_fp_ieee_underflow 0
		.amdhsa_exception_fp_ieee_inexact 0
		.amdhsa_exception_int_div_zero 0
	.end_amdhsa_kernel
	.section	.text._ZN9rocsolver6v33100L18getri_kernel_smallILi33EdPKPdEEvT1_iilPiilS6_bb,"axG",@progbits,_ZN9rocsolver6v33100L18getri_kernel_smallILi33EdPKPdEEvT1_iilPiilS6_bb,comdat
.Lfunc_end96:
	.size	_ZN9rocsolver6v33100L18getri_kernel_smallILi33EdPKPdEEvT1_iilPiilS6_bb, .Lfunc_end96-_ZN9rocsolver6v33100L18getri_kernel_smallILi33EdPKPdEEvT1_iilPiilS6_bb
                                        ; -- End function
	.set _ZN9rocsolver6v33100L18getri_kernel_smallILi33EdPKPdEEvT1_iilPiilS6_bb.num_vgpr, 108
	.set _ZN9rocsolver6v33100L18getri_kernel_smallILi33EdPKPdEEvT1_iilPiilS6_bb.num_agpr, 0
	.set _ZN9rocsolver6v33100L18getri_kernel_smallILi33EdPKPdEEvT1_iilPiilS6_bb.numbered_sgpr, 19
	.set _ZN9rocsolver6v33100L18getri_kernel_smallILi33EdPKPdEEvT1_iilPiilS6_bb.num_named_barrier, 0
	.set _ZN9rocsolver6v33100L18getri_kernel_smallILi33EdPKPdEEvT1_iilPiilS6_bb.private_seg_size, 272
	.set _ZN9rocsolver6v33100L18getri_kernel_smallILi33EdPKPdEEvT1_iilPiilS6_bb.uses_vcc, 1
	.set _ZN9rocsolver6v33100L18getri_kernel_smallILi33EdPKPdEEvT1_iilPiilS6_bb.uses_flat_scratch, 1
	.set _ZN9rocsolver6v33100L18getri_kernel_smallILi33EdPKPdEEvT1_iilPiilS6_bb.has_dyn_sized_stack, 0
	.set _ZN9rocsolver6v33100L18getri_kernel_smallILi33EdPKPdEEvT1_iilPiilS6_bb.has_recursion, 0
	.set _ZN9rocsolver6v33100L18getri_kernel_smallILi33EdPKPdEEvT1_iilPiilS6_bb.has_indirect_call, 0
	.section	.AMDGPU.csdata,"",@progbits
; Kernel info:
; codeLenInByte = 26636
; TotalNumSgprs: 21
; NumVgprs: 108
; ScratchSize: 272
; MemoryBound: 0
; FloatMode: 240
; IeeeMode: 1
; LDSByteSize: 536 bytes/workgroup (compile time only)
; SGPRBlocks: 0
; VGPRBlocks: 6
; NumSGPRsForWavesPerEU: 21
; NumVGPRsForWavesPerEU: 108
; NamedBarCnt: 0
; Occupancy: 9
; WaveLimiterHint : 1
; COMPUTE_PGM_RSRC2:SCRATCH_EN: 1
; COMPUTE_PGM_RSRC2:USER_SGPR: 2
; COMPUTE_PGM_RSRC2:TRAP_HANDLER: 0
; COMPUTE_PGM_RSRC2:TGID_X_EN: 1
; COMPUTE_PGM_RSRC2:TGID_Y_EN: 0
; COMPUTE_PGM_RSRC2:TGID_Z_EN: 0
; COMPUTE_PGM_RSRC2:TIDIG_COMP_CNT: 0
	.section	.text._ZN9rocsolver6v33100L18getri_kernel_smallILi34EdPKPdEEvT1_iilPiilS6_bb,"axG",@progbits,_ZN9rocsolver6v33100L18getri_kernel_smallILi34EdPKPdEEvT1_iilPiilS6_bb,comdat
	.globl	_ZN9rocsolver6v33100L18getri_kernel_smallILi34EdPKPdEEvT1_iilPiilS6_bb ; -- Begin function _ZN9rocsolver6v33100L18getri_kernel_smallILi34EdPKPdEEvT1_iilPiilS6_bb
	.p2align	8
	.type	_ZN9rocsolver6v33100L18getri_kernel_smallILi34EdPKPdEEvT1_iilPiilS6_bb,@function
_ZN9rocsolver6v33100L18getri_kernel_smallILi34EdPKPdEEvT1_iilPiilS6_bb: ; @_ZN9rocsolver6v33100L18getri_kernel_smallILi34EdPKPdEEvT1_iilPiilS6_bb
; %bb.0:
	s_mov_b32 s2, exec_lo
	v_cmpx_gt_u32_e32 34, v0
	s_cbranch_execz .LBB97_146
; %bb.1:
	s_clause 0x1
	s_load_b32 s13, s[0:1], 0x38
	s_load_b64 s[2:3], s[0:1], 0x0
	s_getreg_b32 s6, hwreg(HW_REG_IB_STS2, 6, 4)
	s_wait_kmcnt 0x0
	s_bitcmp1_b32 s13, 8
	s_cselect_b32 s12, -1, 0
	s_bfe_u32 s4, ttmp6, 0x4000c
	s_and_b32 s5, ttmp6, 15
	s_add_co_i32 s4, s4, 1
	s_delay_alu instid0(SALU_CYCLE_1) | instskip(NEXT) | instid1(SALU_CYCLE_1)
	s_mul_i32 s4, ttmp9, s4
	s_add_co_i32 s5, s5, s4
	s_cmp_eq_u32 s6, 0
	s_cselect_b32 s10, ttmp9, s5
	s_load_b128 s[4:7], s[0:1], 0x28
	s_ashr_i32 s11, s10, 31
	s_delay_alu instid0(SALU_CYCLE_1) | instskip(NEXT) | instid1(SALU_CYCLE_1)
	s_lshl_b64 s[8:9], s[10:11], 3
	s_add_nc_u64 s[2:3], s[2:3], s[8:9]
	s_bfe_u32 s8, s13, 0x10008
	s_load_b64 s[2:3], s[2:3], 0x0
	s_cmp_eq_u32 s8, 0
                                        ; implicit-def: $sgpr8_sgpr9
	s_cbranch_scc1 .LBB97_3
; %bb.2:
	s_load_b96 s[16:18], s[0:1], 0x18
	s_wait_kmcnt 0x0
	s_mul_u64 s[4:5], s[4:5], s[10:11]
	s_delay_alu instid0(SALU_CYCLE_1) | instskip(SKIP_4) | instid1(SALU_CYCLE_1)
	s_lshl_b64 s[4:5], s[4:5], 2
	s_ashr_i32 s9, s18, 31
	s_mov_b32 s8, s18
	s_add_nc_u64 s[4:5], s[16:17], s[4:5]
	s_lshl_b64 s[8:9], s[8:9], 2
	s_add_nc_u64 s[8:9], s[4:5], s[8:9]
.LBB97_3:
	s_wait_kmcnt 0x0
	s_clause 0x1
	s_load_b64 s[4:5], s[0:1], 0x8
	s_load_b32 s13, s[0:1], 0x38
	v_dual_mov_b32 v3, 0 :: v_dual_lshlrev_b32 v2, 3, v0
	s_wait_kmcnt 0x0
	s_ashr_i32 s1, s4, 31
	s_mov_b32 s0, s4
	s_delay_alu instid0(SALU_CYCLE_1) | instskip(NEXT) | instid1(SALU_CYCLE_1)
	s_lshl_b64 s[0:1], s[0:1], 3
	s_add_nc_u64 s[2:3], s[2:3], s[0:1]
	s_ashr_i32 s1, s5, 31
	flat_load_b64 v[8:9], v0, s[2:3] scale_offset
	v_add_nc_u64_e32 v[4:5], s[2:3], v[2:3]
	s_mov_b32 s0, s5
	s_bitcmp0_b32 s13, 0
	s_delay_alu instid0(VALU_DEP_1)
	v_lshl_add_u64 v[6:7], s[0:1], 3, v[4:5]
	s_mov_b32 s1, -1
	s_wait_loadcnt_dscnt 0x0
	scratch_store_b64 off, v[8:9], off
	flat_load_b64 v[10:11], v[6:7]
	s_wait_xcnt 0x1
	v_add3_u32 v8, s5, s5, v0
	s_wait_loadcnt_dscnt 0x0
	scratch_store_b64 off, v[10:11], off offset:8
	flat_load_b64 v[12:13], v8, s[2:3] scale_offset
	s_wait_xcnt 0x1
	v_add_nc_u32_e32 v10, s5, v8
	s_wait_loadcnt_dscnt 0x0
	scratch_store_b64 off, v[12:13], off offset:16
	flat_load_b64 v[14:15], v10, s[2:3] scale_offset
	s_wait_xcnt 0x1
	v_add_nc_u32_e32 v12, s5, v10
	;; [unrolled: 5-line block ×31, first 2 shown]
	s_wait_loadcnt_dscnt 0x0
	scratch_store_b64 off, v[72:73], off offset:256
	flat_load_b64 v[72:73], v70, s[2:3] scale_offset
	s_wait_loadcnt_dscnt 0x0
	scratch_store_b64 off, v[72:73], off offset:264
	s_cbranch_scc1 .LBB97_144
; %bb.4:
	v_cmp_eq_u32_e64 s0, 0, v0
	s_wait_xcnt 0x0
	s_and_saveexec_b32 s1, s0
; %bb.5:
	v_mov_b32_e32 v1, 0
	ds_store_b32 v1, v1 offset:544
; %bb.6:
	s_or_b32 exec_lo, exec_lo, s1
	s_wait_storecnt_dscnt 0x0
	s_barrier_signal -1
	s_barrier_wait -1
	scratch_load_b64 v[72:73], v0, off scale_offset
	s_mov_b32 s4, exec_lo
	s_wait_loadcnt 0x0
	v_cmpx_eq_f64_e32 0, v[72:73]
	s_cbranch_execz .LBB97_10
; %bb.7:
	v_mov_b32_e32 v1, 0
	s_mov_b32 s5, 0
	ds_load_b32 v3, v1 offset:544
	s_wait_dscnt 0x0
	v_readfirstlane_b32 s1, v3
	v_add_nc_u32_e32 v3, 1, v0
	s_cmp_eq_u32 s1, 0
	s_delay_alu instid0(VALU_DEP_1) | instskip(SKIP_1) | instid1(SALU_CYCLE_1)
	v_cmp_gt_i32_e32 vcc_lo, s1, v3
	s_cselect_b32 s13, -1, 0
	s_or_b32 s13, s13, vcc_lo
	s_delay_alu instid0(SALU_CYCLE_1)
	s_and_b32 exec_lo, exec_lo, s13
	s_cbranch_execz .LBB97_10
; %bb.8:
	v_mov_b32_e32 v9, s1
.LBB97_9:                               ; =>This Inner Loop Header: Depth=1
	ds_cmpstore_rtn_b32 v9, v1, v3, v9 offset:544
	s_wait_dscnt 0x0
	v_cmp_ne_u32_e32 vcc_lo, 0, v9
	v_cmp_le_i32_e64 s1, v9, v3
	s_and_b32 s1, vcc_lo, s1
	s_delay_alu instid0(SALU_CYCLE_1) | instskip(NEXT) | instid1(SALU_CYCLE_1)
	s_and_b32 s1, exec_lo, s1
	s_or_b32 s5, s1, s5
	s_delay_alu instid0(SALU_CYCLE_1)
	s_and_not1_b32 exec_lo, exec_lo, s5
	s_cbranch_execnz .LBB97_9
.LBB97_10:
	s_or_b32 exec_lo, exec_lo, s4
	v_mov_b32_e32 v1, 0
	s_barrier_signal -1
	s_barrier_wait -1
	ds_load_b32 v3, v1 offset:544
	s_and_saveexec_b32 s1, s0
	s_cbranch_execz .LBB97_12
; %bb.11:
	s_lshl_b64 s[4:5], s[10:11], 2
	s_delay_alu instid0(SALU_CYCLE_1)
	s_add_nc_u64 s[4:5], s[6:7], s[4:5]
	s_wait_dscnt 0x0
	global_store_b32 v1, v3, s[4:5]
.LBB97_12:
	s_wait_xcnt 0x0
	s_or_b32 exec_lo, exec_lo, s1
	s_wait_dscnt 0x0
	v_cmp_ne_u32_e32 vcc_lo, 0, v3
	s_mov_b32 s1, 0
	s_cbranch_vccnz .LBB97_144
; %bb.13:
	v_lshl_add_u32 v3, v0, 3, 0
	v_add_nc_u32_e32 v1, 0x110, v2
	scratch_load_b64 v[72:73], v3, off
	s_wait_loadcnt 0x0
	v_div_scale_f64 v[74:75], null, v[72:73], v[72:73], 1.0
	v_div_scale_f64 v[80:81], vcc_lo, 1.0, v[72:73], 1.0
	s_delay_alu instid0(VALU_DEP_2) | instskip(SKIP_1) | instid1(TRANS32_DEP_1)
	v_rcp_f64_e32 v[76:77], v[74:75]
	v_nop
	v_fma_f64 v[78:79], -v[74:75], v[76:77], 1.0
	s_delay_alu instid0(VALU_DEP_1) | instskip(NEXT) | instid1(VALU_DEP_1)
	v_fmac_f64_e32 v[76:77], v[76:77], v[78:79]
	v_fma_f64 v[78:79], -v[74:75], v[76:77], 1.0
	s_delay_alu instid0(VALU_DEP_1) | instskip(NEXT) | instid1(VALU_DEP_1)
	v_fmac_f64_e32 v[76:77], v[76:77], v[78:79]
	v_mul_f64_e32 v[78:79], v[80:81], v[76:77]
	s_delay_alu instid0(VALU_DEP_1) | instskip(NEXT) | instid1(VALU_DEP_1)
	v_fma_f64 v[74:75], -v[74:75], v[78:79], v[80:81]
	v_div_fmas_f64 v[74:75], v[74:75], v[76:77], v[78:79]
	s_delay_alu instid0(VALU_DEP_1)
	v_div_fixup_f64 v[72:73], v[74:75], v[72:73], 1.0
	scratch_store_b64 v3, v[72:73], off
	scratch_load_b64 v[74:75], off, off offset:8
	s_wait_xcnt 0x1
	v_xor_b32_e32 v73, 0x80000000, v73
	s_wait_loadcnt 0x0
	ds_store_2addr_b64 v2, v[72:73], v[74:75] offset1:34
	s_wait_storecnt_dscnt 0x0
	s_barrier_signal -1
	s_barrier_wait -1
	s_wait_xcnt 0x0
	s_and_saveexec_b32 s1, s0
	s_cbranch_execz .LBB97_15
; %bb.14:
	scratch_load_b64 v[72:73], v3, off
	ds_load_b64 v[74:75], v1
	s_wait_loadcnt_dscnt 0x0
	v_fma_f64 v[72:73], v[72:73], v[74:75], 0
	v_mov_b32_e32 v9, 0
	ds_load_b64 v[76:77], v9 offset:8
	s_wait_dscnt 0x0
	v_mul_f64_e32 v[72:73], v[72:73], v[76:77]
	scratch_store_b64 off, v[72:73], off offset:8
.LBB97_15:
	s_wait_xcnt 0x0
	s_or_b32 exec_lo, exec_lo, s1
	s_wait_storecnt 0x0
	s_barrier_signal -1
	s_barrier_wait -1
	scratch_load_b64 v[72:73], off, off offset:16
	s_mov_b32 s1, exec_lo
	s_wait_loadcnt 0x0
	ds_store_b64 v1, v[72:73]
	s_wait_dscnt 0x0
	s_barrier_signal -1
	s_barrier_wait -1
	v_cmpx_gt_u32_e32 2, v0
	s_cbranch_execz .LBB97_19
; %bb.16:
	scratch_load_b64 v[72:73], v3, off
	ds_load_b64 v[74:75], v1
	s_wait_loadcnt_dscnt 0x0
	v_fma_f64 v[72:73], v[72:73], v[74:75], 0
	s_and_saveexec_b32 s4, s0
	s_cbranch_execz .LBB97_18
; %bb.17:
	scratch_load_b64 v[74:75], off, off offset:8
	v_mov_b32_e32 v3, 0
	ds_load_b64 v[76:77], v3 offset:280
	s_wait_loadcnt_dscnt 0x0
	v_fmac_f64_e32 v[72:73], v[74:75], v[76:77]
.LBB97_18:
	s_or_b32 exec_lo, exec_lo, s4
	v_mov_b32_e32 v3, 0
	ds_load_b64 v[74:75], v3 offset:16
	s_wait_dscnt 0x0
	v_mul_f64_e32 v[72:73], v[72:73], v[74:75]
	scratch_store_b64 off, v[72:73], off offset:16
.LBB97_19:
	s_wait_xcnt 0x0
	s_or_b32 exec_lo, exec_lo, s1
	s_wait_storecnt 0x0
	s_barrier_signal -1
	s_barrier_wait -1
	scratch_load_b64 v[72:73], off, off offset:24
	v_add_nc_u32_e32 v3, -1, v0
	s_mov_b32 s0, exec_lo
	s_wait_loadcnt 0x0
	ds_store_b64 v1, v[72:73]
	s_wait_dscnt 0x0
	s_barrier_signal -1
	s_barrier_wait -1
	v_cmpx_gt_u32_e32 3, v0
	s_cbranch_execz .LBB97_23
; %bb.20:
	v_mov_b64_e32 v[72:73], 0
	v_dual_add_nc_u32 v9, -1, v0 :: v_dual_mov_b32 v13, v2
	v_add_nc_u32_e32 v11, 0x110, v2
	s_mov_b32 s1, 0
.LBB97_21:                              ; =>This Inner Loop Header: Depth=1
	scratch_load_b64 v[74:75], v13, off
	ds_load_b64 v[76:77], v11
	v_dual_add_nc_u32 v9, 1, v9 :: v_dual_add_nc_u32 v11, 8, v11
	s_wait_xcnt 0x0
	v_add_nc_u32_e32 v13, 8, v13
	s_delay_alu instid0(VALU_DEP_2)
	v_cmp_lt_u32_e32 vcc_lo, 1, v9
	s_or_b32 s1, vcc_lo, s1
	s_wait_loadcnt_dscnt 0x0
	v_fmac_f64_e32 v[72:73], v[74:75], v[76:77]
	s_and_not1_b32 exec_lo, exec_lo, s1
	s_cbranch_execnz .LBB97_21
; %bb.22:
	s_or_b32 exec_lo, exec_lo, s1
	v_mov_b32_e32 v9, 0
	ds_load_b64 v[74:75], v9 offset:24
	s_wait_dscnt 0x0
	v_mul_f64_e32 v[72:73], v[72:73], v[74:75]
	scratch_store_b64 off, v[72:73], off offset:24
.LBB97_23:
	s_wait_xcnt 0x0
	s_or_b32 exec_lo, exec_lo, s0
	s_wait_storecnt 0x0
	s_barrier_signal -1
	s_barrier_wait -1
	scratch_load_b64 v[72:73], off, off offset:32
	s_mov_b32 s0, exec_lo
	s_wait_loadcnt 0x0
	ds_store_b64 v1, v[72:73]
	s_wait_dscnt 0x0
	s_barrier_signal -1
	s_barrier_wait -1
	v_cmpx_gt_u32_e32 4, v0
	s_cbranch_execz .LBB97_27
; %bb.24:
	v_mov_b64_e32 v[72:73], 0
	v_dual_add_nc_u32 v9, -1, v0 :: v_dual_mov_b32 v13, v2
	v_add_nc_u32_e32 v11, 0x110, v2
	s_mov_b32 s1, 0
.LBB97_25:                              ; =>This Inner Loop Header: Depth=1
	scratch_load_b64 v[74:75], v13, off
	ds_load_b64 v[76:77], v11
	v_dual_add_nc_u32 v9, 1, v9 :: v_dual_add_nc_u32 v11, 8, v11
	s_wait_xcnt 0x0
	v_add_nc_u32_e32 v13, 8, v13
	s_delay_alu instid0(VALU_DEP_2)
	v_cmp_lt_u32_e32 vcc_lo, 2, v9
	s_or_b32 s1, vcc_lo, s1
	s_wait_loadcnt_dscnt 0x0
	v_fmac_f64_e32 v[72:73], v[74:75], v[76:77]
	s_and_not1_b32 exec_lo, exec_lo, s1
	s_cbranch_execnz .LBB97_25
; %bb.26:
	s_or_b32 exec_lo, exec_lo, s1
	v_mov_b32_e32 v9, 0
	ds_load_b64 v[74:75], v9 offset:32
	s_wait_dscnt 0x0
	v_mul_f64_e32 v[72:73], v[72:73], v[74:75]
	scratch_store_b64 off, v[72:73], off offset:32
.LBB97_27:
	s_wait_xcnt 0x0
	s_or_b32 exec_lo, exec_lo, s0
	s_wait_storecnt 0x0
	s_barrier_signal -1
	s_barrier_wait -1
	scratch_load_b64 v[72:73], off, off offset:40
	;; [unrolled: 40-line block ×20, first 2 shown]
	s_mov_b32 s0, exec_lo
	s_wait_loadcnt 0x0
	ds_store_b64 v1, v[72:73]
	s_wait_dscnt 0x0
	s_barrier_signal -1
	s_barrier_wait -1
	v_cmpx_gt_u32_e32 23, v0
	s_cbranch_execz .LBB97_103
; %bb.100:
	v_mov_b64_e32 v[72:73], 0
	v_dual_add_nc_u32 v9, -1, v0 :: v_dual_mov_b32 v13, v2
	v_add_nc_u32_e32 v11, 0x110, v2
	s_mov_b32 s1, 0
.LBB97_101:                             ; =>This Inner Loop Header: Depth=1
	scratch_load_b64 v[74:75], v13, off
	ds_load_b64 v[76:77], v11
	v_dual_add_nc_u32 v9, 1, v9 :: v_dual_add_nc_u32 v11, 8, v11
	s_wait_xcnt 0x0
	v_add_nc_u32_e32 v13, 8, v13
	s_delay_alu instid0(VALU_DEP_2)
	v_cmp_lt_u32_e32 vcc_lo, 21, v9
	s_or_b32 s1, vcc_lo, s1
	s_wait_loadcnt_dscnt 0x0
	v_fmac_f64_e32 v[72:73], v[74:75], v[76:77]
	s_and_not1_b32 exec_lo, exec_lo, s1
	s_cbranch_execnz .LBB97_101
; %bb.102:
	s_or_b32 exec_lo, exec_lo, s1
	v_mov_b32_e32 v9, 0
	ds_load_b64 v[74:75], v9 offset:184
	s_wait_dscnt 0x0
	v_mul_f64_e32 v[72:73], v[72:73], v[74:75]
	scratch_store_b64 off, v[72:73], off offset:184
.LBB97_103:
	s_wait_xcnt 0x0
	s_or_b32 exec_lo, exec_lo, s0
	s_wait_storecnt 0x0
	s_barrier_signal -1
	s_barrier_wait -1
	scratch_load_b64 v[72:73], off, off offset:192
	s_mov_b32 s0, exec_lo
	s_wait_loadcnt 0x0
	ds_store_b64 v1, v[72:73]
	s_wait_dscnt 0x0
	s_barrier_signal -1
	s_barrier_wait -1
	v_cmpx_gt_u32_e32 24, v0
	s_cbranch_execz .LBB97_107
; %bb.104:
	v_mov_b64_e32 v[72:73], 0
	v_dual_add_nc_u32 v9, -1, v0 :: v_dual_mov_b32 v13, v2
	v_add_nc_u32_e32 v11, 0x110, v2
	s_mov_b32 s1, 0
.LBB97_105:                             ; =>This Inner Loop Header: Depth=1
	scratch_load_b64 v[74:75], v13, off
	ds_load_b64 v[76:77], v11
	v_dual_add_nc_u32 v9, 1, v9 :: v_dual_add_nc_u32 v11, 8, v11
	s_wait_xcnt 0x0
	v_add_nc_u32_e32 v13, 8, v13
	s_delay_alu instid0(VALU_DEP_2)
	v_cmp_lt_u32_e32 vcc_lo, 22, v9
	s_or_b32 s1, vcc_lo, s1
	s_wait_loadcnt_dscnt 0x0
	v_fmac_f64_e32 v[72:73], v[74:75], v[76:77]
	s_and_not1_b32 exec_lo, exec_lo, s1
	s_cbranch_execnz .LBB97_105
; %bb.106:
	s_or_b32 exec_lo, exec_lo, s1
	v_mov_b32_e32 v9, 0
	ds_load_b64 v[74:75], v9 offset:192
	s_wait_dscnt 0x0
	v_mul_f64_e32 v[72:73], v[72:73], v[74:75]
	scratch_store_b64 off, v[72:73], off offset:192
.LBB97_107:
	s_wait_xcnt 0x0
	s_or_b32 exec_lo, exec_lo, s0
	s_wait_storecnt 0x0
	s_barrier_signal -1
	s_barrier_wait -1
	scratch_load_b64 v[72:73], off, off offset:200
	;; [unrolled: 40-line block ×10, first 2 shown]
	s_mov_b32 s0, exec_lo
	s_wait_loadcnt 0x0
	ds_store_b64 v1, v[72:73]
	s_wait_dscnt 0x0
	s_barrier_signal -1
	s_barrier_wait -1
	v_cmpx_ne_u32_e32 33, v0
	s_cbranch_execz .LBB97_143
; %bb.140:
	v_mov_b64_e32 v[72:73], 0
	s_mov_b32 s1, 0
.LBB97_141:                             ; =>This Inner Loop Header: Depth=1
	scratch_load_b64 v[74:75], v2, off
	ds_load_b64 v[76:77], v1
	v_dual_add_nc_u32 v3, 1, v3 :: v_dual_add_nc_u32 v1, 8, v1
	s_wait_xcnt 0x0
	v_add_nc_u32_e32 v2, 8, v2
	s_delay_alu instid0(VALU_DEP_2)
	v_cmp_lt_u32_e32 vcc_lo, 31, v3
	s_or_b32 s1, vcc_lo, s1
	s_wait_loadcnt_dscnt 0x0
	v_fmac_f64_e32 v[72:73], v[74:75], v[76:77]
	s_and_not1_b32 exec_lo, exec_lo, s1
	s_cbranch_execnz .LBB97_141
; %bb.142:
	s_or_b32 exec_lo, exec_lo, s1
	v_mov_b32_e32 v1, 0
	ds_load_b64 v[2:3], v1 offset:264
	s_wait_dscnt 0x0
	v_mul_f64_e32 v[2:3], v[72:73], v[2:3]
	scratch_store_b64 off, v[2:3], off offset:264
.LBB97_143:
	s_wait_xcnt 0x0
	s_or_b32 exec_lo, exec_lo, s0
	s_mov_b32 s1, -1
	s_wait_storecnt 0x0
	s_barrier_signal -1
	s_barrier_wait -1
.LBB97_144:
	s_and_b32 vcc_lo, exec_lo, s1
	s_cbranch_vccz .LBB97_146
; %bb.145:
	v_mov_b32_e32 v1, 0
	s_lshl_b64 s[0:1], s[10:11], 2
	s_delay_alu instid0(SALU_CYCLE_1)
	s_add_nc_u64 s[0:1], s[6:7], s[0:1]
	global_load_b32 v1, v1, s[0:1]
	s_wait_loadcnt 0x0
	v_cmp_ne_u32_e32 vcc_lo, 0, v1
	s_cbranch_vccz .LBB97_147
.LBB97_146:
	s_sendmsg sendmsg(MSG_DEALLOC_VGPRS)
	s_endpgm
.LBB97_147:
	s_wait_xcnt 0x0
	v_lshl_add_u32 v1, v0, 3, 0x110
	s_mov_b32 s0, exec_lo
	v_cmpx_eq_u32_e32 33, v0
	s_cbranch_execz .LBB97_149
; %bb.148:
	scratch_load_b64 v[2:3], off, off offset:256
	v_mov_b64_e32 v[72:73], 0
	scratch_store_b64 off, v[72:73], off offset:256
	s_wait_loadcnt 0x0
	ds_store_b64 v1, v[2:3]
.LBB97_149:
	s_wait_xcnt 0x0
	s_or_b32 exec_lo, exec_lo, s0
	s_wait_storecnt_dscnt 0x0
	s_barrier_signal -1
	s_barrier_wait -1
	scratch_load_b128 v[72:75], off, off offset:256
	v_mov_b32_e32 v2, 0
	s_mov_b32 s0, exec_lo
	ds_load_b64 v[76:77], v2 offset:536
	s_wait_loadcnt_dscnt 0x0
	v_fma_f64 v[74:75], v[74:75], v[76:77], 0
	s_delay_alu instid0(VALU_DEP_1)
	v_add_f64_e64 v[72:73], v[72:73], -v[74:75]
	scratch_store_b64 off, v[72:73], off offset:256
	s_wait_xcnt 0x0
	v_cmpx_lt_u32_e32 31, v0
	s_cbranch_execz .LBB97_151
; %bb.150:
	scratch_load_b64 v[72:73], off, off offset:248
	v_mov_b64_e32 v[74:75], 0
	scratch_store_b64 off, v[74:75], off offset:248
	s_wait_loadcnt 0x0
	ds_store_b64 v1, v[72:73]
.LBB97_151:
	s_wait_xcnt 0x0
	s_or_b32 exec_lo, exec_lo, s0
	s_wait_storecnt_dscnt 0x0
	s_barrier_signal -1
	s_barrier_wait -1
	s_clause 0x1
	scratch_load_b128 v[72:75], off, off offset:248
	scratch_load_b64 v[80:81], off, off offset:264
	ds_load_b128 v[76:79], v2 offset:528
	s_mov_b32 s0, exec_lo
	s_wait_loadcnt_dscnt 0x100
	v_fma_f64 v[2:3], v[74:75], v[76:77], 0
	s_wait_loadcnt 0x0
	s_delay_alu instid0(VALU_DEP_1) | instskip(NEXT) | instid1(VALU_DEP_1)
	v_fmac_f64_e32 v[2:3], v[80:81], v[78:79]
	v_add_f64_e64 v[2:3], v[72:73], -v[2:3]
	scratch_store_b64 off, v[2:3], off offset:248
	s_wait_xcnt 0x0
	v_cmpx_lt_u32_e32 30, v0
	s_cbranch_execz .LBB97_153
; %bb.152:
	scratch_load_b64 v[2:3], off, off offset:240
	v_mov_b64_e32 v[72:73], 0
	scratch_store_b64 off, v[72:73], off offset:240
	s_wait_loadcnt 0x0
	ds_store_b64 v1, v[2:3]
.LBB97_153:
	s_wait_xcnt 0x0
	s_or_b32 exec_lo, exec_lo, s0
	s_wait_storecnt_dscnt 0x0
	s_barrier_signal -1
	s_barrier_wait -1
	s_clause 0x1
	scratch_load_b128 v[72:75], off, off offset:240
	scratch_load_b128 v[76:79], off, off offset:256
	v_mov_b32_e32 v2, 0
	ds_load_2addr_b64 v[80:83], v2 offset0:65 offset1:66
	ds_load_b64 v[84:85], v2 offset:536
	s_mov_b32 s0, exec_lo
	s_wait_loadcnt_dscnt 0x101
	v_fma_f64 v[74:75], v[74:75], v[80:81], 0
	s_wait_loadcnt 0x0
	s_delay_alu instid0(VALU_DEP_1) | instskip(SKIP_1) | instid1(VALU_DEP_1)
	v_fmac_f64_e32 v[74:75], v[76:77], v[82:83]
	s_wait_dscnt 0x0
	v_fmac_f64_e32 v[74:75], v[78:79], v[84:85]
	s_delay_alu instid0(VALU_DEP_1)
	v_add_f64_e64 v[72:73], v[72:73], -v[74:75]
	scratch_store_b64 off, v[72:73], off offset:240
	s_wait_xcnt 0x0
	v_cmpx_lt_u32_e32 29, v0
	s_cbranch_execz .LBB97_155
; %bb.154:
	scratch_load_b64 v[72:73], off, off offset:232
	v_mov_b64_e32 v[74:75], 0
	scratch_store_b64 off, v[74:75], off offset:232
	s_wait_loadcnt 0x0
	ds_store_b64 v1, v[72:73]
.LBB97_155:
	s_wait_xcnt 0x0
	s_or_b32 exec_lo, exec_lo, s0
	s_wait_storecnt_dscnt 0x0
	s_barrier_signal -1
	s_barrier_wait -1
	s_clause 0x2
	scratch_load_b128 v[72:75], off, off offset:232
	scratch_load_b128 v[76:79], off, off offset:248
	scratch_load_b64 v[88:89], off, off offset:264
	ds_load_b128 v[80:83], v2 offset:512
	ds_load_b128 v[84:87], v2 offset:528
	s_mov_b32 s0, exec_lo
	s_wait_loadcnt_dscnt 0x201
	v_fma_f64 v[2:3], v[74:75], v[80:81], 0
	s_wait_loadcnt 0x1
	s_delay_alu instid0(VALU_DEP_1) | instskip(SKIP_1) | instid1(VALU_DEP_1)
	v_fmac_f64_e32 v[2:3], v[76:77], v[82:83]
	s_wait_dscnt 0x0
	v_fmac_f64_e32 v[2:3], v[78:79], v[84:85]
	s_wait_loadcnt 0x0
	s_delay_alu instid0(VALU_DEP_1) | instskip(NEXT) | instid1(VALU_DEP_1)
	v_fmac_f64_e32 v[2:3], v[88:89], v[86:87]
	v_add_f64_e64 v[2:3], v[72:73], -v[2:3]
	scratch_store_b64 off, v[2:3], off offset:232
	s_wait_xcnt 0x0
	v_cmpx_lt_u32_e32 28, v0
	s_cbranch_execz .LBB97_157
; %bb.156:
	scratch_load_b64 v[2:3], off, off offset:224
	v_mov_b64_e32 v[72:73], 0
	scratch_store_b64 off, v[72:73], off offset:224
	s_wait_loadcnt 0x0
	ds_store_b64 v1, v[2:3]
.LBB97_157:
	s_wait_xcnt 0x0
	s_or_b32 exec_lo, exec_lo, s0
	s_wait_storecnt_dscnt 0x0
	s_barrier_signal -1
	s_barrier_wait -1
	s_clause 0x2
	scratch_load_b128 v[72:75], off, off offset:224
	scratch_load_b128 v[76:79], off, off offset:240
	;; [unrolled: 1-line block ×3, first 2 shown]
	v_mov_b32_e32 v2, 0
	ds_load_2addr_b64 v[84:87], v2 offset0:63 offset1:64
	ds_load_2addr_b64 v[88:91], v2 offset0:65 offset1:66
	s_mov_b32 s0, exec_lo
	s_wait_loadcnt_dscnt 0x201
	v_fma_f64 v[74:75], v[74:75], v[84:85], 0
	s_wait_loadcnt 0x1
	s_delay_alu instid0(VALU_DEP_1) | instskip(SKIP_4) | instid1(VALU_DEP_1)
	v_fmac_f64_e32 v[74:75], v[76:77], v[86:87]
	ds_load_b64 v[76:77], v2 offset:536
	s_wait_dscnt 0x1
	v_fmac_f64_e32 v[74:75], v[78:79], v[88:89]
	s_wait_loadcnt 0x0
	v_fmac_f64_e32 v[74:75], v[80:81], v[90:91]
	s_wait_dscnt 0x0
	s_delay_alu instid0(VALU_DEP_1) | instskip(NEXT) | instid1(VALU_DEP_1)
	v_fmac_f64_e32 v[74:75], v[82:83], v[76:77]
	v_add_f64_e64 v[72:73], v[72:73], -v[74:75]
	scratch_store_b64 off, v[72:73], off offset:224
	s_wait_xcnt 0x0
	v_cmpx_lt_u32_e32 27, v0
	s_cbranch_execz .LBB97_159
; %bb.158:
	scratch_load_b64 v[72:73], off, off offset:216
	v_mov_b64_e32 v[74:75], 0
	scratch_store_b64 off, v[74:75], off offset:216
	s_wait_loadcnt 0x0
	ds_store_b64 v1, v[72:73]
.LBB97_159:
	s_wait_xcnt 0x0
	s_or_b32 exec_lo, exec_lo, s0
	s_wait_storecnt_dscnt 0x0
	s_barrier_signal -1
	s_barrier_wait -1
	s_clause 0x3
	scratch_load_b128 v[72:75], off, off offset:216
	scratch_load_b128 v[76:79], off, off offset:232
	;; [unrolled: 1-line block ×3, first 2 shown]
	scratch_load_b64 v[92:93], off, off offset:264
	ds_load_b128 v[84:87], v2 offset:496
	ds_load_b128 v[88:91], v2 offset:512
	s_mov_b32 s0, exec_lo
	s_wait_loadcnt_dscnt 0x301
	v_fma_f64 v[84:85], v[74:75], v[84:85], 0
	s_wait_loadcnt 0x2
	s_delay_alu instid0(VALU_DEP_1) | instskip(SKIP_4) | instid1(VALU_DEP_1)
	v_fmac_f64_e32 v[84:85], v[76:77], v[86:87]
	ds_load_b128 v[74:77], v2 offset:528
	s_wait_dscnt 0x1
	v_fmac_f64_e32 v[84:85], v[78:79], v[88:89]
	s_wait_loadcnt 0x1
	v_fmac_f64_e32 v[84:85], v[80:81], v[90:91]
	s_wait_dscnt 0x0
	s_delay_alu instid0(VALU_DEP_1) | instskip(SKIP_1) | instid1(VALU_DEP_1)
	v_fmac_f64_e32 v[84:85], v[82:83], v[74:75]
	s_wait_loadcnt 0x0
	v_fmac_f64_e32 v[84:85], v[92:93], v[76:77]
	s_delay_alu instid0(VALU_DEP_1)
	v_add_f64_e64 v[2:3], v[72:73], -v[84:85]
	scratch_store_b64 off, v[2:3], off offset:216
	s_wait_xcnt 0x0
	v_cmpx_lt_u32_e32 26, v0
	s_cbranch_execz .LBB97_161
; %bb.160:
	scratch_load_b64 v[2:3], off, off offset:208
	v_mov_b64_e32 v[72:73], 0
	scratch_store_b64 off, v[72:73], off offset:208
	s_wait_loadcnt 0x0
	ds_store_b64 v1, v[2:3]
.LBB97_161:
	s_wait_xcnt 0x0
	s_or_b32 exec_lo, exec_lo, s0
	s_wait_storecnt_dscnt 0x0
	s_barrier_signal -1
	s_barrier_wait -1
	s_clause 0x3
	scratch_load_b128 v[72:75], off, off offset:208
	scratch_load_b128 v[76:79], off, off offset:224
	;; [unrolled: 1-line block ×4, first 2 shown]
	v_mov_b32_e32 v2, 0
	ds_load_2addr_b64 v[88:91], v2 offset0:61 offset1:62
	ds_load_2addr_b64 v[92:95], v2 offset0:63 offset1:64
	s_mov_b32 s0, exec_lo
	s_wait_loadcnt_dscnt 0x301
	v_fma_f64 v[88:89], v[74:75], v[88:89], 0
	s_wait_loadcnt 0x2
	s_delay_alu instid0(VALU_DEP_1) | instskip(SKIP_1) | instid1(VALU_DEP_1)
	v_fmac_f64_e32 v[88:89], v[76:77], v[90:91]
	s_wait_dscnt 0x0
	v_fmac_f64_e32 v[88:89], v[78:79], v[92:93]
	ds_load_2addr_b64 v[74:77], v2 offset0:65 offset1:66
	ds_load_b64 v[78:79], v2 offset:536
	s_wait_loadcnt 0x1
	v_fmac_f64_e32 v[88:89], v[80:81], v[94:95]
	s_wait_dscnt 0x1
	s_delay_alu instid0(VALU_DEP_1) | instskip(SKIP_1) | instid1(VALU_DEP_1)
	v_fmac_f64_e32 v[88:89], v[82:83], v[74:75]
	s_wait_loadcnt 0x0
	v_fmac_f64_e32 v[88:89], v[84:85], v[76:77]
	s_wait_dscnt 0x0
	s_delay_alu instid0(VALU_DEP_1) | instskip(NEXT) | instid1(VALU_DEP_1)
	v_fmac_f64_e32 v[88:89], v[86:87], v[78:79]
	v_add_f64_e64 v[72:73], v[72:73], -v[88:89]
	scratch_store_b64 off, v[72:73], off offset:208
	s_wait_xcnt 0x0
	v_cmpx_lt_u32_e32 25, v0
	s_cbranch_execz .LBB97_163
; %bb.162:
	scratch_load_b64 v[72:73], off, off offset:200
	v_mov_b64_e32 v[74:75], 0
	scratch_store_b64 off, v[74:75], off offset:200
	s_wait_loadcnt 0x0
	ds_store_b64 v1, v[72:73]
.LBB97_163:
	s_wait_xcnt 0x0
	s_or_b32 exec_lo, exec_lo, s0
	s_wait_storecnt_dscnt 0x0
	s_barrier_signal -1
	s_barrier_wait -1
	s_clause 0x4
	scratch_load_b128 v[72:75], off, off offset:200
	scratch_load_b128 v[76:79], off, off offset:216
	scratch_load_b128 v[80:83], off, off offset:232
	scratch_load_b128 v[84:87], off, off offset:248
	scratch_load_b64 v[96:97], off, off offset:264
	ds_load_b128 v[88:91], v2 offset:480
	ds_load_b128 v[92:95], v2 offset:496
	s_mov_b32 s0, exec_lo
	s_wait_loadcnt_dscnt 0x401
	v_fma_f64 v[88:89], v[74:75], v[88:89], 0
	s_wait_loadcnt 0x3
	s_delay_alu instid0(VALU_DEP_1) | instskip(SKIP_1) | instid1(VALU_DEP_1)
	v_fmac_f64_e32 v[88:89], v[76:77], v[90:91]
	s_wait_dscnt 0x0
	v_fmac_f64_e32 v[88:89], v[78:79], v[92:93]
	s_wait_loadcnt 0x2
	s_delay_alu instid0(VALU_DEP_1)
	v_fmac_f64_e32 v[88:89], v[80:81], v[94:95]
	ds_load_b128 v[74:77], v2 offset:512
	ds_load_b128 v[78:81], v2 offset:528
	s_wait_dscnt 0x1
	v_fmac_f64_e32 v[88:89], v[82:83], v[74:75]
	s_wait_loadcnt 0x1
	s_delay_alu instid0(VALU_DEP_1) | instskip(SKIP_1) | instid1(VALU_DEP_1)
	v_fmac_f64_e32 v[88:89], v[84:85], v[76:77]
	s_wait_dscnt 0x0
	v_fmac_f64_e32 v[88:89], v[86:87], v[78:79]
	s_wait_loadcnt 0x0
	s_delay_alu instid0(VALU_DEP_1) | instskip(NEXT) | instid1(VALU_DEP_1)
	v_fmac_f64_e32 v[88:89], v[96:97], v[80:81]
	v_add_f64_e64 v[2:3], v[72:73], -v[88:89]
	scratch_store_b64 off, v[2:3], off offset:200
	s_wait_xcnt 0x0
	v_cmpx_lt_u32_e32 24, v0
	s_cbranch_execz .LBB97_165
; %bb.164:
	scratch_load_b64 v[2:3], off, off offset:192
	v_mov_b64_e32 v[72:73], 0
	scratch_store_b64 off, v[72:73], off offset:192
	s_wait_loadcnt 0x0
	ds_store_b64 v1, v[2:3]
.LBB97_165:
	s_wait_xcnt 0x0
	s_or_b32 exec_lo, exec_lo, s0
	s_wait_storecnt_dscnt 0x0
	s_barrier_signal -1
	s_barrier_wait -1
	s_clause 0x4
	scratch_load_b128 v[72:75], off, off offset:192
	scratch_load_b128 v[76:79], off, off offset:208
	;; [unrolled: 1-line block ×5, first 2 shown]
	v_mov_b32_e32 v2, 0
	ds_load_2addr_b64 v[92:95], v2 offset0:59 offset1:60
	ds_load_2addr_b64 v[96:99], v2 offset0:61 offset1:62
	s_mov_b32 s0, exec_lo
	s_wait_loadcnt_dscnt 0x401
	v_fma_f64 v[92:93], v[74:75], v[92:93], 0
	s_wait_loadcnt 0x3
	s_delay_alu instid0(VALU_DEP_1) | instskip(SKIP_1) | instid1(VALU_DEP_1)
	v_fmac_f64_e32 v[92:93], v[76:77], v[94:95]
	s_wait_dscnt 0x0
	v_fmac_f64_e32 v[92:93], v[78:79], v[96:97]
	s_wait_loadcnt 0x2
	s_delay_alu instid0(VALU_DEP_1)
	v_fmac_f64_e32 v[92:93], v[80:81], v[98:99]
	ds_load_2addr_b64 v[74:77], v2 offset0:63 offset1:64
	ds_load_2addr_b64 v[78:81], v2 offset0:65 offset1:66
	s_wait_dscnt 0x1
	v_fmac_f64_e32 v[92:93], v[82:83], v[74:75]
	ds_load_b64 v[74:75], v2 offset:536
	s_wait_loadcnt 0x1
	v_fmac_f64_e32 v[92:93], v[84:85], v[76:77]
	s_wait_dscnt 0x1
	s_delay_alu instid0(VALU_DEP_1) | instskip(SKIP_1) | instid1(VALU_DEP_1)
	v_fmac_f64_e32 v[92:93], v[86:87], v[78:79]
	s_wait_loadcnt 0x0
	v_fmac_f64_e32 v[92:93], v[88:89], v[80:81]
	s_wait_dscnt 0x0
	s_delay_alu instid0(VALU_DEP_1) | instskip(NEXT) | instid1(VALU_DEP_1)
	v_fmac_f64_e32 v[92:93], v[90:91], v[74:75]
	v_add_f64_e64 v[72:73], v[72:73], -v[92:93]
	scratch_store_b64 off, v[72:73], off offset:192
	s_wait_xcnt 0x0
	v_cmpx_lt_u32_e32 23, v0
	s_cbranch_execz .LBB97_167
; %bb.166:
	scratch_load_b64 v[72:73], off, off offset:184
	v_mov_b64_e32 v[74:75], 0
	scratch_store_b64 off, v[74:75], off offset:184
	s_wait_loadcnt 0x0
	ds_store_b64 v1, v[72:73]
.LBB97_167:
	s_wait_xcnt 0x0
	s_or_b32 exec_lo, exec_lo, s0
	s_wait_storecnt_dscnt 0x0
	s_barrier_signal -1
	s_barrier_wait -1
	s_clause 0x5
	scratch_load_b128 v[72:75], off, off offset:184
	scratch_load_b128 v[76:79], off, off offset:200
	;; [unrolled: 1-line block ×5, first 2 shown]
	scratch_load_b64 v[100:101], off, off offset:264
	ds_load_b128 v[92:95], v2 offset:464
	ds_load_b128 v[96:99], v2 offset:480
	s_mov_b32 s0, exec_lo
	s_wait_loadcnt_dscnt 0x501
	v_fma_f64 v[92:93], v[74:75], v[92:93], 0
	s_wait_loadcnt 0x4
	s_delay_alu instid0(VALU_DEP_1) | instskip(SKIP_1) | instid1(VALU_DEP_1)
	v_fmac_f64_e32 v[92:93], v[76:77], v[94:95]
	s_wait_dscnt 0x0
	v_fmac_f64_e32 v[92:93], v[78:79], v[96:97]
	s_wait_loadcnt 0x3
	s_delay_alu instid0(VALU_DEP_1)
	v_fmac_f64_e32 v[92:93], v[80:81], v[98:99]
	ds_load_b128 v[74:77], v2 offset:496
	ds_load_b128 v[78:81], v2 offset:512
	s_wait_dscnt 0x1
	v_fmac_f64_e32 v[92:93], v[82:83], v[74:75]
	s_wait_loadcnt 0x2
	s_delay_alu instid0(VALU_DEP_1) | instskip(SKIP_4) | instid1(VALU_DEP_1)
	v_fmac_f64_e32 v[92:93], v[84:85], v[76:77]
	ds_load_b128 v[74:77], v2 offset:528
	s_wait_dscnt 0x1
	v_fmac_f64_e32 v[92:93], v[86:87], v[78:79]
	s_wait_loadcnt 0x1
	v_fmac_f64_e32 v[92:93], v[88:89], v[80:81]
	s_wait_dscnt 0x0
	s_delay_alu instid0(VALU_DEP_1) | instskip(SKIP_1) | instid1(VALU_DEP_1)
	v_fmac_f64_e32 v[92:93], v[90:91], v[74:75]
	s_wait_loadcnt 0x0
	v_fmac_f64_e32 v[92:93], v[100:101], v[76:77]
	s_delay_alu instid0(VALU_DEP_1)
	v_add_f64_e64 v[2:3], v[72:73], -v[92:93]
	scratch_store_b64 off, v[2:3], off offset:184
	s_wait_xcnt 0x0
	v_cmpx_lt_u32_e32 22, v0
	s_cbranch_execz .LBB97_169
; %bb.168:
	scratch_load_b64 v[2:3], off, off offset:176
	v_mov_b64_e32 v[72:73], 0
	scratch_store_b64 off, v[72:73], off offset:176
	s_wait_loadcnt 0x0
	ds_store_b64 v1, v[2:3]
.LBB97_169:
	s_wait_xcnt 0x0
	s_or_b32 exec_lo, exec_lo, s0
	s_wait_storecnt_dscnt 0x0
	s_barrier_signal -1
	s_barrier_wait -1
	s_clause 0x5
	scratch_load_b128 v[72:75], off, off offset:176
	scratch_load_b128 v[76:79], off, off offset:192
	;; [unrolled: 1-line block ×6, first 2 shown]
	v_mov_b32_e32 v2, 0
	ds_load_2addr_b64 v[96:99], v2 offset0:57 offset1:58
	ds_load_2addr_b64 v[100:103], v2 offset0:59 offset1:60
	s_mov_b32 s0, exec_lo
	s_wait_loadcnt_dscnt 0x501
	v_fma_f64 v[96:97], v[74:75], v[96:97], 0
	s_wait_loadcnt 0x4
	s_delay_alu instid0(VALU_DEP_1) | instskip(SKIP_1) | instid1(VALU_DEP_1)
	v_fmac_f64_e32 v[96:97], v[76:77], v[98:99]
	s_wait_dscnt 0x0
	v_fmac_f64_e32 v[96:97], v[78:79], v[100:101]
	s_wait_loadcnt 0x3
	s_delay_alu instid0(VALU_DEP_1)
	v_fmac_f64_e32 v[96:97], v[80:81], v[102:103]
	ds_load_2addr_b64 v[74:77], v2 offset0:61 offset1:62
	ds_load_2addr_b64 v[78:81], v2 offset0:63 offset1:64
	s_wait_dscnt 0x1
	v_fmac_f64_e32 v[96:97], v[82:83], v[74:75]
	s_wait_loadcnt 0x2
	s_delay_alu instid0(VALU_DEP_1) | instskip(SKIP_1) | instid1(VALU_DEP_1)
	v_fmac_f64_e32 v[96:97], v[84:85], v[76:77]
	s_wait_dscnt 0x0
	v_fmac_f64_e32 v[96:97], v[86:87], v[78:79]
	ds_load_2addr_b64 v[74:77], v2 offset0:65 offset1:66
	ds_load_b64 v[78:79], v2 offset:536
	s_wait_loadcnt 0x1
	v_fmac_f64_e32 v[96:97], v[88:89], v[80:81]
	s_wait_dscnt 0x1
	s_delay_alu instid0(VALU_DEP_1) | instskip(SKIP_1) | instid1(VALU_DEP_1)
	v_fmac_f64_e32 v[96:97], v[90:91], v[74:75]
	s_wait_loadcnt 0x0
	v_fmac_f64_e32 v[96:97], v[92:93], v[76:77]
	s_wait_dscnt 0x0
	s_delay_alu instid0(VALU_DEP_1) | instskip(NEXT) | instid1(VALU_DEP_1)
	v_fmac_f64_e32 v[96:97], v[94:95], v[78:79]
	v_add_f64_e64 v[72:73], v[72:73], -v[96:97]
	scratch_store_b64 off, v[72:73], off offset:176
	s_wait_xcnt 0x0
	v_cmpx_lt_u32_e32 21, v0
	s_cbranch_execz .LBB97_171
; %bb.170:
	scratch_load_b64 v[72:73], off, off offset:168
	v_mov_b64_e32 v[74:75], 0
	scratch_store_b64 off, v[74:75], off offset:168
	s_wait_loadcnt 0x0
	ds_store_b64 v1, v[72:73]
.LBB97_171:
	s_wait_xcnt 0x0
	s_or_b32 exec_lo, exec_lo, s0
	s_wait_storecnt_dscnt 0x0
	s_barrier_signal -1
	s_barrier_wait -1
	s_clause 0x5
	scratch_load_b128 v[72:75], off, off offset:168
	scratch_load_b128 v[76:79], off, off offset:184
	;; [unrolled: 1-line block ×6, first 2 shown]
	ds_load_b128 v[96:99], v2 offset:448
	ds_load_b128 v[100:103], v2 offset:464
	s_mov_b32 s0, exec_lo
	s_wait_loadcnt_dscnt 0x501
	v_fma_f64 v[96:97], v[74:75], v[96:97], 0
	s_wait_loadcnt 0x4
	s_delay_alu instid0(VALU_DEP_1) | instskip(SKIP_4) | instid1(VALU_DEP_1)
	v_fmac_f64_e32 v[96:97], v[76:77], v[98:99]
	scratch_load_b64 v[98:99], off, off offset:264
	s_wait_dscnt 0x0
	v_fmac_f64_e32 v[96:97], v[78:79], v[100:101]
	s_wait_loadcnt 0x4
	v_fmac_f64_e32 v[96:97], v[80:81], v[102:103]
	ds_load_b128 v[74:77], v2 offset:480
	ds_load_b128 v[78:81], v2 offset:496
	s_wait_dscnt 0x1
	v_fmac_f64_e32 v[96:97], v[82:83], v[74:75]
	s_wait_loadcnt 0x3
	s_delay_alu instid0(VALU_DEP_1) | instskip(SKIP_1) | instid1(VALU_DEP_1)
	v_fmac_f64_e32 v[96:97], v[84:85], v[76:77]
	s_wait_dscnt 0x0
	v_fmac_f64_e32 v[96:97], v[86:87], v[78:79]
	s_wait_loadcnt 0x2
	s_delay_alu instid0(VALU_DEP_1)
	v_fmac_f64_e32 v[96:97], v[88:89], v[80:81]
	ds_load_b128 v[74:77], v2 offset:512
	ds_load_b128 v[78:81], v2 offset:528
	s_wait_dscnt 0x1
	v_fmac_f64_e32 v[96:97], v[90:91], v[74:75]
	s_wait_loadcnt 0x1
	s_delay_alu instid0(VALU_DEP_1) | instskip(SKIP_1) | instid1(VALU_DEP_1)
	v_fmac_f64_e32 v[96:97], v[92:93], v[76:77]
	s_wait_dscnt 0x0
	v_fmac_f64_e32 v[96:97], v[94:95], v[78:79]
	s_wait_loadcnt 0x0
	s_delay_alu instid0(VALU_DEP_1) | instskip(NEXT) | instid1(VALU_DEP_1)
	v_fmac_f64_e32 v[96:97], v[98:99], v[80:81]
	v_add_f64_e64 v[2:3], v[72:73], -v[96:97]
	scratch_store_b64 off, v[2:3], off offset:168
	s_wait_xcnt 0x0
	v_cmpx_lt_u32_e32 20, v0
	s_cbranch_execz .LBB97_173
; %bb.172:
	scratch_load_b64 v[2:3], off, off offset:160
	v_mov_b64_e32 v[72:73], 0
	scratch_store_b64 off, v[72:73], off offset:160
	s_wait_loadcnt 0x0
	ds_store_b64 v1, v[2:3]
.LBB97_173:
	s_wait_xcnt 0x0
	s_or_b32 exec_lo, exec_lo, s0
	s_wait_storecnt_dscnt 0x0
	s_barrier_signal -1
	s_barrier_wait -1
	s_clause 0x5
	scratch_load_b128 v[72:75], off, off offset:160
	scratch_load_b128 v[76:79], off, off offset:176
	;; [unrolled: 1-line block ×6, first 2 shown]
	v_mov_b32_e32 v2, 0
	ds_load_2addr_b64 v[96:99], v2 offset0:55 offset1:56
	ds_load_2addr_b64 v[100:103], v2 offset0:57 offset1:58
	s_mov_b32 s0, exec_lo
	s_wait_loadcnt_dscnt 0x501
	v_fma_f64 v[104:105], v[74:75], v[96:97], 0
	s_wait_loadcnt 0x4
	s_delay_alu instid0(VALU_DEP_1) | instskip(SKIP_4) | instid1(VALU_DEP_1)
	v_fmac_f64_e32 v[104:105], v[76:77], v[98:99]
	scratch_load_b128 v[74:77], off, off offset:256
	s_wait_dscnt 0x0
	v_fmac_f64_e32 v[104:105], v[78:79], v[100:101]
	s_wait_loadcnt 0x4
	v_fmac_f64_e32 v[104:105], v[80:81], v[102:103]
	ds_load_2addr_b64 v[78:81], v2 offset0:59 offset1:60
	ds_load_2addr_b64 v[96:99], v2 offset0:61 offset1:62
	s_wait_dscnt 0x1
	v_fmac_f64_e32 v[104:105], v[82:83], v[78:79]
	s_wait_loadcnt 0x3
	s_delay_alu instid0(VALU_DEP_1)
	v_fmac_f64_e32 v[104:105], v[84:85], v[80:81]
	ds_load_2addr_b64 v[78:81], v2 offset0:63 offset1:64
	ds_load_2addr_b64 v[82:85], v2 offset0:65 offset1:66
	s_wait_dscnt 0x2
	v_fmac_f64_e32 v[104:105], v[86:87], v[96:97]
	s_wait_loadcnt 0x2
	s_delay_alu instid0(VALU_DEP_1) | instskip(SKIP_1) | instid1(VALU_DEP_1)
	v_fmac_f64_e32 v[104:105], v[88:89], v[98:99]
	s_wait_dscnt 0x1
	v_fmac_f64_e32 v[104:105], v[90:91], v[78:79]
	s_wait_loadcnt 0x1
	s_delay_alu instid0(VALU_DEP_1) | instskip(SKIP_1) | instid1(VALU_DEP_1)
	v_fmac_f64_e32 v[104:105], v[92:93], v[80:81]
	s_wait_dscnt 0x0
	v_fmac_f64_e32 v[104:105], v[94:95], v[82:83]
	s_wait_loadcnt 0x0
	s_delay_alu instid0(VALU_DEP_1) | instskip(SKIP_3) | instid1(VALU_DEP_1)
	v_fmac_f64_e32 v[104:105], v[74:75], v[84:85]
	ds_load_b64 v[74:75], v2 offset:536
	s_wait_dscnt 0x0
	v_fmac_f64_e32 v[104:105], v[76:77], v[74:75]
	v_add_f64_e64 v[72:73], v[72:73], -v[104:105]
	scratch_store_b64 off, v[72:73], off offset:160
	s_wait_xcnt 0x0
	v_cmpx_lt_u32_e32 19, v0
	s_cbranch_execz .LBB97_175
; %bb.174:
	scratch_load_b64 v[72:73], off, off offset:152
	v_mov_b64_e32 v[74:75], 0
	scratch_store_b64 off, v[74:75], off offset:152
	s_wait_loadcnt 0x0
	ds_store_b64 v1, v[72:73]
.LBB97_175:
	s_wait_xcnt 0x0
	s_or_b32 exec_lo, exec_lo, s0
	s_wait_storecnt_dscnt 0x0
	s_barrier_signal -1
	s_barrier_wait -1
	s_clause 0x5
	scratch_load_b128 v[72:75], off, off offset:152
	scratch_load_b128 v[76:79], off, off offset:168
	;; [unrolled: 1-line block ×6, first 2 shown]
	ds_load_b128 v[96:99], v2 offset:432
	ds_load_b128 v[100:103], v2 offset:448
	s_mov_b32 s0, exec_lo
	s_wait_loadcnt_dscnt 0x501
	v_fma_f64 v[104:105], v[74:75], v[96:97], 0
	s_wait_loadcnt 0x4
	s_delay_alu instid0(VALU_DEP_1)
	v_fmac_f64_e32 v[104:105], v[76:77], v[98:99]
	scratch_load_b128 v[74:77], off, off offset:248
	s_wait_dscnt 0x0
	v_fmac_f64_e32 v[104:105], v[78:79], v[100:101]
	scratch_load_b64 v[100:101], off, off offset:264
	s_wait_loadcnt 0x5
	v_fmac_f64_e32 v[104:105], v[80:81], v[102:103]
	ds_load_b128 v[78:81], v2 offset:464
	ds_load_b128 v[96:99], v2 offset:480
	s_wait_dscnt 0x1
	v_fmac_f64_e32 v[104:105], v[82:83], v[78:79]
	s_wait_loadcnt 0x4
	s_delay_alu instid0(VALU_DEP_1)
	v_fmac_f64_e32 v[104:105], v[84:85], v[80:81]
	ds_load_b128 v[78:81], v2 offset:496
	ds_load_b128 v[82:85], v2 offset:512
	s_wait_dscnt 0x2
	v_fmac_f64_e32 v[104:105], v[86:87], v[96:97]
	s_wait_loadcnt 0x3
	s_delay_alu instid0(VALU_DEP_1) | instskip(SKIP_1) | instid1(VALU_DEP_1)
	v_fmac_f64_e32 v[104:105], v[88:89], v[98:99]
	s_wait_dscnt 0x1
	v_fmac_f64_e32 v[104:105], v[90:91], v[78:79]
	s_wait_loadcnt 0x2
	s_delay_alu instid0(VALU_DEP_1) | instskip(SKIP_4) | instid1(VALU_DEP_1)
	v_fmac_f64_e32 v[104:105], v[92:93], v[80:81]
	ds_load_b128 v[78:81], v2 offset:528
	s_wait_dscnt 0x1
	v_fmac_f64_e32 v[104:105], v[94:95], v[82:83]
	s_wait_loadcnt 0x1
	v_fmac_f64_e32 v[104:105], v[74:75], v[84:85]
	s_wait_dscnt 0x0
	s_delay_alu instid0(VALU_DEP_1) | instskip(SKIP_1) | instid1(VALU_DEP_1)
	v_fmac_f64_e32 v[104:105], v[76:77], v[78:79]
	s_wait_loadcnt 0x0
	v_fmac_f64_e32 v[104:105], v[100:101], v[80:81]
	s_delay_alu instid0(VALU_DEP_1)
	v_add_f64_e64 v[2:3], v[72:73], -v[104:105]
	scratch_store_b64 off, v[2:3], off offset:152
	s_wait_xcnt 0x0
	v_cmpx_lt_u32_e32 18, v0
	s_cbranch_execz .LBB97_177
; %bb.176:
	scratch_load_b64 v[2:3], off, off offset:144
	v_mov_b64_e32 v[72:73], 0
	scratch_store_b64 off, v[72:73], off offset:144
	s_wait_loadcnt 0x0
	ds_store_b64 v1, v[2:3]
.LBB97_177:
	s_wait_xcnt 0x0
	s_or_b32 exec_lo, exec_lo, s0
	s_wait_storecnt_dscnt 0x0
	s_barrier_signal -1
	s_barrier_wait -1
	s_clause 0x5
	scratch_load_b128 v[72:75], off, off offset:144
	scratch_load_b128 v[76:79], off, off offset:160
	;; [unrolled: 1-line block ×6, first 2 shown]
	v_mov_b32_e32 v2, 0
	ds_load_2addr_b64 v[96:99], v2 offset0:53 offset1:54
	ds_load_2addr_b64 v[100:103], v2 offset0:55 offset1:56
	s_mov_b32 s0, exec_lo
	s_wait_loadcnt_dscnt 0x501
	v_fma_f64 v[104:105], v[74:75], v[96:97], 0
	s_wait_loadcnt 0x4
	s_delay_alu instid0(VALU_DEP_1) | instskip(SKIP_4) | instid1(VALU_DEP_1)
	v_fmac_f64_e32 v[104:105], v[76:77], v[98:99]
	scratch_load_b128 v[74:77], off, off offset:240
	s_wait_dscnt 0x0
	v_fmac_f64_e32 v[104:105], v[78:79], v[100:101]
	s_wait_loadcnt 0x4
	v_fmac_f64_e32 v[104:105], v[80:81], v[102:103]
	scratch_load_b128 v[78:81], off, off offset:256
	ds_load_2addr_b64 v[96:99], v2 offset0:57 offset1:58
	ds_load_2addr_b64 v[100:103], v2 offset0:59 offset1:60
	s_wait_dscnt 0x1
	v_fmac_f64_e32 v[104:105], v[82:83], v[96:97]
	s_wait_loadcnt 0x4
	s_delay_alu instid0(VALU_DEP_1) | instskip(SKIP_1) | instid1(VALU_DEP_1)
	v_fmac_f64_e32 v[104:105], v[84:85], v[98:99]
	s_wait_dscnt 0x0
	v_fmac_f64_e32 v[104:105], v[86:87], v[100:101]
	s_wait_loadcnt 0x3
	s_delay_alu instid0(VALU_DEP_1)
	v_fmac_f64_e32 v[104:105], v[88:89], v[102:103]
	ds_load_2addr_b64 v[82:85], v2 offset0:61 offset1:62
	ds_load_2addr_b64 v[86:89], v2 offset0:63 offset1:64
	s_wait_dscnt 0x1
	v_fmac_f64_e32 v[104:105], v[90:91], v[82:83]
	s_wait_loadcnt 0x2
	s_delay_alu instid0(VALU_DEP_1) | instskip(SKIP_1) | instid1(VALU_DEP_1)
	v_fmac_f64_e32 v[104:105], v[92:93], v[84:85]
	s_wait_dscnt 0x0
	v_fmac_f64_e32 v[104:105], v[94:95], v[86:87]
	s_wait_loadcnt 0x1
	s_delay_alu instid0(VALU_DEP_1)
	v_fmac_f64_e32 v[104:105], v[74:75], v[88:89]
	ds_load_2addr_b64 v[82:85], v2 offset0:65 offset1:66
	ds_load_b64 v[74:75], v2 offset:536
	s_wait_dscnt 0x1
	v_fmac_f64_e32 v[104:105], v[76:77], v[82:83]
	s_wait_loadcnt 0x0
	s_delay_alu instid0(VALU_DEP_1) | instskip(SKIP_1) | instid1(VALU_DEP_1)
	v_fmac_f64_e32 v[104:105], v[78:79], v[84:85]
	s_wait_dscnt 0x0
	v_fmac_f64_e32 v[104:105], v[80:81], v[74:75]
	s_delay_alu instid0(VALU_DEP_1)
	v_add_f64_e64 v[72:73], v[72:73], -v[104:105]
	scratch_store_b64 off, v[72:73], off offset:144
	s_wait_xcnt 0x0
	v_cmpx_lt_u32_e32 17, v0
	s_cbranch_execz .LBB97_179
; %bb.178:
	scratch_load_b64 v[72:73], off, off offset:136
	v_mov_b64_e32 v[74:75], 0
	scratch_store_b64 off, v[74:75], off offset:136
	s_wait_loadcnt 0x0
	ds_store_b64 v1, v[72:73]
.LBB97_179:
	s_wait_xcnt 0x0
	s_or_b32 exec_lo, exec_lo, s0
	s_wait_storecnt_dscnt 0x0
	s_barrier_signal -1
	s_barrier_wait -1
	s_clause 0x5
	scratch_load_b128 v[72:75], off, off offset:136
	scratch_load_b128 v[76:79], off, off offset:152
	;; [unrolled: 1-line block ×6, first 2 shown]
	ds_load_b128 v[96:99], v2 offset:416
	ds_load_b128 v[100:103], v2 offset:432
	s_mov_b32 s0, exec_lo
	s_wait_loadcnt_dscnt 0x501
	v_fma_f64 v[104:105], v[74:75], v[96:97], 0
	s_wait_loadcnt 0x4
	s_delay_alu instid0(VALU_DEP_1) | instskip(SKIP_4) | instid1(VALU_DEP_1)
	v_fmac_f64_e32 v[104:105], v[76:77], v[98:99]
	scratch_load_b128 v[74:77], off, off offset:232
	s_wait_dscnt 0x0
	v_fmac_f64_e32 v[104:105], v[78:79], v[100:101]
	s_wait_loadcnt 0x4
	v_fmac_f64_e32 v[104:105], v[80:81], v[102:103]
	scratch_load_b128 v[78:81], off, off offset:248
	ds_load_b128 v[96:99], v2 offset:448
	ds_load_b128 v[100:103], v2 offset:464
	s_wait_dscnt 0x1
	v_fmac_f64_e32 v[104:105], v[82:83], v[96:97]
	scratch_load_b64 v[96:97], off, off offset:264
	s_wait_loadcnt 0x5
	v_fmac_f64_e32 v[104:105], v[84:85], v[98:99]
	s_wait_dscnt 0x0
	s_delay_alu instid0(VALU_DEP_1) | instskip(SKIP_1) | instid1(VALU_DEP_1)
	v_fmac_f64_e32 v[104:105], v[86:87], v[100:101]
	s_wait_loadcnt 0x4
	v_fmac_f64_e32 v[104:105], v[88:89], v[102:103]
	ds_load_b128 v[82:85], v2 offset:480
	ds_load_b128 v[86:89], v2 offset:496
	s_wait_dscnt 0x1
	v_fmac_f64_e32 v[104:105], v[90:91], v[82:83]
	s_wait_loadcnt 0x3
	s_delay_alu instid0(VALU_DEP_1) | instskip(SKIP_1) | instid1(VALU_DEP_1)
	v_fmac_f64_e32 v[104:105], v[92:93], v[84:85]
	s_wait_dscnt 0x0
	v_fmac_f64_e32 v[104:105], v[94:95], v[86:87]
	s_wait_loadcnt 0x2
	s_delay_alu instid0(VALU_DEP_1)
	v_fmac_f64_e32 v[104:105], v[74:75], v[88:89]
	ds_load_b128 v[82:85], v2 offset:512
	ds_load_b128 v[86:89], v2 offset:528
	s_wait_dscnt 0x1
	v_fmac_f64_e32 v[104:105], v[76:77], v[82:83]
	s_wait_loadcnt 0x1
	s_delay_alu instid0(VALU_DEP_1) | instskip(SKIP_1) | instid1(VALU_DEP_1)
	v_fmac_f64_e32 v[104:105], v[78:79], v[84:85]
	s_wait_dscnt 0x0
	v_fmac_f64_e32 v[104:105], v[80:81], v[86:87]
	s_wait_loadcnt 0x0
	s_delay_alu instid0(VALU_DEP_1) | instskip(NEXT) | instid1(VALU_DEP_1)
	v_fmac_f64_e32 v[104:105], v[96:97], v[88:89]
	v_add_f64_e64 v[2:3], v[72:73], -v[104:105]
	scratch_store_b64 off, v[2:3], off offset:136
	s_wait_xcnt 0x0
	v_cmpx_lt_u32_e32 16, v0
	s_cbranch_execz .LBB97_181
; %bb.180:
	scratch_load_b64 v[2:3], off, off offset:128
	v_mov_b64_e32 v[72:73], 0
	scratch_store_b64 off, v[72:73], off offset:128
	s_wait_loadcnt 0x0
	ds_store_b64 v1, v[2:3]
.LBB97_181:
	s_wait_xcnt 0x0
	s_or_b32 exec_lo, exec_lo, s0
	s_wait_storecnt_dscnt 0x0
	s_barrier_signal -1
	s_barrier_wait -1
	s_clause 0x5
	scratch_load_b128 v[72:75], off, off offset:128
	scratch_load_b128 v[76:79], off, off offset:144
	;; [unrolled: 1-line block ×6, first 2 shown]
	v_mov_b32_e32 v2, 0
	ds_load_2addr_b64 v[96:99], v2 offset0:51 offset1:52
	ds_load_2addr_b64 v[100:103], v2 offset0:53 offset1:54
	s_mov_b32 s0, exec_lo
	s_wait_loadcnt_dscnt 0x501
	v_fma_f64 v[104:105], v[74:75], v[96:97], 0
	s_wait_loadcnt 0x4
	s_delay_alu instid0(VALU_DEP_1) | instskip(SKIP_4) | instid1(VALU_DEP_1)
	v_fmac_f64_e32 v[104:105], v[76:77], v[98:99]
	scratch_load_b128 v[74:77], off, off offset:224
	s_wait_dscnt 0x0
	v_fmac_f64_e32 v[104:105], v[78:79], v[100:101]
	s_wait_loadcnt 0x4
	v_fmac_f64_e32 v[104:105], v[80:81], v[102:103]
	scratch_load_b128 v[78:81], off, off offset:240
	ds_load_2addr_b64 v[96:99], v2 offset0:55 offset1:56
	ds_load_2addr_b64 v[100:103], v2 offset0:57 offset1:58
	s_wait_dscnt 0x1
	v_fmac_f64_e32 v[104:105], v[82:83], v[96:97]
	s_wait_loadcnt 0x4
	s_delay_alu instid0(VALU_DEP_1) | instskip(SKIP_4) | instid1(VALU_DEP_1)
	v_fmac_f64_e32 v[104:105], v[84:85], v[98:99]
	scratch_load_b128 v[82:85], off, off offset:256
	s_wait_dscnt 0x0
	v_fmac_f64_e32 v[104:105], v[86:87], v[100:101]
	s_wait_loadcnt 0x4
	v_fmac_f64_e32 v[104:105], v[88:89], v[102:103]
	ds_load_2addr_b64 v[86:89], v2 offset0:59 offset1:60
	ds_load_2addr_b64 v[96:99], v2 offset0:61 offset1:62
	s_wait_dscnt 0x1
	v_fmac_f64_e32 v[104:105], v[90:91], v[86:87]
	s_wait_loadcnt 0x3
	s_delay_alu instid0(VALU_DEP_1)
	v_fmac_f64_e32 v[104:105], v[92:93], v[88:89]
	ds_load_2addr_b64 v[86:89], v2 offset0:63 offset1:64
	ds_load_2addr_b64 v[90:93], v2 offset0:65 offset1:66
	s_wait_dscnt 0x2
	v_fmac_f64_e32 v[104:105], v[94:95], v[96:97]
	s_wait_loadcnt 0x2
	s_delay_alu instid0(VALU_DEP_1) | instskip(SKIP_4) | instid1(VALU_DEP_1)
	v_fmac_f64_e32 v[104:105], v[74:75], v[98:99]
	ds_load_b64 v[74:75], v2 offset:536
	s_wait_dscnt 0x2
	v_fmac_f64_e32 v[104:105], v[76:77], v[86:87]
	s_wait_loadcnt 0x1
	v_fmac_f64_e32 v[104:105], v[78:79], v[88:89]
	s_wait_dscnt 0x1
	s_delay_alu instid0(VALU_DEP_1) | instskip(SKIP_1) | instid1(VALU_DEP_1)
	v_fmac_f64_e32 v[104:105], v[80:81], v[90:91]
	s_wait_loadcnt 0x0
	v_fmac_f64_e32 v[104:105], v[82:83], v[92:93]
	s_wait_dscnt 0x0
	s_delay_alu instid0(VALU_DEP_1) | instskip(NEXT) | instid1(VALU_DEP_1)
	v_fmac_f64_e32 v[104:105], v[84:85], v[74:75]
	v_add_f64_e64 v[72:73], v[72:73], -v[104:105]
	scratch_store_b64 off, v[72:73], off offset:128
	s_wait_xcnt 0x0
	v_cmpx_lt_u32_e32 15, v0
	s_cbranch_execz .LBB97_183
; %bb.182:
	scratch_load_b64 v[72:73], off, off offset:120
	v_mov_b64_e32 v[74:75], 0
	scratch_store_b64 off, v[74:75], off offset:120
	s_wait_loadcnt 0x0
	ds_store_b64 v1, v[72:73]
.LBB97_183:
	s_wait_xcnt 0x0
	s_or_b32 exec_lo, exec_lo, s0
	s_wait_storecnt_dscnt 0x0
	s_barrier_signal -1
	s_barrier_wait -1
	s_clause 0x5
	scratch_load_b128 v[72:75], off, off offset:120
	scratch_load_b128 v[76:79], off, off offset:136
	;; [unrolled: 1-line block ×6, first 2 shown]
	ds_load_b128 v[96:99], v2 offset:400
	ds_load_b128 v[100:103], v2 offset:416
	s_mov_b32 s0, exec_lo
	s_wait_loadcnt_dscnt 0x501
	v_fma_f64 v[104:105], v[74:75], v[96:97], 0
	s_wait_loadcnt 0x4
	s_delay_alu instid0(VALU_DEP_1) | instskip(SKIP_4) | instid1(VALU_DEP_1)
	v_fmac_f64_e32 v[104:105], v[76:77], v[98:99]
	scratch_load_b128 v[74:77], off, off offset:216
	s_wait_dscnt 0x0
	v_fmac_f64_e32 v[104:105], v[78:79], v[100:101]
	s_wait_loadcnt 0x4
	v_fmac_f64_e32 v[104:105], v[80:81], v[102:103]
	scratch_load_b128 v[78:81], off, off offset:232
	ds_load_b128 v[96:99], v2 offset:432
	ds_load_b128 v[100:103], v2 offset:448
	s_wait_dscnt 0x1
	v_fmac_f64_e32 v[104:105], v[82:83], v[96:97]
	s_wait_loadcnt 0x4
	s_delay_alu instid0(VALU_DEP_1)
	v_fmac_f64_e32 v[104:105], v[84:85], v[98:99]
	scratch_load_b128 v[82:85], off, off offset:248
	s_wait_dscnt 0x0
	v_fmac_f64_e32 v[104:105], v[86:87], v[100:101]
	scratch_load_b64 v[100:101], off, off offset:264
	s_wait_loadcnt 0x5
	v_fmac_f64_e32 v[104:105], v[88:89], v[102:103]
	ds_load_b128 v[86:89], v2 offset:464
	ds_load_b128 v[96:99], v2 offset:480
	s_wait_dscnt 0x1
	v_fmac_f64_e32 v[104:105], v[90:91], v[86:87]
	s_wait_loadcnt 0x4
	s_delay_alu instid0(VALU_DEP_1)
	v_fmac_f64_e32 v[104:105], v[92:93], v[88:89]
	ds_load_b128 v[86:89], v2 offset:496
	ds_load_b128 v[90:93], v2 offset:512
	s_wait_dscnt 0x2
	v_fmac_f64_e32 v[104:105], v[94:95], v[96:97]
	s_wait_loadcnt 0x3
	s_delay_alu instid0(VALU_DEP_1) | instskip(SKIP_1) | instid1(VALU_DEP_1)
	v_fmac_f64_e32 v[104:105], v[74:75], v[98:99]
	s_wait_dscnt 0x1
	v_fmac_f64_e32 v[104:105], v[76:77], v[86:87]
	ds_load_b128 v[74:77], v2 offset:528
	s_wait_loadcnt 0x2
	v_fmac_f64_e32 v[104:105], v[78:79], v[88:89]
	s_wait_dscnt 0x1
	s_delay_alu instid0(VALU_DEP_1) | instskip(SKIP_1) | instid1(VALU_DEP_1)
	v_fmac_f64_e32 v[104:105], v[80:81], v[90:91]
	s_wait_loadcnt 0x1
	v_fmac_f64_e32 v[104:105], v[82:83], v[92:93]
	s_wait_dscnt 0x0
	s_delay_alu instid0(VALU_DEP_1) | instskip(SKIP_1) | instid1(VALU_DEP_1)
	v_fmac_f64_e32 v[104:105], v[84:85], v[74:75]
	s_wait_loadcnt 0x0
	v_fmac_f64_e32 v[104:105], v[100:101], v[76:77]
	s_delay_alu instid0(VALU_DEP_1)
	v_add_f64_e64 v[2:3], v[72:73], -v[104:105]
	scratch_store_b64 off, v[2:3], off offset:120
	s_wait_xcnt 0x0
	v_cmpx_lt_u32_e32 14, v0
	s_cbranch_execz .LBB97_185
; %bb.184:
	scratch_load_b64 v[2:3], off, off offset:112
	v_mov_b64_e32 v[72:73], 0
	scratch_store_b64 off, v[72:73], off offset:112
	s_wait_loadcnt 0x0
	ds_store_b64 v1, v[2:3]
.LBB97_185:
	s_wait_xcnt 0x0
	s_or_b32 exec_lo, exec_lo, s0
	s_wait_storecnt_dscnt 0x0
	s_barrier_signal -1
	s_barrier_wait -1
	s_clause 0x5
	scratch_load_b128 v[72:75], off, off offset:112
	scratch_load_b128 v[76:79], off, off offset:128
	scratch_load_b128 v[80:83], off, off offset:144
	scratch_load_b128 v[84:87], off, off offset:160
	scratch_load_b128 v[88:91], off, off offset:176
	scratch_load_b128 v[92:95], off, off offset:192
	v_mov_b32_e32 v2, 0
	ds_load_2addr_b64 v[96:99], v2 offset0:49 offset1:50
	ds_load_2addr_b64 v[100:103], v2 offset0:51 offset1:52
	s_mov_b32 s0, exec_lo
	s_wait_loadcnt_dscnt 0x501
	v_fma_f64 v[104:105], v[74:75], v[96:97], 0
	s_wait_loadcnt 0x4
	s_delay_alu instid0(VALU_DEP_1) | instskip(SKIP_4) | instid1(VALU_DEP_1)
	v_fmac_f64_e32 v[104:105], v[76:77], v[98:99]
	scratch_load_b128 v[74:77], off, off offset:208
	s_wait_dscnt 0x0
	v_fmac_f64_e32 v[104:105], v[78:79], v[100:101]
	s_wait_loadcnt 0x4
	v_fmac_f64_e32 v[104:105], v[80:81], v[102:103]
	scratch_load_b128 v[78:81], off, off offset:224
	ds_load_2addr_b64 v[96:99], v2 offset0:53 offset1:54
	ds_load_2addr_b64 v[100:103], v2 offset0:55 offset1:56
	s_wait_dscnt 0x1
	v_fmac_f64_e32 v[104:105], v[82:83], v[96:97]
	s_wait_loadcnt 0x4
	s_delay_alu instid0(VALU_DEP_1) | instskip(SKIP_4) | instid1(VALU_DEP_1)
	v_fmac_f64_e32 v[104:105], v[84:85], v[98:99]
	scratch_load_b128 v[82:85], off, off offset:240
	s_wait_dscnt 0x0
	v_fmac_f64_e32 v[104:105], v[86:87], v[100:101]
	s_wait_loadcnt 0x4
	v_fmac_f64_e32 v[104:105], v[88:89], v[102:103]
	scratch_load_b128 v[86:89], off, off offset:256
	ds_load_2addr_b64 v[96:99], v2 offset0:57 offset1:58
	ds_load_2addr_b64 v[100:103], v2 offset0:59 offset1:60
	s_wait_dscnt 0x1
	v_fmac_f64_e32 v[104:105], v[90:91], v[96:97]
	s_wait_loadcnt 0x4
	s_delay_alu instid0(VALU_DEP_1) | instskip(SKIP_1) | instid1(VALU_DEP_1)
	v_fmac_f64_e32 v[104:105], v[92:93], v[98:99]
	s_wait_dscnt 0x0
	v_fmac_f64_e32 v[104:105], v[94:95], v[100:101]
	ds_load_2addr_b64 v[90:93], v2 offset0:61 offset1:62
	ds_load_2addr_b64 v[94:97], v2 offset0:63 offset1:64
	s_wait_loadcnt 0x3
	v_fmac_f64_e32 v[104:105], v[74:75], v[102:103]
	s_wait_dscnt 0x1
	s_delay_alu instid0(VALU_DEP_1) | instskip(SKIP_1) | instid1(VALU_DEP_1)
	v_fmac_f64_e32 v[104:105], v[76:77], v[90:91]
	s_wait_loadcnt 0x2
	v_fmac_f64_e32 v[104:105], v[78:79], v[92:93]
	ds_load_2addr_b64 v[74:77], v2 offset0:65 offset1:66
	ds_load_b64 v[78:79], v2 offset:536
	s_wait_dscnt 0x2
	v_fmac_f64_e32 v[104:105], v[80:81], v[94:95]
	s_wait_loadcnt 0x1
	s_delay_alu instid0(VALU_DEP_1) | instskip(SKIP_1) | instid1(VALU_DEP_1)
	v_fmac_f64_e32 v[104:105], v[82:83], v[96:97]
	s_wait_dscnt 0x1
	v_fmac_f64_e32 v[104:105], v[84:85], v[74:75]
	s_wait_loadcnt 0x0
	s_delay_alu instid0(VALU_DEP_1) | instskip(SKIP_1) | instid1(VALU_DEP_1)
	v_fmac_f64_e32 v[104:105], v[86:87], v[76:77]
	s_wait_dscnt 0x0
	v_fmac_f64_e32 v[104:105], v[88:89], v[78:79]
	s_delay_alu instid0(VALU_DEP_1)
	v_add_f64_e64 v[72:73], v[72:73], -v[104:105]
	scratch_store_b64 off, v[72:73], off offset:112
	s_wait_xcnt 0x0
	v_cmpx_lt_u32_e32 13, v0
	s_cbranch_execz .LBB97_187
; %bb.186:
	scratch_load_b64 v[72:73], off, off offset:104
	v_mov_b64_e32 v[74:75], 0
	scratch_store_b64 off, v[74:75], off offset:104
	s_wait_loadcnt 0x0
	ds_store_b64 v1, v[72:73]
.LBB97_187:
	s_wait_xcnt 0x0
	s_or_b32 exec_lo, exec_lo, s0
	s_wait_storecnt_dscnt 0x0
	s_barrier_signal -1
	s_barrier_wait -1
	s_clause 0x5
	scratch_load_b128 v[72:75], off, off offset:104
	scratch_load_b128 v[76:79], off, off offset:120
	;; [unrolled: 1-line block ×6, first 2 shown]
	ds_load_b128 v[96:99], v2 offset:384
	ds_load_b128 v[100:103], v2 offset:400
	s_mov_b32 s0, exec_lo
	s_wait_loadcnt_dscnt 0x501
	v_fma_f64 v[104:105], v[74:75], v[96:97], 0
	s_wait_loadcnt 0x4
	s_delay_alu instid0(VALU_DEP_1) | instskip(SKIP_4) | instid1(VALU_DEP_1)
	v_fmac_f64_e32 v[104:105], v[76:77], v[98:99]
	scratch_load_b128 v[74:77], off, off offset:200
	s_wait_dscnt 0x0
	v_fmac_f64_e32 v[104:105], v[78:79], v[100:101]
	s_wait_loadcnt 0x4
	v_fmac_f64_e32 v[104:105], v[80:81], v[102:103]
	scratch_load_b128 v[78:81], off, off offset:216
	ds_load_b128 v[96:99], v2 offset:416
	ds_load_b128 v[100:103], v2 offset:432
	s_wait_dscnt 0x1
	v_fmac_f64_e32 v[104:105], v[82:83], v[96:97]
	s_wait_loadcnt 0x4
	s_delay_alu instid0(VALU_DEP_1) | instskip(SKIP_4) | instid1(VALU_DEP_1)
	v_fmac_f64_e32 v[104:105], v[84:85], v[98:99]
	scratch_load_b128 v[82:85], off, off offset:232
	s_wait_dscnt 0x0
	v_fmac_f64_e32 v[104:105], v[86:87], v[100:101]
	s_wait_loadcnt 0x4
	v_fmac_f64_e32 v[104:105], v[88:89], v[102:103]
	scratch_load_b128 v[86:89], off, off offset:248
	ds_load_b128 v[96:99], v2 offset:448
	ds_load_b128 v[100:103], v2 offset:464
	s_wait_dscnt 0x1
	v_fmac_f64_e32 v[104:105], v[90:91], v[96:97]
	s_wait_loadcnt 0x4
	s_delay_alu instid0(VALU_DEP_1)
	v_fmac_f64_e32 v[104:105], v[92:93], v[98:99]
	scratch_load_b64 v[98:99], off, off offset:264
	s_wait_dscnt 0x0
	v_fmac_f64_e32 v[104:105], v[94:95], v[100:101]
	ds_load_b128 v[90:93], v2 offset:480
	ds_load_b128 v[94:97], v2 offset:496
	s_wait_loadcnt 0x4
	v_fmac_f64_e32 v[104:105], v[74:75], v[102:103]
	s_wait_dscnt 0x1
	s_delay_alu instid0(VALU_DEP_1) | instskip(SKIP_1) | instid1(VALU_DEP_1)
	v_fmac_f64_e32 v[104:105], v[76:77], v[90:91]
	s_wait_loadcnt 0x3
	v_fmac_f64_e32 v[104:105], v[78:79], v[92:93]
	s_wait_dscnt 0x0
	s_delay_alu instid0(VALU_DEP_1)
	v_fmac_f64_e32 v[104:105], v[80:81], v[94:95]
	ds_load_b128 v[74:77], v2 offset:512
	ds_load_b128 v[78:81], v2 offset:528
	s_wait_loadcnt 0x2
	v_fmac_f64_e32 v[104:105], v[82:83], v[96:97]
	s_wait_dscnt 0x1
	s_delay_alu instid0(VALU_DEP_1) | instskip(SKIP_1) | instid1(VALU_DEP_1)
	v_fmac_f64_e32 v[104:105], v[84:85], v[74:75]
	s_wait_loadcnt 0x1
	v_fmac_f64_e32 v[104:105], v[86:87], v[76:77]
	s_wait_dscnt 0x0
	s_delay_alu instid0(VALU_DEP_1) | instskip(SKIP_1) | instid1(VALU_DEP_1)
	v_fmac_f64_e32 v[104:105], v[88:89], v[78:79]
	s_wait_loadcnt 0x0
	v_fmac_f64_e32 v[104:105], v[98:99], v[80:81]
	s_delay_alu instid0(VALU_DEP_1)
	v_add_f64_e64 v[2:3], v[72:73], -v[104:105]
	scratch_store_b64 off, v[2:3], off offset:104
	s_wait_xcnt 0x0
	v_cmpx_lt_u32_e32 12, v0
	s_cbranch_execz .LBB97_189
; %bb.188:
	scratch_load_b64 v[2:3], off, off offset:96
	v_mov_b64_e32 v[72:73], 0
	scratch_store_b64 off, v[72:73], off offset:96
	s_wait_loadcnt 0x0
	ds_store_b64 v1, v[2:3]
.LBB97_189:
	s_wait_xcnt 0x0
	s_or_b32 exec_lo, exec_lo, s0
	s_wait_storecnt_dscnt 0x0
	s_barrier_signal -1
	s_barrier_wait -1
	s_clause 0x5
	scratch_load_b128 v[72:75], off, off offset:96
	scratch_load_b128 v[76:79], off, off offset:112
	;; [unrolled: 1-line block ×6, first 2 shown]
	v_mov_b32_e32 v2, 0
	ds_load_2addr_b64 v[96:99], v2 offset0:47 offset1:48
	ds_load_2addr_b64 v[100:103], v2 offset0:49 offset1:50
	s_mov_b32 s0, exec_lo
	s_wait_loadcnt_dscnt 0x501
	v_fma_f64 v[104:105], v[74:75], v[96:97], 0
	s_wait_loadcnt 0x4
	s_delay_alu instid0(VALU_DEP_1) | instskip(SKIP_4) | instid1(VALU_DEP_1)
	v_fmac_f64_e32 v[104:105], v[76:77], v[98:99]
	scratch_load_b128 v[74:77], off, off offset:192
	s_wait_dscnt 0x0
	v_fmac_f64_e32 v[104:105], v[78:79], v[100:101]
	s_wait_loadcnt 0x4
	v_fmac_f64_e32 v[104:105], v[80:81], v[102:103]
	scratch_load_b128 v[78:81], off, off offset:208
	ds_load_2addr_b64 v[96:99], v2 offset0:51 offset1:52
	ds_load_2addr_b64 v[100:103], v2 offset0:53 offset1:54
	s_wait_dscnt 0x1
	v_fmac_f64_e32 v[104:105], v[82:83], v[96:97]
	s_wait_loadcnt 0x4
	s_delay_alu instid0(VALU_DEP_1) | instskip(SKIP_4) | instid1(VALU_DEP_1)
	v_fmac_f64_e32 v[104:105], v[84:85], v[98:99]
	scratch_load_b128 v[82:85], off, off offset:224
	s_wait_dscnt 0x0
	v_fmac_f64_e32 v[104:105], v[86:87], v[100:101]
	s_wait_loadcnt 0x4
	v_fmac_f64_e32 v[104:105], v[88:89], v[102:103]
	scratch_load_b128 v[86:89], off, off offset:240
	ds_load_2addr_b64 v[96:99], v2 offset0:55 offset1:56
	ds_load_2addr_b64 v[100:103], v2 offset0:57 offset1:58
	s_wait_dscnt 0x1
	v_fmac_f64_e32 v[104:105], v[90:91], v[96:97]
	s_wait_loadcnt 0x4
	s_delay_alu instid0(VALU_DEP_1)
	v_fmac_f64_e32 v[104:105], v[92:93], v[98:99]
	scratch_load_b128 v[90:93], off, off offset:256
	s_wait_dscnt 0x0
	v_fmac_f64_e32 v[104:105], v[94:95], v[100:101]
	ds_load_2addr_b64 v[94:97], v2 offset0:59 offset1:60
	ds_load_2addr_b64 v[98:101], v2 offset0:61 offset1:62
	s_wait_loadcnt 0x4
	v_fmac_f64_e32 v[104:105], v[74:75], v[102:103]
	s_wait_dscnt 0x1
	s_delay_alu instid0(VALU_DEP_1) | instskip(SKIP_1) | instid1(VALU_DEP_1)
	v_fmac_f64_e32 v[104:105], v[76:77], v[94:95]
	s_wait_loadcnt 0x3
	v_fmac_f64_e32 v[104:105], v[78:79], v[96:97]
	s_wait_dscnt 0x0
	s_delay_alu instid0(VALU_DEP_1)
	v_fmac_f64_e32 v[104:105], v[80:81], v[98:99]
	ds_load_2addr_b64 v[74:77], v2 offset0:63 offset1:64
	ds_load_2addr_b64 v[78:81], v2 offset0:65 offset1:66
	s_wait_loadcnt 0x2
	v_fmac_f64_e32 v[104:105], v[82:83], v[100:101]
	s_wait_dscnt 0x1
	s_delay_alu instid0(VALU_DEP_1) | instskip(SKIP_4) | instid1(VALU_DEP_1)
	v_fmac_f64_e32 v[104:105], v[84:85], v[74:75]
	ds_load_b64 v[74:75], v2 offset:536
	s_wait_loadcnt 0x1
	v_fmac_f64_e32 v[104:105], v[86:87], v[76:77]
	s_wait_dscnt 0x1
	v_fmac_f64_e32 v[104:105], v[88:89], v[78:79]
	s_wait_loadcnt 0x0
	s_delay_alu instid0(VALU_DEP_1) | instskip(SKIP_1) | instid1(VALU_DEP_1)
	v_fmac_f64_e32 v[104:105], v[90:91], v[80:81]
	s_wait_dscnt 0x0
	v_fmac_f64_e32 v[104:105], v[92:93], v[74:75]
	s_delay_alu instid0(VALU_DEP_1)
	v_add_f64_e64 v[72:73], v[72:73], -v[104:105]
	scratch_store_b64 off, v[72:73], off offset:96
	s_wait_xcnt 0x0
	v_cmpx_lt_u32_e32 11, v0
	s_cbranch_execz .LBB97_191
; %bb.190:
	scratch_load_b64 v[72:73], off, off offset:88
	v_mov_b64_e32 v[74:75], 0
	scratch_store_b64 off, v[74:75], off offset:88
	s_wait_loadcnt 0x0
	ds_store_b64 v1, v[72:73]
.LBB97_191:
	s_wait_xcnt 0x0
	s_or_b32 exec_lo, exec_lo, s0
	s_wait_storecnt_dscnt 0x0
	s_barrier_signal -1
	s_barrier_wait -1
	s_clause 0x5
	scratch_load_b128 v[72:75], off, off offset:88
	scratch_load_b128 v[76:79], off, off offset:104
	;; [unrolled: 1-line block ×6, first 2 shown]
	ds_load_b128 v[96:99], v2 offset:368
	ds_load_b128 v[100:103], v2 offset:384
	scratch_load_b128 v[104:107], off, off offset:184
	s_mov_b32 s0, exec_lo
	s_wait_loadcnt_dscnt 0x601
	v_fma_f64 v[108:109], v[74:75], v[96:97], 0
	s_wait_loadcnt 0x5
	s_delay_alu instid0(VALU_DEP_1) | instskip(SKIP_4) | instid1(VALU_DEP_1)
	v_fmac_f64_e32 v[108:109], v[76:77], v[98:99]
	scratch_load_b128 v[74:77], off, off offset:200
	s_wait_dscnt 0x0
	v_fmac_f64_e32 v[108:109], v[78:79], v[100:101]
	s_wait_loadcnt 0x5
	v_fmac_f64_e32 v[108:109], v[80:81], v[102:103]
	ds_load_b128 v[78:81], v2 offset:400
	ds_load_b128 v[96:99], v2 offset:416
	s_wait_dscnt 0x1
	v_fmac_f64_e32 v[108:109], v[82:83], v[78:79]
	s_wait_loadcnt 0x4
	s_delay_alu instid0(VALU_DEP_1)
	v_fmac_f64_e32 v[108:109], v[84:85], v[80:81]
	s_clause 0x1
	scratch_load_b128 v[78:81], off, off offset:216
	scratch_load_b128 v[82:85], off, off offset:232
	s_wait_dscnt 0x0
	v_fmac_f64_e32 v[108:109], v[86:87], v[96:97]
	s_wait_loadcnt 0x5
	s_delay_alu instid0(VALU_DEP_1)
	v_fmac_f64_e32 v[108:109], v[88:89], v[98:99]
	ds_load_b128 v[86:89], v2 offset:432
	ds_load_b128 v[96:99], v2 offset:448
	s_wait_dscnt 0x1
	v_fmac_f64_e32 v[108:109], v[90:91], v[86:87]
	s_wait_loadcnt 0x4
	s_delay_alu instid0(VALU_DEP_1) | instskip(SKIP_4) | instid1(VALU_DEP_1)
	v_fmac_f64_e32 v[108:109], v[92:93], v[88:89]
	scratch_load_b128 v[86:89], off, off offset:248
	s_wait_dscnt 0x0
	v_fmac_f64_e32 v[108:109], v[94:95], v[96:97]
	s_wait_loadcnt 0x4
	v_fmac_f64_e32 v[108:109], v[104:105], v[98:99]
	scratch_load_b64 v[98:99], off, off offset:264
	ds_load_b128 v[90:93], v2 offset:464
	ds_load_b128 v[94:97], v2 offset:480
	s_wait_dscnt 0x1
	v_fmac_f64_e32 v[108:109], v[106:107], v[90:91]
	s_wait_loadcnt 0x4
	s_delay_alu instid0(VALU_DEP_1) | instskip(SKIP_1) | instid1(VALU_DEP_1)
	v_fmac_f64_e32 v[108:109], v[74:75], v[92:93]
	s_wait_dscnt 0x0
	v_fmac_f64_e32 v[108:109], v[76:77], v[94:95]
	ds_load_b128 v[74:77], v2 offset:496
	ds_load_b128 v[90:93], v2 offset:512
	s_wait_loadcnt 0x3
	v_fmac_f64_e32 v[108:109], v[78:79], v[96:97]
	s_wait_dscnt 0x1
	s_delay_alu instid0(VALU_DEP_1) | instskip(SKIP_1) | instid1(VALU_DEP_1)
	v_fmac_f64_e32 v[108:109], v[80:81], v[74:75]
	s_wait_loadcnt 0x2
	v_fmac_f64_e32 v[108:109], v[82:83], v[76:77]
	ds_load_b128 v[74:77], v2 offset:528
	s_wait_dscnt 0x1
	v_fmac_f64_e32 v[108:109], v[84:85], v[90:91]
	s_wait_loadcnt 0x1
	s_delay_alu instid0(VALU_DEP_1) | instskip(SKIP_1) | instid1(VALU_DEP_1)
	v_fmac_f64_e32 v[108:109], v[86:87], v[92:93]
	s_wait_dscnt 0x0
	v_fmac_f64_e32 v[108:109], v[88:89], v[74:75]
	s_wait_loadcnt 0x0
	s_delay_alu instid0(VALU_DEP_1) | instskip(NEXT) | instid1(VALU_DEP_1)
	v_fmac_f64_e32 v[108:109], v[98:99], v[76:77]
	v_add_f64_e64 v[2:3], v[72:73], -v[108:109]
	scratch_store_b64 off, v[2:3], off offset:88
	s_wait_xcnt 0x0
	v_cmpx_lt_u32_e32 10, v0
	s_cbranch_execz .LBB97_193
; %bb.192:
	scratch_load_b64 v[2:3], off, off offset:80
	v_mov_b64_e32 v[72:73], 0
	scratch_store_b64 off, v[72:73], off offset:80
	s_wait_loadcnt 0x0
	ds_store_b64 v1, v[2:3]
.LBB97_193:
	s_wait_xcnt 0x0
	s_or_b32 exec_lo, exec_lo, s0
	s_wait_storecnt_dscnt 0x0
	s_barrier_signal -1
	s_barrier_wait -1
	s_clause 0x5
	scratch_load_b128 v[72:75], off, off offset:80
	scratch_load_b128 v[76:79], off, off offset:96
	;; [unrolled: 1-line block ×6, first 2 shown]
	v_mov_b32_e32 v2, 0
	ds_load_2addr_b64 v[96:99], v2 offset0:45 offset1:46
	ds_load_2addr_b64 v[100:103], v2 offset0:47 offset1:48
	scratch_load_b128 v[104:107], off, off offset:176
	s_mov_b32 s0, exec_lo
	s_wait_loadcnt_dscnt 0x601
	v_fma_f64 v[108:109], v[74:75], v[96:97], 0
	s_wait_loadcnt 0x5
	s_delay_alu instid0(VALU_DEP_1) | instskip(SKIP_4) | instid1(VALU_DEP_1)
	v_fmac_f64_e32 v[108:109], v[76:77], v[98:99]
	scratch_load_b128 v[74:77], off, off offset:192
	s_wait_dscnt 0x0
	v_fmac_f64_e32 v[108:109], v[78:79], v[100:101]
	s_wait_loadcnt 0x5
	v_fmac_f64_e32 v[108:109], v[80:81], v[102:103]
	ds_load_2addr_b64 v[78:81], v2 offset0:49 offset1:50
	ds_load_2addr_b64 v[96:99], v2 offset0:51 offset1:52
	s_wait_dscnt 0x1
	v_fmac_f64_e32 v[108:109], v[82:83], v[78:79]
	s_wait_loadcnt 0x4
	s_delay_alu instid0(VALU_DEP_1)
	v_fmac_f64_e32 v[108:109], v[84:85], v[80:81]
	s_clause 0x1
	scratch_load_b128 v[78:81], off, off offset:208
	scratch_load_b128 v[82:85], off, off offset:224
	s_wait_dscnt 0x0
	v_fmac_f64_e32 v[108:109], v[86:87], v[96:97]
	s_wait_loadcnt 0x5
	s_delay_alu instid0(VALU_DEP_1)
	v_fmac_f64_e32 v[108:109], v[88:89], v[98:99]
	ds_load_2addr_b64 v[86:89], v2 offset0:53 offset1:54
	ds_load_2addr_b64 v[96:99], v2 offset0:55 offset1:56
	s_wait_dscnt 0x1
	v_fmac_f64_e32 v[108:109], v[90:91], v[86:87]
	s_wait_loadcnt 0x4
	s_delay_alu instid0(VALU_DEP_1)
	v_fmac_f64_e32 v[108:109], v[92:93], v[88:89]
	s_clause 0x1
	scratch_load_b128 v[86:89], off, off offset:240
	scratch_load_b128 v[90:93], off, off offset:256
	s_wait_dscnt 0x0
	v_fmac_f64_e32 v[108:109], v[94:95], v[96:97]
	s_wait_loadcnt 0x5
	s_delay_alu instid0(VALU_DEP_1)
	v_fmac_f64_e32 v[108:109], v[104:105], v[98:99]
	ds_load_2addr_b64 v[94:97], v2 offset0:57 offset1:58
	ds_load_2addr_b64 v[98:101], v2 offset0:59 offset1:60
	s_wait_dscnt 0x1
	v_fmac_f64_e32 v[108:109], v[106:107], v[94:95]
	s_wait_loadcnt 0x4
	s_delay_alu instid0(VALU_DEP_1) | instskip(SKIP_1) | instid1(VALU_DEP_1)
	v_fmac_f64_e32 v[108:109], v[74:75], v[96:97]
	s_wait_dscnt 0x0
	v_fmac_f64_e32 v[108:109], v[76:77], v[98:99]
	ds_load_2addr_b64 v[74:77], v2 offset0:61 offset1:62
	ds_load_2addr_b64 v[94:97], v2 offset0:63 offset1:64
	s_wait_loadcnt 0x3
	v_fmac_f64_e32 v[108:109], v[78:79], v[100:101]
	s_wait_dscnt 0x1
	s_delay_alu instid0(VALU_DEP_1) | instskip(SKIP_1) | instid1(VALU_DEP_1)
	v_fmac_f64_e32 v[108:109], v[80:81], v[74:75]
	s_wait_loadcnt 0x2
	v_fmac_f64_e32 v[108:109], v[82:83], v[76:77]
	ds_load_2addr_b64 v[74:77], v2 offset0:65 offset1:66
	ds_load_b64 v[78:79], v2 offset:536
	s_wait_dscnt 0x2
	v_fmac_f64_e32 v[108:109], v[84:85], v[94:95]
	s_wait_loadcnt 0x1
	s_delay_alu instid0(VALU_DEP_1) | instskip(SKIP_1) | instid1(VALU_DEP_1)
	v_fmac_f64_e32 v[108:109], v[86:87], v[96:97]
	s_wait_dscnt 0x1
	v_fmac_f64_e32 v[108:109], v[88:89], v[74:75]
	s_wait_loadcnt 0x0
	s_delay_alu instid0(VALU_DEP_1) | instskip(SKIP_1) | instid1(VALU_DEP_1)
	v_fmac_f64_e32 v[108:109], v[90:91], v[76:77]
	s_wait_dscnt 0x0
	v_fmac_f64_e32 v[108:109], v[92:93], v[78:79]
	s_delay_alu instid0(VALU_DEP_1)
	v_add_f64_e64 v[72:73], v[72:73], -v[108:109]
	scratch_store_b64 off, v[72:73], off offset:80
	s_wait_xcnt 0x0
	v_cmpx_lt_u32_e32 9, v0
	s_cbranch_execz .LBB97_195
; %bb.194:
	scratch_load_b64 v[72:73], off, off offset:72
	v_mov_b64_e32 v[74:75], 0
	scratch_store_b64 off, v[74:75], off offset:72
	s_wait_loadcnt 0x0
	ds_store_b64 v1, v[72:73]
.LBB97_195:
	s_wait_xcnt 0x0
	s_or_b32 exec_lo, exec_lo, s0
	s_wait_storecnt_dscnt 0x0
	s_barrier_signal -1
	s_barrier_wait -1
	s_clause 0x5
	scratch_load_b128 v[72:75], off, off offset:72
	scratch_load_b128 v[76:79], off, off offset:88
	;; [unrolled: 1-line block ×6, first 2 shown]
	ds_load_b128 v[96:99], v2 offset:352
	ds_load_b128 v[100:103], v2 offset:368
	scratch_load_b128 v[104:107], off, off offset:168
	s_mov_b32 s0, exec_lo
	s_wait_loadcnt_dscnt 0x601
	v_fma_f64 v[108:109], v[74:75], v[96:97], 0
	s_wait_loadcnt 0x5
	s_delay_alu instid0(VALU_DEP_1) | instskip(SKIP_4) | instid1(VALU_DEP_1)
	v_fmac_f64_e32 v[108:109], v[76:77], v[98:99]
	scratch_load_b128 v[74:77], off, off offset:184
	s_wait_dscnt 0x0
	v_fmac_f64_e32 v[108:109], v[78:79], v[100:101]
	s_wait_loadcnt 0x5
	v_fmac_f64_e32 v[108:109], v[80:81], v[102:103]
	ds_load_b128 v[78:81], v2 offset:384
	ds_load_b128 v[96:99], v2 offset:400
	s_wait_dscnt 0x1
	v_fmac_f64_e32 v[108:109], v[82:83], v[78:79]
	s_wait_loadcnt 0x4
	s_delay_alu instid0(VALU_DEP_1)
	v_fmac_f64_e32 v[108:109], v[84:85], v[80:81]
	s_clause 0x1
	scratch_load_b128 v[78:81], off, off offset:200
	scratch_load_b128 v[82:85], off, off offset:216
	s_wait_dscnt 0x0
	v_fmac_f64_e32 v[108:109], v[86:87], v[96:97]
	s_wait_loadcnt 0x5
	s_delay_alu instid0(VALU_DEP_1)
	v_fmac_f64_e32 v[108:109], v[88:89], v[98:99]
	ds_load_b128 v[86:89], v2 offset:416
	ds_load_b128 v[96:99], v2 offset:432
	s_wait_dscnt 0x1
	v_fmac_f64_e32 v[108:109], v[90:91], v[86:87]
	s_wait_loadcnt 0x4
	s_delay_alu instid0(VALU_DEP_1)
	v_fmac_f64_e32 v[108:109], v[92:93], v[88:89]
	s_clause 0x1
	scratch_load_b128 v[86:89], off, off offset:232
	scratch_load_b128 v[90:93], off, off offset:248
	s_wait_dscnt 0x0
	v_fmac_f64_e32 v[108:109], v[94:95], v[96:97]
	s_wait_loadcnt 0x5
	s_delay_alu instid0(VALU_DEP_1)
	v_fmac_f64_e32 v[108:109], v[104:105], v[98:99]
	ds_load_b128 v[94:97], v2 offset:448
	ds_load_b128 v[98:101], v2 offset:464
	scratch_load_b64 v[102:103], off, off offset:264
	s_wait_dscnt 0x1
	v_fmac_f64_e32 v[108:109], v[106:107], v[94:95]
	s_wait_loadcnt 0x5
	s_delay_alu instid0(VALU_DEP_1) | instskip(SKIP_1) | instid1(VALU_DEP_1)
	v_fmac_f64_e32 v[108:109], v[74:75], v[96:97]
	s_wait_dscnt 0x0
	v_fmac_f64_e32 v[108:109], v[76:77], v[98:99]
	ds_load_b128 v[74:77], v2 offset:480
	ds_load_b128 v[94:97], v2 offset:496
	s_wait_loadcnt 0x4
	v_fmac_f64_e32 v[108:109], v[78:79], v[100:101]
	s_wait_dscnt 0x1
	s_delay_alu instid0(VALU_DEP_1) | instskip(SKIP_1) | instid1(VALU_DEP_1)
	v_fmac_f64_e32 v[108:109], v[80:81], v[74:75]
	s_wait_loadcnt 0x3
	v_fmac_f64_e32 v[108:109], v[82:83], v[76:77]
	ds_load_b128 v[74:77], v2 offset:512
	ds_load_b128 v[78:81], v2 offset:528
	s_wait_dscnt 0x2
	v_fmac_f64_e32 v[108:109], v[84:85], v[94:95]
	s_wait_loadcnt 0x2
	s_delay_alu instid0(VALU_DEP_1) | instskip(SKIP_1) | instid1(VALU_DEP_1)
	v_fmac_f64_e32 v[108:109], v[86:87], v[96:97]
	s_wait_dscnt 0x1
	v_fmac_f64_e32 v[108:109], v[88:89], v[74:75]
	s_wait_loadcnt 0x1
	s_delay_alu instid0(VALU_DEP_1) | instskip(SKIP_1) | instid1(VALU_DEP_1)
	v_fmac_f64_e32 v[108:109], v[90:91], v[76:77]
	s_wait_dscnt 0x0
	v_fmac_f64_e32 v[108:109], v[92:93], v[78:79]
	s_wait_loadcnt 0x0
	s_delay_alu instid0(VALU_DEP_1) | instskip(NEXT) | instid1(VALU_DEP_1)
	v_fmac_f64_e32 v[108:109], v[102:103], v[80:81]
	v_add_f64_e64 v[2:3], v[72:73], -v[108:109]
	scratch_store_b64 off, v[2:3], off offset:72
	s_wait_xcnt 0x0
	v_cmpx_lt_u32_e32 8, v0
	s_cbranch_execz .LBB97_197
; %bb.196:
	scratch_load_b64 v[2:3], off, off offset:64
	v_mov_b64_e32 v[72:73], 0
	scratch_store_b64 off, v[72:73], off offset:64
	s_wait_loadcnt 0x0
	ds_store_b64 v1, v[2:3]
.LBB97_197:
	s_wait_xcnt 0x0
	s_or_b32 exec_lo, exec_lo, s0
	s_wait_storecnt_dscnt 0x0
	s_barrier_signal -1
	s_barrier_wait -1
	s_clause 0x5
	scratch_load_b128 v[72:75], off, off offset:64
	scratch_load_b128 v[76:79], off, off offset:80
	;; [unrolled: 1-line block ×6, first 2 shown]
	v_mov_b32_e32 v2, 0
	ds_load_2addr_b64 v[96:99], v2 offset0:43 offset1:44
	ds_load_2addr_b64 v[100:103], v2 offset0:45 offset1:46
	scratch_load_b128 v[104:107], off, off offset:160
	s_mov_b32 s0, exec_lo
	s_wait_loadcnt_dscnt 0x601
	v_fma_f64 v[108:109], v[74:75], v[96:97], 0
	s_wait_loadcnt 0x5
	s_delay_alu instid0(VALU_DEP_1) | instskip(SKIP_4) | instid1(VALU_DEP_1)
	v_fmac_f64_e32 v[108:109], v[76:77], v[98:99]
	scratch_load_b128 v[74:77], off, off offset:176
	s_wait_dscnt 0x0
	v_fmac_f64_e32 v[108:109], v[78:79], v[100:101]
	s_wait_loadcnt 0x5
	v_fmac_f64_e32 v[108:109], v[80:81], v[102:103]
	ds_load_2addr_b64 v[78:81], v2 offset0:47 offset1:48
	ds_load_2addr_b64 v[96:99], v2 offset0:49 offset1:50
	s_wait_dscnt 0x1
	v_fmac_f64_e32 v[108:109], v[82:83], v[78:79]
	s_wait_loadcnt 0x4
	s_delay_alu instid0(VALU_DEP_1)
	v_fmac_f64_e32 v[108:109], v[84:85], v[80:81]
	s_clause 0x1
	scratch_load_b128 v[78:81], off, off offset:192
	scratch_load_b128 v[82:85], off, off offset:208
	s_wait_dscnt 0x0
	v_fmac_f64_e32 v[108:109], v[86:87], v[96:97]
	s_wait_loadcnt 0x5
	s_delay_alu instid0(VALU_DEP_1)
	v_fmac_f64_e32 v[108:109], v[88:89], v[98:99]
	ds_load_2addr_b64 v[86:89], v2 offset0:51 offset1:52
	ds_load_2addr_b64 v[96:99], v2 offset0:53 offset1:54
	s_wait_dscnt 0x1
	v_fmac_f64_e32 v[108:109], v[90:91], v[86:87]
	s_wait_loadcnt 0x4
	s_delay_alu instid0(VALU_DEP_1)
	v_fmac_f64_e32 v[108:109], v[92:93], v[88:89]
	s_clause 0x1
	scratch_load_b128 v[86:89], off, off offset:224
	scratch_load_b128 v[90:93], off, off offset:240
	s_wait_dscnt 0x0
	v_fmac_f64_e32 v[108:109], v[94:95], v[96:97]
	s_wait_loadcnt 0x5
	s_delay_alu instid0(VALU_DEP_1)
	v_fmac_f64_e32 v[108:109], v[104:105], v[98:99]
	ds_load_2addr_b64 v[94:97], v2 offset0:55 offset1:56
	ds_load_2addr_b64 v[98:101], v2 offset0:57 offset1:58
	s_wait_dscnt 0x1
	v_fmac_f64_e32 v[108:109], v[106:107], v[94:95]
	s_wait_loadcnt 0x4
	s_delay_alu instid0(VALU_DEP_1) | instskip(SKIP_4) | instid1(VALU_DEP_1)
	v_fmac_f64_e32 v[108:109], v[74:75], v[96:97]
	scratch_load_b128 v[94:97], off, off offset:256
	s_wait_dscnt 0x0
	v_fmac_f64_e32 v[108:109], v[76:77], v[98:99]
	s_wait_loadcnt 0x4
	v_fmac_f64_e32 v[108:109], v[78:79], v[100:101]
	ds_load_2addr_b64 v[74:77], v2 offset0:59 offset1:60
	ds_load_2addr_b64 v[98:101], v2 offset0:61 offset1:62
	s_wait_dscnt 0x1
	v_fmac_f64_e32 v[108:109], v[80:81], v[74:75]
	s_wait_loadcnt 0x3
	s_delay_alu instid0(VALU_DEP_1)
	v_fmac_f64_e32 v[108:109], v[82:83], v[76:77]
	ds_load_2addr_b64 v[74:77], v2 offset0:63 offset1:64
	ds_load_2addr_b64 v[78:81], v2 offset0:65 offset1:66
	s_wait_dscnt 0x2
	v_fmac_f64_e32 v[108:109], v[84:85], v[98:99]
	s_wait_loadcnt 0x2
	s_delay_alu instid0(VALU_DEP_1) | instskip(SKIP_1) | instid1(VALU_DEP_1)
	v_fmac_f64_e32 v[108:109], v[86:87], v[100:101]
	s_wait_dscnt 0x1
	v_fmac_f64_e32 v[108:109], v[88:89], v[74:75]
	ds_load_b64 v[74:75], v2 offset:536
	s_wait_loadcnt 0x1
	v_fmac_f64_e32 v[108:109], v[90:91], v[76:77]
	s_wait_dscnt 0x1
	s_delay_alu instid0(VALU_DEP_1) | instskip(SKIP_1) | instid1(VALU_DEP_1)
	v_fmac_f64_e32 v[108:109], v[92:93], v[78:79]
	s_wait_loadcnt 0x0
	v_fmac_f64_e32 v[108:109], v[94:95], v[80:81]
	s_wait_dscnt 0x0
	s_delay_alu instid0(VALU_DEP_1) | instskip(NEXT) | instid1(VALU_DEP_1)
	v_fmac_f64_e32 v[108:109], v[96:97], v[74:75]
	v_add_f64_e64 v[72:73], v[72:73], -v[108:109]
	scratch_store_b64 off, v[72:73], off offset:64
	s_wait_xcnt 0x0
	v_cmpx_lt_u32_e32 7, v0
	s_cbranch_execz .LBB97_199
; %bb.198:
	scratch_load_b64 v[72:73], off, off offset:56
	v_mov_b64_e32 v[74:75], 0
	scratch_store_b64 off, v[74:75], off offset:56
	s_wait_loadcnt 0x0
	ds_store_b64 v1, v[72:73]
.LBB97_199:
	s_wait_xcnt 0x0
	s_or_b32 exec_lo, exec_lo, s0
	s_wait_storecnt_dscnt 0x0
	s_barrier_signal -1
	s_barrier_wait -1
	s_clause 0x5
	scratch_load_b128 v[72:75], off, off offset:56
	scratch_load_b128 v[76:79], off, off offset:72
	;; [unrolled: 1-line block ×6, first 2 shown]
	ds_load_b128 v[96:99], v2 offset:336
	ds_load_b128 v[100:103], v2 offset:352
	scratch_load_b128 v[104:107], off, off offset:152
	s_mov_b32 s0, exec_lo
	s_wait_loadcnt_dscnt 0x601
	v_fma_f64 v[108:109], v[74:75], v[96:97], 0
	s_wait_loadcnt 0x5
	s_delay_alu instid0(VALU_DEP_1) | instskip(SKIP_4) | instid1(VALU_DEP_1)
	v_fmac_f64_e32 v[108:109], v[76:77], v[98:99]
	scratch_load_b128 v[74:77], off, off offset:168
	s_wait_dscnt 0x0
	v_fmac_f64_e32 v[108:109], v[78:79], v[100:101]
	s_wait_loadcnt 0x5
	v_fmac_f64_e32 v[108:109], v[80:81], v[102:103]
	ds_load_b128 v[78:81], v2 offset:368
	ds_load_b128 v[96:99], v2 offset:384
	scratch_load_b128 v[100:103], off, off offset:184
	s_wait_dscnt 0x1
	v_fmac_f64_e32 v[108:109], v[82:83], v[78:79]
	s_wait_loadcnt 0x5
	s_delay_alu instid0(VALU_DEP_1) | instskip(SKIP_4) | instid1(VALU_DEP_1)
	v_fmac_f64_e32 v[108:109], v[84:85], v[80:81]
	scratch_load_b128 v[78:81], off, off offset:200
	s_wait_dscnt 0x0
	v_fmac_f64_e32 v[108:109], v[86:87], v[96:97]
	s_wait_loadcnt 0x5
	v_fmac_f64_e32 v[108:109], v[88:89], v[98:99]
	ds_load_b128 v[82:85], v2 offset:400
	ds_load_b128 v[86:89], v2 offset:416
	s_wait_dscnt 0x1
	v_fmac_f64_e32 v[108:109], v[90:91], v[82:83]
	s_wait_loadcnt 0x4
	s_delay_alu instid0(VALU_DEP_1) | instskip(SKIP_4) | instid1(VALU_DEP_1)
	v_fmac_f64_e32 v[108:109], v[92:93], v[84:85]
	scratch_load_b128 v[82:85], off, off offset:216
	s_wait_dscnt 0x0
	v_fmac_f64_e32 v[108:109], v[94:95], v[86:87]
	s_wait_loadcnt 0x4
	v_fmac_f64_e32 v[108:109], v[104:105], v[88:89]
	scratch_load_b128 v[86:89], off, off offset:232
	ds_load_b128 v[90:93], v2 offset:432
	ds_load_b128 v[94:97], v2 offset:448
	scratch_load_b64 v[98:99], off, off offset:264
	s_wait_dscnt 0x1
	v_fmac_f64_e32 v[108:109], v[106:107], v[90:91]
	s_wait_loadcnt 0x5
	s_delay_alu instid0(VALU_DEP_1) | instskip(SKIP_4) | instid1(VALU_DEP_1)
	v_fmac_f64_e32 v[108:109], v[74:75], v[92:93]
	scratch_load_b128 v[90:93], off, off offset:248
	s_wait_dscnt 0x0
	v_fmac_f64_e32 v[108:109], v[76:77], v[94:95]
	s_wait_loadcnt 0x5
	v_fmac_f64_e32 v[108:109], v[100:101], v[96:97]
	ds_load_b128 v[74:77], v2 offset:464
	ds_load_b128 v[94:97], v2 offset:480
	s_wait_dscnt 0x1
	v_fmac_f64_e32 v[108:109], v[102:103], v[74:75]
	s_wait_loadcnt 0x4
	s_delay_alu instid0(VALU_DEP_1) | instskip(SKIP_1) | instid1(VALU_DEP_1)
	v_fmac_f64_e32 v[108:109], v[78:79], v[76:77]
	s_wait_dscnt 0x0
	v_fmac_f64_e32 v[108:109], v[80:81], v[94:95]
	ds_load_b128 v[74:77], v2 offset:496
	ds_load_b128 v[78:81], v2 offset:512
	s_wait_loadcnt 0x3
	v_fmac_f64_e32 v[108:109], v[82:83], v[96:97]
	s_wait_dscnt 0x1
	s_delay_alu instid0(VALU_DEP_1) | instskip(SKIP_1) | instid1(VALU_DEP_1)
	v_fmac_f64_e32 v[108:109], v[84:85], v[74:75]
	s_wait_loadcnt 0x2
	v_fmac_f64_e32 v[108:109], v[86:87], v[76:77]
	ds_load_b128 v[74:77], v2 offset:528
	s_wait_dscnt 0x1
	v_fmac_f64_e32 v[108:109], v[88:89], v[78:79]
	s_wait_loadcnt 0x0
	s_delay_alu instid0(VALU_DEP_1) | instskip(SKIP_1) | instid1(VALU_DEP_1)
	v_fmac_f64_e32 v[108:109], v[90:91], v[80:81]
	s_wait_dscnt 0x0
	v_fmac_f64_e32 v[108:109], v[92:93], v[74:75]
	s_delay_alu instid0(VALU_DEP_1) | instskip(NEXT) | instid1(VALU_DEP_1)
	v_fmac_f64_e32 v[108:109], v[98:99], v[76:77]
	v_add_f64_e64 v[2:3], v[72:73], -v[108:109]
	scratch_store_b64 off, v[2:3], off offset:56
	s_wait_xcnt 0x0
	v_cmpx_lt_u32_e32 6, v0
	s_cbranch_execz .LBB97_201
; %bb.200:
	scratch_load_b64 v[2:3], off, off offset:48
	v_mov_b64_e32 v[72:73], 0
	scratch_store_b64 off, v[72:73], off offset:48
	s_wait_loadcnt 0x0
	ds_store_b64 v1, v[2:3]
.LBB97_201:
	s_wait_xcnt 0x0
	s_or_b32 exec_lo, exec_lo, s0
	s_wait_storecnt_dscnt 0x0
	s_barrier_signal -1
	s_barrier_wait -1
	s_clause 0x5
	scratch_load_b128 v[72:75], off, off offset:48
	scratch_load_b128 v[76:79], off, off offset:64
	;; [unrolled: 1-line block ×6, first 2 shown]
	v_mov_b32_e32 v2, 0
	ds_load_2addr_b64 v[96:99], v2 offset0:41 offset1:42
	ds_load_2addr_b64 v[100:103], v2 offset0:43 offset1:44
	scratch_load_b128 v[104:107], off, off offset:144
	s_mov_b32 s0, exec_lo
	s_wait_loadcnt_dscnt 0x601
	v_fma_f64 v[108:109], v[74:75], v[96:97], 0
	s_wait_loadcnt 0x5
	s_delay_alu instid0(VALU_DEP_1) | instskip(SKIP_4) | instid1(VALU_DEP_1)
	v_fmac_f64_e32 v[108:109], v[76:77], v[98:99]
	scratch_load_b128 v[74:77], off, off offset:160
	s_wait_dscnt 0x0
	v_fmac_f64_e32 v[108:109], v[78:79], v[100:101]
	s_wait_loadcnt 0x5
	v_fmac_f64_e32 v[108:109], v[80:81], v[102:103]
	ds_load_2addr_b64 v[78:81], v2 offset0:45 offset1:46
	ds_load_2addr_b64 v[96:99], v2 offset0:47 offset1:48
	scratch_load_b128 v[100:103], off, off offset:176
	s_wait_dscnt 0x1
	v_fmac_f64_e32 v[108:109], v[82:83], v[78:79]
	s_wait_loadcnt 0x5
	s_delay_alu instid0(VALU_DEP_1) | instskip(SKIP_4) | instid1(VALU_DEP_1)
	v_fmac_f64_e32 v[108:109], v[84:85], v[80:81]
	scratch_load_b128 v[78:81], off, off offset:192
	s_wait_dscnt 0x0
	v_fmac_f64_e32 v[108:109], v[86:87], v[96:97]
	s_wait_loadcnt 0x5
	v_fmac_f64_e32 v[108:109], v[88:89], v[98:99]
	ds_load_2addr_b64 v[82:85], v2 offset0:49 offset1:50
	ds_load_2addr_b64 v[86:89], v2 offset0:51 offset1:52
	s_wait_dscnt 0x1
	v_fmac_f64_e32 v[108:109], v[90:91], v[82:83]
	s_wait_loadcnt 0x4
	s_delay_alu instid0(VALU_DEP_1) | instskip(SKIP_4) | instid1(VALU_DEP_1)
	v_fmac_f64_e32 v[108:109], v[92:93], v[84:85]
	scratch_load_b128 v[82:85], off, off offset:208
	s_wait_dscnt 0x0
	v_fmac_f64_e32 v[108:109], v[94:95], v[86:87]
	s_wait_loadcnt 0x4
	v_fmac_f64_e32 v[108:109], v[104:105], v[88:89]
	scratch_load_b128 v[86:89], off, off offset:224
	ds_load_2addr_b64 v[90:93], v2 offset0:53 offset1:54
	ds_load_2addr_b64 v[94:97], v2 offset0:55 offset1:56
	s_wait_dscnt 0x1
	v_fmac_f64_e32 v[108:109], v[106:107], v[90:91]
	s_wait_loadcnt 0x4
	s_delay_alu instid0(VALU_DEP_1)
	v_fmac_f64_e32 v[108:109], v[74:75], v[92:93]
	scratch_load_b128 v[90:93], off, off offset:240
	s_wait_dscnt 0x0
	v_fmac_f64_e32 v[108:109], v[76:77], v[94:95]
	scratch_load_b128 v[74:77], off, off offset:256
	s_wait_loadcnt 0x5
	v_fmac_f64_e32 v[108:109], v[100:101], v[96:97]
	ds_load_2addr_b64 v[94:97], v2 offset0:57 offset1:58
	ds_load_2addr_b64 v[98:101], v2 offset0:59 offset1:60
	s_wait_dscnt 0x1
	v_fmac_f64_e32 v[108:109], v[102:103], v[94:95]
	s_wait_loadcnt 0x4
	s_delay_alu instid0(VALU_DEP_1) | instskip(SKIP_1) | instid1(VALU_DEP_1)
	v_fmac_f64_e32 v[108:109], v[78:79], v[96:97]
	s_wait_dscnt 0x0
	v_fmac_f64_e32 v[108:109], v[80:81], v[98:99]
	ds_load_2addr_b64 v[78:81], v2 offset0:61 offset1:62
	ds_load_2addr_b64 v[94:97], v2 offset0:63 offset1:64
	s_wait_loadcnt 0x3
	v_fmac_f64_e32 v[108:109], v[82:83], v[100:101]
	s_wait_dscnt 0x1
	s_delay_alu instid0(VALU_DEP_1) | instskip(SKIP_1) | instid1(VALU_DEP_1)
	v_fmac_f64_e32 v[108:109], v[84:85], v[78:79]
	s_wait_loadcnt 0x2
	v_fmac_f64_e32 v[108:109], v[86:87], v[80:81]
	ds_load_2addr_b64 v[78:81], v2 offset0:65 offset1:66
	ds_load_b64 v[82:83], v2 offset:536
	s_wait_dscnt 0x2
	v_fmac_f64_e32 v[108:109], v[88:89], v[94:95]
	s_wait_loadcnt 0x1
	s_delay_alu instid0(VALU_DEP_1) | instskip(SKIP_1) | instid1(VALU_DEP_1)
	v_fmac_f64_e32 v[108:109], v[90:91], v[96:97]
	s_wait_dscnt 0x1
	v_fmac_f64_e32 v[108:109], v[92:93], v[78:79]
	s_wait_loadcnt 0x0
	s_delay_alu instid0(VALU_DEP_1) | instskip(SKIP_1) | instid1(VALU_DEP_1)
	v_fmac_f64_e32 v[108:109], v[74:75], v[80:81]
	s_wait_dscnt 0x0
	v_fmac_f64_e32 v[108:109], v[76:77], v[82:83]
	s_delay_alu instid0(VALU_DEP_1)
	v_add_f64_e64 v[72:73], v[72:73], -v[108:109]
	scratch_store_b64 off, v[72:73], off offset:48
	s_wait_xcnt 0x0
	v_cmpx_lt_u32_e32 5, v0
	s_cbranch_execz .LBB97_203
; %bb.202:
	scratch_load_b64 v[72:73], off, off offset:40
	v_mov_b64_e32 v[74:75], 0
	scratch_store_b64 off, v[74:75], off offset:40
	s_wait_loadcnt 0x0
	ds_store_b64 v1, v[72:73]
.LBB97_203:
	s_wait_xcnt 0x0
	s_or_b32 exec_lo, exec_lo, s0
	s_wait_storecnt_dscnt 0x0
	s_barrier_signal -1
	s_barrier_wait -1
	s_clause 0x5
	scratch_load_b128 v[72:75], off, off offset:40
	scratch_load_b128 v[76:79], off, off offset:56
	;; [unrolled: 1-line block ×6, first 2 shown]
	ds_load_b128 v[96:99], v2 offset:320
	ds_load_b128 v[100:103], v2 offset:336
	scratch_load_b128 v[104:107], off, off offset:136
	s_mov_b32 s0, exec_lo
	s_wait_loadcnt_dscnt 0x601
	v_fma_f64 v[108:109], v[74:75], v[96:97], 0
	s_wait_loadcnt 0x5
	s_delay_alu instid0(VALU_DEP_1) | instskip(SKIP_4) | instid1(VALU_DEP_1)
	v_fmac_f64_e32 v[108:109], v[76:77], v[98:99]
	scratch_load_b128 v[74:77], off, off offset:152
	s_wait_dscnt 0x0
	v_fmac_f64_e32 v[108:109], v[78:79], v[100:101]
	s_wait_loadcnt 0x5
	v_fmac_f64_e32 v[108:109], v[80:81], v[102:103]
	ds_load_b128 v[78:81], v2 offset:352
	ds_load_b128 v[96:99], v2 offset:368
	scratch_load_b128 v[100:103], off, off offset:168
	s_wait_dscnt 0x1
	v_fmac_f64_e32 v[108:109], v[82:83], v[78:79]
	s_wait_loadcnt 0x5
	s_delay_alu instid0(VALU_DEP_1) | instskip(SKIP_4) | instid1(VALU_DEP_1)
	v_fmac_f64_e32 v[108:109], v[84:85], v[80:81]
	scratch_load_b128 v[78:81], off, off offset:184
	s_wait_dscnt 0x0
	v_fmac_f64_e32 v[108:109], v[86:87], v[96:97]
	s_wait_loadcnt 0x5
	v_fmac_f64_e32 v[108:109], v[88:89], v[98:99]
	ds_load_b128 v[82:85], v2 offset:384
	ds_load_b128 v[86:89], v2 offset:400
	s_wait_dscnt 0x1
	v_fmac_f64_e32 v[108:109], v[90:91], v[82:83]
	s_wait_loadcnt 0x4
	s_delay_alu instid0(VALU_DEP_1) | instskip(SKIP_4) | instid1(VALU_DEP_1)
	v_fmac_f64_e32 v[108:109], v[92:93], v[84:85]
	scratch_load_b128 v[82:85], off, off offset:200
	s_wait_dscnt 0x0
	v_fmac_f64_e32 v[108:109], v[94:95], v[86:87]
	s_wait_loadcnt 0x4
	v_fmac_f64_e32 v[108:109], v[104:105], v[88:89]
	scratch_load_b128 v[86:89], off, off offset:216
	ds_load_b128 v[90:93], v2 offset:416
	ds_load_b128 v[94:97], v2 offset:432
	s_wait_dscnt 0x1
	v_fmac_f64_e32 v[108:109], v[106:107], v[90:91]
	s_wait_loadcnt 0x4
	s_delay_alu instid0(VALU_DEP_1)
	v_fmac_f64_e32 v[108:109], v[74:75], v[92:93]
	scratch_load_b128 v[90:93], off, off offset:232
	s_wait_dscnt 0x0
	v_fmac_f64_e32 v[108:109], v[76:77], v[94:95]
	scratch_load_b128 v[74:77], off, off offset:248
	s_wait_loadcnt 0x5
	v_fmac_f64_e32 v[108:109], v[100:101], v[96:97]
	ds_load_b128 v[94:97], v2 offset:448
	ds_load_b128 v[98:101], v2 offset:464
	s_wait_dscnt 0x1
	v_fmac_f64_e32 v[108:109], v[102:103], v[94:95]
	scratch_load_b64 v[102:103], off, off offset:264
	s_wait_loadcnt 0x5
	v_fmac_f64_e32 v[108:109], v[78:79], v[96:97]
	s_wait_dscnt 0x0
	s_delay_alu instid0(VALU_DEP_1)
	v_fmac_f64_e32 v[108:109], v[80:81], v[98:99]
	ds_load_b128 v[78:81], v2 offset:480
	ds_load_b128 v[94:97], v2 offset:496
	s_wait_loadcnt 0x4
	v_fmac_f64_e32 v[108:109], v[82:83], v[100:101]
	s_wait_dscnt 0x1
	s_delay_alu instid0(VALU_DEP_1) | instskip(SKIP_1) | instid1(VALU_DEP_1)
	v_fmac_f64_e32 v[108:109], v[84:85], v[78:79]
	s_wait_loadcnt 0x3
	v_fmac_f64_e32 v[108:109], v[86:87], v[80:81]
	ds_load_b128 v[78:81], v2 offset:512
	ds_load_b128 v[82:85], v2 offset:528
	s_wait_dscnt 0x2
	v_fmac_f64_e32 v[108:109], v[88:89], v[94:95]
	s_wait_loadcnt 0x2
	s_delay_alu instid0(VALU_DEP_1) | instskip(SKIP_1) | instid1(VALU_DEP_1)
	v_fmac_f64_e32 v[108:109], v[90:91], v[96:97]
	s_wait_dscnt 0x1
	v_fmac_f64_e32 v[108:109], v[92:93], v[78:79]
	s_wait_loadcnt 0x1
	s_delay_alu instid0(VALU_DEP_1) | instskip(SKIP_1) | instid1(VALU_DEP_1)
	v_fmac_f64_e32 v[108:109], v[74:75], v[80:81]
	s_wait_dscnt 0x0
	v_fmac_f64_e32 v[108:109], v[76:77], v[82:83]
	s_wait_loadcnt 0x0
	s_delay_alu instid0(VALU_DEP_1) | instskip(NEXT) | instid1(VALU_DEP_1)
	v_fmac_f64_e32 v[108:109], v[102:103], v[84:85]
	v_add_f64_e64 v[2:3], v[72:73], -v[108:109]
	scratch_store_b64 off, v[2:3], off offset:40
	s_wait_xcnt 0x0
	v_cmpx_lt_u32_e32 4, v0
	s_cbranch_execz .LBB97_205
; %bb.204:
	scratch_load_b64 v[2:3], off, off offset:32
	v_mov_b64_e32 v[72:73], 0
	scratch_store_b64 off, v[72:73], off offset:32
	s_wait_loadcnt 0x0
	ds_store_b64 v1, v[2:3]
.LBB97_205:
	s_wait_xcnt 0x0
	s_or_b32 exec_lo, exec_lo, s0
	s_wait_storecnt_dscnt 0x0
	s_barrier_signal -1
	s_barrier_wait -1
	s_clause 0x5
	scratch_load_b128 v[72:75], off, off offset:32
	scratch_load_b128 v[76:79], off, off offset:48
	scratch_load_b128 v[80:83], off, off offset:64
	scratch_load_b128 v[84:87], off, off offset:80
	scratch_load_b128 v[88:91], off, off offset:96
	scratch_load_b128 v[92:95], off, off offset:112
	v_mov_b32_e32 v2, 0
	ds_load_2addr_b64 v[96:99], v2 offset0:39 offset1:40
	ds_load_2addr_b64 v[100:103], v2 offset0:41 offset1:42
	scratch_load_b128 v[104:107], off, off offset:128
	s_mov_b32 s0, exec_lo
	s_wait_loadcnt_dscnt 0x601
	v_fma_f64 v[108:109], v[74:75], v[96:97], 0
	s_wait_loadcnt 0x5
	s_delay_alu instid0(VALU_DEP_1) | instskip(SKIP_4) | instid1(VALU_DEP_1)
	v_fmac_f64_e32 v[108:109], v[76:77], v[98:99]
	scratch_load_b128 v[74:77], off, off offset:144
	s_wait_dscnt 0x0
	v_fmac_f64_e32 v[108:109], v[78:79], v[100:101]
	s_wait_loadcnt 0x5
	v_fmac_f64_e32 v[108:109], v[80:81], v[102:103]
	ds_load_2addr_b64 v[78:81], v2 offset0:43 offset1:44
	ds_load_2addr_b64 v[96:99], v2 offset0:45 offset1:46
	scratch_load_b128 v[100:103], off, off offset:160
	s_wait_dscnt 0x1
	v_fmac_f64_e32 v[108:109], v[82:83], v[78:79]
	s_wait_loadcnt 0x5
	s_delay_alu instid0(VALU_DEP_1) | instskip(SKIP_4) | instid1(VALU_DEP_1)
	v_fmac_f64_e32 v[108:109], v[84:85], v[80:81]
	scratch_load_b128 v[78:81], off, off offset:176
	s_wait_dscnt 0x0
	v_fmac_f64_e32 v[108:109], v[86:87], v[96:97]
	s_wait_loadcnt 0x5
	v_fmac_f64_e32 v[108:109], v[88:89], v[98:99]
	ds_load_2addr_b64 v[82:85], v2 offset0:47 offset1:48
	ds_load_2addr_b64 v[86:89], v2 offset0:49 offset1:50
	s_wait_dscnt 0x1
	v_fmac_f64_e32 v[108:109], v[90:91], v[82:83]
	s_wait_loadcnt 0x4
	s_delay_alu instid0(VALU_DEP_1) | instskip(SKIP_4) | instid1(VALU_DEP_1)
	v_fmac_f64_e32 v[108:109], v[92:93], v[84:85]
	scratch_load_b128 v[82:85], off, off offset:192
	s_wait_dscnt 0x0
	v_fmac_f64_e32 v[108:109], v[94:95], v[86:87]
	s_wait_loadcnt 0x4
	v_fmac_f64_e32 v[108:109], v[104:105], v[88:89]
	scratch_load_b128 v[86:89], off, off offset:208
	ds_load_2addr_b64 v[90:93], v2 offset0:51 offset1:52
	ds_load_2addr_b64 v[94:97], v2 offset0:53 offset1:54
	s_wait_dscnt 0x1
	v_fmac_f64_e32 v[108:109], v[106:107], v[90:91]
	s_wait_loadcnt 0x4
	s_delay_alu instid0(VALU_DEP_1)
	v_fmac_f64_e32 v[108:109], v[74:75], v[92:93]
	scratch_load_b128 v[90:93], off, off offset:224
	s_wait_dscnt 0x0
	v_fmac_f64_e32 v[108:109], v[76:77], v[94:95]
	scratch_load_b128 v[74:77], off, off offset:240
	s_wait_loadcnt 0x5
	v_fmac_f64_e32 v[108:109], v[100:101], v[96:97]
	ds_load_2addr_b64 v[94:97], v2 offset0:55 offset1:56
	ds_load_2addr_b64 v[98:101], v2 offset0:57 offset1:58
	s_wait_dscnt 0x1
	v_fmac_f64_e32 v[108:109], v[102:103], v[94:95]
	s_wait_loadcnt 0x4
	s_delay_alu instid0(VALU_DEP_1) | instskip(SKIP_4) | instid1(VALU_DEP_1)
	v_fmac_f64_e32 v[108:109], v[78:79], v[96:97]
	scratch_load_b128 v[94:97], off, off offset:256
	s_wait_dscnt 0x0
	v_fmac_f64_e32 v[108:109], v[80:81], v[98:99]
	s_wait_loadcnt 0x4
	v_fmac_f64_e32 v[108:109], v[82:83], v[100:101]
	ds_load_2addr_b64 v[78:81], v2 offset0:59 offset1:60
	ds_load_2addr_b64 v[98:101], v2 offset0:61 offset1:62
	s_wait_dscnt 0x1
	v_fmac_f64_e32 v[108:109], v[84:85], v[78:79]
	s_wait_loadcnt 0x3
	s_delay_alu instid0(VALU_DEP_1)
	v_fmac_f64_e32 v[108:109], v[86:87], v[80:81]
	ds_load_2addr_b64 v[78:81], v2 offset0:63 offset1:64
	ds_load_2addr_b64 v[82:85], v2 offset0:65 offset1:66
	s_wait_dscnt 0x2
	v_fmac_f64_e32 v[108:109], v[88:89], v[98:99]
	s_wait_loadcnt 0x2
	s_delay_alu instid0(VALU_DEP_1) | instskip(SKIP_1) | instid1(VALU_DEP_1)
	v_fmac_f64_e32 v[108:109], v[90:91], v[100:101]
	s_wait_dscnt 0x1
	v_fmac_f64_e32 v[108:109], v[92:93], v[78:79]
	s_wait_loadcnt 0x1
	s_delay_alu instid0(VALU_DEP_1) | instskip(SKIP_4) | instid1(VALU_DEP_1)
	v_fmac_f64_e32 v[108:109], v[74:75], v[80:81]
	ds_load_b64 v[74:75], v2 offset:536
	s_wait_dscnt 0x1
	v_fmac_f64_e32 v[108:109], v[76:77], v[82:83]
	s_wait_loadcnt 0x0
	v_fmac_f64_e32 v[108:109], v[94:95], v[84:85]
	s_wait_dscnt 0x0
	s_delay_alu instid0(VALU_DEP_1) | instskip(NEXT) | instid1(VALU_DEP_1)
	v_fmac_f64_e32 v[108:109], v[96:97], v[74:75]
	v_add_f64_e64 v[72:73], v[72:73], -v[108:109]
	scratch_store_b64 off, v[72:73], off offset:32
	s_wait_xcnt 0x0
	v_cmpx_lt_u32_e32 3, v0
	s_cbranch_execz .LBB97_207
; %bb.206:
	scratch_load_b64 v[72:73], off, off offset:24
	v_mov_b64_e32 v[74:75], 0
	scratch_store_b64 off, v[74:75], off offset:24
	s_wait_loadcnt 0x0
	ds_store_b64 v1, v[72:73]
.LBB97_207:
	s_wait_xcnt 0x0
	s_or_b32 exec_lo, exec_lo, s0
	s_wait_storecnt_dscnt 0x0
	s_barrier_signal -1
	s_barrier_wait -1
	s_clause 0x5
	scratch_load_b128 v[72:75], off, off offset:24
	scratch_load_b128 v[76:79], off, off offset:40
	;; [unrolled: 1-line block ×6, first 2 shown]
	ds_load_b128 v[96:99], v2 offset:304
	ds_load_b128 v[100:103], v2 offset:320
	scratch_load_b128 v[104:107], off, off offset:120
	s_mov_b32 s0, exec_lo
	s_wait_loadcnt_dscnt 0x601
	v_fma_f64 v[108:109], v[74:75], v[96:97], 0
	s_wait_loadcnt 0x5
	s_delay_alu instid0(VALU_DEP_1) | instskip(SKIP_4) | instid1(VALU_DEP_1)
	v_fmac_f64_e32 v[108:109], v[76:77], v[98:99]
	scratch_load_b128 v[74:77], off, off offset:136
	s_wait_dscnt 0x0
	v_fmac_f64_e32 v[108:109], v[78:79], v[100:101]
	s_wait_loadcnt 0x5
	v_fmac_f64_e32 v[108:109], v[80:81], v[102:103]
	ds_load_b128 v[78:81], v2 offset:336
	ds_load_b128 v[96:99], v2 offset:352
	scratch_load_b128 v[100:103], off, off offset:152
	s_wait_dscnt 0x1
	v_fmac_f64_e32 v[108:109], v[82:83], v[78:79]
	s_wait_loadcnt 0x5
	s_delay_alu instid0(VALU_DEP_1) | instskip(SKIP_4) | instid1(VALU_DEP_1)
	v_fmac_f64_e32 v[108:109], v[84:85], v[80:81]
	scratch_load_b128 v[78:81], off, off offset:168
	s_wait_dscnt 0x0
	v_fmac_f64_e32 v[108:109], v[86:87], v[96:97]
	s_wait_loadcnt 0x5
	v_fmac_f64_e32 v[108:109], v[88:89], v[98:99]
	ds_load_b128 v[82:85], v2 offset:368
	ds_load_b128 v[86:89], v2 offset:384
	scratch_load_b128 v[96:99], off, off offset:184
	s_wait_dscnt 0x1
	v_fmac_f64_e32 v[108:109], v[90:91], v[82:83]
	s_wait_loadcnt 0x5
	s_delay_alu instid0(VALU_DEP_1) | instskip(SKIP_4) | instid1(VALU_DEP_1)
	v_fmac_f64_e32 v[108:109], v[92:93], v[84:85]
	scratch_load_b128 v[82:85], off, off offset:200
	s_wait_dscnt 0x0
	v_fmac_f64_e32 v[108:109], v[94:95], v[86:87]
	s_wait_loadcnt 0x5
	v_fmac_f64_e32 v[108:109], v[104:105], v[88:89]
	ds_load_b128 v[86:89], v2 offset:400
	ds_load_b128 v[90:93], v2 offset:416
	s_wait_dscnt 0x1
	v_fmac_f64_e32 v[108:109], v[106:107], v[86:87]
	s_wait_loadcnt 0x4
	s_delay_alu instid0(VALU_DEP_1)
	v_fmac_f64_e32 v[108:109], v[74:75], v[88:89]
	scratch_load_b128 v[86:89], off, off offset:216
	s_wait_dscnt 0x0
	v_fmac_f64_e32 v[108:109], v[76:77], v[90:91]
	scratch_load_b128 v[74:77], off, off offset:232
	s_wait_loadcnt 0x5
	v_fmac_f64_e32 v[108:109], v[100:101], v[92:93]
	ds_load_b128 v[90:93], v2 offset:432
	ds_load_b128 v[104:107], v2 offset:448
	scratch_load_b64 v[100:101], off, off offset:264
	s_wait_dscnt 0x1
	v_fmac_f64_e32 v[108:109], v[102:103], v[90:91]
	s_wait_loadcnt 0x5
	s_delay_alu instid0(VALU_DEP_1) | instskip(SKIP_4) | instid1(VALU_DEP_1)
	v_fmac_f64_e32 v[108:109], v[78:79], v[92:93]
	scratch_load_b128 v[90:93], off, off offset:248
	s_wait_dscnt 0x0
	v_fmac_f64_e32 v[108:109], v[80:81], v[104:105]
	s_wait_loadcnt 0x5
	v_fmac_f64_e32 v[108:109], v[96:97], v[106:107]
	ds_load_b128 v[78:81], v2 offset:464
	ds_load_b128 v[94:97], v2 offset:480
	s_wait_dscnt 0x1
	v_fmac_f64_e32 v[108:109], v[98:99], v[78:79]
	s_wait_loadcnt 0x4
	s_delay_alu instid0(VALU_DEP_1) | instskip(SKIP_1) | instid1(VALU_DEP_1)
	v_fmac_f64_e32 v[108:109], v[82:83], v[80:81]
	s_wait_dscnt 0x0
	v_fmac_f64_e32 v[108:109], v[84:85], v[94:95]
	ds_load_b128 v[78:81], v2 offset:496
	ds_load_b128 v[82:85], v2 offset:512
	s_wait_loadcnt 0x3
	v_fmac_f64_e32 v[108:109], v[86:87], v[96:97]
	s_wait_dscnt 0x1
	s_delay_alu instid0(VALU_DEP_1) | instskip(SKIP_1) | instid1(VALU_DEP_1)
	v_fmac_f64_e32 v[108:109], v[88:89], v[78:79]
	s_wait_loadcnt 0x2
	v_fmac_f64_e32 v[108:109], v[74:75], v[80:81]
	s_wait_dscnt 0x0
	s_delay_alu instid0(VALU_DEP_1) | instskip(SKIP_4) | instid1(VALU_DEP_1)
	v_fmac_f64_e32 v[108:109], v[76:77], v[82:83]
	ds_load_b128 v[74:77], v2 offset:528
	s_wait_loadcnt 0x0
	v_fmac_f64_e32 v[108:109], v[90:91], v[84:85]
	s_wait_dscnt 0x0
	v_fmac_f64_e32 v[108:109], v[92:93], v[74:75]
	s_delay_alu instid0(VALU_DEP_1) | instskip(NEXT) | instid1(VALU_DEP_1)
	v_fmac_f64_e32 v[108:109], v[100:101], v[76:77]
	v_add_f64_e64 v[2:3], v[72:73], -v[108:109]
	scratch_store_b64 off, v[2:3], off offset:24
	s_wait_xcnt 0x0
	v_cmpx_lt_u32_e32 2, v0
	s_cbranch_execz .LBB97_209
; %bb.208:
	scratch_load_b64 v[2:3], off, off offset:16
	v_mov_b64_e32 v[72:73], 0
	scratch_store_b64 off, v[72:73], off offset:16
	s_wait_loadcnt 0x0
	ds_store_b64 v1, v[2:3]
.LBB97_209:
	s_wait_xcnt 0x0
	s_or_b32 exec_lo, exec_lo, s0
	s_wait_storecnt_dscnt 0x0
	s_barrier_signal -1
	s_barrier_wait -1
	s_clause 0x5
	scratch_load_b128 v[72:75], off, off offset:16
	scratch_load_b128 v[76:79], off, off offset:32
	;; [unrolled: 1-line block ×6, first 2 shown]
	v_mov_b32_e32 v2, 0
	ds_load_2addr_b64 v[96:99], v2 offset0:37 offset1:38
	ds_load_2addr_b64 v[100:103], v2 offset0:39 offset1:40
	scratch_load_b128 v[104:107], off, off offset:112
	s_mov_b32 s0, exec_lo
	s_wait_loadcnt_dscnt 0x601
	v_fma_f64 v[108:109], v[74:75], v[96:97], 0
	s_wait_loadcnt 0x5
	s_delay_alu instid0(VALU_DEP_1) | instskip(SKIP_4) | instid1(VALU_DEP_1)
	v_fmac_f64_e32 v[108:109], v[76:77], v[98:99]
	scratch_load_b128 v[74:77], off, off offset:128
	s_wait_dscnt 0x0
	v_fmac_f64_e32 v[108:109], v[78:79], v[100:101]
	s_wait_loadcnt 0x5
	v_fmac_f64_e32 v[108:109], v[80:81], v[102:103]
	ds_load_2addr_b64 v[78:81], v2 offset0:41 offset1:42
	ds_load_2addr_b64 v[96:99], v2 offset0:43 offset1:44
	scratch_load_b128 v[100:103], off, off offset:144
	s_wait_dscnt 0x1
	v_fmac_f64_e32 v[108:109], v[82:83], v[78:79]
	s_wait_loadcnt 0x5
	s_delay_alu instid0(VALU_DEP_1) | instskip(SKIP_4) | instid1(VALU_DEP_1)
	v_fmac_f64_e32 v[108:109], v[84:85], v[80:81]
	scratch_load_b128 v[78:81], off, off offset:160
	s_wait_dscnt 0x0
	v_fmac_f64_e32 v[108:109], v[86:87], v[96:97]
	s_wait_loadcnt 0x5
	v_fmac_f64_e32 v[108:109], v[88:89], v[98:99]
	ds_load_2addr_b64 v[82:85], v2 offset0:45 offset1:46
	ds_load_2addr_b64 v[86:89], v2 offset0:47 offset1:48
	scratch_load_b128 v[96:99], off, off offset:176
	s_wait_dscnt 0x1
	v_fmac_f64_e32 v[108:109], v[90:91], v[82:83]
	s_wait_loadcnt 0x5
	s_delay_alu instid0(VALU_DEP_1) | instskip(SKIP_4) | instid1(VALU_DEP_1)
	v_fmac_f64_e32 v[108:109], v[92:93], v[84:85]
	scratch_load_b128 v[82:85], off, off offset:192
	s_wait_dscnt 0x0
	v_fmac_f64_e32 v[108:109], v[94:95], v[86:87]
	s_wait_loadcnt 0x5
	v_fmac_f64_e32 v[108:109], v[104:105], v[88:89]
	ds_load_2addr_b64 v[86:89], v2 offset0:49 offset1:50
	ds_load_2addr_b64 v[90:93], v2 offset0:51 offset1:52
	s_wait_dscnt 0x1
	v_fmac_f64_e32 v[108:109], v[106:107], v[86:87]
	s_wait_loadcnt 0x4
	s_delay_alu instid0(VALU_DEP_1)
	v_fmac_f64_e32 v[108:109], v[74:75], v[88:89]
	scratch_load_b128 v[86:89], off, off offset:208
	s_wait_dscnt 0x0
	v_fmac_f64_e32 v[108:109], v[76:77], v[90:91]
	scratch_load_b128 v[74:77], off, off offset:224
	s_wait_loadcnt 0x5
	v_fmac_f64_e32 v[108:109], v[100:101], v[92:93]
	ds_load_2addr_b64 v[90:93], v2 offset0:53 offset1:54
	ds_load_2addr_b64 v[104:107], v2 offset0:55 offset1:56
	s_wait_dscnt 0x1
	v_fmac_f64_e32 v[108:109], v[102:103], v[90:91]
	s_wait_loadcnt 0x4
	s_delay_alu instid0(VALU_DEP_1)
	v_fmac_f64_e32 v[108:109], v[78:79], v[92:93]
	scratch_load_b128 v[90:93], off, off offset:240
	s_wait_dscnt 0x0
	v_fmac_f64_e32 v[108:109], v[80:81], v[104:105]
	scratch_load_b128 v[78:81], off, off offset:256
	s_wait_loadcnt 0x5
	v_fmac_f64_e32 v[108:109], v[96:97], v[106:107]
	ds_load_2addr_b64 v[94:97], v2 offset0:57 offset1:58
	ds_load_2addr_b64 v[100:103], v2 offset0:59 offset1:60
	s_wait_dscnt 0x1
	v_fmac_f64_e32 v[108:109], v[98:99], v[94:95]
	s_wait_loadcnt 0x4
	s_delay_alu instid0(VALU_DEP_1) | instskip(SKIP_1) | instid1(VALU_DEP_1)
	v_fmac_f64_e32 v[108:109], v[82:83], v[96:97]
	s_wait_dscnt 0x0
	v_fmac_f64_e32 v[108:109], v[84:85], v[100:101]
	ds_load_2addr_b64 v[82:85], v2 offset0:61 offset1:62
	ds_load_2addr_b64 v[94:97], v2 offset0:63 offset1:64
	s_wait_loadcnt 0x3
	v_fmac_f64_e32 v[108:109], v[86:87], v[102:103]
	s_wait_dscnt 0x1
	s_delay_alu instid0(VALU_DEP_1) | instskip(SKIP_1) | instid1(VALU_DEP_1)
	v_fmac_f64_e32 v[108:109], v[88:89], v[82:83]
	s_wait_loadcnt 0x2
	v_fmac_f64_e32 v[108:109], v[74:75], v[84:85]
	s_wait_dscnt 0x0
	s_delay_alu instid0(VALU_DEP_1)
	v_fmac_f64_e32 v[108:109], v[76:77], v[94:95]
	ds_load_2addr_b64 v[74:77], v2 offset0:65 offset1:66
	ds_load_b64 v[82:83], v2 offset:536
	s_wait_loadcnt 0x1
	v_fmac_f64_e32 v[108:109], v[90:91], v[96:97]
	s_wait_dscnt 0x1
	s_delay_alu instid0(VALU_DEP_1) | instskip(SKIP_1) | instid1(VALU_DEP_1)
	v_fmac_f64_e32 v[108:109], v[92:93], v[74:75]
	s_wait_loadcnt 0x0
	v_fmac_f64_e32 v[108:109], v[78:79], v[76:77]
	s_wait_dscnt 0x0
	s_delay_alu instid0(VALU_DEP_1) | instskip(NEXT) | instid1(VALU_DEP_1)
	v_fmac_f64_e32 v[108:109], v[80:81], v[82:83]
	v_add_f64_e64 v[72:73], v[72:73], -v[108:109]
	scratch_store_b64 off, v[72:73], off offset:16
	s_wait_xcnt 0x0
	v_cmpx_lt_u32_e32 1, v0
	s_cbranch_execz .LBB97_211
; %bb.210:
	scratch_load_b64 v[72:73], off, off offset:8
	v_mov_b64_e32 v[74:75], 0
	scratch_store_b64 off, v[74:75], off offset:8
	s_wait_loadcnt 0x0
	ds_store_b64 v1, v[72:73]
.LBB97_211:
	s_wait_xcnt 0x0
	s_or_b32 exec_lo, exec_lo, s0
	s_wait_storecnt_dscnt 0x0
	s_barrier_signal -1
	s_barrier_wait -1
	s_clause 0x5
	scratch_load_b128 v[72:75], off, off offset:8
	scratch_load_b128 v[76:79], off, off offset:24
	;; [unrolled: 1-line block ×6, first 2 shown]
	ds_load_b128 v[96:99], v2 offset:288
	ds_load_b128 v[100:103], v2 offset:304
	scratch_load_b128 v[104:107], off, off offset:104
	v_dual_ashrrev_i32 v9, 31, v8 :: v_dual_ashrrev_i32 v11, 31, v10
	v_dual_ashrrev_i32 v13, 31, v12 :: v_dual_ashrrev_i32 v15, 31, v14
	;; [unrolled: 1-line block ×15, first 2 shown]
	v_ashrrev_i32_e32 v69, 31, v68
	s_mov_b32 s0, exec_lo
	v_ashrrev_i32_e32 v23, 31, v22
	s_wait_loadcnt_dscnt 0x601
	v_fma_f64 v[108:109], v[74:75], v[96:97], 0
	s_wait_loadcnt 0x5
	s_delay_alu instid0(VALU_DEP_1) | instskip(SKIP_4) | instid1(VALU_DEP_1)
	v_fmac_f64_e32 v[108:109], v[76:77], v[98:99]
	scratch_load_b128 v[74:77], off, off offset:120
	s_wait_dscnt 0x0
	v_fmac_f64_e32 v[108:109], v[78:79], v[100:101]
	s_wait_loadcnt 0x5
	v_fmac_f64_e32 v[108:109], v[80:81], v[102:103]
	ds_load_b128 v[78:81], v2 offset:320
	ds_load_b128 v[96:99], v2 offset:336
	scratch_load_b128 v[100:103], off, off offset:136
	s_wait_dscnt 0x1
	v_fmac_f64_e32 v[108:109], v[82:83], v[78:79]
	s_wait_loadcnt 0x5
	s_delay_alu instid0(VALU_DEP_1) | instskip(SKIP_4) | instid1(VALU_DEP_1)
	v_fmac_f64_e32 v[108:109], v[84:85], v[80:81]
	scratch_load_b128 v[78:81], off, off offset:152
	s_wait_dscnt 0x0
	v_fmac_f64_e32 v[108:109], v[86:87], v[96:97]
	s_wait_loadcnt 0x5
	v_fmac_f64_e32 v[108:109], v[88:89], v[98:99]
	ds_load_b128 v[82:85], v2 offset:352
	ds_load_b128 v[86:89], v2 offset:368
	scratch_load_b128 v[96:99], off, off offset:168
	s_wait_dscnt 0x1
	v_fmac_f64_e32 v[108:109], v[90:91], v[82:83]
	s_wait_loadcnt 0x5
	s_delay_alu instid0(VALU_DEP_1) | instskip(SKIP_4) | instid1(VALU_DEP_1)
	v_fmac_f64_e32 v[108:109], v[92:93], v[84:85]
	scratch_load_b128 v[82:85], off, off offset:184
	s_wait_dscnt 0x0
	v_fmac_f64_e32 v[108:109], v[94:95], v[86:87]
	s_wait_loadcnt 0x5
	v_fmac_f64_e32 v[108:109], v[104:105], v[88:89]
	ds_load_b128 v[86:89], v2 offset:384
	ds_load_b128 v[90:93], v2 offset:400
	s_wait_dscnt 0x1
	v_fmac_f64_e32 v[108:109], v[106:107], v[86:87]
	s_wait_loadcnt 0x4
	s_delay_alu instid0(VALU_DEP_1)
	v_fmac_f64_e32 v[108:109], v[74:75], v[88:89]
	scratch_load_b128 v[86:89], off, off offset:200
	s_wait_dscnt 0x0
	v_fmac_f64_e32 v[108:109], v[76:77], v[90:91]
	scratch_load_b128 v[74:77], off, off offset:216
	s_wait_loadcnt 0x5
	v_fmac_f64_e32 v[108:109], v[100:101], v[92:93]
	ds_load_b128 v[90:93], v2 offset:416
	ds_load_b128 v[104:107], v2 offset:432
	s_wait_dscnt 0x1
	v_fmac_f64_e32 v[108:109], v[102:103], v[90:91]
	s_wait_loadcnt 0x4
	s_delay_alu instid0(VALU_DEP_1)
	v_fmac_f64_e32 v[108:109], v[78:79], v[92:93]
	scratch_load_b128 v[90:93], off, off offset:232
	s_wait_dscnt 0x0
	v_fmac_f64_e32 v[108:109], v[80:81], v[104:105]
	scratch_load_b128 v[78:81], off, off offset:248
	s_wait_loadcnt 0x5
	v_fmac_f64_e32 v[108:109], v[96:97], v[106:107]
	ds_load_b128 v[94:97], v2 offset:448
	ds_load_b128 v[100:103], v2 offset:464
	s_wait_dscnt 0x1
	v_fmac_f64_e32 v[108:109], v[98:99], v[94:95]
	scratch_load_b64 v[98:99], off, off offset:264
	s_wait_loadcnt 0x5
	v_fmac_f64_e32 v[108:109], v[82:83], v[96:97]
	s_wait_dscnt 0x0
	s_delay_alu instid0(VALU_DEP_1)
	v_fmac_f64_e32 v[108:109], v[84:85], v[100:101]
	ds_load_b128 v[82:85], v2 offset:480
	ds_load_b128 v[94:97], v2 offset:496
	s_wait_loadcnt 0x4
	v_fmac_f64_e32 v[108:109], v[86:87], v[102:103]
	s_wait_dscnt 0x1
	s_delay_alu instid0(VALU_DEP_1) | instskip(SKIP_1) | instid1(VALU_DEP_1)
	v_fmac_f64_e32 v[108:109], v[88:89], v[82:83]
	s_wait_loadcnt 0x3
	v_fmac_f64_e32 v[108:109], v[74:75], v[84:85]
	s_wait_dscnt 0x0
	s_delay_alu instid0(VALU_DEP_1)
	v_fmac_f64_e32 v[108:109], v[76:77], v[94:95]
	ds_load_b128 v[74:77], v2 offset:512
	ds_load_b128 v[82:85], v2 offset:528
	s_wait_loadcnt 0x2
	v_fmac_f64_e32 v[108:109], v[90:91], v[96:97]
	s_wait_dscnt 0x1
	s_delay_alu instid0(VALU_DEP_1) | instskip(SKIP_1) | instid1(VALU_DEP_1)
	v_fmac_f64_e32 v[108:109], v[92:93], v[74:75]
	s_wait_loadcnt 0x1
	v_fmac_f64_e32 v[108:109], v[78:79], v[76:77]
	s_wait_dscnt 0x0
	s_delay_alu instid0(VALU_DEP_1) | instskip(SKIP_1) | instid1(VALU_DEP_1)
	v_fmac_f64_e32 v[108:109], v[80:81], v[82:83]
	s_wait_loadcnt 0x0
	v_fmac_f64_e32 v[108:109], v[98:99], v[84:85]
	s_delay_alu instid0(VALU_DEP_1)
	v_add_f64_e64 v[2:3], v[72:73], -v[108:109]
	scratch_store_b64 off, v[2:3], off offset:8
	s_wait_xcnt 0x0
	v_cmpx_ne_u32_e32 0, v0
	s_cbranch_execz .LBB97_213
; %bb.212:
	scratch_load_b64 v[2:3], off, off
	v_mov_b64_e32 v[72:73], 0
	scratch_store_b64 off, v[72:73], off
	s_wait_loadcnt 0x0
	ds_store_b64 v1, v[2:3]
.LBB97_213:
	s_wait_xcnt 0x0
	s_or_b32 exec_lo, exec_lo, s0
	s_wait_storecnt_dscnt 0x0
	s_barrier_signal -1
	s_barrier_wait -1
	s_clause 0x5
	scratch_load_b128 v[76:79], off, off
	scratch_load_b128 v[0:3], off, off offset:16
	scratch_load_b128 v[80:83], off, off offset:32
	;; [unrolled: 1-line block ×5, first 2 shown]
	v_mov_b32_e32 v74, 0
	scratch_load_b128 v[100:103], off, off offset:96
	s_and_b32 vcc_lo, exec_lo, s12
	scratch_load_b128 v[104:107], off, off offset:208
	ds_load_2addr_b64 v[96:99], v74 offset0:35 offset1:36
	s_wait_loadcnt_dscnt 0x700
	v_fma_f64 v[72:73], v[78:79], v[96:97], 0
	s_wait_loadcnt 0x6
	s_delay_alu instid0(VALU_DEP_1)
	v_fmac_f64_e32 v[72:73], v[0:1], v[98:99]
	ds_load_2addr_b64 v[96:99], v74 offset0:37 offset1:38
	s_wait_dscnt 0x0
	v_fmac_f64_e32 v[72:73], v[2:3], v[96:97]
	scratch_load_b128 v[0:3], off, off offset:112
	s_wait_loadcnt 0x6
	v_fmac_f64_e32 v[72:73], v[80:81], v[98:99]
	ds_load_2addr_b64 v[78:81], v74 offset0:39 offset1:40
	scratch_load_b128 v[96:99], off, off offset:128
	s_wait_dscnt 0x0
	v_fmac_f64_e32 v[72:73], v[82:83], v[78:79]
	s_wait_loadcnt 0x6
	s_delay_alu instid0(VALU_DEP_1)
	v_fmac_f64_e32 v[72:73], v[84:85], v[80:81]
	ds_load_2addr_b64 v[78:81], v74 offset0:41 offset1:42
	scratch_load_b128 v[82:85], off, off offset:144
	s_wait_dscnt 0x0
	v_fmac_f64_e32 v[72:73], v[86:87], v[78:79]
	s_wait_loadcnt 0x6
	s_delay_alu instid0(VALU_DEP_1)
	v_fmac_f64_e32 v[72:73], v[88:89], v[80:81]
	ds_load_2addr_b64 v[78:81], v74 offset0:43 offset1:44
	scratch_load_b128 v[86:89], off, off offset:160
	s_wait_dscnt 0x0
	v_fmac_f64_e32 v[72:73], v[90:91], v[78:79]
	s_wait_loadcnt 0x6
	s_delay_alu instid0(VALU_DEP_1)
	v_fmac_f64_e32 v[72:73], v[92:93], v[80:81]
	ds_load_2addr_b64 v[78:81], v74 offset0:45 offset1:46
	scratch_load_b128 v[90:93], off, off offset:176
	s_wait_dscnt 0x0
	v_fmac_f64_e32 v[72:73], v[94:95], v[78:79]
	s_wait_loadcnt 0x6
	s_delay_alu instid0(VALU_DEP_1)
	v_fmac_f64_e32 v[72:73], v[100:101], v[80:81]
	ds_load_2addr_b64 v[78:81], v74 offset0:47 offset1:48
	s_wait_dscnt 0x0
	v_fmac_f64_e32 v[72:73], v[102:103], v[78:79]
	scratch_load_b128 v[100:103], off, off offset:192
	s_wait_loadcnt 0x5
	v_fmac_f64_e32 v[72:73], v[0:1], v[80:81]
	ds_load_2addr_b64 v[78:81], v74 offset0:49 offset1:50
	s_wait_dscnt 0x0
	v_fmac_f64_e32 v[72:73], v[2:3], v[78:79]
	ds_load_2addr_b64 v[0:3], v74 offset0:51 offset1:52
	s_wait_loadcnt 0x4
	v_fmac_f64_e32 v[72:73], v[96:97], v[80:81]
	ds_load_2addr_b64 v[94:97], v74 offset0:55 offset1:56
	scratch_load_b128 v[78:81], off, off offset:224
	s_wait_dscnt 0x1
	v_fmac_f64_e32 v[72:73], v[98:99], v[0:1]
	s_wait_loadcnt 0x4
	s_delay_alu instid0(VALU_DEP_1)
	v_fmac_f64_e32 v[72:73], v[82:83], v[2:3]
	ds_load_2addr_b64 v[0:3], v74 offset0:53 offset1:54
	s_wait_dscnt 0x0
	v_fmac_f64_e32 v[72:73], v[84:85], v[0:1]
	scratch_load_b128 v[82:85], off, off offset:240
	s_wait_loadcnt 0x4
	v_fmac_f64_e32 v[72:73], v[86:87], v[2:3]
	scratch_load_b128 v[0:3], off, off offset:256
	v_fmac_f64_e32 v[72:73], v[88:89], v[94:95]
	ds_load_2addr_b64 v[86:89], v74 offset0:57 offset1:58
	s_wait_loadcnt 0x4
	v_fmac_f64_e32 v[72:73], v[90:91], v[96:97]
	s_wait_dscnt 0x0
	s_delay_alu instid0(VALU_DEP_1) | instskip(SKIP_1) | instid1(VALU_DEP_1)
	v_fmac_f64_e32 v[72:73], v[92:93], v[86:87]
	s_wait_loadcnt 0x3
	v_fmac_f64_e32 v[72:73], v[100:101], v[88:89]
	ds_load_2addr_b64 v[86:89], v74 offset0:59 offset1:60
	s_wait_dscnt 0x0
	v_fmac_f64_e32 v[72:73], v[102:103], v[86:87]
	s_delay_alu instid0(VALU_DEP_1) | instskip(SKIP_4) | instid1(VALU_DEP_1)
	v_fmac_f64_e32 v[72:73], v[104:105], v[88:89]
	ds_load_2addr_b64 v[86:89], v74 offset0:61 offset1:62
	s_wait_dscnt 0x0
	v_fmac_f64_e32 v[72:73], v[106:107], v[86:87]
	s_wait_loadcnt 0x2
	v_fmac_f64_e32 v[72:73], v[78:79], v[88:89]
	ds_load_2addr_b64 v[86:89], v74 offset0:63 offset1:64
	s_wait_dscnt 0x0
	v_fmac_f64_e32 v[72:73], v[80:81], v[86:87]
	ds_load_2addr_b64 v[78:81], v74 offset0:65 offset1:66
	s_wait_loadcnt 0x1
	v_fmac_f64_e32 v[72:73], v[82:83], v[88:89]
	s_wait_dscnt 0x0
	s_delay_alu instid0(VALU_DEP_1) | instskip(SKIP_4) | instid1(VALU_DEP_1)
	v_fmac_f64_e32 v[72:73], v[84:85], v[78:79]
	ds_load_b64 v[78:79], v74 offset:536
	s_wait_loadcnt 0x0
	v_fmac_f64_e32 v[72:73], v[0:1], v[80:81]
	s_wait_dscnt 0x0
	v_fmac_f64_e32 v[72:73], v[2:3], v[78:79]
	s_delay_alu instid0(VALU_DEP_1)
	v_add_f64_e64 v[72:73], v[76:77], -v[72:73]
	scratch_store_b64 off, v[72:73], off
	s_cbranch_vccz .LBB97_280
; %bb.214:
	global_load_b32 v2, v74, s[8:9] offset:128
	s_wait_loadcnt 0x0
	v_cmp_ne_u32_e32 vcc_lo, 33, v2
	s_cbranch_vccz .LBB97_216
; %bb.215:
	v_lshlrev_b32_e32 v2, 3, v2
	s_wait_xcnt 0x1
	s_delay_alu instid0(VALU_DEP_1)
	v_mov_b32_e32 v72, v2
	scratch_load_b64 v[2:3], v72, off offset:-8
	s_wait_loadcnt 0x0
	scratch_store_b64 off, v[2:3], off offset:256
	scratch_store_b64 v72, v[0:1], off offset:-8
.LBB97_216:
	s_wait_xcnt 0x0
	v_mov_b32_e32 v0, 0
	global_load_b32 v1, v0, s[8:9] offset:124
	s_wait_loadcnt 0x0
	v_cmp_eq_u32_e32 vcc_lo, 32, v1
	s_cbranch_vccnz .LBB97_218
; %bb.217:
	v_lshlrev_b32_e32 v1, 3, v1
	scratch_load_b64 v[2:3], v1, off offset:-8
	scratch_load_b64 v[72:73], off, off offset:248
	s_wait_loadcnt 0x1
	scratch_store_b64 off, v[2:3], off offset:248
	s_wait_loadcnt 0x0
	scratch_store_b64 v1, v[72:73], off offset:-8
.LBB97_218:
	global_load_b32 v0, v0, s[8:9] offset:120
	s_wait_loadcnt 0x0
	v_cmp_eq_u32_e32 vcc_lo, 31, v0
	s_cbranch_vccnz .LBB97_220
; %bb.219:
	s_wait_xcnt 0x0
	v_lshlrev_b32_e32 v0, 3, v0
	s_delay_alu instid0(VALU_DEP_1)
	v_mov_b32_e32 v72, v0
	scratch_load_b64 v[0:1], v72, off offset:-8
	scratch_load_b64 v[2:3], off, off offset:240
	s_wait_loadcnt 0x1
	scratch_store_b64 off, v[0:1], off offset:240
	s_wait_loadcnt 0x0
	scratch_store_b64 v72, v[2:3], off offset:-8
.LBB97_220:
	s_wait_xcnt 0x0
	v_mov_b32_e32 v0, 0
	global_load_b32 v1, v0, s[8:9] offset:116
	s_wait_loadcnt 0x0
	v_cmp_eq_u32_e32 vcc_lo, 30, v1
	s_cbranch_vccnz .LBB97_222
; %bb.221:
	v_lshlrev_b32_e32 v1, 3, v1
	scratch_load_b64 v[2:3], v1, off offset:-8
	scratch_load_b64 v[72:73], off, off offset:232
	s_wait_loadcnt 0x1
	scratch_store_b64 off, v[2:3], off offset:232
	s_wait_loadcnt 0x0
	scratch_store_b64 v1, v[72:73], off offset:-8
.LBB97_222:
	global_load_b32 v0, v0, s[8:9] offset:112
	s_wait_loadcnt 0x0
	v_cmp_eq_u32_e32 vcc_lo, 29, v0
	s_cbranch_vccnz .LBB97_224
; %bb.223:
	s_wait_xcnt 0x0
	v_lshlrev_b32_e32 v0, 3, v0
	s_delay_alu instid0(VALU_DEP_1)
	v_mov_b32_e32 v72, v0
	scratch_load_b64 v[0:1], v72, off offset:-8
	scratch_load_b64 v[2:3], off, off offset:224
	s_wait_loadcnt 0x1
	scratch_store_b64 off, v[0:1], off offset:224
	s_wait_loadcnt 0x0
	scratch_store_b64 v72, v[2:3], off offset:-8
.LBB97_224:
	;; [unrolled: 31-line block ×15, first 2 shown]
	s_wait_xcnt 0x0
	v_mov_b32_e32 v0, 0
	global_load_b32 v1, v0, s[8:9] offset:4
	s_wait_loadcnt 0x0
	v_cmp_eq_u32_e32 vcc_lo, 2, v1
	s_cbranch_vccnz .LBB97_278
; %bb.277:
	v_lshlrev_b32_e32 v1, 3, v1
	scratch_load_b64 v[2:3], v1, off offset:-8
	scratch_load_b64 v[72:73], off, off offset:8
	s_wait_loadcnt 0x1
	scratch_store_b64 off, v[2:3], off offset:8
	s_wait_loadcnt 0x0
	scratch_store_b64 v1, v[72:73], off offset:-8
.LBB97_278:
	global_load_b32 v0, v0, s[8:9]
	scratch_load_b64 v[72:73], off, off
	s_wait_loadcnt 0x1
	v_cmp_eq_u32_e32 vcc_lo, 1, v0
	s_cbranch_vccnz .LBB97_280
; %bb.279:
	s_wait_xcnt 0x1
	v_lshlrev_b32_e32 v0, 3, v0
	s_delay_alu instid0(VALU_DEP_1)
	v_mov_b32_e32 v2, v0
	scratch_load_b64 v[0:1], v2, off offset:-8
	s_wait_loadcnt 0x0
	scratch_store_b64 off, v[0:1], off
	scratch_store_b64 v2, v[72:73], off offset:-8
	scratch_load_b64 v[72:73], off, off
.LBB97_280:
	s_wait_loadcnt 0x0
	flat_store_b64 v[4:5], v[72:73]
	scratch_load_b64 v[4:5], off, off offset:8
	v_lshl_add_u64 v[102:103], v[8:9], 3, s[2:3]
	v_lshl_add_u64 v[100:101], v[10:11], 3, s[2:3]
	;; [unrolled: 1-line block ×32, first 2 shown]
	s_wait_loadcnt 0x0
	flat_store_b64 v[6:7], v[4:5]
	scratch_load_b64 v[4:5], off, off offset:16
	s_wait_loadcnt 0x0
	flat_store_b64 v[102:103], v[4:5]
	scratch_load_b64 v[4:5], off, off offset:24
	;; [unrolled: 3-line block ×32, first 2 shown]
	s_wait_loadcnt 0x0
	flat_store_b64 v[0:1], v[2:3]
	s_sendmsg sendmsg(MSG_DEALLOC_VGPRS)
	s_endpgm
	.section	.rodata,"a",@progbits
	.p2align	6, 0x0
	.amdhsa_kernel _ZN9rocsolver6v33100L18getri_kernel_smallILi34EdPKPdEEvT1_iilPiilS6_bb
		.amdhsa_group_segment_fixed_size 552
		.amdhsa_private_segment_fixed_size 288
		.amdhsa_kernarg_size 60
		.amdhsa_user_sgpr_count 2
		.amdhsa_user_sgpr_dispatch_ptr 0
		.amdhsa_user_sgpr_queue_ptr 0
		.amdhsa_user_sgpr_kernarg_segment_ptr 1
		.amdhsa_user_sgpr_dispatch_id 0
		.amdhsa_user_sgpr_kernarg_preload_length 0
		.amdhsa_user_sgpr_kernarg_preload_offset 0
		.amdhsa_user_sgpr_private_segment_size 0
		.amdhsa_wavefront_size32 1
		.amdhsa_uses_dynamic_stack 0
		.amdhsa_enable_private_segment 1
		.amdhsa_system_sgpr_workgroup_id_x 1
		.amdhsa_system_sgpr_workgroup_id_y 0
		.amdhsa_system_sgpr_workgroup_id_z 0
		.amdhsa_system_sgpr_workgroup_info 0
		.amdhsa_system_vgpr_workitem_id 0
		.amdhsa_next_free_vgpr 110
		.amdhsa_next_free_sgpr 19
		.amdhsa_named_barrier_count 0
		.amdhsa_reserve_vcc 1
		.amdhsa_float_round_mode_32 0
		.amdhsa_float_round_mode_16_64 0
		.amdhsa_float_denorm_mode_32 3
		.amdhsa_float_denorm_mode_16_64 3
		.amdhsa_fp16_overflow 0
		.amdhsa_memory_ordered 1
		.amdhsa_forward_progress 1
		.amdhsa_inst_pref_size 217
		.amdhsa_round_robin_scheduling 0
		.amdhsa_exception_fp_ieee_invalid_op 0
		.amdhsa_exception_fp_denorm_src 0
		.amdhsa_exception_fp_ieee_div_zero 0
		.amdhsa_exception_fp_ieee_overflow 0
		.amdhsa_exception_fp_ieee_underflow 0
		.amdhsa_exception_fp_ieee_inexact 0
		.amdhsa_exception_int_div_zero 0
	.end_amdhsa_kernel
	.section	.text._ZN9rocsolver6v33100L18getri_kernel_smallILi34EdPKPdEEvT1_iilPiilS6_bb,"axG",@progbits,_ZN9rocsolver6v33100L18getri_kernel_smallILi34EdPKPdEEvT1_iilPiilS6_bb,comdat
.Lfunc_end97:
	.size	_ZN9rocsolver6v33100L18getri_kernel_smallILi34EdPKPdEEvT1_iilPiilS6_bb, .Lfunc_end97-_ZN9rocsolver6v33100L18getri_kernel_smallILi34EdPKPdEEvT1_iilPiilS6_bb
                                        ; -- End function
	.set _ZN9rocsolver6v33100L18getri_kernel_smallILi34EdPKPdEEvT1_iilPiilS6_bb.num_vgpr, 110
	.set _ZN9rocsolver6v33100L18getri_kernel_smallILi34EdPKPdEEvT1_iilPiilS6_bb.num_agpr, 0
	.set _ZN9rocsolver6v33100L18getri_kernel_smallILi34EdPKPdEEvT1_iilPiilS6_bb.numbered_sgpr, 19
	.set _ZN9rocsolver6v33100L18getri_kernel_smallILi34EdPKPdEEvT1_iilPiilS6_bb.num_named_barrier, 0
	.set _ZN9rocsolver6v33100L18getri_kernel_smallILi34EdPKPdEEvT1_iilPiilS6_bb.private_seg_size, 288
	.set _ZN9rocsolver6v33100L18getri_kernel_smallILi34EdPKPdEEvT1_iilPiilS6_bb.uses_vcc, 1
	.set _ZN9rocsolver6v33100L18getri_kernel_smallILi34EdPKPdEEvT1_iilPiilS6_bb.uses_flat_scratch, 1
	.set _ZN9rocsolver6v33100L18getri_kernel_smallILi34EdPKPdEEvT1_iilPiilS6_bb.has_dyn_sized_stack, 0
	.set _ZN9rocsolver6v33100L18getri_kernel_smallILi34EdPKPdEEvT1_iilPiilS6_bb.has_recursion, 0
	.set _ZN9rocsolver6v33100L18getri_kernel_smallILi34EdPKPdEEvT1_iilPiilS6_bb.has_indirect_call, 0
	.section	.AMDGPU.csdata,"",@progbits
; Kernel info:
; codeLenInByte = 27772
; TotalNumSgprs: 21
; NumVgprs: 110
; ScratchSize: 288
; MemoryBound: 0
; FloatMode: 240
; IeeeMode: 1
; LDSByteSize: 552 bytes/workgroup (compile time only)
; SGPRBlocks: 0
; VGPRBlocks: 6
; NumSGPRsForWavesPerEU: 21
; NumVGPRsForWavesPerEU: 110
; NamedBarCnt: 0
; Occupancy: 9
; WaveLimiterHint : 1
; COMPUTE_PGM_RSRC2:SCRATCH_EN: 1
; COMPUTE_PGM_RSRC2:USER_SGPR: 2
; COMPUTE_PGM_RSRC2:TRAP_HANDLER: 0
; COMPUTE_PGM_RSRC2:TGID_X_EN: 1
; COMPUTE_PGM_RSRC2:TGID_Y_EN: 0
; COMPUTE_PGM_RSRC2:TGID_Z_EN: 0
; COMPUTE_PGM_RSRC2:TIDIG_COMP_CNT: 0
	.section	.text._ZN9rocsolver6v33100L18getri_kernel_smallILi35EdPKPdEEvT1_iilPiilS6_bb,"axG",@progbits,_ZN9rocsolver6v33100L18getri_kernel_smallILi35EdPKPdEEvT1_iilPiilS6_bb,comdat
	.globl	_ZN9rocsolver6v33100L18getri_kernel_smallILi35EdPKPdEEvT1_iilPiilS6_bb ; -- Begin function _ZN9rocsolver6v33100L18getri_kernel_smallILi35EdPKPdEEvT1_iilPiilS6_bb
	.p2align	8
	.type	_ZN9rocsolver6v33100L18getri_kernel_smallILi35EdPKPdEEvT1_iilPiilS6_bb,@function
_ZN9rocsolver6v33100L18getri_kernel_smallILi35EdPKPdEEvT1_iilPiilS6_bb: ; @_ZN9rocsolver6v33100L18getri_kernel_smallILi35EdPKPdEEvT1_iilPiilS6_bb
; %bb.0:
	s_mov_b32 s2, exec_lo
	v_cmpx_gt_u32_e32 35, v0
	s_cbranch_execz .LBB98_150
; %bb.1:
	s_clause 0x1
	s_load_b32 s13, s[0:1], 0x38
	s_load_b64 s[2:3], s[0:1], 0x0
	s_getreg_b32 s6, hwreg(HW_REG_IB_STS2, 6, 4)
	s_wait_kmcnt 0x0
	s_bitcmp1_b32 s13, 8
	s_cselect_b32 s12, -1, 0
	s_bfe_u32 s4, ttmp6, 0x4000c
	s_and_b32 s5, ttmp6, 15
	s_add_co_i32 s4, s4, 1
	s_delay_alu instid0(SALU_CYCLE_1) | instskip(NEXT) | instid1(SALU_CYCLE_1)
	s_mul_i32 s4, ttmp9, s4
	s_add_co_i32 s5, s5, s4
	s_cmp_eq_u32 s6, 0
	s_cselect_b32 s10, ttmp9, s5
	s_load_b128 s[4:7], s[0:1], 0x28
	s_ashr_i32 s11, s10, 31
	s_delay_alu instid0(SALU_CYCLE_1) | instskip(NEXT) | instid1(SALU_CYCLE_1)
	s_lshl_b64 s[8:9], s[10:11], 3
	s_add_nc_u64 s[2:3], s[2:3], s[8:9]
	s_bfe_u32 s8, s13, 0x10008
	s_load_b64 s[2:3], s[2:3], 0x0
	s_cmp_eq_u32 s8, 0
                                        ; implicit-def: $sgpr8_sgpr9
	s_cbranch_scc1 .LBB98_3
; %bb.2:
	s_load_b96 s[16:18], s[0:1], 0x18
	s_wait_kmcnt 0x0
	s_mul_u64 s[4:5], s[4:5], s[10:11]
	s_delay_alu instid0(SALU_CYCLE_1) | instskip(SKIP_4) | instid1(SALU_CYCLE_1)
	s_lshl_b64 s[4:5], s[4:5], 2
	s_ashr_i32 s9, s18, 31
	s_mov_b32 s8, s18
	s_add_nc_u64 s[4:5], s[16:17], s[4:5]
	s_lshl_b64 s[8:9], s[8:9], 2
	s_add_nc_u64 s[8:9], s[4:5], s[8:9]
.LBB98_3:
	s_wait_kmcnt 0x0
	s_clause 0x1
	s_load_b64 s[4:5], s[0:1], 0x8
	s_load_b32 s13, s[0:1], 0x38
	v_dual_mov_b32 v3, 0 :: v_dual_lshlrev_b32 v2, 3, v0
	s_wait_kmcnt 0x0
	s_ashr_i32 s1, s4, 31
	s_mov_b32 s0, s4
	s_delay_alu instid0(SALU_CYCLE_1) | instskip(NEXT) | instid1(SALU_CYCLE_1)
	s_lshl_b64 s[0:1], s[0:1], 3
	s_add_nc_u64 s[2:3], s[2:3], s[0:1]
	s_ashr_i32 s1, s5, 31
	flat_load_b64 v[8:9], v0, s[2:3] scale_offset
	v_add_nc_u64_e32 v[4:5], s[2:3], v[2:3]
	s_mov_b32 s0, s5
	s_bitcmp0_b32 s13, 0
	s_delay_alu instid0(VALU_DEP_1)
	v_lshl_add_u64 v[6:7], s[0:1], 3, v[4:5]
	s_mov_b32 s1, -1
	s_wait_loadcnt_dscnt 0x0
	scratch_store_b64 off, v[8:9], off
	flat_load_b64 v[10:11], v[6:7]
	s_wait_xcnt 0x1
	v_add3_u32 v8, s5, s5, v0
	s_wait_loadcnt_dscnt 0x0
	scratch_store_b64 off, v[10:11], off offset:8
	flat_load_b64 v[12:13], v8, s[2:3] scale_offset
	s_wait_xcnt 0x1
	v_add_nc_u32_e32 v10, s5, v8
	s_wait_loadcnt_dscnt 0x0
	scratch_store_b64 off, v[12:13], off offset:16
	flat_load_b64 v[14:15], v10, s[2:3] scale_offset
	s_wait_xcnt 0x1
	v_add_nc_u32_e32 v12, s5, v10
	s_wait_loadcnt_dscnt 0x0
	scratch_store_b64 off, v[14:15], off offset:24
	flat_load_b64 v[16:17], v12, s[2:3] scale_offset
	s_wait_xcnt 0x1
	v_add_nc_u32_e32 v14, s5, v12
	s_wait_loadcnt_dscnt 0x0
	scratch_store_b64 off, v[16:17], off offset:32
	flat_load_b64 v[18:19], v14, s[2:3] scale_offset
	s_wait_xcnt 0x1
	v_add_nc_u32_e32 v16, s5, v14
	s_wait_loadcnt_dscnt 0x0
	scratch_store_b64 off, v[18:19], off offset:40
	flat_load_b64 v[20:21], v16, s[2:3] scale_offset
	s_wait_xcnt 0x1
	v_add_nc_u32_e32 v18, s5, v16
	s_wait_loadcnt_dscnt 0x0
	scratch_store_b64 off, v[20:21], off offset:48
	flat_load_b64 v[22:23], v18, s[2:3] scale_offset
	s_wait_xcnt 0x1
	v_add_nc_u32_e32 v20, s5, v18
	s_wait_loadcnt_dscnt 0x0
	scratch_store_b64 off, v[22:23], off offset:56
	flat_load_b64 v[24:25], v20, s[2:3] scale_offset
	s_wait_xcnt 0x1
	v_add_nc_u32_e32 v22, s5, v20
	s_wait_loadcnt_dscnt 0x0
	scratch_store_b64 off, v[24:25], off offset:64
	flat_load_b64 v[26:27], v22, s[2:3] scale_offset
	s_wait_xcnt 0x1
	v_add_nc_u32_e32 v24, s5, v22
	s_wait_loadcnt_dscnt 0x0
	scratch_store_b64 off, v[26:27], off offset:72
	flat_load_b64 v[28:29], v24, s[2:3] scale_offset
	s_wait_xcnt 0x1
	v_add_nc_u32_e32 v26, s5, v24
	s_wait_loadcnt_dscnt 0x0
	scratch_store_b64 off, v[28:29], off offset:80
	flat_load_b64 v[30:31], v26, s[2:3] scale_offset
	s_wait_xcnt 0x1
	v_add_nc_u32_e32 v28, s5, v26
	s_wait_loadcnt_dscnt 0x0
	scratch_store_b64 off, v[30:31], off offset:88
	flat_load_b64 v[32:33], v28, s[2:3] scale_offset
	s_wait_xcnt 0x1
	v_add_nc_u32_e32 v30, s5, v28
	s_wait_loadcnt_dscnt 0x0
	scratch_store_b64 off, v[32:33], off offset:96
	flat_load_b64 v[34:35], v30, s[2:3] scale_offset
	s_wait_xcnt 0x1
	v_add_nc_u32_e32 v32, s5, v30
	s_wait_loadcnt_dscnt 0x0
	scratch_store_b64 off, v[34:35], off offset:104
	flat_load_b64 v[36:37], v32, s[2:3] scale_offset
	s_wait_xcnt 0x1
	v_add_nc_u32_e32 v34, s5, v32
	s_wait_loadcnt_dscnt 0x0
	scratch_store_b64 off, v[36:37], off offset:112
	flat_load_b64 v[38:39], v34, s[2:3] scale_offset
	s_wait_xcnt 0x1
	v_add_nc_u32_e32 v36, s5, v34
	s_wait_loadcnt_dscnt 0x0
	scratch_store_b64 off, v[38:39], off offset:120
	flat_load_b64 v[40:41], v36, s[2:3] scale_offset
	s_wait_xcnt 0x1
	v_add_nc_u32_e32 v38, s5, v36
	s_wait_loadcnt_dscnt 0x0
	scratch_store_b64 off, v[40:41], off offset:128
	flat_load_b64 v[42:43], v38, s[2:3] scale_offset
	s_wait_xcnt 0x1
	v_add_nc_u32_e32 v40, s5, v38
	s_wait_loadcnt_dscnt 0x0
	scratch_store_b64 off, v[42:43], off offset:136
	flat_load_b64 v[44:45], v40, s[2:3] scale_offset
	s_wait_xcnt 0x1
	v_add_nc_u32_e32 v42, s5, v40
	s_wait_loadcnt_dscnt 0x0
	scratch_store_b64 off, v[44:45], off offset:144
	flat_load_b64 v[46:47], v42, s[2:3] scale_offset
	s_wait_xcnt 0x1
	v_add_nc_u32_e32 v44, s5, v42
	s_wait_loadcnt_dscnt 0x0
	scratch_store_b64 off, v[46:47], off offset:152
	flat_load_b64 v[48:49], v44, s[2:3] scale_offset
	s_wait_xcnt 0x1
	v_add_nc_u32_e32 v46, s5, v44
	s_wait_loadcnt_dscnt 0x0
	scratch_store_b64 off, v[48:49], off offset:160
	flat_load_b64 v[50:51], v46, s[2:3] scale_offset
	s_wait_xcnt 0x1
	v_add_nc_u32_e32 v48, s5, v46
	s_wait_loadcnt_dscnt 0x0
	scratch_store_b64 off, v[50:51], off offset:168
	flat_load_b64 v[52:53], v48, s[2:3] scale_offset
	s_wait_xcnt 0x1
	v_add_nc_u32_e32 v50, s5, v48
	s_wait_loadcnt_dscnt 0x0
	scratch_store_b64 off, v[52:53], off offset:176
	flat_load_b64 v[54:55], v50, s[2:3] scale_offset
	s_wait_xcnt 0x1
	v_add_nc_u32_e32 v52, s5, v50
	s_wait_loadcnt_dscnt 0x0
	scratch_store_b64 off, v[54:55], off offset:184
	flat_load_b64 v[56:57], v52, s[2:3] scale_offset
	s_wait_xcnt 0x1
	v_add_nc_u32_e32 v54, s5, v52
	s_wait_loadcnt_dscnt 0x0
	scratch_store_b64 off, v[56:57], off offset:192
	flat_load_b64 v[58:59], v54, s[2:3] scale_offset
	s_wait_xcnt 0x1
	v_add_nc_u32_e32 v56, s5, v54
	s_wait_loadcnt_dscnt 0x0
	scratch_store_b64 off, v[58:59], off offset:200
	flat_load_b64 v[60:61], v56, s[2:3] scale_offset
	s_wait_xcnt 0x1
	v_add_nc_u32_e32 v58, s5, v56
	s_wait_loadcnt_dscnt 0x0
	scratch_store_b64 off, v[60:61], off offset:208
	flat_load_b64 v[62:63], v58, s[2:3] scale_offset
	s_wait_xcnt 0x1
	v_add_nc_u32_e32 v60, s5, v58
	s_wait_loadcnt_dscnt 0x0
	scratch_store_b64 off, v[62:63], off offset:216
	flat_load_b64 v[64:65], v60, s[2:3] scale_offset
	s_wait_xcnt 0x1
	v_add_nc_u32_e32 v62, s5, v60
	s_wait_loadcnt_dscnt 0x0
	scratch_store_b64 off, v[64:65], off offset:224
	flat_load_b64 v[66:67], v62, s[2:3] scale_offset
	s_wait_xcnt 0x1
	v_add_nc_u32_e32 v64, s5, v62
	s_wait_loadcnt_dscnt 0x0
	scratch_store_b64 off, v[66:67], off offset:232
	flat_load_b64 v[68:69], v64, s[2:3] scale_offset
	s_wait_xcnt 0x1
	v_add_nc_u32_e32 v66, s5, v64
	s_wait_loadcnt_dscnt 0x0
	scratch_store_b64 off, v[68:69], off offset:240
	flat_load_b64 v[70:71], v66, s[2:3] scale_offset
	s_wait_xcnt 0x1
	v_add_nc_u32_e32 v68, s5, v66
	s_wait_loadcnt_dscnt 0x0
	scratch_store_b64 off, v[70:71], off offset:248
	flat_load_b64 v[72:73], v68, s[2:3] scale_offset
	s_wait_xcnt 0x1
	v_add_nc_u32_e32 v70, s5, v68
	s_wait_loadcnt_dscnt 0x0
	scratch_store_b64 off, v[72:73], off offset:256
	flat_load_b64 v[74:75], v70, s[2:3] scale_offset
	s_wait_xcnt 0x1
	v_add_nc_u32_e32 v72, s5, v70
	s_wait_loadcnt_dscnt 0x0
	scratch_store_b64 off, v[74:75], off offset:264
	flat_load_b64 v[74:75], v72, s[2:3] scale_offset
	s_wait_loadcnt_dscnt 0x0
	scratch_store_b64 off, v[74:75], off offset:272
	s_cbranch_scc1 .LBB98_148
; %bb.4:
	v_cmp_eq_u32_e64 s0, 0, v0
	s_wait_xcnt 0x0
	s_and_saveexec_b32 s1, s0
; %bb.5:
	v_mov_b32_e32 v1, 0
	ds_store_b32 v1, v1 offset:280
; %bb.6:
	s_or_b32 exec_lo, exec_lo, s1
	s_wait_storecnt_dscnt 0x0
	s_barrier_signal -1
	s_barrier_wait -1
	scratch_load_b64 v[74:75], v0, off scale_offset
	s_mov_b32 s4, exec_lo
	s_wait_loadcnt 0x0
	v_cmpx_eq_f64_e32 0, v[74:75]
	s_cbranch_execz .LBB98_10
; %bb.7:
	v_mov_b32_e32 v1, 0
	s_mov_b32 s5, 0
	ds_load_b32 v3, v1 offset:280
	s_wait_dscnt 0x0
	v_readfirstlane_b32 s1, v3
	v_add_nc_u32_e32 v3, 1, v0
	s_cmp_eq_u32 s1, 0
	s_delay_alu instid0(VALU_DEP_1) | instskip(SKIP_1) | instid1(SALU_CYCLE_1)
	v_cmp_gt_i32_e32 vcc_lo, s1, v3
	s_cselect_b32 s13, -1, 0
	s_or_b32 s13, s13, vcc_lo
	s_delay_alu instid0(SALU_CYCLE_1)
	s_and_b32 exec_lo, exec_lo, s13
	s_cbranch_execz .LBB98_10
; %bb.8:
	v_mov_b32_e32 v9, s1
.LBB98_9:                               ; =>This Inner Loop Header: Depth=1
	ds_cmpstore_rtn_b32 v9, v1, v3, v9 offset:280
	s_wait_dscnt 0x0
	v_cmp_ne_u32_e32 vcc_lo, 0, v9
	v_cmp_le_i32_e64 s1, v9, v3
	s_and_b32 s1, vcc_lo, s1
	s_delay_alu instid0(SALU_CYCLE_1) | instskip(NEXT) | instid1(SALU_CYCLE_1)
	s_and_b32 s1, exec_lo, s1
	s_or_b32 s5, s1, s5
	s_delay_alu instid0(SALU_CYCLE_1)
	s_and_not1_b32 exec_lo, exec_lo, s5
	s_cbranch_execnz .LBB98_9
.LBB98_10:
	s_or_b32 exec_lo, exec_lo, s4
	v_mov_b32_e32 v1, 0
	s_barrier_signal -1
	s_barrier_wait -1
	ds_load_b32 v3, v1 offset:280
	s_and_saveexec_b32 s1, s0
	s_cbranch_execz .LBB98_12
; %bb.11:
	s_lshl_b64 s[4:5], s[10:11], 2
	s_delay_alu instid0(SALU_CYCLE_1)
	s_add_nc_u64 s[4:5], s[6:7], s[4:5]
	s_wait_dscnt 0x0
	global_store_b32 v1, v3, s[4:5]
.LBB98_12:
	s_wait_xcnt 0x0
	s_or_b32 exec_lo, exec_lo, s1
	s_wait_dscnt 0x0
	v_cmp_ne_u32_e32 vcc_lo, 0, v3
	s_mov_b32 s1, 0
	s_cbranch_vccnz .LBB98_148
; %bb.13:
	v_lshl_add_u32 v3, v0, 3, 0
	v_add_nc_u32_e32 v1, 0x120, v2
	scratch_load_b64 v[74:75], v3, off
	s_wait_loadcnt 0x0
	v_div_scale_f64 v[76:77], null, v[74:75], v[74:75], 1.0
	v_div_scale_f64 v[82:83], vcc_lo, 1.0, v[74:75], 1.0
	s_delay_alu instid0(VALU_DEP_2) | instskip(SKIP_1) | instid1(TRANS32_DEP_1)
	v_rcp_f64_e32 v[78:79], v[76:77]
	v_nop
	v_fma_f64 v[80:81], -v[76:77], v[78:79], 1.0
	s_delay_alu instid0(VALU_DEP_1) | instskip(NEXT) | instid1(VALU_DEP_1)
	v_fmac_f64_e32 v[78:79], v[78:79], v[80:81]
	v_fma_f64 v[80:81], -v[76:77], v[78:79], 1.0
	s_delay_alu instid0(VALU_DEP_1) | instskip(NEXT) | instid1(VALU_DEP_1)
	v_fmac_f64_e32 v[78:79], v[78:79], v[80:81]
	v_mul_f64_e32 v[80:81], v[82:83], v[78:79]
	s_delay_alu instid0(VALU_DEP_1) | instskip(NEXT) | instid1(VALU_DEP_1)
	v_fma_f64 v[76:77], -v[76:77], v[80:81], v[82:83]
	v_div_fmas_f64 v[76:77], v[76:77], v[78:79], v[80:81]
	s_delay_alu instid0(VALU_DEP_1)
	v_div_fixup_f64 v[74:75], v[76:77], v[74:75], 1.0
	scratch_store_b64 v3, v[74:75], off
	scratch_load_b64 v[76:77], off, off offset:8
	s_wait_xcnt 0x1
	v_xor_b32_e32 v75, 0x80000000, v75
	s_wait_loadcnt 0x0
	ds_store_2addr_b64 v2, v[74:75], v[76:77] offset1:36
	s_wait_storecnt_dscnt 0x0
	s_barrier_signal -1
	s_barrier_wait -1
	s_wait_xcnt 0x0
	s_and_saveexec_b32 s1, s0
	s_cbranch_execz .LBB98_15
; %bb.14:
	scratch_load_b64 v[74:75], v3, off
	ds_load_b64 v[76:77], v1
	s_wait_loadcnt_dscnt 0x0
	v_fma_f64 v[74:75], v[74:75], v[76:77], 0
	v_mov_b32_e32 v9, 0
	ds_load_b64 v[78:79], v9 offset:8
	s_wait_dscnt 0x0
	v_mul_f64_e32 v[74:75], v[74:75], v[78:79]
	scratch_store_b64 off, v[74:75], off offset:8
.LBB98_15:
	s_wait_xcnt 0x0
	s_or_b32 exec_lo, exec_lo, s1
	s_wait_storecnt 0x0
	s_barrier_signal -1
	s_barrier_wait -1
	scratch_load_b64 v[74:75], off, off offset:16
	s_mov_b32 s1, exec_lo
	s_wait_loadcnt 0x0
	ds_store_b64 v1, v[74:75]
	s_wait_dscnt 0x0
	s_barrier_signal -1
	s_barrier_wait -1
	v_cmpx_gt_u32_e32 2, v0
	s_cbranch_execz .LBB98_19
; %bb.16:
	scratch_load_b64 v[74:75], v3, off
	ds_load_b64 v[76:77], v1
	s_wait_loadcnt_dscnt 0x0
	v_fma_f64 v[74:75], v[74:75], v[76:77], 0
	s_and_saveexec_b32 s4, s0
	s_cbranch_execz .LBB98_18
; %bb.17:
	scratch_load_b64 v[76:77], off, off offset:8
	v_mov_b32_e32 v3, 0
	ds_load_b64 v[78:79], v3 offset:296
	s_wait_loadcnt_dscnt 0x0
	v_fmac_f64_e32 v[74:75], v[76:77], v[78:79]
.LBB98_18:
	s_or_b32 exec_lo, exec_lo, s4
	v_mov_b32_e32 v3, 0
	ds_load_b64 v[76:77], v3 offset:16
	s_wait_dscnt 0x0
	v_mul_f64_e32 v[74:75], v[74:75], v[76:77]
	scratch_store_b64 off, v[74:75], off offset:16
.LBB98_19:
	s_wait_xcnt 0x0
	s_or_b32 exec_lo, exec_lo, s1
	s_wait_storecnt 0x0
	s_barrier_signal -1
	s_barrier_wait -1
	scratch_load_b64 v[74:75], off, off offset:24
	v_add_nc_u32_e32 v3, -1, v0
	s_mov_b32 s0, exec_lo
	s_wait_loadcnt 0x0
	ds_store_b64 v1, v[74:75]
	s_wait_dscnt 0x0
	s_barrier_signal -1
	s_barrier_wait -1
	v_cmpx_gt_u32_e32 3, v0
	s_cbranch_execz .LBB98_23
; %bb.20:
	v_mov_b64_e32 v[74:75], 0
	v_dual_add_nc_u32 v9, -1, v0 :: v_dual_mov_b32 v13, v2
	v_add_nc_u32_e32 v11, 0x120, v2
	s_mov_b32 s1, 0
.LBB98_21:                              ; =>This Inner Loop Header: Depth=1
	scratch_load_b64 v[76:77], v13, off
	ds_load_b64 v[78:79], v11
	v_dual_add_nc_u32 v9, 1, v9 :: v_dual_add_nc_u32 v11, 8, v11
	s_wait_xcnt 0x0
	v_add_nc_u32_e32 v13, 8, v13
	s_delay_alu instid0(VALU_DEP_2)
	v_cmp_lt_u32_e32 vcc_lo, 1, v9
	s_or_b32 s1, vcc_lo, s1
	s_wait_loadcnt_dscnt 0x0
	v_fmac_f64_e32 v[74:75], v[76:77], v[78:79]
	s_and_not1_b32 exec_lo, exec_lo, s1
	s_cbranch_execnz .LBB98_21
; %bb.22:
	s_or_b32 exec_lo, exec_lo, s1
	v_mov_b32_e32 v9, 0
	ds_load_b64 v[76:77], v9 offset:24
	s_wait_dscnt 0x0
	v_mul_f64_e32 v[74:75], v[74:75], v[76:77]
	scratch_store_b64 off, v[74:75], off offset:24
.LBB98_23:
	s_wait_xcnt 0x0
	s_or_b32 exec_lo, exec_lo, s0
	s_wait_storecnt 0x0
	s_barrier_signal -1
	s_barrier_wait -1
	scratch_load_b64 v[74:75], off, off offset:32
	s_mov_b32 s0, exec_lo
	s_wait_loadcnt 0x0
	ds_store_b64 v1, v[74:75]
	s_wait_dscnt 0x0
	s_barrier_signal -1
	s_barrier_wait -1
	v_cmpx_gt_u32_e32 4, v0
	s_cbranch_execz .LBB98_27
; %bb.24:
	v_mov_b64_e32 v[74:75], 0
	v_dual_add_nc_u32 v9, -1, v0 :: v_dual_mov_b32 v13, v2
	v_add_nc_u32_e32 v11, 0x120, v2
	s_mov_b32 s1, 0
.LBB98_25:                              ; =>This Inner Loop Header: Depth=1
	scratch_load_b64 v[76:77], v13, off
	ds_load_b64 v[78:79], v11
	v_dual_add_nc_u32 v9, 1, v9 :: v_dual_add_nc_u32 v11, 8, v11
	s_wait_xcnt 0x0
	v_add_nc_u32_e32 v13, 8, v13
	s_delay_alu instid0(VALU_DEP_2)
	v_cmp_lt_u32_e32 vcc_lo, 2, v9
	s_or_b32 s1, vcc_lo, s1
	s_wait_loadcnt_dscnt 0x0
	v_fmac_f64_e32 v[74:75], v[76:77], v[78:79]
	s_and_not1_b32 exec_lo, exec_lo, s1
	s_cbranch_execnz .LBB98_25
; %bb.26:
	s_or_b32 exec_lo, exec_lo, s1
	v_mov_b32_e32 v9, 0
	ds_load_b64 v[76:77], v9 offset:32
	s_wait_dscnt 0x0
	v_mul_f64_e32 v[74:75], v[74:75], v[76:77]
	scratch_store_b64 off, v[74:75], off offset:32
.LBB98_27:
	s_wait_xcnt 0x0
	s_or_b32 exec_lo, exec_lo, s0
	s_wait_storecnt 0x0
	s_barrier_signal -1
	s_barrier_wait -1
	scratch_load_b64 v[74:75], off, off offset:40
	;; [unrolled: 40-line block ×20, first 2 shown]
	s_mov_b32 s0, exec_lo
	s_wait_loadcnt 0x0
	ds_store_b64 v1, v[74:75]
	s_wait_dscnt 0x0
	s_barrier_signal -1
	s_barrier_wait -1
	v_cmpx_gt_u32_e32 23, v0
	s_cbranch_execz .LBB98_103
; %bb.100:
	v_mov_b64_e32 v[74:75], 0
	v_dual_add_nc_u32 v9, -1, v0 :: v_dual_mov_b32 v13, v2
	v_add_nc_u32_e32 v11, 0x120, v2
	s_mov_b32 s1, 0
.LBB98_101:                             ; =>This Inner Loop Header: Depth=1
	scratch_load_b64 v[76:77], v13, off
	ds_load_b64 v[78:79], v11
	v_dual_add_nc_u32 v9, 1, v9 :: v_dual_add_nc_u32 v11, 8, v11
	s_wait_xcnt 0x0
	v_add_nc_u32_e32 v13, 8, v13
	s_delay_alu instid0(VALU_DEP_2)
	v_cmp_lt_u32_e32 vcc_lo, 21, v9
	s_or_b32 s1, vcc_lo, s1
	s_wait_loadcnt_dscnt 0x0
	v_fmac_f64_e32 v[74:75], v[76:77], v[78:79]
	s_and_not1_b32 exec_lo, exec_lo, s1
	s_cbranch_execnz .LBB98_101
; %bb.102:
	s_or_b32 exec_lo, exec_lo, s1
	v_mov_b32_e32 v9, 0
	ds_load_b64 v[76:77], v9 offset:184
	s_wait_dscnt 0x0
	v_mul_f64_e32 v[74:75], v[74:75], v[76:77]
	scratch_store_b64 off, v[74:75], off offset:184
.LBB98_103:
	s_wait_xcnt 0x0
	s_or_b32 exec_lo, exec_lo, s0
	s_wait_storecnt 0x0
	s_barrier_signal -1
	s_barrier_wait -1
	scratch_load_b64 v[74:75], off, off offset:192
	s_mov_b32 s0, exec_lo
	s_wait_loadcnt 0x0
	ds_store_b64 v1, v[74:75]
	s_wait_dscnt 0x0
	s_barrier_signal -1
	s_barrier_wait -1
	v_cmpx_gt_u32_e32 24, v0
	s_cbranch_execz .LBB98_107
; %bb.104:
	v_mov_b64_e32 v[74:75], 0
	v_dual_add_nc_u32 v9, -1, v0 :: v_dual_mov_b32 v13, v2
	v_add_nc_u32_e32 v11, 0x120, v2
	s_mov_b32 s1, 0
.LBB98_105:                             ; =>This Inner Loop Header: Depth=1
	scratch_load_b64 v[76:77], v13, off
	ds_load_b64 v[78:79], v11
	v_dual_add_nc_u32 v9, 1, v9 :: v_dual_add_nc_u32 v11, 8, v11
	s_wait_xcnt 0x0
	v_add_nc_u32_e32 v13, 8, v13
	s_delay_alu instid0(VALU_DEP_2)
	v_cmp_lt_u32_e32 vcc_lo, 22, v9
	s_or_b32 s1, vcc_lo, s1
	s_wait_loadcnt_dscnt 0x0
	v_fmac_f64_e32 v[74:75], v[76:77], v[78:79]
	s_and_not1_b32 exec_lo, exec_lo, s1
	s_cbranch_execnz .LBB98_105
; %bb.106:
	s_or_b32 exec_lo, exec_lo, s1
	v_mov_b32_e32 v9, 0
	ds_load_b64 v[76:77], v9 offset:192
	s_wait_dscnt 0x0
	v_mul_f64_e32 v[74:75], v[74:75], v[76:77]
	scratch_store_b64 off, v[74:75], off offset:192
.LBB98_107:
	s_wait_xcnt 0x0
	s_or_b32 exec_lo, exec_lo, s0
	s_wait_storecnt 0x0
	s_barrier_signal -1
	s_barrier_wait -1
	scratch_load_b64 v[74:75], off, off offset:200
	;; [unrolled: 40-line block ×11, first 2 shown]
	s_mov_b32 s0, exec_lo
	s_wait_loadcnt 0x0
	ds_store_b64 v1, v[74:75]
	s_wait_dscnt 0x0
	s_barrier_signal -1
	s_barrier_wait -1
	v_cmpx_ne_u32_e32 34, v0
	s_cbranch_execz .LBB98_147
; %bb.144:
	v_mov_b64_e32 v[74:75], 0
	s_mov_b32 s1, 0
.LBB98_145:                             ; =>This Inner Loop Header: Depth=1
	scratch_load_b64 v[76:77], v2, off
	ds_load_b64 v[78:79], v1
	v_dual_add_nc_u32 v3, 1, v3 :: v_dual_add_nc_u32 v1, 8, v1
	s_wait_xcnt 0x0
	v_add_nc_u32_e32 v2, 8, v2
	s_delay_alu instid0(VALU_DEP_2)
	v_cmp_lt_u32_e32 vcc_lo, 32, v3
	s_or_b32 s1, vcc_lo, s1
	s_wait_loadcnt_dscnt 0x0
	v_fmac_f64_e32 v[74:75], v[76:77], v[78:79]
	s_and_not1_b32 exec_lo, exec_lo, s1
	s_cbranch_execnz .LBB98_145
; %bb.146:
	s_or_b32 exec_lo, exec_lo, s1
	v_mov_b32_e32 v1, 0
	ds_load_b64 v[2:3], v1 offset:272
	s_wait_dscnt 0x0
	v_mul_f64_e32 v[2:3], v[74:75], v[2:3]
	scratch_store_b64 off, v[2:3], off offset:272
.LBB98_147:
	s_wait_xcnt 0x0
	s_or_b32 exec_lo, exec_lo, s0
	s_mov_b32 s1, -1
	s_wait_storecnt 0x0
	s_barrier_signal -1
	s_barrier_wait -1
.LBB98_148:
	s_and_b32 vcc_lo, exec_lo, s1
	s_cbranch_vccz .LBB98_150
; %bb.149:
	v_mov_b32_e32 v1, 0
	s_lshl_b64 s[0:1], s[10:11], 2
	s_delay_alu instid0(SALU_CYCLE_1)
	s_add_nc_u64 s[0:1], s[6:7], s[0:1]
	global_load_b32 v1, v1, s[0:1]
	s_wait_loadcnt 0x0
	v_cmp_ne_u32_e32 vcc_lo, 0, v1
	s_cbranch_vccz .LBB98_151
.LBB98_150:
	s_sendmsg sendmsg(MSG_DEALLOC_VGPRS)
	s_endpgm
.LBB98_151:
	s_wait_xcnt 0x0
	v_lshl_add_u32 v1, v0, 3, 0x120
	s_mov_b32 s0, exec_lo
	v_cmpx_eq_u32_e32 34, v0
	s_cbranch_execz .LBB98_153
; %bb.152:
	scratch_load_b64 v[2:3], off, off offset:264
	v_mov_b64_e32 v[74:75], 0
	scratch_store_b64 off, v[74:75], off offset:264
	s_wait_loadcnt 0x0
	ds_store_b64 v1, v[2:3]
.LBB98_153:
	s_wait_xcnt 0x0
	s_or_b32 exec_lo, exec_lo, s0
	s_wait_storecnt_dscnt 0x0
	s_barrier_signal -1
	s_barrier_wait -1
	scratch_load_b128 v[74:77], off, off offset:264
	v_mov_b32_e32 v2, 0
	s_mov_b32 s0, exec_lo
	ds_load_b64 v[78:79], v2 offset:560
	s_wait_loadcnt_dscnt 0x0
	v_fma_f64 v[76:77], v[76:77], v[78:79], 0
	s_delay_alu instid0(VALU_DEP_1)
	v_add_f64_e64 v[74:75], v[74:75], -v[76:77]
	scratch_store_b64 off, v[74:75], off offset:264
	s_wait_xcnt 0x0
	v_cmpx_lt_u32_e32 32, v0
	s_cbranch_execz .LBB98_155
; %bb.154:
	scratch_load_b64 v[74:75], off, off offset:256
	v_mov_b64_e32 v[76:77], 0
	scratch_store_b64 off, v[76:77], off offset:256
	s_wait_loadcnt 0x0
	ds_store_b64 v1, v[74:75]
.LBB98_155:
	s_wait_xcnt 0x0
	s_or_b32 exec_lo, exec_lo, s0
	s_wait_storecnt_dscnt 0x0
	s_barrier_signal -1
	s_barrier_wait -1
	s_clause 0x1
	scratch_load_b128 v[74:77], off, off offset:256
	scratch_load_b64 v[82:83], off, off offset:272
	ds_load_2addr_b64 v[78:81], v2 offset0:69 offset1:70
	s_mov_b32 s0, exec_lo
	s_wait_loadcnt_dscnt 0x100
	v_fma_f64 v[2:3], v[76:77], v[78:79], 0
	s_wait_loadcnt 0x0
	s_delay_alu instid0(VALU_DEP_1) | instskip(NEXT) | instid1(VALU_DEP_1)
	v_fmac_f64_e32 v[2:3], v[82:83], v[80:81]
	v_add_f64_e64 v[2:3], v[74:75], -v[2:3]
	scratch_store_b64 off, v[2:3], off offset:256
	s_wait_xcnt 0x0
	v_cmpx_lt_u32_e32 31, v0
	s_cbranch_execz .LBB98_157
; %bb.156:
	scratch_load_b64 v[2:3], off, off offset:248
	v_mov_b64_e32 v[74:75], 0
	scratch_store_b64 off, v[74:75], off offset:248
	s_wait_loadcnt 0x0
	ds_store_b64 v1, v[2:3]
.LBB98_157:
	s_wait_xcnt 0x0
	s_or_b32 exec_lo, exec_lo, s0
	s_wait_storecnt_dscnt 0x0
	s_barrier_signal -1
	s_barrier_wait -1
	s_clause 0x1
	scratch_load_b128 v[74:77], off, off offset:248
	scratch_load_b128 v[78:81], off, off offset:264
	v_mov_b32_e32 v2, 0
	ds_load_b128 v[82:85], v2 offset:544
	ds_load_b64 v[86:87], v2 offset:560
	s_mov_b32 s0, exec_lo
	s_wait_loadcnt_dscnt 0x101
	v_fma_f64 v[76:77], v[76:77], v[82:83], 0
	s_wait_loadcnt 0x0
	s_delay_alu instid0(VALU_DEP_1) | instskip(SKIP_1) | instid1(VALU_DEP_1)
	v_fmac_f64_e32 v[76:77], v[78:79], v[84:85]
	s_wait_dscnt 0x0
	v_fmac_f64_e32 v[76:77], v[80:81], v[86:87]
	s_delay_alu instid0(VALU_DEP_1)
	v_add_f64_e64 v[74:75], v[74:75], -v[76:77]
	scratch_store_b64 off, v[74:75], off offset:248
	s_wait_xcnt 0x0
	v_cmpx_lt_u32_e32 30, v0
	s_cbranch_execz .LBB98_159
; %bb.158:
	scratch_load_b64 v[74:75], off, off offset:240
	v_mov_b64_e32 v[76:77], 0
	scratch_store_b64 off, v[76:77], off offset:240
	s_wait_loadcnt 0x0
	ds_store_b64 v1, v[74:75]
.LBB98_159:
	s_wait_xcnt 0x0
	s_or_b32 exec_lo, exec_lo, s0
	s_wait_storecnt_dscnt 0x0
	s_barrier_signal -1
	s_barrier_wait -1
	s_clause 0x2
	scratch_load_b128 v[74:77], off, off offset:240
	scratch_load_b128 v[78:81], off, off offset:256
	scratch_load_b64 v[90:91], off, off offset:272
	ds_load_2addr_b64 v[82:85], v2 offset0:67 offset1:68
	ds_load_2addr_b64 v[86:89], v2 offset0:69 offset1:70
	s_mov_b32 s0, exec_lo
	s_wait_loadcnt_dscnt 0x201
	v_fma_f64 v[2:3], v[76:77], v[82:83], 0
	s_wait_loadcnt 0x1
	s_delay_alu instid0(VALU_DEP_1) | instskip(SKIP_1) | instid1(VALU_DEP_1)
	v_fmac_f64_e32 v[2:3], v[78:79], v[84:85]
	s_wait_dscnt 0x0
	v_fmac_f64_e32 v[2:3], v[80:81], v[86:87]
	s_wait_loadcnt 0x0
	s_delay_alu instid0(VALU_DEP_1) | instskip(NEXT) | instid1(VALU_DEP_1)
	v_fmac_f64_e32 v[2:3], v[90:91], v[88:89]
	v_add_f64_e64 v[2:3], v[74:75], -v[2:3]
	scratch_store_b64 off, v[2:3], off offset:240
	s_wait_xcnt 0x0
	v_cmpx_lt_u32_e32 29, v0
	s_cbranch_execz .LBB98_161
; %bb.160:
	scratch_load_b64 v[2:3], off, off offset:232
	v_mov_b64_e32 v[74:75], 0
	scratch_store_b64 off, v[74:75], off offset:232
	s_wait_loadcnt 0x0
	ds_store_b64 v1, v[2:3]
.LBB98_161:
	s_wait_xcnt 0x0
	s_or_b32 exec_lo, exec_lo, s0
	s_wait_storecnt_dscnt 0x0
	s_barrier_signal -1
	s_barrier_wait -1
	s_clause 0x2
	scratch_load_b128 v[74:77], off, off offset:232
	scratch_load_b128 v[78:81], off, off offset:248
	scratch_load_b128 v[82:85], off, off offset:264
	v_mov_b32_e32 v2, 0
	ds_load_b128 v[86:89], v2 offset:528
	ds_load_b128 v[90:93], v2 offset:544
	s_mov_b32 s0, exec_lo
	s_wait_loadcnt_dscnt 0x201
	v_fma_f64 v[76:77], v[76:77], v[86:87], 0
	s_wait_loadcnt 0x1
	s_delay_alu instid0(VALU_DEP_1) | instskip(SKIP_4) | instid1(VALU_DEP_1)
	v_fmac_f64_e32 v[76:77], v[78:79], v[88:89]
	ds_load_b64 v[78:79], v2 offset:560
	s_wait_dscnt 0x1
	v_fmac_f64_e32 v[76:77], v[80:81], v[90:91]
	s_wait_loadcnt 0x0
	v_fmac_f64_e32 v[76:77], v[82:83], v[92:93]
	s_wait_dscnt 0x0
	s_delay_alu instid0(VALU_DEP_1) | instskip(NEXT) | instid1(VALU_DEP_1)
	v_fmac_f64_e32 v[76:77], v[84:85], v[78:79]
	v_add_f64_e64 v[74:75], v[74:75], -v[76:77]
	scratch_store_b64 off, v[74:75], off offset:232
	s_wait_xcnt 0x0
	v_cmpx_lt_u32_e32 28, v0
	s_cbranch_execz .LBB98_163
; %bb.162:
	scratch_load_b64 v[74:75], off, off offset:224
	v_mov_b64_e32 v[76:77], 0
	scratch_store_b64 off, v[76:77], off offset:224
	s_wait_loadcnt 0x0
	ds_store_b64 v1, v[74:75]
.LBB98_163:
	s_wait_xcnt 0x0
	s_or_b32 exec_lo, exec_lo, s0
	s_wait_storecnt_dscnt 0x0
	s_barrier_signal -1
	s_barrier_wait -1
	s_clause 0x3
	scratch_load_b128 v[74:77], off, off offset:224
	scratch_load_b128 v[78:81], off, off offset:240
	;; [unrolled: 1-line block ×3, first 2 shown]
	scratch_load_b64 v[94:95], off, off offset:272
	ds_load_2addr_b64 v[86:89], v2 offset0:65 offset1:66
	ds_load_2addr_b64 v[90:93], v2 offset0:67 offset1:68
	s_mov_b32 s0, exec_lo
	s_wait_loadcnt_dscnt 0x301
	v_fma_f64 v[86:87], v[76:77], v[86:87], 0
	s_wait_loadcnt 0x2
	s_delay_alu instid0(VALU_DEP_1) | instskip(SKIP_4) | instid1(VALU_DEP_1)
	v_fmac_f64_e32 v[86:87], v[78:79], v[88:89]
	ds_load_2addr_b64 v[76:79], v2 offset0:69 offset1:70
	s_wait_dscnt 0x1
	v_fmac_f64_e32 v[86:87], v[80:81], v[90:91]
	s_wait_loadcnt 0x1
	v_fmac_f64_e32 v[86:87], v[82:83], v[92:93]
	s_wait_dscnt 0x0
	s_delay_alu instid0(VALU_DEP_1) | instskip(SKIP_1) | instid1(VALU_DEP_1)
	v_fmac_f64_e32 v[86:87], v[84:85], v[76:77]
	s_wait_loadcnt 0x0
	v_fmac_f64_e32 v[86:87], v[94:95], v[78:79]
	s_delay_alu instid0(VALU_DEP_1)
	v_add_f64_e64 v[2:3], v[74:75], -v[86:87]
	scratch_store_b64 off, v[2:3], off offset:224
	s_wait_xcnt 0x0
	v_cmpx_lt_u32_e32 27, v0
	s_cbranch_execz .LBB98_165
; %bb.164:
	scratch_load_b64 v[2:3], off, off offset:216
	v_mov_b64_e32 v[74:75], 0
	scratch_store_b64 off, v[74:75], off offset:216
	s_wait_loadcnt 0x0
	ds_store_b64 v1, v[2:3]
.LBB98_165:
	s_wait_xcnt 0x0
	s_or_b32 exec_lo, exec_lo, s0
	s_wait_storecnt_dscnt 0x0
	s_barrier_signal -1
	s_barrier_wait -1
	s_clause 0x3
	scratch_load_b128 v[74:77], off, off offset:216
	scratch_load_b128 v[78:81], off, off offset:232
	;; [unrolled: 1-line block ×4, first 2 shown]
	v_mov_b32_e32 v2, 0
	ds_load_b128 v[90:93], v2 offset:512
	ds_load_b128 v[94:97], v2 offset:528
	s_mov_b32 s0, exec_lo
	s_wait_loadcnt_dscnt 0x301
	v_fma_f64 v[90:91], v[76:77], v[90:91], 0
	s_wait_loadcnt 0x2
	s_delay_alu instid0(VALU_DEP_1) | instskip(SKIP_1) | instid1(VALU_DEP_1)
	v_fmac_f64_e32 v[90:91], v[78:79], v[92:93]
	s_wait_dscnt 0x0
	v_fmac_f64_e32 v[90:91], v[80:81], v[94:95]
	ds_load_b128 v[76:79], v2 offset:544
	ds_load_b64 v[80:81], v2 offset:560
	s_wait_loadcnt 0x1
	v_fmac_f64_e32 v[90:91], v[82:83], v[96:97]
	s_wait_dscnt 0x1
	s_delay_alu instid0(VALU_DEP_1) | instskip(SKIP_1) | instid1(VALU_DEP_1)
	v_fmac_f64_e32 v[90:91], v[84:85], v[76:77]
	s_wait_loadcnt 0x0
	v_fmac_f64_e32 v[90:91], v[86:87], v[78:79]
	s_wait_dscnt 0x0
	s_delay_alu instid0(VALU_DEP_1) | instskip(NEXT) | instid1(VALU_DEP_1)
	v_fmac_f64_e32 v[90:91], v[88:89], v[80:81]
	v_add_f64_e64 v[74:75], v[74:75], -v[90:91]
	scratch_store_b64 off, v[74:75], off offset:216
	s_wait_xcnt 0x0
	v_cmpx_lt_u32_e32 26, v0
	s_cbranch_execz .LBB98_167
; %bb.166:
	scratch_load_b64 v[74:75], off, off offset:208
	v_mov_b64_e32 v[76:77], 0
	scratch_store_b64 off, v[76:77], off offset:208
	s_wait_loadcnt 0x0
	ds_store_b64 v1, v[74:75]
.LBB98_167:
	s_wait_xcnt 0x0
	s_or_b32 exec_lo, exec_lo, s0
	s_wait_storecnt_dscnt 0x0
	s_barrier_signal -1
	s_barrier_wait -1
	s_clause 0x4
	scratch_load_b128 v[74:77], off, off offset:208
	scratch_load_b128 v[78:81], off, off offset:224
	;; [unrolled: 1-line block ×4, first 2 shown]
	scratch_load_b64 v[98:99], off, off offset:272
	ds_load_2addr_b64 v[90:93], v2 offset0:63 offset1:64
	ds_load_2addr_b64 v[94:97], v2 offset0:65 offset1:66
	s_mov_b32 s0, exec_lo
	s_wait_loadcnt_dscnt 0x401
	v_fma_f64 v[90:91], v[76:77], v[90:91], 0
	s_wait_loadcnt 0x3
	s_delay_alu instid0(VALU_DEP_1) | instskip(SKIP_1) | instid1(VALU_DEP_1)
	v_fmac_f64_e32 v[90:91], v[78:79], v[92:93]
	s_wait_dscnt 0x0
	v_fmac_f64_e32 v[90:91], v[80:81], v[94:95]
	s_wait_loadcnt 0x2
	s_delay_alu instid0(VALU_DEP_1)
	v_fmac_f64_e32 v[90:91], v[82:83], v[96:97]
	ds_load_2addr_b64 v[76:79], v2 offset0:67 offset1:68
	ds_load_2addr_b64 v[80:83], v2 offset0:69 offset1:70
	s_wait_dscnt 0x1
	v_fmac_f64_e32 v[90:91], v[84:85], v[76:77]
	s_wait_loadcnt 0x1
	s_delay_alu instid0(VALU_DEP_1) | instskip(SKIP_1) | instid1(VALU_DEP_1)
	v_fmac_f64_e32 v[90:91], v[86:87], v[78:79]
	s_wait_dscnt 0x0
	v_fmac_f64_e32 v[90:91], v[88:89], v[80:81]
	s_wait_loadcnt 0x0
	s_delay_alu instid0(VALU_DEP_1) | instskip(NEXT) | instid1(VALU_DEP_1)
	v_fmac_f64_e32 v[90:91], v[98:99], v[82:83]
	v_add_f64_e64 v[2:3], v[74:75], -v[90:91]
	scratch_store_b64 off, v[2:3], off offset:208
	s_wait_xcnt 0x0
	v_cmpx_lt_u32_e32 25, v0
	s_cbranch_execz .LBB98_169
; %bb.168:
	scratch_load_b64 v[2:3], off, off offset:200
	v_mov_b64_e32 v[74:75], 0
	scratch_store_b64 off, v[74:75], off offset:200
	s_wait_loadcnt 0x0
	ds_store_b64 v1, v[2:3]
.LBB98_169:
	s_wait_xcnt 0x0
	s_or_b32 exec_lo, exec_lo, s0
	s_wait_storecnt_dscnt 0x0
	s_barrier_signal -1
	s_barrier_wait -1
	s_clause 0x4
	scratch_load_b128 v[74:77], off, off offset:200
	scratch_load_b128 v[78:81], off, off offset:216
	;; [unrolled: 1-line block ×5, first 2 shown]
	v_mov_b32_e32 v2, 0
	ds_load_b128 v[94:97], v2 offset:496
	ds_load_b128 v[98:101], v2 offset:512
	s_mov_b32 s0, exec_lo
	s_wait_loadcnt_dscnt 0x401
	v_fma_f64 v[94:95], v[76:77], v[94:95], 0
	s_wait_loadcnt 0x3
	s_delay_alu instid0(VALU_DEP_1) | instskip(SKIP_1) | instid1(VALU_DEP_1)
	v_fmac_f64_e32 v[94:95], v[78:79], v[96:97]
	s_wait_dscnt 0x0
	v_fmac_f64_e32 v[94:95], v[80:81], v[98:99]
	s_wait_loadcnt 0x2
	s_delay_alu instid0(VALU_DEP_1)
	v_fmac_f64_e32 v[94:95], v[82:83], v[100:101]
	ds_load_b128 v[76:79], v2 offset:528
	ds_load_b128 v[80:83], v2 offset:544
	s_wait_dscnt 0x1
	v_fmac_f64_e32 v[94:95], v[84:85], v[76:77]
	ds_load_b64 v[76:77], v2 offset:560
	s_wait_loadcnt 0x1
	v_fmac_f64_e32 v[94:95], v[86:87], v[78:79]
	s_wait_dscnt 0x1
	s_delay_alu instid0(VALU_DEP_1) | instskip(SKIP_1) | instid1(VALU_DEP_1)
	v_fmac_f64_e32 v[94:95], v[88:89], v[80:81]
	s_wait_loadcnt 0x0
	v_fmac_f64_e32 v[94:95], v[90:91], v[82:83]
	s_wait_dscnt 0x0
	s_delay_alu instid0(VALU_DEP_1) | instskip(NEXT) | instid1(VALU_DEP_1)
	v_fmac_f64_e32 v[94:95], v[92:93], v[76:77]
	v_add_f64_e64 v[74:75], v[74:75], -v[94:95]
	scratch_store_b64 off, v[74:75], off offset:200
	s_wait_xcnt 0x0
	v_cmpx_lt_u32_e32 24, v0
	s_cbranch_execz .LBB98_171
; %bb.170:
	scratch_load_b64 v[74:75], off, off offset:192
	v_mov_b64_e32 v[76:77], 0
	scratch_store_b64 off, v[76:77], off offset:192
	s_wait_loadcnt 0x0
	ds_store_b64 v1, v[74:75]
.LBB98_171:
	s_wait_xcnt 0x0
	s_or_b32 exec_lo, exec_lo, s0
	s_wait_storecnt_dscnt 0x0
	s_barrier_signal -1
	s_barrier_wait -1
	s_clause 0x5
	scratch_load_b128 v[74:77], off, off offset:192
	scratch_load_b128 v[78:81], off, off offset:208
	;; [unrolled: 1-line block ×5, first 2 shown]
	scratch_load_b64 v[102:103], off, off offset:272
	ds_load_2addr_b64 v[94:97], v2 offset0:61 offset1:62
	ds_load_2addr_b64 v[98:101], v2 offset0:63 offset1:64
	s_mov_b32 s0, exec_lo
	s_wait_loadcnt_dscnt 0x501
	v_fma_f64 v[94:95], v[76:77], v[94:95], 0
	s_wait_loadcnt 0x4
	s_delay_alu instid0(VALU_DEP_1) | instskip(SKIP_1) | instid1(VALU_DEP_1)
	v_fmac_f64_e32 v[94:95], v[78:79], v[96:97]
	s_wait_dscnt 0x0
	v_fmac_f64_e32 v[94:95], v[80:81], v[98:99]
	s_wait_loadcnt 0x3
	s_delay_alu instid0(VALU_DEP_1)
	v_fmac_f64_e32 v[94:95], v[82:83], v[100:101]
	ds_load_2addr_b64 v[76:79], v2 offset0:65 offset1:66
	ds_load_2addr_b64 v[80:83], v2 offset0:67 offset1:68
	s_wait_dscnt 0x1
	v_fmac_f64_e32 v[94:95], v[84:85], v[76:77]
	s_wait_loadcnt 0x2
	s_delay_alu instid0(VALU_DEP_1) | instskip(SKIP_4) | instid1(VALU_DEP_1)
	v_fmac_f64_e32 v[94:95], v[86:87], v[78:79]
	ds_load_2addr_b64 v[76:79], v2 offset0:69 offset1:70
	s_wait_dscnt 0x1
	v_fmac_f64_e32 v[94:95], v[88:89], v[80:81]
	s_wait_loadcnt 0x1
	v_fmac_f64_e32 v[94:95], v[90:91], v[82:83]
	s_wait_dscnt 0x0
	s_delay_alu instid0(VALU_DEP_1) | instskip(SKIP_1) | instid1(VALU_DEP_1)
	v_fmac_f64_e32 v[94:95], v[92:93], v[76:77]
	s_wait_loadcnt 0x0
	v_fmac_f64_e32 v[94:95], v[102:103], v[78:79]
	s_delay_alu instid0(VALU_DEP_1)
	v_add_f64_e64 v[2:3], v[74:75], -v[94:95]
	scratch_store_b64 off, v[2:3], off offset:192
	s_wait_xcnt 0x0
	v_cmpx_lt_u32_e32 23, v0
	s_cbranch_execz .LBB98_173
; %bb.172:
	scratch_load_b64 v[2:3], off, off offset:184
	v_mov_b64_e32 v[74:75], 0
	scratch_store_b64 off, v[74:75], off offset:184
	s_wait_loadcnt 0x0
	ds_store_b64 v1, v[2:3]
.LBB98_173:
	s_wait_xcnt 0x0
	s_or_b32 exec_lo, exec_lo, s0
	s_wait_storecnt_dscnt 0x0
	s_barrier_signal -1
	s_barrier_wait -1
	s_clause 0x5
	scratch_load_b128 v[74:77], off, off offset:184
	scratch_load_b128 v[78:81], off, off offset:200
	;; [unrolled: 1-line block ×6, first 2 shown]
	v_mov_b32_e32 v2, 0
	ds_load_b128 v[98:101], v2 offset:480
	ds_load_b128 v[102:105], v2 offset:496
	s_mov_b32 s0, exec_lo
	s_wait_loadcnt_dscnt 0x501
	v_fma_f64 v[98:99], v[76:77], v[98:99], 0
	s_wait_loadcnt 0x4
	s_delay_alu instid0(VALU_DEP_1) | instskip(SKIP_1) | instid1(VALU_DEP_1)
	v_fmac_f64_e32 v[98:99], v[78:79], v[100:101]
	s_wait_dscnt 0x0
	v_fmac_f64_e32 v[98:99], v[80:81], v[102:103]
	s_wait_loadcnt 0x3
	s_delay_alu instid0(VALU_DEP_1)
	v_fmac_f64_e32 v[98:99], v[82:83], v[104:105]
	ds_load_b128 v[76:79], v2 offset:512
	ds_load_b128 v[80:83], v2 offset:528
	s_wait_dscnt 0x1
	v_fmac_f64_e32 v[98:99], v[84:85], v[76:77]
	s_wait_loadcnt 0x2
	s_delay_alu instid0(VALU_DEP_1) | instskip(SKIP_1) | instid1(VALU_DEP_1)
	v_fmac_f64_e32 v[98:99], v[86:87], v[78:79]
	s_wait_dscnt 0x0
	v_fmac_f64_e32 v[98:99], v[88:89], v[80:81]
	ds_load_b128 v[76:79], v2 offset:544
	ds_load_b64 v[80:81], v2 offset:560
	s_wait_loadcnt 0x1
	v_fmac_f64_e32 v[98:99], v[90:91], v[82:83]
	s_wait_dscnt 0x1
	s_delay_alu instid0(VALU_DEP_1) | instskip(SKIP_1) | instid1(VALU_DEP_1)
	v_fmac_f64_e32 v[98:99], v[92:93], v[76:77]
	s_wait_loadcnt 0x0
	v_fmac_f64_e32 v[98:99], v[94:95], v[78:79]
	s_wait_dscnt 0x0
	s_delay_alu instid0(VALU_DEP_1) | instskip(NEXT) | instid1(VALU_DEP_1)
	v_fmac_f64_e32 v[98:99], v[96:97], v[80:81]
	v_add_f64_e64 v[74:75], v[74:75], -v[98:99]
	scratch_store_b64 off, v[74:75], off offset:184
	s_wait_xcnt 0x0
	v_cmpx_lt_u32_e32 22, v0
	s_cbranch_execz .LBB98_175
; %bb.174:
	scratch_load_b64 v[74:75], off, off offset:176
	v_mov_b64_e32 v[76:77], 0
	scratch_store_b64 off, v[76:77], off offset:176
	s_wait_loadcnt 0x0
	ds_store_b64 v1, v[74:75]
.LBB98_175:
	s_wait_xcnt 0x0
	s_or_b32 exec_lo, exec_lo, s0
	s_wait_storecnt_dscnt 0x0
	s_barrier_signal -1
	s_barrier_wait -1
	s_clause 0x5
	scratch_load_b128 v[74:77], off, off offset:176
	scratch_load_b128 v[78:81], off, off offset:192
	;; [unrolled: 1-line block ×6, first 2 shown]
	ds_load_2addr_b64 v[98:101], v2 offset0:59 offset1:60
	ds_load_2addr_b64 v[102:105], v2 offset0:61 offset1:62
	s_mov_b32 s0, exec_lo
	s_wait_loadcnt_dscnt 0x501
	v_fma_f64 v[98:99], v[76:77], v[98:99], 0
	s_wait_loadcnt 0x4
	s_delay_alu instid0(VALU_DEP_1) | instskip(SKIP_4) | instid1(VALU_DEP_1)
	v_fmac_f64_e32 v[98:99], v[78:79], v[100:101]
	scratch_load_b64 v[100:101], off, off offset:272
	s_wait_dscnt 0x0
	v_fmac_f64_e32 v[98:99], v[80:81], v[102:103]
	s_wait_loadcnt 0x4
	v_fmac_f64_e32 v[98:99], v[82:83], v[104:105]
	ds_load_2addr_b64 v[76:79], v2 offset0:63 offset1:64
	ds_load_2addr_b64 v[80:83], v2 offset0:65 offset1:66
	s_wait_dscnt 0x1
	v_fmac_f64_e32 v[98:99], v[84:85], v[76:77]
	s_wait_loadcnt 0x3
	s_delay_alu instid0(VALU_DEP_1) | instskip(SKIP_1) | instid1(VALU_DEP_1)
	v_fmac_f64_e32 v[98:99], v[86:87], v[78:79]
	s_wait_dscnt 0x0
	v_fmac_f64_e32 v[98:99], v[88:89], v[80:81]
	s_wait_loadcnt 0x2
	s_delay_alu instid0(VALU_DEP_1)
	v_fmac_f64_e32 v[98:99], v[90:91], v[82:83]
	ds_load_2addr_b64 v[76:79], v2 offset0:67 offset1:68
	ds_load_2addr_b64 v[80:83], v2 offset0:69 offset1:70
	s_wait_dscnt 0x1
	v_fmac_f64_e32 v[98:99], v[92:93], v[76:77]
	s_wait_loadcnt 0x1
	s_delay_alu instid0(VALU_DEP_1) | instskip(SKIP_1) | instid1(VALU_DEP_1)
	v_fmac_f64_e32 v[98:99], v[94:95], v[78:79]
	s_wait_dscnt 0x0
	v_fmac_f64_e32 v[98:99], v[96:97], v[80:81]
	s_wait_loadcnt 0x0
	s_delay_alu instid0(VALU_DEP_1) | instskip(NEXT) | instid1(VALU_DEP_1)
	v_fmac_f64_e32 v[98:99], v[100:101], v[82:83]
	v_add_f64_e64 v[2:3], v[74:75], -v[98:99]
	scratch_store_b64 off, v[2:3], off offset:176
	s_wait_xcnt 0x0
	v_cmpx_lt_u32_e32 21, v0
	s_cbranch_execz .LBB98_177
; %bb.176:
	scratch_load_b64 v[2:3], off, off offset:168
	v_mov_b64_e32 v[74:75], 0
	scratch_store_b64 off, v[74:75], off offset:168
	s_wait_loadcnt 0x0
	ds_store_b64 v1, v[2:3]
.LBB98_177:
	s_wait_xcnt 0x0
	s_or_b32 exec_lo, exec_lo, s0
	s_wait_storecnt_dscnt 0x0
	s_barrier_signal -1
	s_barrier_wait -1
	s_clause 0x5
	scratch_load_b128 v[74:77], off, off offset:168
	scratch_load_b128 v[78:81], off, off offset:184
	;; [unrolled: 1-line block ×6, first 2 shown]
	v_mov_b32_e32 v2, 0
	ds_load_b128 v[98:101], v2 offset:464
	ds_load_b128 v[102:105], v2 offset:480
	s_mov_b32 s0, exec_lo
	s_wait_loadcnt_dscnt 0x501
	v_fma_f64 v[106:107], v[76:77], v[98:99], 0
	s_wait_loadcnt 0x4
	s_delay_alu instid0(VALU_DEP_1) | instskip(SKIP_4) | instid1(VALU_DEP_1)
	v_fmac_f64_e32 v[106:107], v[78:79], v[100:101]
	scratch_load_b128 v[76:79], off, off offset:264
	s_wait_dscnt 0x0
	v_fmac_f64_e32 v[106:107], v[80:81], v[102:103]
	s_wait_loadcnt 0x4
	v_fmac_f64_e32 v[106:107], v[82:83], v[104:105]
	ds_load_b128 v[80:83], v2 offset:496
	ds_load_b128 v[98:101], v2 offset:512
	s_wait_dscnt 0x1
	v_fmac_f64_e32 v[106:107], v[84:85], v[80:81]
	s_wait_loadcnt 0x3
	s_delay_alu instid0(VALU_DEP_1)
	v_fmac_f64_e32 v[106:107], v[86:87], v[82:83]
	ds_load_b128 v[80:83], v2 offset:528
	ds_load_b128 v[84:87], v2 offset:544
	s_wait_dscnt 0x2
	v_fmac_f64_e32 v[106:107], v[88:89], v[98:99]
	s_wait_loadcnt 0x2
	s_delay_alu instid0(VALU_DEP_1) | instskip(SKIP_1) | instid1(VALU_DEP_1)
	v_fmac_f64_e32 v[106:107], v[90:91], v[100:101]
	s_wait_dscnt 0x1
	v_fmac_f64_e32 v[106:107], v[92:93], v[80:81]
	s_wait_loadcnt 0x1
	s_delay_alu instid0(VALU_DEP_1) | instskip(SKIP_1) | instid1(VALU_DEP_1)
	v_fmac_f64_e32 v[106:107], v[94:95], v[82:83]
	s_wait_dscnt 0x0
	v_fmac_f64_e32 v[106:107], v[96:97], v[84:85]
	s_wait_loadcnt 0x0
	s_delay_alu instid0(VALU_DEP_1) | instskip(SKIP_3) | instid1(VALU_DEP_1)
	v_fmac_f64_e32 v[106:107], v[76:77], v[86:87]
	ds_load_b64 v[76:77], v2 offset:560
	s_wait_dscnt 0x0
	v_fmac_f64_e32 v[106:107], v[78:79], v[76:77]
	v_add_f64_e64 v[74:75], v[74:75], -v[106:107]
	scratch_store_b64 off, v[74:75], off offset:168
	s_wait_xcnt 0x0
	v_cmpx_lt_u32_e32 20, v0
	s_cbranch_execz .LBB98_179
; %bb.178:
	scratch_load_b64 v[74:75], off, off offset:160
	v_mov_b64_e32 v[76:77], 0
	scratch_store_b64 off, v[76:77], off offset:160
	s_wait_loadcnt 0x0
	ds_store_b64 v1, v[74:75]
.LBB98_179:
	s_wait_xcnt 0x0
	s_or_b32 exec_lo, exec_lo, s0
	s_wait_storecnt_dscnt 0x0
	s_barrier_signal -1
	s_barrier_wait -1
	s_clause 0x5
	scratch_load_b128 v[74:77], off, off offset:160
	scratch_load_b128 v[78:81], off, off offset:176
	;; [unrolled: 1-line block ×6, first 2 shown]
	ds_load_2addr_b64 v[98:101], v2 offset0:57 offset1:58
	ds_load_2addr_b64 v[102:105], v2 offset0:59 offset1:60
	s_mov_b32 s0, exec_lo
	s_wait_loadcnt_dscnt 0x501
	v_fma_f64 v[106:107], v[76:77], v[98:99], 0
	s_wait_loadcnt 0x4
	s_delay_alu instid0(VALU_DEP_1)
	v_fmac_f64_e32 v[106:107], v[78:79], v[100:101]
	scratch_load_b128 v[76:79], off, off offset:256
	s_wait_dscnt 0x0
	v_fmac_f64_e32 v[106:107], v[80:81], v[102:103]
	scratch_load_b64 v[102:103], off, off offset:272
	s_wait_loadcnt 0x5
	v_fmac_f64_e32 v[106:107], v[82:83], v[104:105]
	ds_load_2addr_b64 v[80:83], v2 offset0:61 offset1:62
	ds_load_2addr_b64 v[98:101], v2 offset0:63 offset1:64
	s_wait_dscnt 0x1
	v_fmac_f64_e32 v[106:107], v[84:85], v[80:81]
	s_wait_loadcnt 0x4
	s_delay_alu instid0(VALU_DEP_1)
	v_fmac_f64_e32 v[106:107], v[86:87], v[82:83]
	ds_load_2addr_b64 v[80:83], v2 offset0:65 offset1:66
	ds_load_2addr_b64 v[84:87], v2 offset0:67 offset1:68
	s_wait_dscnt 0x2
	v_fmac_f64_e32 v[106:107], v[88:89], v[98:99]
	s_wait_loadcnt 0x3
	s_delay_alu instid0(VALU_DEP_1) | instskip(SKIP_1) | instid1(VALU_DEP_1)
	v_fmac_f64_e32 v[106:107], v[90:91], v[100:101]
	s_wait_dscnt 0x1
	v_fmac_f64_e32 v[106:107], v[92:93], v[80:81]
	s_wait_loadcnt 0x2
	s_delay_alu instid0(VALU_DEP_1) | instskip(SKIP_4) | instid1(VALU_DEP_1)
	v_fmac_f64_e32 v[106:107], v[94:95], v[82:83]
	ds_load_2addr_b64 v[80:83], v2 offset0:69 offset1:70
	s_wait_dscnt 0x1
	v_fmac_f64_e32 v[106:107], v[96:97], v[84:85]
	s_wait_loadcnt 0x1
	v_fmac_f64_e32 v[106:107], v[76:77], v[86:87]
	s_wait_dscnt 0x0
	s_delay_alu instid0(VALU_DEP_1) | instskip(SKIP_1) | instid1(VALU_DEP_1)
	v_fmac_f64_e32 v[106:107], v[78:79], v[80:81]
	s_wait_loadcnt 0x0
	v_fmac_f64_e32 v[106:107], v[102:103], v[82:83]
	s_delay_alu instid0(VALU_DEP_1)
	v_add_f64_e64 v[2:3], v[74:75], -v[106:107]
	scratch_store_b64 off, v[2:3], off offset:160
	s_wait_xcnt 0x0
	v_cmpx_lt_u32_e32 19, v0
	s_cbranch_execz .LBB98_181
; %bb.180:
	scratch_load_b64 v[2:3], off, off offset:152
	v_mov_b64_e32 v[74:75], 0
	scratch_store_b64 off, v[74:75], off offset:152
	s_wait_loadcnt 0x0
	ds_store_b64 v1, v[2:3]
.LBB98_181:
	s_wait_xcnt 0x0
	s_or_b32 exec_lo, exec_lo, s0
	s_wait_storecnt_dscnt 0x0
	s_barrier_signal -1
	s_barrier_wait -1
	s_clause 0x5
	scratch_load_b128 v[74:77], off, off offset:152
	scratch_load_b128 v[78:81], off, off offset:168
	;; [unrolled: 1-line block ×6, first 2 shown]
	v_mov_b32_e32 v2, 0
	ds_load_b128 v[98:101], v2 offset:448
	ds_load_b128 v[102:105], v2 offset:464
	s_mov_b32 s0, exec_lo
	s_wait_loadcnt_dscnt 0x501
	v_fma_f64 v[106:107], v[76:77], v[98:99], 0
	s_wait_loadcnt 0x4
	s_delay_alu instid0(VALU_DEP_1) | instskip(SKIP_4) | instid1(VALU_DEP_1)
	v_fmac_f64_e32 v[106:107], v[78:79], v[100:101]
	scratch_load_b128 v[76:79], off, off offset:248
	s_wait_dscnt 0x0
	v_fmac_f64_e32 v[106:107], v[80:81], v[102:103]
	s_wait_loadcnt 0x4
	v_fmac_f64_e32 v[106:107], v[82:83], v[104:105]
	scratch_load_b128 v[80:83], off, off offset:264
	ds_load_b128 v[98:101], v2 offset:480
	ds_load_b128 v[102:105], v2 offset:496
	s_wait_dscnt 0x1
	v_fmac_f64_e32 v[106:107], v[84:85], v[98:99]
	s_wait_loadcnt 0x4
	s_delay_alu instid0(VALU_DEP_1) | instskip(SKIP_1) | instid1(VALU_DEP_1)
	v_fmac_f64_e32 v[106:107], v[86:87], v[100:101]
	s_wait_dscnt 0x0
	v_fmac_f64_e32 v[106:107], v[88:89], v[102:103]
	s_wait_loadcnt 0x3
	s_delay_alu instid0(VALU_DEP_1)
	v_fmac_f64_e32 v[106:107], v[90:91], v[104:105]
	ds_load_b128 v[84:87], v2 offset:512
	ds_load_b128 v[88:91], v2 offset:528
	s_wait_dscnt 0x1
	v_fmac_f64_e32 v[106:107], v[92:93], v[84:85]
	s_wait_loadcnt 0x2
	s_delay_alu instid0(VALU_DEP_1) | instskip(SKIP_1) | instid1(VALU_DEP_1)
	v_fmac_f64_e32 v[106:107], v[94:95], v[86:87]
	s_wait_dscnt 0x0
	v_fmac_f64_e32 v[106:107], v[96:97], v[88:89]
	s_wait_loadcnt 0x1
	s_delay_alu instid0(VALU_DEP_1)
	v_fmac_f64_e32 v[106:107], v[76:77], v[90:91]
	ds_load_b128 v[84:87], v2 offset:544
	ds_load_b64 v[76:77], v2 offset:560
	s_wait_dscnt 0x1
	v_fmac_f64_e32 v[106:107], v[78:79], v[84:85]
	s_wait_loadcnt 0x0
	s_delay_alu instid0(VALU_DEP_1) | instskip(SKIP_1) | instid1(VALU_DEP_1)
	v_fmac_f64_e32 v[106:107], v[80:81], v[86:87]
	s_wait_dscnt 0x0
	v_fmac_f64_e32 v[106:107], v[82:83], v[76:77]
	s_delay_alu instid0(VALU_DEP_1)
	v_add_f64_e64 v[74:75], v[74:75], -v[106:107]
	scratch_store_b64 off, v[74:75], off offset:152
	s_wait_xcnt 0x0
	v_cmpx_lt_u32_e32 18, v0
	s_cbranch_execz .LBB98_183
; %bb.182:
	scratch_load_b64 v[74:75], off, off offset:144
	v_mov_b64_e32 v[76:77], 0
	scratch_store_b64 off, v[76:77], off offset:144
	s_wait_loadcnt 0x0
	ds_store_b64 v1, v[74:75]
.LBB98_183:
	s_wait_xcnt 0x0
	s_or_b32 exec_lo, exec_lo, s0
	s_wait_storecnt_dscnt 0x0
	s_barrier_signal -1
	s_barrier_wait -1
	s_clause 0x5
	scratch_load_b128 v[74:77], off, off offset:144
	scratch_load_b128 v[78:81], off, off offset:160
	;; [unrolled: 1-line block ×6, first 2 shown]
	ds_load_2addr_b64 v[98:101], v2 offset0:55 offset1:56
	ds_load_2addr_b64 v[102:105], v2 offset0:57 offset1:58
	s_mov_b32 s0, exec_lo
	s_wait_loadcnt_dscnt 0x501
	v_fma_f64 v[106:107], v[76:77], v[98:99], 0
	s_wait_loadcnt 0x4
	s_delay_alu instid0(VALU_DEP_1) | instskip(SKIP_4) | instid1(VALU_DEP_1)
	v_fmac_f64_e32 v[106:107], v[78:79], v[100:101]
	scratch_load_b128 v[76:79], off, off offset:240
	s_wait_dscnt 0x0
	v_fmac_f64_e32 v[106:107], v[80:81], v[102:103]
	s_wait_loadcnt 0x4
	v_fmac_f64_e32 v[106:107], v[82:83], v[104:105]
	scratch_load_b128 v[80:83], off, off offset:256
	ds_load_2addr_b64 v[98:101], v2 offset0:59 offset1:60
	ds_load_2addr_b64 v[102:105], v2 offset0:61 offset1:62
	s_wait_dscnt 0x1
	v_fmac_f64_e32 v[106:107], v[84:85], v[98:99]
	scratch_load_b64 v[98:99], off, off offset:272
	s_wait_loadcnt 0x5
	v_fmac_f64_e32 v[106:107], v[86:87], v[100:101]
	s_wait_dscnt 0x0
	s_delay_alu instid0(VALU_DEP_1) | instskip(SKIP_1) | instid1(VALU_DEP_1)
	v_fmac_f64_e32 v[106:107], v[88:89], v[102:103]
	s_wait_loadcnt 0x4
	v_fmac_f64_e32 v[106:107], v[90:91], v[104:105]
	ds_load_2addr_b64 v[84:87], v2 offset0:63 offset1:64
	ds_load_2addr_b64 v[88:91], v2 offset0:65 offset1:66
	s_wait_dscnt 0x1
	v_fmac_f64_e32 v[106:107], v[92:93], v[84:85]
	s_wait_loadcnt 0x3
	s_delay_alu instid0(VALU_DEP_1) | instskip(SKIP_1) | instid1(VALU_DEP_1)
	v_fmac_f64_e32 v[106:107], v[94:95], v[86:87]
	s_wait_dscnt 0x0
	v_fmac_f64_e32 v[106:107], v[96:97], v[88:89]
	s_wait_loadcnt 0x2
	s_delay_alu instid0(VALU_DEP_1)
	v_fmac_f64_e32 v[106:107], v[76:77], v[90:91]
	ds_load_2addr_b64 v[84:87], v2 offset0:67 offset1:68
	ds_load_2addr_b64 v[88:91], v2 offset0:69 offset1:70
	s_wait_dscnt 0x1
	v_fmac_f64_e32 v[106:107], v[78:79], v[84:85]
	s_wait_loadcnt 0x1
	s_delay_alu instid0(VALU_DEP_1) | instskip(SKIP_1) | instid1(VALU_DEP_1)
	v_fmac_f64_e32 v[106:107], v[80:81], v[86:87]
	s_wait_dscnt 0x0
	v_fmac_f64_e32 v[106:107], v[82:83], v[88:89]
	s_wait_loadcnt 0x0
	s_delay_alu instid0(VALU_DEP_1) | instskip(NEXT) | instid1(VALU_DEP_1)
	v_fmac_f64_e32 v[106:107], v[98:99], v[90:91]
	v_add_f64_e64 v[2:3], v[74:75], -v[106:107]
	scratch_store_b64 off, v[2:3], off offset:144
	s_wait_xcnt 0x0
	v_cmpx_lt_u32_e32 17, v0
	s_cbranch_execz .LBB98_185
; %bb.184:
	scratch_load_b64 v[2:3], off, off offset:136
	v_mov_b64_e32 v[74:75], 0
	scratch_store_b64 off, v[74:75], off offset:136
	s_wait_loadcnt 0x0
	ds_store_b64 v1, v[2:3]
.LBB98_185:
	s_wait_xcnt 0x0
	s_or_b32 exec_lo, exec_lo, s0
	s_wait_storecnt_dscnt 0x0
	s_barrier_signal -1
	s_barrier_wait -1
	s_clause 0x5
	scratch_load_b128 v[74:77], off, off offset:136
	scratch_load_b128 v[78:81], off, off offset:152
	;; [unrolled: 1-line block ×6, first 2 shown]
	v_mov_b32_e32 v2, 0
	ds_load_b128 v[98:101], v2 offset:432
	ds_load_b128 v[102:105], v2 offset:448
	s_mov_b32 s0, exec_lo
	s_wait_loadcnt_dscnt 0x501
	v_fma_f64 v[106:107], v[76:77], v[98:99], 0
	s_wait_loadcnt 0x4
	s_delay_alu instid0(VALU_DEP_1) | instskip(SKIP_4) | instid1(VALU_DEP_1)
	v_fmac_f64_e32 v[106:107], v[78:79], v[100:101]
	scratch_load_b128 v[76:79], off, off offset:232
	s_wait_dscnt 0x0
	v_fmac_f64_e32 v[106:107], v[80:81], v[102:103]
	s_wait_loadcnt 0x4
	v_fmac_f64_e32 v[106:107], v[82:83], v[104:105]
	scratch_load_b128 v[80:83], off, off offset:248
	ds_load_b128 v[98:101], v2 offset:464
	ds_load_b128 v[102:105], v2 offset:480
	s_wait_dscnt 0x1
	v_fmac_f64_e32 v[106:107], v[84:85], v[98:99]
	s_wait_loadcnt 0x4
	s_delay_alu instid0(VALU_DEP_1) | instskip(SKIP_4) | instid1(VALU_DEP_1)
	v_fmac_f64_e32 v[106:107], v[86:87], v[100:101]
	scratch_load_b128 v[84:87], off, off offset:264
	s_wait_dscnt 0x0
	v_fmac_f64_e32 v[106:107], v[88:89], v[102:103]
	s_wait_loadcnt 0x4
	v_fmac_f64_e32 v[106:107], v[90:91], v[104:105]
	ds_load_b128 v[88:91], v2 offset:496
	ds_load_b128 v[98:101], v2 offset:512
	s_wait_dscnt 0x1
	v_fmac_f64_e32 v[106:107], v[92:93], v[88:89]
	s_wait_loadcnt 0x3
	s_delay_alu instid0(VALU_DEP_1)
	v_fmac_f64_e32 v[106:107], v[94:95], v[90:91]
	ds_load_b128 v[88:91], v2 offset:528
	ds_load_b128 v[92:95], v2 offset:544
	s_wait_dscnt 0x2
	v_fmac_f64_e32 v[106:107], v[96:97], v[98:99]
	s_wait_loadcnt 0x2
	s_delay_alu instid0(VALU_DEP_1) | instskip(SKIP_4) | instid1(VALU_DEP_1)
	v_fmac_f64_e32 v[106:107], v[76:77], v[100:101]
	ds_load_b64 v[76:77], v2 offset:560
	s_wait_dscnt 0x2
	v_fmac_f64_e32 v[106:107], v[78:79], v[88:89]
	s_wait_loadcnt 0x1
	v_fmac_f64_e32 v[106:107], v[80:81], v[90:91]
	s_wait_dscnt 0x1
	s_delay_alu instid0(VALU_DEP_1) | instskip(SKIP_1) | instid1(VALU_DEP_1)
	v_fmac_f64_e32 v[106:107], v[82:83], v[92:93]
	s_wait_loadcnt 0x0
	v_fmac_f64_e32 v[106:107], v[84:85], v[94:95]
	s_wait_dscnt 0x0
	s_delay_alu instid0(VALU_DEP_1) | instskip(NEXT) | instid1(VALU_DEP_1)
	v_fmac_f64_e32 v[106:107], v[86:87], v[76:77]
	v_add_f64_e64 v[74:75], v[74:75], -v[106:107]
	scratch_store_b64 off, v[74:75], off offset:136
	s_wait_xcnt 0x0
	v_cmpx_lt_u32_e32 16, v0
	s_cbranch_execz .LBB98_187
; %bb.186:
	scratch_load_b64 v[74:75], off, off offset:128
	v_mov_b64_e32 v[76:77], 0
	scratch_store_b64 off, v[76:77], off offset:128
	s_wait_loadcnt 0x0
	ds_store_b64 v1, v[74:75]
.LBB98_187:
	s_wait_xcnt 0x0
	s_or_b32 exec_lo, exec_lo, s0
	s_wait_storecnt_dscnt 0x0
	s_barrier_signal -1
	s_barrier_wait -1
	s_clause 0x5
	scratch_load_b128 v[74:77], off, off offset:128
	scratch_load_b128 v[78:81], off, off offset:144
	;; [unrolled: 1-line block ×6, first 2 shown]
	ds_load_2addr_b64 v[98:101], v2 offset0:53 offset1:54
	ds_load_2addr_b64 v[102:105], v2 offset0:55 offset1:56
	s_mov_b32 s0, exec_lo
	s_wait_loadcnt_dscnt 0x501
	v_fma_f64 v[106:107], v[76:77], v[98:99], 0
	s_wait_loadcnt 0x4
	s_delay_alu instid0(VALU_DEP_1) | instskip(SKIP_4) | instid1(VALU_DEP_1)
	v_fmac_f64_e32 v[106:107], v[78:79], v[100:101]
	scratch_load_b128 v[76:79], off, off offset:224
	s_wait_dscnt 0x0
	v_fmac_f64_e32 v[106:107], v[80:81], v[102:103]
	s_wait_loadcnt 0x4
	v_fmac_f64_e32 v[106:107], v[82:83], v[104:105]
	scratch_load_b128 v[80:83], off, off offset:240
	ds_load_2addr_b64 v[98:101], v2 offset0:57 offset1:58
	ds_load_2addr_b64 v[102:105], v2 offset0:59 offset1:60
	s_wait_dscnt 0x1
	v_fmac_f64_e32 v[106:107], v[84:85], v[98:99]
	s_wait_loadcnt 0x4
	s_delay_alu instid0(VALU_DEP_1)
	v_fmac_f64_e32 v[106:107], v[86:87], v[100:101]
	scratch_load_b128 v[84:87], off, off offset:256
	s_wait_dscnt 0x0
	v_fmac_f64_e32 v[106:107], v[88:89], v[102:103]
	scratch_load_b64 v[102:103], off, off offset:272
	s_wait_loadcnt 0x5
	v_fmac_f64_e32 v[106:107], v[90:91], v[104:105]
	ds_load_2addr_b64 v[88:91], v2 offset0:61 offset1:62
	ds_load_2addr_b64 v[98:101], v2 offset0:63 offset1:64
	s_wait_dscnt 0x1
	v_fmac_f64_e32 v[106:107], v[92:93], v[88:89]
	s_wait_loadcnt 0x4
	s_delay_alu instid0(VALU_DEP_1)
	v_fmac_f64_e32 v[106:107], v[94:95], v[90:91]
	ds_load_2addr_b64 v[88:91], v2 offset0:65 offset1:66
	ds_load_2addr_b64 v[92:95], v2 offset0:67 offset1:68
	s_wait_dscnt 0x2
	v_fmac_f64_e32 v[106:107], v[96:97], v[98:99]
	s_wait_loadcnt 0x3
	s_delay_alu instid0(VALU_DEP_1) | instskip(SKIP_1) | instid1(VALU_DEP_1)
	v_fmac_f64_e32 v[106:107], v[76:77], v[100:101]
	s_wait_dscnt 0x1
	v_fmac_f64_e32 v[106:107], v[78:79], v[88:89]
	ds_load_2addr_b64 v[76:79], v2 offset0:69 offset1:70
	s_wait_loadcnt 0x2
	v_fmac_f64_e32 v[106:107], v[80:81], v[90:91]
	s_wait_dscnt 0x1
	s_delay_alu instid0(VALU_DEP_1) | instskip(SKIP_1) | instid1(VALU_DEP_1)
	v_fmac_f64_e32 v[106:107], v[82:83], v[92:93]
	s_wait_loadcnt 0x1
	v_fmac_f64_e32 v[106:107], v[84:85], v[94:95]
	s_wait_dscnt 0x0
	s_delay_alu instid0(VALU_DEP_1) | instskip(SKIP_1) | instid1(VALU_DEP_1)
	v_fmac_f64_e32 v[106:107], v[86:87], v[76:77]
	s_wait_loadcnt 0x0
	v_fmac_f64_e32 v[106:107], v[102:103], v[78:79]
	s_delay_alu instid0(VALU_DEP_1)
	v_add_f64_e64 v[2:3], v[74:75], -v[106:107]
	scratch_store_b64 off, v[2:3], off offset:128
	s_wait_xcnt 0x0
	v_cmpx_lt_u32_e32 15, v0
	s_cbranch_execz .LBB98_189
; %bb.188:
	scratch_load_b64 v[2:3], off, off offset:120
	v_mov_b64_e32 v[74:75], 0
	scratch_store_b64 off, v[74:75], off offset:120
	s_wait_loadcnt 0x0
	ds_store_b64 v1, v[2:3]
.LBB98_189:
	s_wait_xcnt 0x0
	s_or_b32 exec_lo, exec_lo, s0
	s_wait_storecnt_dscnt 0x0
	s_barrier_signal -1
	s_barrier_wait -1
	s_clause 0x5
	scratch_load_b128 v[74:77], off, off offset:120
	scratch_load_b128 v[78:81], off, off offset:136
	;; [unrolled: 1-line block ×6, first 2 shown]
	v_mov_b32_e32 v2, 0
	ds_load_b128 v[98:101], v2 offset:416
	ds_load_b128 v[102:105], v2 offset:432
	s_mov_b32 s0, exec_lo
	s_wait_loadcnt_dscnt 0x501
	v_fma_f64 v[106:107], v[76:77], v[98:99], 0
	s_wait_loadcnt 0x4
	s_delay_alu instid0(VALU_DEP_1) | instskip(SKIP_4) | instid1(VALU_DEP_1)
	v_fmac_f64_e32 v[106:107], v[78:79], v[100:101]
	scratch_load_b128 v[76:79], off, off offset:216
	s_wait_dscnt 0x0
	v_fmac_f64_e32 v[106:107], v[80:81], v[102:103]
	s_wait_loadcnt 0x4
	v_fmac_f64_e32 v[106:107], v[82:83], v[104:105]
	scratch_load_b128 v[80:83], off, off offset:232
	ds_load_b128 v[98:101], v2 offset:448
	ds_load_b128 v[102:105], v2 offset:464
	s_wait_dscnt 0x1
	v_fmac_f64_e32 v[106:107], v[84:85], v[98:99]
	s_wait_loadcnt 0x4
	s_delay_alu instid0(VALU_DEP_1) | instskip(SKIP_4) | instid1(VALU_DEP_1)
	v_fmac_f64_e32 v[106:107], v[86:87], v[100:101]
	scratch_load_b128 v[84:87], off, off offset:248
	s_wait_dscnt 0x0
	v_fmac_f64_e32 v[106:107], v[88:89], v[102:103]
	s_wait_loadcnt 0x4
	v_fmac_f64_e32 v[106:107], v[90:91], v[104:105]
	scratch_load_b128 v[88:91], off, off offset:264
	ds_load_b128 v[98:101], v2 offset:480
	ds_load_b128 v[102:105], v2 offset:496
	s_wait_dscnt 0x1
	v_fmac_f64_e32 v[106:107], v[92:93], v[98:99]
	s_wait_loadcnt 0x4
	s_delay_alu instid0(VALU_DEP_1) | instskip(SKIP_1) | instid1(VALU_DEP_1)
	v_fmac_f64_e32 v[106:107], v[94:95], v[100:101]
	s_wait_dscnt 0x0
	v_fmac_f64_e32 v[106:107], v[96:97], v[102:103]
	ds_load_b128 v[92:95], v2 offset:512
	ds_load_b128 v[96:99], v2 offset:528
	s_wait_loadcnt 0x3
	v_fmac_f64_e32 v[106:107], v[76:77], v[104:105]
	s_wait_dscnt 0x1
	s_delay_alu instid0(VALU_DEP_1) | instskip(SKIP_1) | instid1(VALU_DEP_1)
	v_fmac_f64_e32 v[106:107], v[78:79], v[92:93]
	s_wait_loadcnt 0x2
	v_fmac_f64_e32 v[106:107], v[80:81], v[94:95]
	ds_load_b128 v[76:79], v2 offset:544
	ds_load_b64 v[80:81], v2 offset:560
	s_wait_dscnt 0x2
	v_fmac_f64_e32 v[106:107], v[82:83], v[96:97]
	s_wait_loadcnt 0x1
	s_delay_alu instid0(VALU_DEP_1) | instskip(SKIP_1) | instid1(VALU_DEP_1)
	v_fmac_f64_e32 v[106:107], v[84:85], v[98:99]
	s_wait_dscnt 0x1
	v_fmac_f64_e32 v[106:107], v[86:87], v[76:77]
	s_wait_loadcnt 0x0
	s_delay_alu instid0(VALU_DEP_1) | instskip(SKIP_1) | instid1(VALU_DEP_1)
	v_fmac_f64_e32 v[106:107], v[88:89], v[78:79]
	s_wait_dscnt 0x0
	v_fmac_f64_e32 v[106:107], v[90:91], v[80:81]
	s_delay_alu instid0(VALU_DEP_1)
	v_add_f64_e64 v[74:75], v[74:75], -v[106:107]
	scratch_store_b64 off, v[74:75], off offset:120
	s_wait_xcnt 0x0
	v_cmpx_lt_u32_e32 14, v0
	s_cbranch_execz .LBB98_191
; %bb.190:
	scratch_load_b64 v[74:75], off, off offset:112
	v_mov_b64_e32 v[76:77], 0
	scratch_store_b64 off, v[76:77], off offset:112
	s_wait_loadcnt 0x0
	ds_store_b64 v1, v[74:75]
.LBB98_191:
	s_wait_xcnt 0x0
	s_or_b32 exec_lo, exec_lo, s0
	s_wait_storecnt_dscnt 0x0
	s_barrier_signal -1
	s_barrier_wait -1
	s_clause 0x5
	scratch_load_b128 v[74:77], off, off offset:112
	scratch_load_b128 v[78:81], off, off offset:128
	;; [unrolled: 1-line block ×6, first 2 shown]
	ds_load_2addr_b64 v[98:101], v2 offset0:51 offset1:52
	ds_load_2addr_b64 v[102:105], v2 offset0:53 offset1:54
	s_mov_b32 s0, exec_lo
	s_wait_loadcnt_dscnt 0x501
	v_fma_f64 v[106:107], v[76:77], v[98:99], 0
	s_wait_loadcnt 0x4
	s_delay_alu instid0(VALU_DEP_1) | instskip(SKIP_4) | instid1(VALU_DEP_1)
	v_fmac_f64_e32 v[106:107], v[78:79], v[100:101]
	scratch_load_b128 v[76:79], off, off offset:208
	s_wait_dscnt 0x0
	v_fmac_f64_e32 v[106:107], v[80:81], v[102:103]
	s_wait_loadcnt 0x4
	v_fmac_f64_e32 v[106:107], v[82:83], v[104:105]
	scratch_load_b128 v[80:83], off, off offset:224
	ds_load_2addr_b64 v[98:101], v2 offset0:55 offset1:56
	ds_load_2addr_b64 v[102:105], v2 offset0:57 offset1:58
	s_wait_dscnt 0x1
	v_fmac_f64_e32 v[106:107], v[84:85], v[98:99]
	s_wait_loadcnt 0x4
	s_delay_alu instid0(VALU_DEP_1) | instskip(SKIP_4) | instid1(VALU_DEP_1)
	v_fmac_f64_e32 v[106:107], v[86:87], v[100:101]
	scratch_load_b128 v[84:87], off, off offset:240
	s_wait_dscnt 0x0
	v_fmac_f64_e32 v[106:107], v[88:89], v[102:103]
	s_wait_loadcnt 0x4
	v_fmac_f64_e32 v[106:107], v[90:91], v[104:105]
	scratch_load_b128 v[88:91], off, off offset:256
	ds_load_2addr_b64 v[98:101], v2 offset0:59 offset1:60
	ds_load_2addr_b64 v[102:105], v2 offset0:61 offset1:62
	s_wait_dscnt 0x1
	v_fmac_f64_e32 v[106:107], v[92:93], v[98:99]
	s_wait_loadcnt 0x4
	s_delay_alu instid0(VALU_DEP_1)
	v_fmac_f64_e32 v[106:107], v[94:95], v[100:101]
	scratch_load_b64 v[100:101], off, off offset:272
	s_wait_dscnt 0x0
	v_fmac_f64_e32 v[106:107], v[96:97], v[102:103]
	ds_load_2addr_b64 v[92:95], v2 offset0:63 offset1:64
	ds_load_2addr_b64 v[96:99], v2 offset0:65 offset1:66
	s_wait_loadcnt 0x4
	v_fmac_f64_e32 v[106:107], v[76:77], v[104:105]
	s_wait_dscnt 0x1
	s_delay_alu instid0(VALU_DEP_1) | instskip(SKIP_1) | instid1(VALU_DEP_1)
	v_fmac_f64_e32 v[106:107], v[78:79], v[92:93]
	s_wait_loadcnt 0x3
	v_fmac_f64_e32 v[106:107], v[80:81], v[94:95]
	s_wait_dscnt 0x0
	s_delay_alu instid0(VALU_DEP_1)
	v_fmac_f64_e32 v[106:107], v[82:83], v[96:97]
	ds_load_2addr_b64 v[76:79], v2 offset0:67 offset1:68
	ds_load_2addr_b64 v[80:83], v2 offset0:69 offset1:70
	s_wait_loadcnt 0x2
	v_fmac_f64_e32 v[106:107], v[84:85], v[98:99]
	s_wait_dscnt 0x1
	s_delay_alu instid0(VALU_DEP_1) | instskip(SKIP_1) | instid1(VALU_DEP_1)
	v_fmac_f64_e32 v[106:107], v[86:87], v[76:77]
	s_wait_loadcnt 0x1
	v_fmac_f64_e32 v[106:107], v[88:89], v[78:79]
	s_wait_dscnt 0x0
	s_delay_alu instid0(VALU_DEP_1) | instskip(SKIP_1) | instid1(VALU_DEP_1)
	v_fmac_f64_e32 v[106:107], v[90:91], v[80:81]
	s_wait_loadcnt 0x0
	v_fmac_f64_e32 v[106:107], v[100:101], v[82:83]
	s_delay_alu instid0(VALU_DEP_1)
	v_add_f64_e64 v[2:3], v[74:75], -v[106:107]
	scratch_store_b64 off, v[2:3], off offset:112
	s_wait_xcnt 0x0
	v_cmpx_lt_u32_e32 13, v0
	s_cbranch_execz .LBB98_193
; %bb.192:
	scratch_load_b64 v[2:3], off, off offset:104
	v_mov_b64_e32 v[74:75], 0
	scratch_store_b64 off, v[74:75], off offset:104
	s_wait_loadcnt 0x0
	ds_store_b64 v1, v[2:3]
.LBB98_193:
	s_wait_xcnt 0x0
	s_or_b32 exec_lo, exec_lo, s0
	s_wait_storecnt_dscnt 0x0
	s_barrier_signal -1
	s_barrier_wait -1
	s_clause 0x5
	scratch_load_b128 v[74:77], off, off offset:104
	scratch_load_b128 v[78:81], off, off offset:120
	;; [unrolled: 1-line block ×6, first 2 shown]
	v_mov_b32_e32 v2, 0
	ds_load_b128 v[98:101], v2 offset:400
	ds_load_b128 v[102:105], v2 offset:416
	s_mov_b32 s0, exec_lo
	s_wait_loadcnt_dscnt 0x501
	v_fma_f64 v[106:107], v[76:77], v[98:99], 0
	s_wait_loadcnt 0x4
	s_delay_alu instid0(VALU_DEP_1) | instskip(SKIP_4) | instid1(VALU_DEP_1)
	v_fmac_f64_e32 v[106:107], v[78:79], v[100:101]
	scratch_load_b128 v[76:79], off, off offset:200
	s_wait_dscnt 0x0
	v_fmac_f64_e32 v[106:107], v[80:81], v[102:103]
	s_wait_loadcnt 0x4
	v_fmac_f64_e32 v[106:107], v[82:83], v[104:105]
	scratch_load_b128 v[80:83], off, off offset:216
	ds_load_b128 v[98:101], v2 offset:432
	ds_load_b128 v[102:105], v2 offset:448
	s_wait_dscnt 0x1
	v_fmac_f64_e32 v[106:107], v[84:85], v[98:99]
	s_wait_loadcnt 0x4
	s_delay_alu instid0(VALU_DEP_1) | instskip(SKIP_4) | instid1(VALU_DEP_1)
	v_fmac_f64_e32 v[106:107], v[86:87], v[100:101]
	scratch_load_b128 v[84:87], off, off offset:232
	s_wait_dscnt 0x0
	v_fmac_f64_e32 v[106:107], v[88:89], v[102:103]
	s_wait_loadcnt 0x4
	v_fmac_f64_e32 v[106:107], v[90:91], v[104:105]
	scratch_load_b128 v[88:91], off, off offset:248
	ds_load_b128 v[98:101], v2 offset:464
	ds_load_b128 v[102:105], v2 offset:480
	s_wait_dscnt 0x1
	v_fmac_f64_e32 v[106:107], v[92:93], v[98:99]
	s_wait_loadcnt 0x4
	s_delay_alu instid0(VALU_DEP_1)
	v_fmac_f64_e32 v[106:107], v[94:95], v[100:101]
	scratch_load_b128 v[92:95], off, off offset:264
	s_wait_dscnt 0x0
	v_fmac_f64_e32 v[106:107], v[96:97], v[102:103]
	ds_load_b128 v[96:99], v2 offset:496
	ds_load_b128 v[100:103], v2 offset:512
	s_wait_loadcnt 0x4
	v_fmac_f64_e32 v[106:107], v[76:77], v[104:105]
	s_wait_dscnt 0x1
	s_delay_alu instid0(VALU_DEP_1) | instskip(SKIP_1) | instid1(VALU_DEP_1)
	v_fmac_f64_e32 v[106:107], v[78:79], v[96:97]
	s_wait_loadcnt 0x3
	v_fmac_f64_e32 v[106:107], v[80:81], v[98:99]
	s_wait_dscnt 0x0
	s_delay_alu instid0(VALU_DEP_1)
	v_fmac_f64_e32 v[106:107], v[82:83], v[100:101]
	ds_load_b128 v[76:79], v2 offset:528
	ds_load_b128 v[80:83], v2 offset:544
	s_wait_loadcnt 0x2
	v_fmac_f64_e32 v[106:107], v[84:85], v[102:103]
	s_wait_dscnt 0x1
	s_delay_alu instid0(VALU_DEP_1) | instskip(SKIP_4) | instid1(VALU_DEP_1)
	v_fmac_f64_e32 v[106:107], v[86:87], v[76:77]
	ds_load_b64 v[76:77], v2 offset:560
	s_wait_loadcnt 0x1
	v_fmac_f64_e32 v[106:107], v[88:89], v[78:79]
	s_wait_dscnt 0x1
	v_fmac_f64_e32 v[106:107], v[90:91], v[80:81]
	s_wait_loadcnt 0x0
	s_delay_alu instid0(VALU_DEP_1) | instskip(SKIP_1) | instid1(VALU_DEP_1)
	v_fmac_f64_e32 v[106:107], v[92:93], v[82:83]
	s_wait_dscnt 0x0
	v_fmac_f64_e32 v[106:107], v[94:95], v[76:77]
	s_delay_alu instid0(VALU_DEP_1)
	v_add_f64_e64 v[74:75], v[74:75], -v[106:107]
	scratch_store_b64 off, v[74:75], off offset:104
	s_wait_xcnt 0x0
	v_cmpx_lt_u32_e32 12, v0
	s_cbranch_execz .LBB98_195
; %bb.194:
	scratch_load_b64 v[74:75], off, off offset:96
	v_mov_b64_e32 v[76:77], 0
	scratch_store_b64 off, v[76:77], off offset:96
	s_wait_loadcnt 0x0
	ds_store_b64 v1, v[74:75]
.LBB98_195:
	s_wait_xcnt 0x0
	s_or_b32 exec_lo, exec_lo, s0
	s_wait_storecnt_dscnt 0x0
	s_barrier_signal -1
	s_barrier_wait -1
	s_clause 0x5
	scratch_load_b128 v[74:77], off, off offset:96
	scratch_load_b128 v[78:81], off, off offset:112
	;; [unrolled: 1-line block ×6, first 2 shown]
	ds_load_2addr_b64 v[98:101], v2 offset0:49 offset1:50
	ds_load_2addr_b64 v[102:105], v2 offset0:51 offset1:52
	scratch_load_b128 v[106:109], off, off offset:192
	s_mov_b32 s0, exec_lo
	s_wait_loadcnt_dscnt 0x601
	v_fma_f64 v[110:111], v[76:77], v[98:99], 0
	s_wait_loadcnt 0x5
	s_delay_alu instid0(VALU_DEP_1) | instskip(SKIP_4) | instid1(VALU_DEP_1)
	v_fmac_f64_e32 v[110:111], v[78:79], v[100:101]
	scratch_load_b128 v[76:79], off, off offset:208
	s_wait_dscnt 0x0
	v_fmac_f64_e32 v[110:111], v[80:81], v[102:103]
	s_wait_loadcnt 0x5
	v_fmac_f64_e32 v[110:111], v[82:83], v[104:105]
	ds_load_2addr_b64 v[80:83], v2 offset0:53 offset1:54
	ds_load_2addr_b64 v[98:101], v2 offset0:55 offset1:56
	s_wait_dscnt 0x1
	v_fmac_f64_e32 v[110:111], v[84:85], v[80:81]
	s_wait_loadcnt 0x4
	s_delay_alu instid0(VALU_DEP_1)
	v_fmac_f64_e32 v[110:111], v[86:87], v[82:83]
	s_clause 0x1
	scratch_load_b128 v[80:83], off, off offset:224
	scratch_load_b128 v[84:87], off, off offset:240
	s_wait_dscnt 0x0
	v_fmac_f64_e32 v[110:111], v[88:89], v[98:99]
	s_wait_loadcnt 0x5
	s_delay_alu instid0(VALU_DEP_1)
	v_fmac_f64_e32 v[110:111], v[90:91], v[100:101]
	ds_load_2addr_b64 v[88:91], v2 offset0:57 offset1:58
	ds_load_2addr_b64 v[98:101], v2 offset0:59 offset1:60
	s_wait_dscnt 0x1
	v_fmac_f64_e32 v[110:111], v[92:93], v[88:89]
	s_wait_loadcnt 0x4
	s_delay_alu instid0(VALU_DEP_1) | instskip(SKIP_4) | instid1(VALU_DEP_1)
	v_fmac_f64_e32 v[110:111], v[94:95], v[90:91]
	scratch_load_b128 v[88:91], off, off offset:256
	s_wait_dscnt 0x0
	v_fmac_f64_e32 v[110:111], v[96:97], v[98:99]
	s_wait_loadcnt 0x4
	v_fmac_f64_e32 v[110:111], v[106:107], v[100:101]
	scratch_load_b64 v[100:101], off, off offset:272
	ds_load_2addr_b64 v[92:95], v2 offset0:61 offset1:62
	ds_load_2addr_b64 v[96:99], v2 offset0:63 offset1:64
	s_wait_dscnt 0x1
	v_fmac_f64_e32 v[110:111], v[108:109], v[92:93]
	s_wait_loadcnt 0x4
	s_delay_alu instid0(VALU_DEP_1) | instskip(SKIP_1) | instid1(VALU_DEP_1)
	v_fmac_f64_e32 v[110:111], v[76:77], v[94:95]
	s_wait_dscnt 0x0
	v_fmac_f64_e32 v[110:111], v[78:79], v[96:97]
	ds_load_2addr_b64 v[76:79], v2 offset0:65 offset1:66
	ds_load_2addr_b64 v[92:95], v2 offset0:67 offset1:68
	s_wait_loadcnt 0x3
	v_fmac_f64_e32 v[110:111], v[80:81], v[98:99]
	s_wait_dscnt 0x1
	s_delay_alu instid0(VALU_DEP_1) | instskip(SKIP_1) | instid1(VALU_DEP_1)
	v_fmac_f64_e32 v[110:111], v[82:83], v[76:77]
	s_wait_loadcnt 0x2
	v_fmac_f64_e32 v[110:111], v[84:85], v[78:79]
	ds_load_2addr_b64 v[76:79], v2 offset0:69 offset1:70
	s_wait_dscnt 0x1
	v_fmac_f64_e32 v[110:111], v[86:87], v[92:93]
	s_wait_loadcnt 0x1
	s_delay_alu instid0(VALU_DEP_1) | instskip(SKIP_1) | instid1(VALU_DEP_1)
	v_fmac_f64_e32 v[110:111], v[88:89], v[94:95]
	s_wait_dscnt 0x0
	v_fmac_f64_e32 v[110:111], v[90:91], v[76:77]
	s_wait_loadcnt 0x0
	s_delay_alu instid0(VALU_DEP_1) | instskip(NEXT) | instid1(VALU_DEP_1)
	v_fmac_f64_e32 v[110:111], v[100:101], v[78:79]
	v_add_f64_e64 v[2:3], v[74:75], -v[110:111]
	scratch_store_b64 off, v[2:3], off offset:96
	s_wait_xcnt 0x0
	v_cmpx_lt_u32_e32 11, v0
	s_cbranch_execz .LBB98_197
; %bb.196:
	scratch_load_b64 v[2:3], off, off offset:88
	v_mov_b64_e32 v[74:75], 0
	scratch_store_b64 off, v[74:75], off offset:88
	s_wait_loadcnt 0x0
	ds_store_b64 v1, v[2:3]
.LBB98_197:
	s_wait_xcnt 0x0
	s_or_b32 exec_lo, exec_lo, s0
	s_wait_storecnt_dscnt 0x0
	s_barrier_signal -1
	s_barrier_wait -1
	s_clause 0x5
	scratch_load_b128 v[74:77], off, off offset:88
	scratch_load_b128 v[78:81], off, off offset:104
	scratch_load_b128 v[82:85], off, off offset:120
	scratch_load_b128 v[86:89], off, off offset:136
	scratch_load_b128 v[90:93], off, off offset:152
	scratch_load_b128 v[94:97], off, off offset:168
	v_mov_b32_e32 v2, 0
	ds_load_b128 v[98:101], v2 offset:384
	ds_load_b128 v[102:105], v2 offset:400
	scratch_load_b128 v[106:109], off, off offset:184
	s_mov_b32 s0, exec_lo
	s_wait_loadcnt_dscnt 0x601
	v_fma_f64 v[110:111], v[76:77], v[98:99], 0
	s_wait_loadcnt 0x5
	s_delay_alu instid0(VALU_DEP_1) | instskip(SKIP_4) | instid1(VALU_DEP_1)
	v_fmac_f64_e32 v[110:111], v[78:79], v[100:101]
	scratch_load_b128 v[76:79], off, off offset:200
	s_wait_dscnt 0x0
	v_fmac_f64_e32 v[110:111], v[80:81], v[102:103]
	s_wait_loadcnt 0x5
	v_fmac_f64_e32 v[110:111], v[82:83], v[104:105]
	ds_load_b128 v[80:83], v2 offset:416
	ds_load_b128 v[98:101], v2 offset:432
	s_wait_dscnt 0x1
	v_fmac_f64_e32 v[110:111], v[84:85], v[80:81]
	s_wait_loadcnt 0x4
	s_delay_alu instid0(VALU_DEP_1)
	v_fmac_f64_e32 v[110:111], v[86:87], v[82:83]
	s_clause 0x1
	scratch_load_b128 v[80:83], off, off offset:216
	scratch_load_b128 v[84:87], off, off offset:232
	s_wait_dscnt 0x0
	v_fmac_f64_e32 v[110:111], v[88:89], v[98:99]
	s_wait_loadcnt 0x5
	s_delay_alu instid0(VALU_DEP_1)
	v_fmac_f64_e32 v[110:111], v[90:91], v[100:101]
	ds_load_b128 v[88:91], v2 offset:448
	ds_load_b128 v[98:101], v2 offset:464
	s_wait_dscnt 0x1
	v_fmac_f64_e32 v[110:111], v[92:93], v[88:89]
	s_wait_loadcnt 0x4
	s_delay_alu instid0(VALU_DEP_1)
	v_fmac_f64_e32 v[110:111], v[94:95], v[90:91]
	s_clause 0x1
	scratch_load_b128 v[88:91], off, off offset:248
	scratch_load_b128 v[92:95], off, off offset:264
	s_wait_dscnt 0x0
	v_fmac_f64_e32 v[110:111], v[96:97], v[98:99]
	s_wait_loadcnt 0x5
	s_delay_alu instid0(VALU_DEP_1)
	v_fmac_f64_e32 v[110:111], v[106:107], v[100:101]
	ds_load_b128 v[96:99], v2 offset:480
	ds_load_b128 v[100:103], v2 offset:496
	s_wait_dscnt 0x1
	v_fmac_f64_e32 v[110:111], v[108:109], v[96:97]
	s_wait_loadcnt 0x4
	s_delay_alu instid0(VALU_DEP_1) | instskip(SKIP_1) | instid1(VALU_DEP_1)
	v_fmac_f64_e32 v[110:111], v[76:77], v[98:99]
	s_wait_dscnt 0x0
	v_fmac_f64_e32 v[110:111], v[78:79], v[100:101]
	ds_load_b128 v[76:79], v2 offset:512
	ds_load_b128 v[96:99], v2 offset:528
	s_wait_loadcnt 0x3
	v_fmac_f64_e32 v[110:111], v[80:81], v[102:103]
	s_wait_dscnt 0x1
	s_delay_alu instid0(VALU_DEP_1) | instskip(SKIP_1) | instid1(VALU_DEP_1)
	v_fmac_f64_e32 v[110:111], v[82:83], v[76:77]
	s_wait_loadcnt 0x2
	v_fmac_f64_e32 v[110:111], v[84:85], v[78:79]
	ds_load_b128 v[76:79], v2 offset:544
	ds_load_b64 v[80:81], v2 offset:560
	s_wait_dscnt 0x2
	v_fmac_f64_e32 v[110:111], v[86:87], v[96:97]
	s_wait_loadcnt 0x1
	s_delay_alu instid0(VALU_DEP_1) | instskip(SKIP_1) | instid1(VALU_DEP_1)
	v_fmac_f64_e32 v[110:111], v[88:89], v[98:99]
	s_wait_dscnt 0x1
	v_fmac_f64_e32 v[110:111], v[90:91], v[76:77]
	s_wait_loadcnt 0x0
	s_delay_alu instid0(VALU_DEP_1) | instskip(SKIP_1) | instid1(VALU_DEP_1)
	v_fmac_f64_e32 v[110:111], v[92:93], v[78:79]
	s_wait_dscnt 0x0
	v_fmac_f64_e32 v[110:111], v[94:95], v[80:81]
	s_delay_alu instid0(VALU_DEP_1)
	v_add_f64_e64 v[74:75], v[74:75], -v[110:111]
	scratch_store_b64 off, v[74:75], off offset:88
	s_wait_xcnt 0x0
	v_cmpx_lt_u32_e32 10, v0
	s_cbranch_execz .LBB98_199
; %bb.198:
	scratch_load_b64 v[74:75], off, off offset:80
	v_mov_b64_e32 v[76:77], 0
	scratch_store_b64 off, v[76:77], off offset:80
	s_wait_loadcnt 0x0
	ds_store_b64 v1, v[74:75]
.LBB98_199:
	s_wait_xcnt 0x0
	s_or_b32 exec_lo, exec_lo, s0
	s_wait_storecnt_dscnt 0x0
	s_barrier_signal -1
	s_barrier_wait -1
	s_clause 0x5
	scratch_load_b128 v[74:77], off, off offset:80
	scratch_load_b128 v[78:81], off, off offset:96
	;; [unrolled: 1-line block ×6, first 2 shown]
	ds_load_2addr_b64 v[98:101], v2 offset0:47 offset1:48
	ds_load_2addr_b64 v[102:105], v2 offset0:49 offset1:50
	scratch_load_b128 v[106:109], off, off offset:176
	s_mov_b32 s0, exec_lo
	s_wait_loadcnt_dscnt 0x601
	v_fma_f64 v[110:111], v[76:77], v[98:99], 0
	s_wait_loadcnt 0x5
	s_delay_alu instid0(VALU_DEP_1) | instskip(SKIP_4) | instid1(VALU_DEP_1)
	v_fmac_f64_e32 v[110:111], v[78:79], v[100:101]
	scratch_load_b128 v[76:79], off, off offset:192
	s_wait_dscnt 0x0
	v_fmac_f64_e32 v[110:111], v[80:81], v[102:103]
	s_wait_loadcnt 0x5
	v_fmac_f64_e32 v[110:111], v[82:83], v[104:105]
	ds_load_2addr_b64 v[80:83], v2 offset0:51 offset1:52
	ds_load_2addr_b64 v[98:101], v2 offset0:53 offset1:54
	s_wait_dscnt 0x1
	v_fmac_f64_e32 v[110:111], v[84:85], v[80:81]
	s_wait_loadcnt 0x4
	s_delay_alu instid0(VALU_DEP_1)
	v_fmac_f64_e32 v[110:111], v[86:87], v[82:83]
	s_clause 0x1
	scratch_load_b128 v[80:83], off, off offset:208
	scratch_load_b128 v[84:87], off, off offset:224
	s_wait_dscnt 0x0
	v_fmac_f64_e32 v[110:111], v[88:89], v[98:99]
	s_wait_loadcnt 0x5
	s_delay_alu instid0(VALU_DEP_1)
	v_fmac_f64_e32 v[110:111], v[90:91], v[100:101]
	ds_load_2addr_b64 v[88:91], v2 offset0:55 offset1:56
	ds_load_2addr_b64 v[98:101], v2 offset0:57 offset1:58
	s_wait_dscnt 0x1
	v_fmac_f64_e32 v[110:111], v[92:93], v[88:89]
	s_wait_loadcnt 0x4
	s_delay_alu instid0(VALU_DEP_1)
	v_fmac_f64_e32 v[110:111], v[94:95], v[90:91]
	s_clause 0x1
	scratch_load_b128 v[88:91], off, off offset:240
	scratch_load_b128 v[92:95], off, off offset:256
	s_wait_dscnt 0x0
	v_fmac_f64_e32 v[110:111], v[96:97], v[98:99]
	s_wait_loadcnt 0x5
	s_delay_alu instid0(VALU_DEP_1)
	v_fmac_f64_e32 v[110:111], v[106:107], v[100:101]
	ds_load_2addr_b64 v[96:99], v2 offset0:59 offset1:60
	ds_load_2addr_b64 v[100:103], v2 offset0:61 offset1:62
	scratch_load_b64 v[104:105], off, off offset:272
	s_wait_dscnt 0x1
	v_fmac_f64_e32 v[110:111], v[108:109], v[96:97]
	s_wait_loadcnt 0x5
	s_delay_alu instid0(VALU_DEP_1) | instskip(SKIP_1) | instid1(VALU_DEP_1)
	v_fmac_f64_e32 v[110:111], v[76:77], v[98:99]
	s_wait_dscnt 0x0
	v_fmac_f64_e32 v[110:111], v[78:79], v[100:101]
	ds_load_2addr_b64 v[76:79], v2 offset0:63 offset1:64
	ds_load_2addr_b64 v[96:99], v2 offset0:65 offset1:66
	s_wait_loadcnt 0x4
	v_fmac_f64_e32 v[110:111], v[80:81], v[102:103]
	s_wait_dscnt 0x1
	s_delay_alu instid0(VALU_DEP_1) | instskip(SKIP_1) | instid1(VALU_DEP_1)
	v_fmac_f64_e32 v[110:111], v[82:83], v[76:77]
	s_wait_loadcnt 0x3
	v_fmac_f64_e32 v[110:111], v[84:85], v[78:79]
	ds_load_2addr_b64 v[76:79], v2 offset0:67 offset1:68
	ds_load_2addr_b64 v[80:83], v2 offset0:69 offset1:70
	s_wait_dscnt 0x2
	v_fmac_f64_e32 v[110:111], v[86:87], v[96:97]
	s_wait_loadcnt 0x2
	s_delay_alu instid0(VALU_DEP_1) | instskip(SKIP_1) | instid1(VALU_DEP_1)
	v_fmac_f64_e32 v[110:111], v[88:89], v[98:99]
	s_wait_dscnt 0x1
	v_fmac_f64_e32 v[110:111], v[90:91], v[76:77]
	s_wait_loadcnt 0x1
	s_delay_alu instid0(VALU_DEP_1) | instskip(SKIP_1) | instid1(VALU_DEP_1)
	v_fmac_f64_e32 v[110:111], v[92:93], v[78:79]
	s_wait_dscnt 0x0
	v_fmac_f64_e32 v[110:111], v[94:95], v[80:81]
	s_wait_loadcnt 0x0
	s_delay_alu instid0(VALU_DEP_1) | instskip(NEXT) | instid1(VALU_DEP_1)
	v_fmac_f64_e32 v[110:111], v[104:105], v[82:83]
	v_add_f64_e64 v[2:3], v[74:75], -v[110:111]
	scratch_store_b64 off, v[2:3], off offset:80
	s_wait_xcnt 0x0
	v_cmpx_lt_u32_e32 9, v0
	s_cbranch_execz .LBB98_201
; %bb.200:
	scratch_load_b64 v[2:3], off, off offset:72
	v_mov_b64_e32 v[74:75], 0
	scratch_store_b64 off, v[74:75], off offset:72
	s_wait_loadcnt 0x0
	ds_store_b64 v1, v[2:3]
.LBB98_201:
	s_wait_xcnt 0x0
	s_or_b32 exec_lo, exec_lo, s0
	s_wait_storecnt_dscnt 0x0
	s_barrier_signal -1
	s_barrier_wait -1
	s_clause 0x5
	scratch_load_b128 v[74:77], off, off offset:72
	scratch_load_b128 v[78:81], off, off offset:88
	;; [unrolled: 1-line block ×6, first 2 shown]
	v_mov_b32_e32 v2, 0
	ds_load_b128 v[98:101], v2 offset:368
	ds_load_b128 v[102:105], v2 offset:384
	scratch_load_b128 v[106:109], off, off offset:168
	s_mov_b32 s0, exec_lo
	s_wait_loadcnt_dscnt 0x601
	v_fma_f64 v[110:111], v[76:77], v[98:99], 0
	s_wait_loadcnt 0x5
	s_delay_alu instid0(VALU_DEP_1) | instskip(SKIP_4) | instid1(VALU_DEP_1)
	v_fmac_f64_e32 v[110:111], v[78:79], v[100:101]
	scratch_load_b128 v[76:79], off, off offset:184
	s_wait_dscnt 0x0
	v_fmac_f64_e32 v[110:111], v[80:81], v[102:103]
	s_wait_loadcnt 0x5
	v_fmac_f64_e32 v[110:111], v[82:83], v[104:105]
	ds_load_b128 v[80:83], v2 offset:400
	ds_load_b128 v[98:101], v2 offset:416
	s_wait_dscnt 0x1
	v_fmac_f64_e32 v[110:111], v[84:85], v[80:81]
	s_wait_loadcnt 0x4
	s_delay_alu instid0(VALU_DEP_1)
	v_fmac_f64_e32 v[110:111], v[86:87], v[82:83]
	s_clause 0x1
	scratch_load_b128 v[80:83], off, off offset:200
	scratch_load_b128 v[84:87], off, off offset:216
	s_wait_dscnt 0x0
	v_fmac_f64_e32 v[110:111], v[88:89], v[98:99]
	s_wait_loadcnt 0x5
	s_delay_alu instid0(VALU_DEP_1)
	v_fmac_f64_e32 v[110:111], v[90:91], v[100:101]
	ds_load_b128 v[88:91], v2 offset:432
	ds_load_b128 v[98:101], v2 offset:448
	s_wait_dscnt 0x1
	v_fmac_f64_e32 v[110:111], v[92:93], v[88:89]
	s_wait_loadcnt 0x4
	s_delay_alu instid0(VALU_DEP_1)
	v_fmac_f64_e32 v[110:111], v[94:95], v[90:91]
	s_clause 0x1
	scratch_load_b128 v[88:91], off, off offset:232
	scratch_load_b128 v[92:95], off, off offset:248
	s_wait_dscnt 0x0
	v_fmac_f64_e32 v[110:111], v[96:97], v[98:99]
	s_wait_loadcnt 0x5
	s_delay_alu instid0(VALU_DEP_1)
	v_fmac_f64_e32 v[110:111], v[106:107], v[100:101]
	ds_load_b128 v[96:99], v2 offset:464
	ds_load_b128 v[100:103], v2 offset:480
	s_wait_dscnt 0x1
	v_fmac_f64_e32 v[110:111], v[108:109], v[96:97]
	s_wait_loadcnt 0x4
	s_delay_alu instid0(VALU_DEP_1) | instskip(SKIP_4) | instid1(VALU_DEP_1)
	v_fmac_f64_e32 v[110:111], v[76:77], v[98:99]
	scratch_load_b128 v[96:99], off, off offset:264
	s_wait_dscnt 0x0
	v_fmac_f64_e32 v[110:111], v[78:79], v[100:101]
	s_wait_loadcnt 0x4
	v_fmac_f64_e32 v[110:111], v[80:81], v[102:103]
	ds_load_b128 v[76:79], v2 offset:496
	ds_load_b128 v[100:103], v2 offset:512
	s_wait_dscnt 0x1
	v_fmac_f64_e32 v[110:111], v[82:83], v[76:77]
	s_wait_loadcnt 0x3
	s_delay_alu instid0(VALU_DEP_1)
	v_fmac_f64_e32 v[110:111], v[84:85], v[78:79]
	ds_load_b128 v[76:79], v2 offset:528
	ds_load_b128 v[80:83], v2 offset:544
	s_wait_dscnt 0x2
	v_fmac_f64_e32 v[110:111], v[86:87], v[100:101]
	s_wait_loadcnt 0x2
	s_delay_alu instid0(VALU_DEP_1) | instskip(SKIP_1) | instid1(VALU_DEP_1)
	v_fmac_f64_e32 v[110:111], v[88:89], v[102:103]
	s_wait_dscnt 0x1
	v_fmac_f64_e32 v[110:111], v[90:91], v[76:77]
	ds_load_b64 v[76:77], v2 offset:560
	s_wait_loadcnt 0x1
	v_fmac_f64_e32 v[110:111], v[92:93], v[78:79]
	s_wait_dscnt 0x1
	s_delay_alu instid0(VALU_DEP_1) | instskip(SKIP_1) | instid1(VALU_DEP_1)
	v_fmac_f64_e32 v[110:111], v[94:95], v[80:81]
	s_wait_loadcnt 0x0
	v_fmac_f64_e32 v[110:111], v[96:97], v[82:83]
	s_wait_dscnt 0x0
	s_delay_alu instid0(VALU_DEP_1) | instskip(NEXT) | instid1(VALU_DEP_1)
	v_fmac_f64_e32 v[110:111], v[98:99], v[76:77]
	v_add_f64_e64 v[74:75], v[74:75], -v[110:111]
	scratch_store_b64 off, v[74:75], off offset:72
	s_wait_xcnt 0x0
	v_cmpx_lt_u32_e32 8, v0
	s_cbranch_execz .LBB98_203
; %bb.202:
	scratch_load_b64 v[74:75], off, off offset:64
	v_mov_b64_e32 v[76:77], 0
	scratch_store_b64 off, v[76:77], off offset:64
	s_wait_loadcnt 0x0
	ds_store_b64 v1, v[74:75]
.LBB98_203:
	s_wait_xcnt 0x0
	s_or_b32 exec_lo, exec_lo, s0
	s_wait_storecnt_dscnt 0x0
	s_barrier_signal -1
	s_barrier_wait -1
	s_clause 0x5
	scratch_load_b128 v[74:77], off, off offset:64
	scratch_load_b128 v[78:81], off, off offset:80
	;; [unrolled: 1-line block ×6, first 2 shown]
	ds_load_2addr_b64 v[98:101], v2 offset0:45 offset1:46
	ds_load_2addr_b64 v[102:105], v2 offset0:47 offset1:48
	scratch_load_b128 v[106:109], off, off offset:160
	s_mov_b32 s0, exec_lo
	s_wait_loadcnt_dscnt 0x601
	v_fma_f64 v[110:111], v[76:77], v[98:99], 0
	s_wait_loadcnt 0x5
	s_delay_alu instid0(VALU_DEP_1) | instskip(SKIP_4) | instid1(VALU_DEP_1)
	v_fmac_f64_e32 v[110:111], v[78:79], v[100:101]
	scratch_load_b128 v[76:79], off, off offset:176
	s_wait_dscnt 0x0
	v_fmac_f64_e32 v[110:111], v[80:81], v[102:103]
	s_wait_loadcnt 0x5
	v_fmac_f64_e32 v[110:111], v[82:83], v[104:105]
	ds_load_2addr_b64 v[80:83], v2 offset0:49 offset1:50
	ds_load_2addr_b64 v[98:101], v2 offset0:51 offset1:52
	scratch_load_b128 v[102:105], off, off offset:192
	s_wait_dscnt 0x1
	v_fmac_f64_e32 v[110:111], v[84:85], v[80:81]
	s_wait_loadcnt 0x5
	s_delay_alu instid0(VALU_DEP_1) | instskip(SKIP_4) | instid1(VALU_DEP_1)
	v_fmac_f64_e32 v[110:111], v[86:87], v[82:83]
	scratch_load_b128 v[80:83], off, off offset:208
	s_wait_dscnt 0x0
	v_fmac_f64_e32 v[110:111], v[88:89], v[98:99]
	s_wait_loadcnt 0x5
	v_fmac_f64_e32 v[110:111], v[90:91], v[100:101]
	ds_load_2addr_b64 v[84:87], v2 offset0:53 offset1:54
	ds_load_2addr_b64 v[88:91], v2 offset0:55 offset1:56
	s_wait_dscnt 0x1
	v_fmac_f64_e32 v[110:111], v[92:93], v[84:85]
	s_wait_loadcnt 0x4
	s_delay_alu instid0(VALU_DEP_1) | instskip(SKIP_4) | instid1(VALU_DEP_1)
	v_fmac_f64_e32 v[110:111], v[94:95], v[86:87]
	scratch_load_b128 v[84:87], off, off offset:224
	s_wait_dscnt 0x0
	v_fmac_f64_e32 v[110:111], v[96:97], v[88:89]
	s_wait_loadcnt 0x4
	v_fmac_f64_e32 v[110:111], v[106:107], v[90:91]
	scratch_load_b128 v[88:91], off, off offset:240
	ds_load_2addr_b64 v[92:95], v2 offset0:57 offset1:58
	ds_load_2addr_b64 v[96:99], v2 offset0:59 offset1:60
	scratch_load_b64 v[100:101], off, off offset:272
	s_wait_dscnt 0x1
	v_fmac_f64_e32 v[110:111], v[108:109], v[92:93]
	s_wait_loadcnt 0x5
	s_delay_alu instid0(VALU_DEP_1) | instskip(SKIP_4) | instid1(VALU_DEP_1)
	v_fmac_f64_e32 v[110:111], v[76:77], v[94:95]
	scratch_load_b128 v[92:95], off, off offset:256
	s_wait_dscnt 0x0
	v_fmac_f64_e32 v[110:111], v[78:79], v[96:97]
	s_wait_loadcnt 0x5
	v_fmac_f64_e32 v[110:111], v[102:103], v[98:99]
	ds_load_2addr_b64 v[76:79], v2 offset0:61 offset1:62
	ds_load_2addr_b64 v[96:99], v2 offset0:63 offset1:64
	s_wait_dscnt 0x1
	v_fmac_f64_e32 v[110:111], v[104:105], v[76:77]
	s_wait_loadcnt 0x4
	s_delay_alu instid0(VALU_DEP_1) | instskip(SKIP_1) | instid1(VALU_DEP_1)
	v_fmac_f64_e32 v[110:111], v[80:81], v[78:79]
	s_wait_dscnt 0x0
	v_fmac_f64_e32 v[110:111], v[82:83], v[96:97]
	ds_load_2addr_b64 v[76:79], v2 offset0:65 offset1:66
	ds_load_2addr_b64 v[80:83], v2 offset0:67 offset1:68
	s_wait_loadcnt 0x3
	v_fmac_f64_e32 v[110:111], v[84:85], v[98:99]
	s_wait_dscnt 0x1
	s_delay_alu instid0(VALU_DEP_1) | instskip(SKIP_1) | instid1(VALU_DEP_1)
	v_fmac_f64_e32 v[110:111], v[86:87], v[76:77]
	s_wait_loadcnt 0x2
	v_fmac_f64_e32 v[110:111], v[88:89], v[78:79]
	ds_load_2addr_b64 v[76:79], v2 offset0:69 offset1:70
	s_wait_dscnt 0x1
	v_fmac_f64_e32 v[110:111], v[90:91], v[80:81]
	s_wait_loadcnt 0x0
	s_delay_alu instid0(VALU_DEP_1) | instskip(SKIP_1) | instid1(VALU_DEP_1)
	v_fmac_f64_e32 v[110:111], v[92:93], v[82:83]
	s_wait_dscnt 0x0
	v_fmac_f64_e32 v[110:111], v[94:95], v[76:77]
	s_delay_alu instid0(VALU_DEP_1) | instskip(NEXT) | instid1(VALU_DEP_1)
	v_fmac_f64_e32 v[110:111], v[100:101], v[78:79]
	v_add_f64_e64 v[2:3], v[74:75], -v[110:111]
	scratch_store_b64 off, v[2:3], off offset:64
	s_wait_xcnt 0x0
	v_cmpx_lt_u32_e32 7, v0
	s_cbranch_execz .LBB98_205
; %bb.204:
	scratch_load_b64 v[2:3], off, off offset:56
	v_mov_b64_e32 v[74:75], 0
	scratch_store_b64 off, v[74:75], off offset:56
	s_wait_loadcnt 0x0
	ds_store_b64 v1, v[2:3]
.LBB98_205:
	s_wait_xcnt 0x0
	s_or_b32 exec_lo, exec_lo, s0
	s_wait_storecnt_dscnt 0x0
	s_barrier_signal -1
	s_barrier_wait -1
	s_clause 0x5
	scratch_load_b128 v[74:77], off, off offset:56
	scratch_load_b128 v[78:81], off, off offset:72
	;; [unrolled: 1-line block ×6, first 2 shown]
	v_mov_b32_e32 v2, 0
	ds_load_b128 v[98:101], v2 offset:352
	ds_load_b128 v[102:105], v2 offset:368
	scratch_load_b128 v[106:109], off, off offset:152
	s_mov_b32 s0, exec_lo
	s_wait_loadcnt_dscnt 0x601
	v_fma_f64 v[110:111], v[76:77], v[98:99], 0
	s_wait_loadcnt 0x5
	s_delay_alu instid0(VALU_DEP_1) | instskip(SKIP_4) | instid1(VALU_DEP_1)
	v_fmac_f64_e32 v[110:111], v[78:79], v[100:101]
	scratch_load_b128 v[76:79], off, off offset:168
	s_wait_dscnt 0x0
	v_fmac_f64_e32 v[110:111], v[80:81], v[102:103]
	s_wait_loadcnt 0x5
	v_fmac_f64_e32 v[110:111], v[82:83], v[104:105]
	ds_load_b128 v[80:83], v2 offset:384
	ds_load_b128 v[98:101], v2 offset:400
	scratch_load_b128 v[102:105], off, off offset:184
	s_wait_dscnt 0x1
	v_fmac_f64_e32 v[110:111], v[84:85], v[80:81]
	s_wait_loadcnt 0x5
	s_delay_alu instid0(VALU_DEP_1) | instskip(SKIP_4) | instid1(VALU_DEP_1)
	v_fmac_f64_e32 v[110:111], v[86:87], v[82:83]
	scratch_load_b128 v[80:83], off, off offset:200
	s_wait_dscnt 0x0
	v_fmac_f64_e32 v[110:111], v[88:89], v[98:99]
	s_wait_loadcnt 0x5
	v_fmac_f64_e32 v[110:111], v[90:91], v[100:101]
	ds_load_b128 v[84:87], v2 offset:416
	ds_load_b128 v[88:91], v2 offset:432
	s_wait_dscnt 0x1
	v_fmac_f64_e32 v[110:111], v[92:93], v[84:85]
	s_wait_loadcnt 0x4
	s_delay_alu instid0(VALU_DEP_1) | instskip(SKIP_4) | instid1(VALU_DEP_1)
	v_fmac_f64_e32 v[110:111], v[94:95], v[86:87]
	scratch_load_b128 v[84:87], off, off offset:216
	s_wait_dscnt 0x0
	v_fmac_f64_e32 v[110:111], v[96:97], v[88:89]
	s_wait_loadcnt 0x4
	v_fmac_f64_e32 v[110:111], v[106:107], v[90:91]
	scratch_load_b128 v[88:91], off, off offset:232
	ds_load_b128 v[92:95], v2 offset:448
	ds_load_b128 v[96:99], v2 offset:464
	s_wait_dscnt 0x1
	v_fmac_f64_e32 v[110:111], v[108:109], v[92:93]
	s_wait_loadcnt 0x4
	s_delay_alu instid0(VALU_DEP_1)
	v_fmac_f64_e32 v[110:111], v[76:77], v[94:95]
	scratch_load_b128 v[92:95], off, off offset:248
	s_wait_dscnt 0x0
	v_fmac_f64_e32 v[110:111], v[78:79], v[96:97]
	scratch_load_b128 v[76:79], off, off offset:264
	s_wait_loadcnt 0x5
	v_fmac_f64_e32 v[110:111], v[102:103], v[98:99]
	ds_load_b128 v[96:99], v2 offset:480
	ds_load_b128 v[100:103], v2 offset:496
	s_wait_dscnt 0x1
	v_fmac_f64_e32 v[110:111], v[104:105], v[96:97]
	s_wait_loadcnt 0x4
	s_delay_alu instid0(VALU_DEP_1) | instskip(SKIP_1) | instid1(VALU_DEP_1)
	v_fmac_f64_e32 v[110:111], v[80:81], v[98:99]
	s_wait_dscnt 0x0
	v_fmac_f64_e32 v[110:111], v[82:83], v[100:101]
	ds_load_b128 v[80:83], v2 offset:512
	ds_load_b128 v[96:99], v2 offset:528
	s_wait_loadcnt 0x3
	v_fmac_f64_e32 v[110:111], v[84:85], v[102:103]
	s_wait_dscnt 0x1
	s_delay_alu instid0(VALU_DEP_1) | instskip(SKIP_1) | instid1(VALU_DEP_1)
	v_fmac_f64_e32 v[110:111], v[86:87], v[80:81]
	s_wait_loadcnt 0x2
	v_fmac_f64_e32 v[110:111], v[88:89], v[82:83]
	ds_load_b128 v[80:83], v2 offset:544
	ds_load_b64 v[84:85], v2 offset:560
	s_wait_dscnt 0x2
	v_fmac_f64_e32 v[110:111], v[90:91], v[96:97]
	s_wait_loadcnt 0x1
	s_delay_alu instid0(VALU_DEP_1) | instskip(SKIP_1) | instid1(VALU_DEP_1)
	v_fmac_f64_e32 v[110:111], v[92:93], v[98:99]
	s_wait_dscnt 0x1
	v_fmac_f64_e32 v[110:111], v[94:95], v[80:81]
	s_wait_loadcnt 0x0
	s_delay_alu instid0(VALU_DEP_1) | instskip(SKIP_1) | instid1(VALU_DEP_1)
	v_fmac_f64_e32 v[110:111], v[76:77], v[82:83]
	s_wait_dscnt 0x0
	v_fmac_f64_e32 v[110:111], v[78:79], v[84:85]
	s_delay_alu instid0(VALU_DEP_1)
	v_add_f64_e64 v[74:75], v[74:75], -v[110:111]
	scratch_store_b64 off, v[74:75], off offset:56
	s_wait_xcnt 0x0
	v_cmpx_lt_u32_e32 6, v0
	s_cbranch_execz .LBB98_207
; %bb.206:
	scratch_load_b64 v[74:75], off, off offset:48
	v_mov_b64_e32 v[76:77], 0
	scratch_store_b64 off, v[76:77], off offset:48
	s_wait_loadcnt 0x0
	ds_store_b64 v1, v[74:75]
.LBB98_207:
	s_wait_xcnt 0x0
	s_or_b32 exec_lo, exec_lo, s0
	s_wait_storecnt_dscnt 0x0
	s_barrier_signal -1
	s_barrier_wait -1
	s_clause 0x5
	scratch_load_b128 v[74:77], off, off offset:48
	scratch_load_b128 v[78:81], off, off offset:64
	;; [unrolled: 1-line block ×6, first 2 shown]
	ds_load_2addr_b64 v[98:101], v2 offset0:43 offset1:44
	ds_load_2addr_b64 v[102:105], v2 offset0:45 offset1:46
	scratch_load_b128 v[106:109], off, off offset:144
	s_mov_b32 s0, exec_lo
	s_wait_loadcnt_dscnt 0x601
	v_fma_f64 v[110:111], v[76:77], v[98:99], 0
	s_wait_loadcnt 0x5
	s_delay_alu instid0(VALU_DEP_1) | instskip(SKIP_4) | instid1(VALU_DEP_1)
	v_fmac_f64_e32 v[110:111], v[78:79], v[100:101]
	scratch_load_b128 v[76:79], off, off offset:160
	s_wait_dscnt 0x0
	v_fmac_f64_e32 v[110:111], v[80:81], v[102:103]
	s_wait_loadcnt 0x5
	v_fmac_f64_e32 v[110:111], v[82:83], v[104:105]
	ds_load_2addr_b64 v[80:83], v2 offset0:47 offset1:48
	ds_load_2addr_b64 v[98:101], v2 offset0:49 offset1:50
	scratch_load_b128 v[102:105], off, off offset:176
	s_wait_dscnt 0x1
	v_fmac_f64_e32 v[110:111], v[84:85], v[80:81]
	s_wait_loadcnt 0x5
	s_delay_alu instid0(VALU_DEP_1) | instskip(SKIP_4) | instid1(VALU_DEP_1)
	v_fmac_f64_e32 v[110:111], v[86:87], v[82:83]
	scratch_load_b128 v[80:83], off, off offset:192
	s_wait_dscnt 0x0
	v_fmac_f64_e32 v[110:111], v[88:89], v[98:99]
	s_wait_loadcnt 0x5
	v_fmac_f64_e32 v[110:111], v[90:91], v[100:101]
	ds_load_2addr_b64 v[84:87], v2 offset0:51 offset1:52
	ds_load_2addr_b64 v[88:91], v2 offset0:53 offset1:54
	s_wait_dscnt 0x1
	v_fmac_f64_e32 v[110:111], v[92:93], v[84:85]
	s_wait_loadcnt 0x4
	s_delay_alu instid0(VALU_DEP_1) | instskip(SKIP_4) | instid1(VALU_DEP_1)
	v_fmac_f64_e32 v[110:111], v[94:95], v[86:87]
	scratch_load_b128 v[84:87], off, off offset:208
	s_wait_dscnt 0x0
	v_fmac_f64_e32 v[110:111], v[96:97], v[88:89]
	s_wait_loadcnt 0x4
	v_fmac_f64_e32 v[110:111], v[106:107], v[90:91]
	scratch_load_b128 v[88:91], off, off offset:224
	ds_load_2addr_b64 v[92:95], v2 offset0:55 offset1:56
	ds_load_2addr_b64 v[96:99], v2 offset0:57 offset1:58
	s_wait_dscnt 0x1
	v_fmac_f64_e32 v[110:111], v[108:109], v[92:93]
	s_wait_loadcnt 0x4
	s_delay_alu instid0(VALU_DEP_1)
	v_fmac_f64_e32 v[110:111], v[76:77], v[94:95]
	scratch_load_b128 v[92:95], off, off offset:240
	s_wait_dscnt 0x0
	v_fmac_f64_e32 v[110:111], v[78:79], v[96:97]
	scratch_load_b128 v[76:79], off, off offset:256
	s_wait_loadcnt 0x5
	v_fmac_f64_e32 v[110:111], v[102:103], v[98:99]
	ds_load_2addr_b64 v[96:99], v2 offset0:59 offset1:60
	ds_load_2addr_b64 v[100:103], v2 offset0:61 offset1:62
	s_wait_dscnt 0x1
	v_fmac_f64_e32 v[110:111], v[104:105], v[96:97]
	scratch_load_b64 v[104:105], off, off offset:272
	s_wait_loadcnt 0x5
	v_fmac_f64_e32 v[110:111], v[80:81], v[98:99]
	s_wait_dscnt 0x0
	s_delay_alu instid0(VALU_DEP_1)
	v_fmac_f64_e32 v[110:111], v[82:83], v[100:101]
	ds_load_2addr_b64 v[80:83], v2 offset0:63 offset1:64
	ds_load_2addr_b64 v[96:99], v2 offset0:65 offset1:66
	s_wait_loadcnt 0x4
	v_fmac_f64_e32 v[110:111], v[84:85], v[102:103]
	s_wait_dscnt 0x1
	s_delay_alu instid0(VALU_DEP_1) | instskip(SKIP_1) | instid1(VALU_DEP_1)
	v_fmac_f64_e32 v[110:111], v[86:87], v[80:81]
	s_wait_loadcnt 0x3
	v_fmac_f64_e32 v[110:111], v[88:89], v[82:83]
	ds_load_2addr_b64 v[80:83], v2 offset0:67 offset1:68
	ds_load_2addr_b64 v[84:87], v2 offset0:69 offset1:70
	s_wait_dscnt 0x2
	v_fmac_f64_e32 v[110:111], v[90:91], v[96:97]
	s_wait_loadcnt 0x2
	s_delay_alu instid0(VALU_DEP_1) | instskip(SKIP_1) | instid1(VALU_DEP_1)
	v_fmac_f64_e32 v[110:111], v[92:93], v[98:99]
	s_wait_dscnt 0x1
	v_fmac_f64_e32 v[110:111], v[94:95], v[80:81]
	s_wait_loadcnt 0x1
	s_delay_alu instid0(VALU_DEP_1) | instskip(SKIP_1) | instid1(VALU_DEP_1)
	v_fmac_f64_e32 v[110:111], v[76:77], v[82:83]
	s_wait_dscnt 0x0
	v_fmac_f64_e32 v[110:111], v[78:79], v[84:85]
	s_wait_loadcnt 0x0
	s_delay_alu instid0(VALU_DEP_1) | instskip(NEXT) | instid1(VALU_DEP_1)
	v_fmac_f64_e32 v[110:111], v[104:105], v[86:87]
	v_add_f64_e64 v[2:3], v[74:75], -v[110:111]
	scratch_store_b64 off, v[2:3], off offset:48
	s_wait_xcnt 0x0
	v_cmpx_lt_u32_e32 5, v0
	s_cbranch_execz .LBB98_209
; %bb.208:
	scratch_load_b64 v[2:3], off, off offset:40
	v_mov_b64_e32 v[74:75], 0
	scratch_store_b64 off, v[74:75], off offset:40
	s_wait_loadcnt 0x0
	ds_store_b64 v1, v[2:3]
.LBB98_209:
	s_wait_xcnt 0x0
	s_or_b32 exec_lo, exec_lo, s0
	s_wait_storecnt_dscnt 0x0
	s_barrier_signal -1
	s_barrier_wait -1
	s_clause 0x5
	scratch_load_b128 v[74:77], off, off offset:40
	scratch_load_b128 v[78:81], off, off offset:56
	;; [unrolled: 1-line block ×6, first 2 shown]
	v_mov_b32_e32 v2, 0
	ds_load_b128 v[98:101], v2 offset:336
	ds_load_b128 v[102:105], v2 offset:352
	scratch_load_b128 v[106:109], off, off offset:136
	s_mov_b32 s0, exec_lo
	s_wait_loadcnt_dscnt 0x601
	v_fma_f64 v[110:111], v[76:77], v[98:99], 0
	s_wait_loadcnt 0x5
	s_delay_alu instid0(VALU_DEP_1) | instskip(SKIP_4) | instid1(VALU_DEP_1)
	v_fmac_f64_e32 v[110:111], v[78:79], v[100:101]
	scratch_load_b128 v[76:79], off, off offset:152
	s_wait_dscnt 0x0
	v_fmac_f64_e32 v[110:111], v[80:81], v[102:103]
	s_wait_loadcnt 0x5
	v_fmac_f64_e32 v[110:111], v[82:83], v[104:105]
	ds_load_b128 v[80:83], v2 offset:368
	ds_load_b128 v[98:101], v2 offset:384
	scratch_load_b128 v[102:105], off, off offset:168
	s_wait_dscnt 0x1
	v_fmac_f64_e32 v[110:111], v[84:85], v[80:81]
	s_wait_loadcnt 0x5
	s_delay_alu instid0(VALU_DEP_1) | instskip(SKIP_4) | instid1(VALU_DEP_1)
	v_fmac_f64_e32 v[110:111], v[86:87], v[82:83]
	scratch_load_b128 v[80:83], off, off offset:184
	s_wait_dscnt 0x0
	v_fmac_f64_e32 v[110:111], v[88:89], v[98:99]
	s_wait_loadcnt 0x5
	v_fmac_f64_e32 v[110:111], v[90:91], v[100:101]
	ds_load_b128 v[84:87], v2 offset:400
	ds_load_b128 v[88:91], v2 offset:416
	s_wait_dscnt 0x1
	v_fmac_f64_e32 v[110:111], v[92:93], v[84:85]
	s_wait_loadcnt 0x4
	s_delay_alu instid0(VALU_DEP_1) | instskip(SKIP_4) | instid1(VALU_DEP_1)
	v_fmac_f64_e32 v[110:111], v[94:95], v[86:87]
	scratch_load_b128 v[84:87], off, off offset:200
	s_wait_dscnt 0x0
	v_fmac_f64_e32 v[110:111], v[96:97], v[88:89]
	s_wait_loadcnt 0x4
	v_fmac_f64_e32 v[110:111], v[106:107], v[90:91]
	scratch_load_b128 v[88:91], off, off offset:216
	ds_load_b128 v[92:95], v2 offset:432
	ds_load_b128 v[96:99], v2 offset:448
	s_wait_dscnt 0x1
	v_fmac_f64_e32 v[110:111], v[108:109], v[92:93]
	s_wait_loadcnt 0x4
	s_delay_alu instid0(VALU_DEP_1)
	v_fmac_f64_e32 v[110:111], v[76:77], v[94:95]
	scratch_load_b128 v[92:95], off, off offset:232
	s_wait_dscnt 0x0
	v_fmac_f64_e32 v[110:111], v[78:79], v[96:97]
	scratch_load_b128 v[76:79], off, off offset:248
	s_wait_loadcnt 0x5
	v_fmac_f64_e32 v[110:111], v[102:103], v[98:99]
	ds_load_b128 v[96:99], v2 offset:464
	ds_load_b128 v[100:103], v2 offset:480
	s_wait_dscnt 0x1
	v_fmac_f64_e32 v[110:111], v[104:105], v[96:97]
	s_wait_loadcnt 0x4
	s_delay_alu instid0(VALU_DEP_1) | instskip(SKIP_4) | instid1(VALU_DEP_1)
	v_fmac_f64_e32 v[110:111], v[80:81], v[98:99]
	scratch_load_b128 v[96:99], off, off offset:264
	s_wait_dscnt 0x0
	v_fmac_f64_e32 v[110:111], v[82:83], v[100:101]
	s_wait_loadcnt 0x4
	v_fmac_f64_e32 v[110:111], v[84:85], v[102:103]
	ds_load_b128 v[80:83], v2 offset:496
	ds_load_b128 v[100:103], v2 offset:512
	s_wait_dscnt 0x1
	v_fmac_f64_e32 v[110:111], v[86:87], v[80:81]
	s_wait_loadcnt 0x3
	s_delay_alu instid0(VALU_DEP_1)
	v_fmac_f64_e32 v[110:111], v[88:89], v[82:83]
	ds_load_b128 v[80:83], v2 offset:528
	ds_load_b128 v[84:87], v2 offset:544
	s_wait_dscnt 0x2
	v_fmac_f64_e32 v[110:111], v[90:91], v[100:101]
	s_wait_loadcnt 0x2
	s_delay_alu instid0(VALU_DEP_1) | instskip(SKIP_1) | instid1(VALU_DEP_1)
	v_fmac_f64_e32 v[110:111], v[92:93], v[102:103]
	s_wait_dscnt 0x1
	v_fmac_f64_e32 v[110:111], v[94:95], v[80:81]
	s_wait_loadcnt 0x1
	s_delay_alu instid0(VALU_DEP_1) | instskip(SKIP_4) | instid1(VALU_DEP_1)
	v_fmac_f64_e32 v[110:111], v[76:77], v[82:83]
	ds_load_b64 v[76:77], v2 offset:560
	s_wait_dscnt 0x1
	v_fmac_f64_e32 v[110:111], v[78:79], v[84:85]
	s_wait_loadcnt 0x0
	v_fmac_f64_e32 v[110:111], v[96:97], v[86:87]
	s_wait_dscnt 0x0
	s_delay_alu instid0(VALU_DEP_1) | instskip(NEXT) | instid1(VALU_DEP_1)
	v_fmac_f64_e32 v[110:111], v[98:99], v[76:77]
	v_add_f64_e64 v[74:75], v[74:75], -v[110:111]
	scratch_store_b64 off, v[74:75], off offset:40
	s_wait_xcnt 0x0
	v_cmpx_lt_u32_e32 4, v0
	s_cbranch_execz .LBB98_211
; %bb.210:
	scratch_load_b64 v[74:75], off, off offset:32
	v_mov_b64_e32 v[76:77], 0
	scratch_store_b64 off, v[76:77], off offset:32
	s_wait_loadcnt 0x0
	ds_store_b64 v1, v[74:75]
.LBB98_211:
	s_wait_xcnt 0x0
	s_or_b32 exec_lo, exec_lo, s0
	s_wait_storecnt_dscnt 0x0
	s_barrier_signal -1
	s_barrier_wait -1
	s_clause 0x5
	scratch_load_b128 v[74:77], off, off offset:32
	scratch_load_b128 v[78:81], off, off offset:48
	;; [unrolled: 1-line block ×6, first 2 shown]
	ds_load_2addr_b64 v[98:101], v2 offset0:41 offset1:42
	ds_load_2addr_b64 v[102:105], v2 offset0:43 offset1:44
	scratch_load_b128 v[106:109], off, off offset:128
	s_mov_b32 s0, exec_lo
	s_wait_loadcnt_dscnt 0x601
	v_fma_f64 v[110:111], v[76:77], v[98:99], 0
	s_wait_loadcnt 0x5
	s_delay_alu instid0(VALU_DEP_1) | instskip(SKIP_4) | instid1(VALU_DEP_1)
	v_fmac_f64_e32 v[110:111], v[78:79], v[100:101]
	scratch_load_b128 v[76:79], off, off offset:144
	s_wait_dscnt 0x0
	v_fmac_f64_e32 v[110:111], v[80:81], v[102:103]
	s_wait_loadcnt 0x5
	v_fmac_f64_e32 v[110:111], v[82:83], v[104:105]
	ds_load_2addr_b64 v[80:83], v2 offset0:45 offset1:46
	ds_load_2addr_b64 v[98:101], v2 offset0:47 offset1:48
	scratch_load_b128 v[102:105], off, off offset:160
	s_wait_dscnt 0x1
	v_fmac_f64_e32 v[110:111], v[84:85], v[80:81]
	s_wait_loadcnt 0x5
	s_delay_alu instid0(VALU_DEP_1) | instskip(SKIP_4) | instid1(VALU_DEP_1)
	v_fmac_f64_e32 v[110:111], v[86:87], v[82:83]
	scratch_load_b128 v[80:83], off, off offset:176
	s_wait_dscnt 0x0
	v_fmac_f64_e32 v[110:111], v[88:89], v[98:99]
	s_wait_loadcnt 0x5
	v_fmac_f64_e32 v[110:111], v[90:91], v[100:101]
	ds_load_2addr_b64 v[84:87], v2 offset0:49 offset1:50
	ds_load_2addr_b64 v[88:91], v2 offset0:51 offset1:52
	scratch_load_b128 v[98:101], off, off offset:192
	s_wait_dscnt 0x1
	v_fmac_f64_e32 v[110:111], v[92:93], v[84:85]
	s_wait_loadcnt 0x5
	s_delay_alu instid0(VALU_DEP_1) | instskip(SKIP_4) | instid1(VALU_DEP_1)
	v_fmac_f64_e32 v[110:111], v[94:95], v[86:87]
	scratch_load_b128 v[84:87], off, off offset:208
	s_wait_dscnt 0x0
	v_fmac_f64_e32 v[110:111], v[96:97], v[88:89]
	s_wait_loadcnt 0x5
	v_fmac_f64_e32 v[110:111], v[106:107], v[90:91]
	ds_load_2addr_b64 v[88:91], v2 offset0:53 offset1:54
	ds_load_2addr_b64 v[92:95], v2 offset0:55 offset1:56
	s_wait_dscnt 0x1
	v_fmac_f64_e32 v[110:111], v[108:109], v[88:89]
	s_wait_loadcnt 0x4
	s_delay_alu instid0(VALU_DEP_1)
	v_fmac_f64_e32 v[110:111], v[76:77], v[90:91]
	scratch_load_b128 v[88:91], off, off offset:224
	s_wait_dscnt 0x0
	v_fmac_f64_e32 v[110:111], v[78:79], v[92:93]
	scratch_load_b128 v[76:79], off, off offset:240
	s_wait_loadcnt 0x5
	v_fmac_f64_e32 v[110:111], v[102:103], v[94:95]
	ds_load_2addr_b64 v[92:95], v2 offset0:57 offset1:58
	ds_load_2addr_b64 v[106:109], v2 offset0:59 offset1:60
	scratch_load_b64 v[102:103], off, off offset:272
	s_wait_dscnt 0x1
	v_fmac_f64_e32 v[110:111], v[104:105], v[92:93]
	s_wait_loadcnt 0x5
	s_delay_alu instid0(VALU_DEP_1) | instskip(SKIP_4) | instid1(VALU_DEP_1)
	v_fmac_f64_e32 v[110:111], v[80:81], v[94:95]
	scratch_load_b128 v[92:95], off, off offset:256
	s_wait_dscnt 0x0
	v_fmac_f64_e32 v[110:111], v[82:83], v[106:107]
	s_wait_loadcnt 0x5
	v_fmac_f64_e32 v[110:111], v[98:99], v[108:109]
	ds_load_2addr_b64 v[80:83], v2 offset0:61 offset1:62
	ds_load_2addr_b64 v[96:99], v2 offset0:63 offset1:64
	s_wait_dscnt 0x1
	v_fmac_f64_e32 v[110:111], v[100:101], v[80:81]
	s_wait_loadcnt 0x4
	s_delay_alu instid0(VALU_DEP_1) | instskip(SKIP_1) | instid1(VALU_DEP_1)
	v_fmac_f64_e32 v[110:111], v[84:85], v[82:83]
	s_wait_dscnt 0x0
	v_fmac_f64_e32 v[110:111], v[86:87], v[96:97]
	ds_load_2addr_b64 v[80:83], v2 offset0:65 offset1:66
	ds_load_2addr_b64 v[84:87], v2 offset0:67 offset1:68
	s_wait_loadcnt 0x3
	v_fmac_f64_e32 v[110:111], v[88:89], v[98:99]
	s_wait_dscnt 0x1
	s_delay_alu instid0(VALU_DEP_1) | instskip(SKIP_1) | instid1(VALU_DEP_1)
	v_fmac_f64_e32 v[110:111], v[90:91], v[80:81]
	s_wait_loadcnt 0x2
	v_fmac_f64_e32 v[110:111], v[76:77], v[82:83]
	s_wait_dscnt 0x0
	s_delay_alu instid0(VALU_DEP_1) | instskip(SKIP_4) | instid1(VALU_DEP_1)
	v_fmac_f64_e32 v[110:111], v[78:79], v[84:85]
	ds_load_2addr_b64 v[76:79], v2 offset0:69 offset1:70
	s_wait_loadcnt 0x0
	v_fmac_f64_e32 v[110:111], v[92:93], v[86:87]
	s_wait_dscnt 0x0
	v_fmac_f64_e32 v[110:111], v[94:95], v[76:77]
	s_delay_alu instid0(VALU_DEP_1) | instskip(NEXT) | instid1(VALU_DEP_1)
	v_fmac_f64_e32 v[110:111], v[102:103], v[78:79]
	v_add_f64_e64 v[2:3], v[74:75], -v[110:111]
	scratch_store_b64 off, v[2:3], off offset:32
	s_wait_xcnt 0x0
	v_cmpx_lt_u32_e32 3, v0
	s_cbranch_execz .LBB98_213
; %bb.212:
	scratch_load_b64 v[2:3], off, off offset:24
	v_mov_b64_e32 v[74:75], 0
	scratch_store_b64 off, v[74:75], off offset:24
	s_wait_loadcnt 0x0
	ds_store_b64 v1, v[2:3]
.LBB98_213:
	s_wait_xcnt 0x0
	s_or_b32 exec_lo, exec_lo, s0
	s_wait_storecnt_dscnt 0x0
	s_barrier_signal -1
	s_barrier_wait -1
	s_clause 0x5
	scratch_load_b128 v[74:77], off, off offset:24
	scratch_load_b128 v[78:81], off, off offset:40
	scratch_load_b128 v[82:85], off, off offset:56
	scratch_load_b128 v[86:89], off, off offset:72
	scratch_load_b128 v[90:93], off, off offset:88
	scratch_load_b128 v[94:97], off, off offset:104
	v_mov_b32_e32 v2, 0
	ds_load_b128 v[98:101], v2 offset:320
	ds_load_b128 v[102:105], v2 offset:336
	scratch_load_b128 v[106:109], off, off offset:120
	s_mov_b32 s0, exec_lo
	s_wait_loadcnt_dscnt 0x601
	v_fma_f64 v[110:111], v[76:77], v[98:99], 0
	s_wait_loadcnt 0x5
	s_delay_alu instid0(VALU_DEP_1) | instskip(SKIP_4) | instid1(VALU_DEP_1)
	v_fmac_f64_e32 v[110:111], v[78:79], v[100:101]
	scratch_load_b128 v[76:79], off, off offset:136
	s_wait_dscnt 0x0
	v_fmac_f64_e32 v[110:111], v[80:81], v[102:103]
	s_wait_loadcnt 0x5
	v_fmac_f64_e32 v[110:111], v[82:83], v[104:105]
	ds_load_b128 v[80:83], v2 offset:352
	ds_load_b128 v[98:101], v2 offset:368
	scratch_load_b128 v[102:105], off, off offset:152
	s_wait_dscnt 0x1
	v_fmac_f64_e32 v[110:111], v[84:85], v[80:81]
	s_wait_loadcnt 0x5
	s_delay_alu instid0(VALU_DEP_1) | instskip(SKIP_4) | instid1(VALU_DEP_1)
	v_fmac_f64_e32 v[110:111], v[86:87], v[82:83]
	scratch_load_b128 v[80:83], off, off offset:168
	s_wait_dscnt 0x0
	v_fmac_f64_e32 v[110:111], v[88:89], v[98:99]
	s_wait_loadcnt 0x5
	v_fmac_f64_e32 v[110:111], v[90:91], v[100:101]
	ds_load_b128 v[84:87], v2 offset:384
	ds_load_b128 v[88:91], v2 offset:400
	scratch_load_b128 v[98:101], off, off offset:184
	s_wait_dscnt 0x1
	v_fmac_f64_e32 v[110:111], v[92:93], v[84:85]
	s_wait_loadcnt 0x5
	s_delay_alu instid0(VALU_DEP_1) | instskip(SKIP_4) | instid1(VALU_DEP_1)
	v_fmac_f64_e32 v[110:111], v[94:95], v[86:87]
	scratch_load_b128 v[84:87], off, off offset:200
	s_wait_dscnt 0x0
	v_fmac_f64_e32 v[110:111], v[96:97], v[88:89]
	s_wait_loadcnt 0x5
	v_fmac_f64_e32 v[110:111], v[106:107], v[90:91]
	ds_load_b128 v[88:91], v2 offset:416
	ds_load_b128 v[92:95], v2 offset:432
	s_wait_dscnt 0x1
	v_fmac_f64_e32 v[110:111], v[108:109], v[88:89]
	s_wait_loadcnt 0x4
	s_delay_alu instid0(VALU_DEP_1)
	v_fmac_f64_e32 v[110:111], v[76:77], v[90:91]
	scratch_load_b128 v[88:91], off, off offset:216
	s_wait_dscnt 0x0
	v_fmac_f64_e32 v[110:111], v[78:79], v[92:93]
	scratch_load_b128 v[76:79], off, off offset:232
	s_wait_loadcnt 0x5
	v_fmac_f64_e32 v[110:111], v[102:103], v[94:95]
	ds_load_b128 v[92:95], v2 offset:448
	ds_load_b128 v[106:109], v2 offset:464
	s_wait_dscnt 0x1
	v_fmac_f64_e32 v[110:111], v[104:105], v[92:93]
	s_wait_loadcnt 0x4
	s_delay_alu instid0(VALU_DEP_1)
	v_fmac_f64_e32 v[110:111], v[80:81], v[94:95]
	scratch_load_b128 v[92:95], off, off offset:248
	s_wait_dscnt 0x0
	v_fmac_f64_e32 v[110:111], v[82:83], v[106:107]
	scratch_load_b128 v[80:83], off, off offset:264
	s_wait_loadcnt 0x5
	v_fmac_f64_e32 v[110:111], v[98:99], v[108:109]
	ds_load_b128 v[96:99], v2 offset:480
	ds_load_b128 v[102:105], v2 offset:496
	s_wait_dscnt 0x1
	v_fmac_f64_e32 v[110:111], v[100:101], v[96:97]
	s_wait_loadcnt 0x4
	s_delay_alu instid0(VALU_DEP_1) | instskip(SKIP_1) | instid1(VALU_DEP_1)
	v_fmac_f64_e32 v[110:111], v[84:85], v[98:99]
	s_wait_dscnt 0x0
	v_fmac_f64_e32 v[110:111], v[86:87], v[102:103]
	ds_load_b128 v[84:87], v2 offset:512
	ds_load_b128 v[96:99], v2 offset:528
	s_wait_loadcnt 0x3
	v_fmac_f64_e32 v[110:111], v[88:89], v[104:105]
	s_wait_dscnt 0x1
	s_delay_alu instid0(VALU_DEP_1) | instskip(SKIP_1) | instid1(VALU_DEP_1)
	v_fmac_f64_e32 v[110:111], v[90:91], v[84:85]
	s_wait_loadcnt 0x2
	v_fmac_f64_e32 v[110:111], v[76:77], v[86:87]
	s_wait_dscnt 0x0
	s_delay_alu instid0(VALU_DEP_1)
	v_fmac_f64_e32 v[110:111], v[78:79], v[96:97]
	ds_load_b128 v[76:79], v2 offset:544
	ds_load_b64 v[84:85], v2 offset:560
	s_wait_loadcnt 0x1
	v_fmac_f64_e32 v[110:111], v[92:93], v[98:99]
	s_wait_dscnt 0x1
	s_delay_alu instid0(VALU_DEP_1) | instskip(SKIP_1) | instid1(VALU_DEP_1)
	v_fmac_f64_e32 v[110:111], v[94:95], v[76:77]
	s_wait_loadcnt 0x0
	v_fmac_f64_e32 v[110:111], v[80:81], v[78:79]
	s_wait_dscnt 0x0
	s_delay_alu instid0(VALU_DEP_1) | instskip(NEXT) | instid1(VALU_DEP_1)
	v_fmac_f64_e32 v[110:111], v[82:83], v[84:85]
	v_add_f64_e64 v[74:75], v[74:75], -v[110:111]
	scratch_store_b64 off, v[74:75], off offset:24
	s_wait_xcnt 0x0
	v_cmpx_lt_u32_e32 2, v0
	s_cbranch_execz .LBB98_215
; %bb.214:
	scratch_load_b64 v[74:75], off, off offset:16
	v_mov_b64_e32 v[76:77], 0
	scratch_store_b64 off, v[76:77], off offset:16
	s_wait_loadcnt 0x0
	ds_store_b64 v1, v[74:75]
.LBB98_215:
	s_wait_xcnt 0x0
	s_or_b32 exec_lo, exec_lo, s0
	s_wait_storecnt_dscnt 0x0
	s_barrier_signal -1
	s_barrier_wait -1
	s_clause 0x5
	scratch_load_b128 v[74:77], off, off offset:16
	scratch_load_b128 v[78:81], off, off offset:32
	;; [unrolled: 1-line block ×6, first 2 shown]
	ds_load_2addr_b64 v[98:101], v2 offset0:39 offset1:40
	ds_load_2addr_b64 v[102:105], v2 offset0:41 offset1:42
	scratch_load_b128 v[106:109], off, off offset:112
	s_mov_b32 s0, exec_lo
	s_wait_loadcnt_dscnt 0x601
	v_fma_f64 v[110:111], v[76:77], v[98:99], 0
	s_wait_loadcnt 0x5
	s_delay_alu instid0(VALU_DEP_1) | instskip(SKIP_4) | instid1(VALU_DEP_1)
	v_fmac_f64_e32 v[110:111], v[78:79], v[100:101]
	scratch_load_b128 v[76:79], off, off offset:128
	s_wait_dscnt 0x0
	v_fmac_f64_e32 v[110:111], v[80:81], v[102:103]
	s_wait_loadcnt 0x5
	v_fmac_f64_e32 v[110:111], v[82:83], v[104:105]
	ds_load_2addr_b64 v[80:83], v2 offset0:43 offset1:44
	ds_load_2addr_b64 v[98:101], v2 offset0:45 offset1:46
	scratch_load_b128 v[102:105], off, off offset:144
	s_wait_dscnt 0x1
	v_fmac_f64_e32 v[110:111], v[84:85], v[80:81]
	s_wait_loadcnt 0x5
	s_delay_alu instid0(VALU_DEP_1) | instskip(SKIP_4) | instid1(VALU_DEP_1)
	v_fmac_f64_e32 v[110:111], v[86:87], v[82:83]
	scratch_load_b128 v[80:83], off, off offset:160
	s_wait_dscnt 0x0
	v_fmac_f64_e32 v[110:111], v[88:89], v[98:99]
	s_wait_loadcnt 0x5
	v_fmac_f64_e32 v[110:111], v[90:91], v[100:101]
	ds_load_2addr_b64 v[84:87], v2 offset0:47 offset1:48
	ds_load_2addr_b64 v[88:91], v2 offset0:49 offset1:50
	scratch_load_b128 v[98:101], off, off offset:176
	s_wait_dscnt 0x1
	v_fmac_f64_e32 v[110:111], v[92:93], v[84:85]
	s_wait_loadcnt 0x5
	s_delay_alu instid0(VALU_DEP_1) | instskip(SKIP_4) | instid1(VALU_DEP_1)
	v_fmac_f64_e32 v[110:111], v[94:95], v[86:87]
	scratch_load_b128 v[84:87], off, off offset:192
	s_wait_dscnt 0x0
	v_fmac_f64_e32 v[110:111], v[96:97], v[88:89]
	s_wait_loadcnt 0x5
	v_fmac_f64_e32 v[110:111], v[106:107], v[90:91]
	ds_load_2addr_b64 v[88:91], v2 offset0:51 offset1:52
	ds_load_2addr_b64 v[92:95], v2 offset0:53 offset1:54
	s_wait_dscnt 0x1
	v_fmac_f64_e32 v[110:111], v[108:109], v[88:89]
	s_wait_loadcnt 0x4
	s_delay_alu instid0(VALU_DEP_1)
	v_fmac_f64_e32 v[110:111], v[76:77], v[90:91]
	scratch_load_b128 v[88:91], off, off offset:208
	s_wait_dscnt 0x0
	v_fmac_f64_e32 v[110:111], v[78:79], v[92:93]
	scratch_load_b128 v[76:79], off, off offset:224
	s_wait_loadcnt 0x5
	v_fmac_f64_e32 v[110:111], v[102:103], v[94:95]
	ds_load_2addr_b64 v[92:95], v2 offset0:55 offset1:56
	ds_load_2addr_b64 v[106:109], v2 offset0:57 offset1:58
	s_wait_dscnt 0x1
	v_fmac_f64_e32 v[110:111], v[104:105], v[92:93]
	s_wait_loadcnt 0x4
	s_delay_alu instid0(VALU_DEP_1)
	v_fmac_f64_e32 v[110:111], v[80:81], v[94:95]
	scratch_load_b128 v[92:95], off, off offset:240
	s_wait_dscnt 0x0
	v_fmac_f64_e32 v[110:111], v[82:83], v[106:107]
	scratch_load_b128 v[80:83], off, off offset:256
	s_wait_loadcnt 0x5
	v_fmac_f64_e32 v[110:111], v[98:99], v[108:109]
	ds_load_2addr_b64 v[96:99], v2 offset0:59 offset1:60
	ds_load_2addr_b64 v[102:105], v2 offset0:61 offset1:62
	s_wait_dscnt 0x1
	v_fmac_f64_e32 v[110:111], v[100:101], v[96:97]
	scratch_load_b64 v[100:101], off, off offset:272
	s_wait_loadcnt 0x5
	v_fmac_f64_e32 v[110:111], v[84:85], v[98:99]
	s_wait_dscnt 0x0
	s_delay_alu instid0(VALU_DEP_1)
	v_fmac_f64_e32 v[110:111], v[86:87], v[102:103]
	ds_load_2addr_b64 v[84:87], v2 offset0:63 offset1:64
	ds_load_2addr_b64 v[96:99], v2 offset0:65 offset1:66
	s_wait_loadcnt 0x4
	v_fmac_f64_e32 v[110:111], v[88:89], v[104:105]
	s_wait_dscnt 0x1
	s_delay_alu instid0(VALU_DEP_1) | instskip(SKIP_1) | instid1(VALU_DEP_1)
	v_fmac_f64_e32 v[110:111], v[90:91], v[84:85]
	s_wait_loadcnt 0x3
	v_fmac_f64_e32 v[110:111], v[76:77], v[86:87]
	s_wait_dscnt 0x0
	s_delay_alu instid0(VALU_DEP_1)
	v_fmac_f64_e32 v[110:111], v[78:79], v[96:97]
	ds_load_2addr_b64 v[76:79], v2 offset0:67 offset1:68
	ds_load_2addr_b64 v[84:87], v2 offset0:69 offset1:70
	s_wait_loadcnt 0x2
	v_fmac_f64_e32 v[110:111], v[92:93], v[98:99]
	s_wait_dscnt 0x1
	s_delay_alu instid0(VALU_DEP_1) | instskip(SKIP_1) | instid1(VALU_DEP_1)
	v_fmac_f64_e32 v[110:111], v[94:95], v[76:77]
	s_wait_loadcnt 0x1
	v_fmac_f64_e32 v[110:111], v[80:81], v[78:79]
	s_wait_dscnt 0x0
	s_delay_alu instid0(VALU_DEP_1) | instskip(SKIP_1) | instid1(VALU_DEP_1)
	v_fmac_f64_e32 v[110:111], v[82:83], v[84:85]
	s_wait_loadcnt 0x0
	v_fmac_f64_e32 v[110:111], v[100:101], v[86:87]
	s_delay_alu instid0(VALU_DEP_1)
	v_add_f64_e64 v[2:3], v[74:75], -v[110:111]
	scratch_store_b64 off, v[2:3], off offset:16
	s_wait_xcnt 0x0
	v_cmpx_lt_u32_e32 1, v0
	s_cbranch_execz .LBB98_217
; %bb.216:
	scratch_load_b64 v[2:3], off, off offset:8
	v_mov_b64_e32 v[74:75], 0
	scratch_store_b64 off, v[74:75], off offset:8
	s_wait_loadcnt 0x0
	ds_store_b64 v1, v[2:3]
.LBB98_217:
	s_wait_xcnt 0x0
	s_or_b32 exec_lo, exec_lo, s0
	s_wait_storecnt_dscnt 0x0
	s_barrier_signal -1
	s_barrier_wait -1
	s_clause 0x5
	scratch_load_b128 v[76:79], off, off offset:8
	scratch_load_b128 v[80:83], off, off offset:24
	;; [unrolled: 1-line block ×6, first 2 shown]
	v_dual_mov_b32 v74, 0 :: v_dual_ashrrev_i32 v9, 31, v8
	ds_load_b128 v[100:103], v74 offset:304
	ds_load_b128 v[104:107], v74 offset:320
	scratch_load_b128 v[108:111], off, off offset:104
	v_dual_ashrrev_i32 v11, 31, v10 :: v_dual_ashrrev_i32 v13, 31, v12
	v_dual_ashrrev_i32 v15, 31, v14 :: v_dual_ashrrev_i32 v17, 31, v16
	;; [unrolled: 1-line block ×15, first 2 shown]
	v_ashrrev_i32_e32 v71, 31, v70
	s_mov_b32 s0, exec_lo
	v_ashrrev_i32_e32 v25, 31, v24
	s_wait_loadcnt_dscnt 0x601
	v_fma_f64 v[2:3], v[78:79], v[100:101], 0
	s_wait_loadcnt 0x5
	s_delay_alu instid0(VALU_DEP_1) | instskip(SKIP_4) | instid1(VALU_DEP_1)
	v_fmac_f64_e32 v[2:3], v[80:81], v[102:103]
	scratch_load_b128 v[78:81], off, off offset:120
	s_wait_dscnt 0x0
	v_fmac_f64_e32 v[2:3], v[82:83], v[104:105]
	s_wait_loadcnt 0x5
	v_fmac_f64_e32 v[2:3], v[84:85], v[106:107]
	ds_load_b128 v[82:85], v74 offset:336
	ds_load_b128 v[100:103], v74 offset:352
	scratch_load_b128 v[104:107], off, off offset:136
	s_wait_dscnt 0x1
	v_fmac_f64_e32 v[2:3], v[86:87], v[82:83]
	s_wait_loadcnt 0x5
	s_delay_alu instid0(VALU_DEP_1) | instskip(SKIP_4) | instid1(VALU_DEP_1)
	v_fmac_f64_e32 v[2:3], v[88:89], v[84:85]
	scratch_load_b128 v[82:85], off, off offset:152
	s_wait_dscnt 0x0
	v_fmac_f64_e32 v[2:3], v[90:91], v[100:101]
	s_wait_loadcnt 0x5
	v_fmac_f64_e32 v[2:3], v[92:93], v[102:103]
	ds_load_b128 v[86:89], v74 offset:368
	ds_load_b128 v[90:93], v74 offset:384
	scratch_load_b128 v[100:103], off, off offset:168
	s_wait_dscnt 0x1
	v_fmac_f64_e32 v[2:3], v[94:95], v[86:87]
	s_wait_loadcnt 0x5
	s_delay_alu instid0(VALU_DEP_1) | instskip(SKIP_4) | instid1(VALU_DEP_1)
	v_fmac_f64_e32 v[2:3], v[96:97], v[88:89]
	scratch_load_b128 v[86:89], off, off offset:184
	s_wait_dscnt 0x0
	v_fmac_f64_e32 v[2:3], v[98:99], v[90:91]
	s_wait_loadcnt 0x5
	v_fmac_f64_e32 v[2:3], v[108:109], v[92:93]
	ds_load_b128 v[90:93], v74 offset:400
	ds_load_b128 v[94:97], v74 offset:416
	s_wait_dscnt 0x1
	v_fmac_f64_e32 v[2:3], v[110:111], v[90:91]
	s_wait_loadcnt 0x4
	s_delay_alu instid0(VALU_DEP_1)
	v_fmac_f64_e32 v[2:3], v[78:79], v[92:93]
	scratch_load_b128 v[90:93], off, off offset:200
	s_wait_dscnt 0x0
	v_fmac_f64_e32 v[2:3], v[80:81], v[94:95]
	scratch_load_b128 v[78:81], off, off offset:216
	s_wait_loadcnt 0x5
	v_fmac_f64_e32 v[2:3], v[104:105], v[96:97]
	ds_load_b128 v[94:97], v74 offset:432
	ds_load_b128 v[108:111], v74 offset:448
	s_wait_dscnt 0x1
	v_fmac_f64_e32 v[2:3], v[106:107], v[94:95]
	s_wait_loadcnt 0x4
	s_delay_alu instid0(VALU_DEP_1)
	v_fmac_f64_e32 v[2:3], v[82:83], v[96:97]
	scratch_load_b128 v[94:97], off, off offset:232
	s_wait_dscnt 0x0
	v_fmac_f64_e32 v[2:3], v[84:85], v[108:109]
	scratch_load_b128 v[82:85], off, off offset:248
	s_wait_loadcnt 0x5
	v_fmac_f64_e32 v[2:3], v[100:101], v[110:111]
	ds_load_b128 v[98:101], v74 offset:464
	ds_load_b128 v[104:107], v74 offset:480
	s_wait_dscnt 0x1
	v_fmac_f64_e32 v[2:3], v[102:103], v[98:99]
	s_wait_loadcnt 0x4
	s_delay_alu instid0(VALU_DEP_1)
	v_fmac_f64_e32 v[2:3], v[86:87], v[100:101]
	scratch_load_b128 v[98:101], off, off offset:264
	s_wait_dscnt 0x0
	v_fmac_f64_e32 v[2:3], v[88:89], v[104:105]
	ds_load_b128 v[86:89], v74 offset:496
	ds_load_b128 v[102:105], v74 offset:512
	s_wait_loadcnt 0x4
	v_fmac_f64_e32 v[2:3], v[90:91], v[106:107]
	s_wait_dscnt 0x1
	s_delay_alu instid0(VALU_DEP_1) | instskip(SKIP_1) | instid1(VALU_DEP_1)
	v_fmac_f64_e32 v[2:3], v[92:93], v[86:87]
	s_wait_loadcnt 0x3
	v_fmac_f64_e32 v[2:3], v[78:79], v[88:89]
	s_wait_dscnt 0x0
	s_delay_alu instid0(VALU_DEP_1)
	v_fmac_f64_e32 v[2:3], v[80:81], v[102:103]
	ds_load_b128 v[78:81], v74 offset:528
	ds_load_b128 v[86:89], v74 offset:544
	s_wait_loadcnt 0x2
	v_fmac_f64_e32 v[2:3], v[94:95], v[104:105]
	s_wait_dscnt 0x1
	s_delay_alu instid0(VALU_DEP_1) | instskip(SKIP_4) | instid1(VALU_DEP_1)
	v_fmac_f64_e32 v[2:3], v[96:97], v[78:79]
	ds_load_b64 v[78:79], v74 offset:560
	s_wait_loadcnt 0x1
	v_fmac_f64_e32 v[2:3], v[82:83], v[80:81]
	s_wait_dscnt 0x1
	v_fmac_f64_e32 v[2:3], v[84:85], v[86:87]
	s_wait_loadcnt 0x0
	s_delay_alu instid0(VALU_DEP_1) | instskip(SKIP_1) | instid1(VALU_DEP_1)
	v_fmac_f64_e32 v[2:3], v[98:99], v[88:89]
	s_wait_dscnt 0x0
	v_fmac_f64_e32 v[2:3], v[100:101], v[78:79]
	s_delay_alu instid0(VALU_DEP_1)
	v_add_f64_e64 v[2:3], v[76:77], -v[2:3]
	scratch_store_b64 off, v[2:3], off offset:8
	s_wait_xcnt 0x0
	v_cmpx_ne_u32_e32 0, v0
	s_cbranch_execz .LBB98_219
; %bb.218:
	scratch_load_b64 v[2:3], off, off
	v_mov_b64_e32 v[76:77], 0
	scratch_store_b64 off, v[76:77], off
	s_wait_loadcnt 0x0
	ds_store_b64 v1, v[2:3]
.LBB98_219:
	s_wait_xcnt 0x0
	s_or_b32 exec_lo, exec_lo, s0
	s_wait_storecnt_dscnt 0x0
	s_barrier_signal -1
	s_barrier_wait -1
	s_clause 0x5
	scratch_load_b128 v[76:79], off, off
	scratch_load_b128 v[0:3], off, off offset:16
	scratch_load_b128 v[80:83], off, off offset:32
	;; [unrolled: 1-line block ×5, first 2 shown]
	ds_load_2addr_b64 v[96:99], v74 offset0:37 offset1:38
	scratch_load_b128 v[100:103], off, off offset:96
	s_and_b32 vcc_lo, exec_lo, s12
	scratch_load_b128 v[104:107], off, off offset:208
	s_wait_loadcnt_dscnt 0x700
	v_fma_f64 v[108:109], v[78:79], v[96:97], 0
	s_wait_loadcnt 0x6
	s_delay_alu instid0(VALU_DEP_1)
	v_fmac_f64_e32 v[108:109], v[0:1], v[98:99]
	ds_load_2addr_b64 v[96:99], v74 offset0:39 offset1:40
	s_wait_dscnt 0x0
	v_fmac_f64_e32 v[108:109], v[2:3], v[96:97]
	scratch_load_b128 v[0:3], off, off offset:112
	s_wait_loadcnt 0x6
	v_fmac_f64_e32 v[108:109], v[80:81], v[98:99]
	ds_load_2addr_b64 v[78:81], v74 offset0:41 offset1:42
	scratch_load_b128 v[96:99], off, off offset:128
	s_wait_dscnt 0x0
	v_fmac_f64_e32 v[108:109], v[82:83], v[78:79]
	s_wait_loadcnt 0x6
	s_delay_alu instid0(VALU_DEP_1)
	v_fmac_f64_e32 v[108:109], v[84:85], v[80:81]
	ds_load_2addr_b64 v[78:81], v74 offset0:43 offset1:44
	scratch_load_b128 v[82:85], off, off offset:144
	s_wait_dscnt 0x0
	v_fmac_f64_e32 v[108:109], v[86:87], v[78:79]
	s_wait_loadcnt 0x6
	s_delay_alu instid0(VALU_DEP_1)
	v_fmac_f64_e32 v[108:109], v[88:89], v[80:81]
	ds_load_2addr_b64 v[78:81], v74 offset0:45 offset1:46
	scratch_load_b128 v[86:89], off, off offset:160
	s_wait_dscnt 0x0
	v_fmac_f64_e32 v[108:109], v[90:91], v[78:79]
	s_wait_loadcnt 0x6
	s_delay_alu instid0(VALU_DEP_1)
	v_fmac_f64_e32 v[108:109], v[92:93], v[80:81]
	ds_load_2addr_b64 v[78:81], v74 offset0:47 offset1:48
	scratch_load_b128 v[90:93], off, off offset:176
	s_wait_dscnt 0x0
	v_fmac_f64_e32 v[108:109], v[94:95], v[78:79]
	s_wait_loadcnt 0x6
	s_delay_alu instid0(VALU_DEP_1)
	v_fmac_f64_e32 v[108:109], v[100:101], v[80:81]
	ds_load_2addr_b64 v[78:81], v74 offset0:49 offset1:50
	s_wait_dscnt 0x0
	v_fmac_f64_e32 v[108:109], v[102:103], v[78:79]
	scratch_load_b128 v[100:103], off, off offset:192
	s_wait_loadcnt 0x5
	v_fmac_f64_e32 v[108:109], v[0:1], v[80:81]
	ds_load_2addr_b64 v[78:81], v74 offset0:51 offset1:52
	s_wait_dscnt 0x0
	v_fmac_f64_e32 v[108:109], v[2:3], v[78:79]
	ds_load_2addr_b64 v[0:3], v74 offset0:53 offset1:54
	s_wait_loadcnt 0x4
	v_fmac_f64_e32 v[108:109], v[96:97], v[80:81]
	ds_load_2addr_b64 v[94:97], v74 offset0:57 offset1:58
	scratch_load_b128 v[78:81], off, off offset:224
	s_wait_dscnt 0x1
	v_fmac_f64_e32 v[108:109], v[98:99], v[0:1]
	s_wait_loadcnt 0x4
	s_delay_alu instid0(VALU_DEP_1)
	v_fmac_f64_e32 v[108:109], v[82:83], v[2:3]
	ds_load_2addr_b64 v[0:3], v74 offset0:55 offset1:56
	s_wait_dscnt 0x0
	v_fmac_f64_e32 v[108:109], v[84:85], v[0:1]
	scratch_load_b128 v[82:85], off, off offset:240
	s_wait_loadcnt 0x4
	v_fmac_f64_e32 v[108:109], v[86:87], v[2:3]
	scratch_load_b128 v[0:3], off, off offset:256
	v_fmac_f64_e32 v[108:109], v[88:89], v[94:95]
	ds_load_2addr_b64 v[86:89], v74 offset0:59 offset1:60
	s_wait_loadcnt 0x4
	v_fmac_f64_e32 v[108:109], v[90:91], v[96:97]
	scratch_load_b64 v[90:91], off, off offset:272
	s_wait_dscnt 0x0
	v_fmac_f64_e32 v[108:109], v[92:93], v[86:87]
	s_wait_loadcnt 0x4
	s_delay_alu instid0(VALU_DEP_1) | instskip(SKIP_3) | instid1(VALU_DEP_1)
	v_fmac_f64_e32 v[108:109], v[100:101], v[88:89]
	ds_load_2addr_b64 v[86:89], v74 offset0:61 offset1:62
	s_wait_dscnt 0x0
	v_fmac_f64_e32 v[108:109], v[102:103], v[86:87]
	v_fmac_f64_e32 v[108:109], v[104:105], v[88:89]
	ds_load_2addr_b64 v[86:89], v74 offset0:63 offset1:64
	s_wait_dscnt 0x0
	v_fmac_f64_e32 v[108:109], v[106:107], v[86:87]
	s_wait_loadcnt 0x3
	s_delay_alu instid0(VALU_DEP_1)
	v_fmac_f64_e32 v[108:109], v[78:79], v[88:89]
	ds_load_2addr_b64 v[86:89], v74 offset0:65 offset1:66
	s_wait_dscnt 0x0
	v_fmac_f64_e32 v[108:109], v[80:81], v[86:87]
	ds_load_2addr_b64 v[78:81], v74 offset0:67 offset1:68
	s_wait_loadcnt 0x2
	v_fmac_f64_e32 v[108:109], v[82:83], v[88:89]
	s_wait_dscnt 0x0
	s_delay_alu instid0(VALU_DEP_1) | instskip(SKIP_1) | instid1(VALU_DEP_1)
	v_fmac_f64_e32 v[108:109], v[84:85], v[78:79]
	s_wait_loadcnt 0x1
	v_fmac_f64_e32 v[108:109], v[0:1], v[80:81]
	ds_load_2addr_b64 v[78:81], v74 offset0:69 offset1:70
	s_wait_dscnt 0x0
	v_fmac_f64_e32 v[108:109], v[2:3], v[78:79]
	s_wait_loadcnt 0x0
	s_delay_alu instid0(VALU_DEP_1) | instskip(NEXT) | instid1(VALU_DEP_1)
	v_fmac_f64_e32 v[108:109], v[90:91], v[80:81]
	v_add_f64_e64 v[74:75], v[76:77], -v[108:109]
	scratch_store_b64 off, v[74:75], off
	s_cbranch_vccz .LBB98_288
; %bb.220:
	v_mov_b32_e32 v0, 0
	global_load_b32 v1, v0, s[8:9] offset:132
	s_wait_loadcnt 0x0
	v_cmp_ne_u32_e32 vcc_lo, 34, v1
	s_cbranch_vccz .LBB98_222
; %bb.221:
	v_lshlrev_b32_e32 v1, 3, v1
	scratch_load_b64 v[74:75], v1, off offset:-8
	s_wait_loadcnt 0x0
	scratch_store_b64 off, v[74:75], off offset:264
	scratch_store_b64 v1, v[2:3], off offset:-8
.LBB98_222:
	global_load_b32 v0, v0, s[8:9] offset:128
	s_wait_loadcnt 0x0
	v_cmp_eq_u32_e32 vcc_lo, 33, v0
	s_cbranch_vccnz .LBB98_224
; %bb.223:
	s_wait_xcnt 0x0
	v_lshlrev_b32_e32 v0, 3, v0
	s_delay_alu instid0(VALU_DEP_1)
	v_mov_b32_e32 v74, v0
	scratch_load_b64 v[0:1], v74, off offset:-8
	scratch_load_b64 v[2:3], off, off offset:256
	s_wait_loadcnt 0x1
	scratch_store_b64 off, v[0:1], off offset:256
	s_wait_loadcnt 0x0
	scratch_store_b64 v74, v[2:3], off offset:-8
.LBB98_224:
	s_wait_xcnt 0x0
	v_mov_b32_e32 v0, 0
	global_load_b32 v1, v0, s[8:9] offset:124
	s_wait_loadcnt 0x0
	v_cmp_eq_u32_e32 vcc_lo, 32, v1
	s_cbranch_vccnz .LBB98_226
; %bb.225:
	v_lshlrev_b32_e32 v1, 3, v1
	scratch_load_b64 v[2:3], v1, off offset:-8
	scratch_load_b64 v[74:75], off, off offset:248
	s_wait_loadcnt 0x1
	scratch_store_b64 off, v[2:3], off offset:248
	s_wait_loadcnt 0x0
	scratch_store_b64 v1, v[74:75], off offset:-8
.LBB98_226:
	global_load_b32 v0, v0, s[8:9] offset:120
	s_wait_loadcnt 0x0
	v_cmp_eq_u32_e32 vcc_lo, 31, v0
	s_cbranch_vccnz .LBB98_228
; %bb.227:
	s_wait_xcnt 0x0
	v_lshlrev_b32_e32 v0, 3, v0
	s_delay_alu instid0(VALU_DEP_1)
	v_mov_b32_e32 v74, v0
	scratch_load_b64 v[0:1], v74, off offset:-8
	scratch_load_b64 v[2:3], off, off offset:240
	s_wait_loadcnt 0x1
	scratch_store_b64 off, v[0:1], off offset:240
	s_wait_loadcnt 0x0
	scratch_store_b64 v74, v[2:3], off offset:-8
.LBB98_228:
	s_wait_xcnt 0x0
	v_mov_b32_e32 v0, 0
	global_load_b32 v1, v0, s[8:9] offset:116
	s_wait_loadcnt 0x0
	v_cmp_eq_u32_e32 vcc_lo, 30, v1
	s_cbranch_vccnz .LBB98_230
; %bb.229:
	v_lshlrev_b32_e32 v1, 3, v1
	scratch_load_b64 v[2:3], v1, off offset:-8
	scratch_load_b64 v[74:75], off, off offset:232
	s_wait_loadcnt 0x1
	scratch_store_b64 off, v[2:3], off offset:232
	s_wait_loadcnt 0x0
	scratch_store_b64 v1, v[74:75], off offset:-8
.LBB98_230:
	;; [unrolled: 31-line block ×16, first 2 shown]
	global_load_b32 v0, v0, s[8:9]
	scratch_load_b64 v[74:75], off, off
	s_wait_loadcnt 0x1
	v_cmp_eq_u32_e32 vcc_lo, 1, v0
	s_cbranch_vccnz .LBB98_288
; %bb.287:
	s_wait_xcnt 0x1
	v_lshlrev_b32_e32 v0, 3, v0
	s_delay_alu instid0(VALU_DEP_1)
	v_mov_b32_e32 v2, v0
	scratch_load_b64 v[0:1], v2, off offset:-8
	s_wait_loadcnt 0x0
	scratch_store_b64 off, v[0:1], off
	scratch_store_b64 v2, v[74:75], off offset:-8
	scratch_load_b64 v[74:75], off, off
.LBB98_288:
	s_wait_loadcnt 0x0
	flat_store_b64 v[4:5], v[74:75]
	scratch_load_b64 v[4:5], off, off offset:8
	v_lshl_add_u64 v[104:105], v[8:9], 3, s[2:3]
	v_lshl_add_u64 v[102:103], v[10:11], 3, s[2:3]
	;; [unrolled: 1-line block ×33, first 2 shown]
	s_wait_loadcnt 0x0
	flat_store_b64 v[6:7], v[4:5]
	scratch_load_b64 v[4:5], off, off offset:16
	s_wait_loadcnt 0x0
	flat_store_b64 v[104:105], v[4:5]
	scratch_load_b64 v[4:5], off, off offset:24
	;; [unrolled: 3-line block ×33, first 2 shown]
	s_wait_loadcnt 0x0
	flat_store_b64 v[0:1], v[2:3]
	s_sendmsg sendmsg(MSG_DEALLOC_VGPRS)
	s_endpgm
	.section	.rodata,"a",@progbits
	.p2align	6, 0x0
	.amdhsa_kernel _ZN9rocsolver6v33100L18getri_kernel_smallILi35EdPKPdEEvT1_iilPiilS6_bb
		.amdhsa_group_segment_fixed_size 568
		.amdhsa_private_segment_fixed_size 288
		.amdhsa_kernarg_size 60
		.amdhsa_user_sgpr_count 2
		.amdhsa_user_sgpr_dispatch_ptr 0
		.amdhsa_user_sgpr_queue_ptr 0
		.amdhsa_user_sgpr_kernarg_segment_ptr 1
		.amdhsa_user_sgpr_dispatch_id 0
		.amdhsa_user_sgpr_kernarg_preload_length 0
		.amdhsa_user_sgpr_kernarg_preload_offset 0
		.amdhsa_user_sgpr_private_segment_size 0
		.amdhsa_wavefront_size32 1
		.amdhsa_uses_dynamic_stack 0
		.amdhsa_enable_private_segment 1
		.amdhsa_system_sgpr_workgroup_id_x 1
		.amdhsa_system_sgpr_workgroup_id_y 0
		.amdhsa_system_sgpr_workgroup_id_z 0
		.amdhsa_system_sgpr_workgroup_info 0
		.amdhsa_system_vgpr_workitem_id 0
		.amdhsa_next_free_vgpr 112
		.amdhsa_next_free_sgpr 19
		.amdhsa_named_barrier_count 0
		.amdhsa_reserve_vcc 1
		.amdhsa_float_round_mode_32 0
		.amdhsa_float_round_mode_16_64 0
		.amdhsa_float_denorm_mode_32 3
		.amdhsa_float_denorm_mode_16_64 3
		.amdhsa_fp16_overflow 0
		.amdhsa_memory_ordered 1
		.amdhsa_forward_progress 1
		.amdhsa_inst_pref_size 226
		.amdhsa_round_robin_scheduling 0
		.amdhsa_exception_fp_ieee_invalid_op 0
		.amdhsa_exception_fp_denorm_src 0
		.amdhsa_exception_fp_ieee_div_zero 0
		.amdhsa_exception_fp_ieee_overflow 0
		.amdhsa_exception_fp_ieee_underflow 0
		.amdhsa_exception_fp_ieee_inexact 0
		.amdhsa_exception_int_div_zero 0
	.end_amdhsa_kernel
	.section	.text._ZN9rocsolver6v33100L18getri_kernel_smallILi35EdPKPdEEvT1_iilPiilS6_bb,"axG",@progbits,_ZN9rocsolver6v33100L18getri_kernel_smallILi35EdPKPdEEvT1_iilPiilS6_bb,comdat
.Lfunc_end98:
	.size	_ZN9rocsolver6v33100L18getri_kernel_smallILi35EdPKPdEEvT1_iilPiilS6_bb, .Lfunc_end98-_ZN9rocsolver6v33100L18getri_kernel_smallILi35EdPKPdEEvT1_iilPiilS6_bb
                                        ; -- End function
	.set _ZN9rocsolver6v33100L18getri_kernel_smallILi35EdPKPdEEvT1_iilPiilS6_bb.num_vgpr, 112
	.set _ZN9rocsolver6v33100L18getri_kernel_smallILi35EdPKPdEEvT1_iilPiilS6_bb.num_agpr, 0
	.set _ZN9rocsolver6v33100L18getri_kernel_smallILi35EdPKPdEEvT1_iilPiilS6_bb.numbered_sgpr, 19
	.set _ZN9rocsolver6v33100L18getri_kernel_smallILi35EdPKPdEEvT1_iilPiilS6_bb.num_named_barrier, 0
	.set _ZN9rocsolver6v33100L18getri_kernel_smallILi35EdPKPdEEvT1_iilPiilS6_bb.private_seg_size, 288
	.set _ZN9rocsolver6v33100L18getri_kernel_smallILi35EdPKPdEEvT1_iilPiilS6_bb.uses_vcc, 1
	.set _ZN9rocsolver6v33100L18getri_kernel_smallILi35EdPKPdEEvT1_iilPiilS6_bb.uses_flat_scratch, 1
	.set _ZN9rocsolver6v33100L18getri_kernel_smallILi35EdPKPdEEvT1_iilPiilS6_bb.has_dyn_sized_stack, 0
	.set _ZN9rocsolver6v33100L18getri_kernel_smallILi35EdPKPdEEvT1_iilPiilS6_bb.has_recursion, 0
	.set _ZN9rocsolver6v33100L18getri_kernel_smallILi35EdPKPdEEvT1_iilPiilS6_bb.has_indirect_call, 0
	.section	.AMDGPU.csdata,"",@progbits
; Kernel info:
; codeLenInByte = 28908
; TotalNumSgprs: 21
; NumVgprs: 112
; ScratchSize: 288
; MemoryBound: 0
; FloatMode: 240
; IeeeMode: 1
; LDSByteSize: 568 bytes/workgroup (compile time only)
; SGPRBlocks: 0
; VGPRBlocks: 6
; NumSGPRsForWavesPerEU: 21
; NumVGPRsForWavesPerEU: 112
; NamedBarCnt: 0
; Occupancy: 9
; WaveLimiterHint : 1
; COMPUTE_PGM_RSRC2:SCRATCH_EN: 1
; COMPUTE_PGM_RSRC2:USER_SGPR: 2
; COMPUTE_PGM_RSRC2:TRAP_HANDLER: 0
; COMPUTE_PGM_RSRC2:TGID_X_EN: 1
; COMPUTE_PGM_RSRC2:TGID_Y_EN: 0
; COMPUTE_PGM_RSRC2:TGID_Z_EN: 0
; COMPUTE_PGM_RSRC2:TIDIG_COMP_CNT: 0
	.section	.text._ZN9rocsolver6v33100L18getri_kernel_smallILi36EdPKPdEEvT1_iilPiilS6_bb,"axG",@progbits,_ZN9rocsolver6v33100L18getri_kernel_smallILi36EdPKPdEEvT1_iilPiilS6_bb,comdat
	.globl	_ZN9rocsolver6v33100L18getri_kernel_smallILi36EdPKPdEEvT1_iilPiilS6_bb ; -- Begin function _ZN9rocsolver6v33100L18getri_kernel_smallILi36EdPKPdEEvT1_iilPiilS6_bb
	.p2align	8
	.type	_ZN9rocsolver6v33100L18getri_kernel_smallILi36EdPKPdEEvT1_iilPiilS6_bb,@function
_ZN9rocsolver6v33100L18getri_kernel_smallILi36EdPKPdEEvT1_iilPiilS6_bb: ; @_ZN9rocsolver6v33100L18getri_kernel_smallILi36EdPKPdEEvT1_iilPiilS6_bb
; %bb.0:
	s_mov_b32 s2, exec_lo
	v_cmpx_gt_u32_e32 36, v0
	s_cbranch_execz .LBB99_154
; %bb.1:
	s_clause 0x1
	s_load_b32 s13, s[0:1], 0x38
	s_load_b64 s[2:3], s[0:1], 0x0
	s_getreg_b32 s6, hwreg(HW_REG_IB_STS2, 6, 4)
	s_wait_kmcnt 0x0
	s_bitcmp1_b32 s13, 8
	s_cselect_b32 s12, -1, 0
	s_bfe_u32 s4, ttmp6, 0x4000c
	s_and_b32 s5, ttmp6, 15
	s_add_co_i32 s4, s4, 1
	s_delay_alu instid0(SALU_CYCLE_1) | instskip(NEXT) | instid1(SALU_CYCLE_1)
	s_mul_i32 s4, ttmp9, s4
	s_add_co_i32 s5, s5, s4
	s_cmp_eq_u32 s6, 0
	s_cselect_b32 s10, ttmp9, s5
	s_load_b128 s[4:7], s[0:1], 0x28
	s_ashr_i32 s11, s10, 31
	s_delay_alu instid0(SALU_CYCLE_1) | instskip(NEXT) | instid1(SALU_CYCLE_1)
	s_lshl_b64 s[8:9], s[10:11], 3
	s_add_nc_u64 s[2:3], s[2:3], s[8:9]
	s_bfe_u32 s8, s13, 0x10008
	s_load_b64 s[2:3], s[2:3], 0x0
	s_cmp_eq_u32 s8, 0
                                        ; implicit-def: $sgpr8_sgpr9
	s_cbranch_scc1 .LBB99_3
; %bb.2:
	s_load_b96 s[16:18], s[0:1], 0x18
	s_wait_kmcnt 0x0
	s_mul_u64 s[4:5], s[4:5], s[10:11]
	s_delay_alu instid0(SALU_CYCLE_1) | instskip(SKIP_4) | instid1(SALU_CYCLE_1)
	s_lshl_b64 s[4:5], s[4:5], 2
	s_ashr_i32 s9, s18, 31
	s_mov_b32 s8, s18
	s_add_nc_u64 s[4:5], s[16:17], s[4:5]
	s_lshl_b64 s[8:9], s[8:9], 2
	s_add_nc_u64 s[8:9], s[4:5], s[8:9]
.LBB99_3:
	s_wait_kmcnt 0x0
	s_clause 0x1
	s_load_b64 s[4:5], s[0:1], 0x8
	s_load_b32 s13, s[0:1], 0x38
	v_dual_mov_b32 v3, 0 :: v_dual_lshlrev_b32 v2, 3, v0
	s_wait_kmcnt 0x0
	s_ashr_i32 s1, s4, 31
	s_mov_b32 s0, s4
	s_delay_alu instid0(SALU_CYCLE_1) | instskip(NEXT) | instid1(SALU_CYCLE_1)
	s_lshl_b64 s[0:1], s[0:1], 3
	s_add_nc_u64 s[2:3], s[2:3], s[0:1]
	s_ashr_i32 s1, s5, 31
	flat_load_b64 v[8:9], v0, s[2:3] scale_offset
	v_add_nc_u64_e32 v[4:5], s[2:3], v[2:3]
	s_mov_b32 s0, s5
	s_bitcmp0_b32 s13, 0
	s_delay_alu instid0(VALU_DEP_1)
	v_lshl_add_u64 v[6:7], s[0:1], 3, v[4:5]
	s_mov_b32 s1, -1
	s_wait_loadcnt_dscnt 0x0
	scratch_store_b64 off, v[8:9], off
	flat_load_b64 v[10:11], v[6:7]
	s_wait_xcnt 0x1
	v_add3_u32 v8, s5, s5, v0
	s_wait_loadcnt_dscnt 0x0
	scratch_store_b64 off, v[10:11], off offset:8
	flat_load_b64 v[12:13], v8, s[2:3] scale_offset
	s_wait_xcnt 0x1
	v_add_nc_u32_e32 v10, s5, v8
	s_wait_loadcnt_dscnt 0x0
	scratch_store_b64 off, v[12:13], off offset:16
	flat_load_b64 v[14:15], v10, s[2:3] scale_offset
	s_wait_xcnt 0x1
	v_add_nc_u32_e32 v12, s5, v10
	;; [unrolled: 5-line block ×33, first 2 shown]
	s_wait_loadcnt_dscnt 0x0
	scratch_store_b64 off, v[76:77], off offset:272
	flat_load_b64 v[76:77], v74, s[2:3] scale_offset
	s_wait_loadcnt_dscnt 0x0
	scratch_store_b64 off, v[76:77], off offset:280
	s_cbranch_scc1 .LBB99_152
; %bb.4:
	v_cmp_eq_u32_e64 s0, 0, v0
	s_wait_xcnt 0x0
	s_and_saveexec_b32 s1, s0
; %bb.5:
	v_mov_b32_e32 v1, 0
	ds_store_b32 v1, v1 offset:576
; %bb.6:
	s_or_b32 exec_lo, exec_lo, s1
	s_wait_storecnt_dscnt 0x0
	s_barrier_signal -1
	s_barrier_wait -1
	scratch_load_b64 v[76:77], v0, off scale_offset
	s_mov_b32 s4, exec_lo
	s_wait_loadcnt 0x0
	v_cmpx_eq_f64_e32 0, v[76:77]
	s_cbranch_execz .LBB99_10
; %bb.7:
	v_mov_b32_e32 v1, 0
	s_mov_b32 s5, 0
	ds_load_b32 v3, v1 offset:576
	s_wait_dscnt 0x0
	v_readfirstlane_b32 s1, v3
	v_add_nc_u32_e32 v3, 1, v0
	s_cmp_eq_u32 s1, 0
	s_delay_alu instid0(VALU_DEP_1) | instskip(SKIP_1) | instid1(SALU_CYCLE_1)
	v_cmp_gt_i32_e32 vcc_lo, s1, v3
	s_cselect_b32 s13, -1, 0
	s_or_b32 s13, s13, vcc_lo
	s_delay_alu instid0(SALU_CYCLE_1)
	s_and_b32 exec_lo, exec_lo, s13
	s_cbranch_execz .LBB99_10
; %bb.8:
	v_mov_b32_e32 v9, s1
.LBB99_9:                               ; =>This Inner Loop Header: Depth=1
	ds_cmpstore_rtn_b32 v9, v1, v3, v9 offset:576
	s_wait_dscnt 0x0
	v_cmp_ne_u32_e32 vcc_lo, 0, v9
	v_cmp_le_i32_e64 s1, v9, v3
	s_and_b32 s1, vcc_lo, s1
	s_delay_alu instid0(SALU_CYCLE_1) | instskip(NEXT) | instid1(SALU_CYCLE_1)
	s_and_b32 s1, exec_lo, s1
	s_or_b32 s5, s1, s5
	s_delay_alu instid0(SALU_CYCLE_1)
	s_and_not1_b32 exec_lo, exec_lo, s5
	s_cbranch_execnz .LBB99_9
.LBB99_10:
	s_or_b32 exec_lo, exec_lo, s4
	v_mov_b32_e32 v1, 0
	s_barrier_signal -1
	s_barrier_wait -1
	ds_load_b32 v3, v1 offset:576
	s_and_saveexec_b32 s1, s0
	s_cbranch_execz .LBB99_12
; %bb.11:
	s_lshl_b64 s[4:5], s[10:11], 2
	s_delay_alu instid0(SALU_CYCLE_1)
	s_add_nc_u64 s[4:5], s[6:7], s[4:5]
	s_wait_dscnt 0x0
	global_store_b32 v1, v3, s[4:5]
.LBB99_12:
	s_wait_xcnt 0x0
	s_or_b32 exec_lo, exec_lo, s1
	s_wait_dscnt 0x0
	v_cmp_ne_u32_e32 vcc_lo, 0, v3
	s_mov_b32 s1, 0
	s_cbranch_vccnz .LBB99_152
; %bb.13:
	v_lshl_add_u32 v3, v0, 3, 0
	v_add_nc_u32_e32 v1, 0x120, v2
	scratch_load_b64 v[76:77], v3, off
	s_wait_loadcnt 0x0
	v_div_scale_f64 v[78:79], null, v[76:77], v[76:77], 1.0
	v_div_scale_f64 v[84:85], vcc_lo, 1.0, v[76:77], 1.0
	s_delay_alu instid0(VALU_DEP_2) | instskip(SKIP_1) | instid1(TRANS32_DEP_1)
	v_rcp_f64_e32 v[80:81], v[78:79]
	v_nop
	v_fma_f64 v[82:83], -v[78:79], v[80:81], 1.0
	s_delay_alu instid0(VALU_DEP_1) | instskip(NEXT) | instid1(VALU_DEP_1)
	v_fmac_f64_e32 v[80:81], v[80:81], v[82:83]
	v_fma_f64 v[82:83], -v[78:79], v[80:81], 1.0
	s_delay_alu instid0(VALU_DEP_1) | instskip(NEXT) | instid1(VALU_DEP_1)
	v_fmac_f64_e32 v[80:81], v[80:81], v[82:83]
	v_mul_f64_e32 v[82:83], v[84:85], v[80:81]
	s_delay_alu instid0(VALU_DEP_1) | instskip(NEXT) | instid1(VALU_DEP_1)
	v_fma_f64 v[78:79], -v[78:79], v[82:83], v[84:85]
	v_div_fmas_f64 v[78:79], v[78:79], v[80:81], v[82:83]
	s_delay_alu instid0(VALU_DEP_1)
	v_div_fixup_f64 v[76:77], v[78:79], v[76:77], 1.0
	scratch_store_b64 v3, v[76:77], off
	scratch_load_b64 v[78:79], off, off offset:8
	s_wait_xcnt 0x1
	v_xor_b32_e32 v77, 0x80000000, v77
	s_wait_loadcnt 0x0
	ds_store_2addr_b64 v2, v[76:77], v[78:79] offset1:36
	s_wait_storecnt_dscnt 0x0
	s_barrier_signal -1
	s_barrier_wait -1
	s_wait_xcnt 0x0
	s_and_saveexec_b32 s1, s0
	s_cbranch_execz .LBB99_15
; %bb.14:
	scratch_load_b64 v[76:77], v3, off
	ds_load_b64 v[78:79], v1
	s_wait_loadcnt_dscnt 0x0
	v_fma_f64 v[76:77], v[76:77], v[78:79], 0
	v_mov_b32_e32 v9, 0
	ds_load_b64 v[80:81], v9 offset:8
	s_wait_dscnt 0x0
	v_mul_f64_e32 v[76:77], v[76:77], v[80:81]
	scratch_store_b64 off, v[76:77], off offset:8
.LBB99_15:
	s_wait_xcnt 0x0
	s_or_b32 exec_lo, exec_lo, s1
	s_wait_storecnt 0x0
	s_barrier_signal -1
	s_barrier_wait -1
	scratch_load_b64 v[76:77], off, off offset:16
	s_mov_b32 s1, exec_lo
	s_wait_loadcnt 0x0
	ds_store_b64 v1, v[76:77]
	s_wait_dscnt 0x0
	s_barrier_signal -1
	s_barrier_wait -1
	v_cmpx_gt_u32_e32 2, v0
	s_cbranch_execz .LBB99_19
; %bb.16:
	scratch_load_b64 v[76:77], v3, off
	ds_load_b64 v[78:79], v1
	s_wait_loadcnt_dscnt 0x0
	v_fma_f64 v[76:77], v[76:77], v[78:79], 0
	s_and_saveexec_b32 s4, s0
	s_cbranch_execz .LBB99_18
; %bb.17:
	scratch_load_b64 v[78:79], off, off offset:8
	v_mov_b32_e32 v3, 0
	ds_load_b64 v[80:81], v3 offset:296
	s_wait_loadcnt_dscnt 0x0
	v_fmac_f64_e32 v[76:77], v[78:79], v[80:81]
.LBB99_18:
	s_or_b32 exec_lo, exec_lo, s4
	v_mov_b32_e32 v3, 0
	ds_load_b64 v[78:79], v3 offset:16
	s_wait_dscnt 0x0
	v_mul_f64_e32 v[76:77], v[76:77], v[78:79]
	scratch_store_b64 off, v[76:77], off offset:16
.LBB99_19:
	s_wait_xcnt 0x0
	s_or_b32 exec_lo, exec_lo, s1
	s_wait_storecnt 0x0
	s_barrier_signal -1
	s_barrier_wait -1
	scratch_load_b64 v[76:77], off, off offset:24
	v_add_nc_u32_e32 v3, -1, v0
	s_mov_b32 s0, exec_lo
	s_wait_loadcnt 0x0
	ds_store_b64 v1, v[76:77]
	s_wait_dscnt 0x0
	s_barrier_signal -1
	s_barrier_wait -1
	v_cmpx_gt_u32_e32 3, v0
	s_cbranch_execz .LBB99_23
; %bb.20:
	v_mov_b64_e32 v[76:77], 0
	v_dual_add_nc_u32 v9, -1, v0 :: v_dual_mov_b32 v13, v2
	v_add_nc_u32_e32 v11, 0x120, v2
	s_mov_b32 s1, 0
.LBB99_21:                              ; =>This Inner Loop Header: Depth=1
	scratch_load_b64 v[78:79], v13, off
	ds_load_b64 v[80:81], v11
	v_dual_add_nc_u32 v9, 1, v9 :: v_dual_add_nc_u32 v11, 8, v11
	s_wait_xcnt 0x0
	v_add_nc_u32_e32 v13, 8, v13
	s_delay_alu instid0(VALU_DEP_2)
	v_cmp_lt_u32_e32 vcc_lo, 1, v9
	s_or_b32 s1, vcc_lo, s1
	s_wait_loadcnt_dscnt 0x0
	v_fmac_f64_e32 v[76:77], v[78:79], v[80:81]
	s_and_not1_b32 exec_lo, exec_lo, s1
	s_cbranch_execnz .LBB99_21
; %bb.22:
	s_or_b32 exec_lo, exec_lo, s1
	v_mov_b32_e32 v9, 0
	ds_load_b64 v[78:79], v9 offset:24
	s_wait_dscnt 0x0
	v_mul_f64_e32 v[76:77], v[76:77], v[78:79]
	scratch_store_b64 off, v[76:77], off offset:24
.LBB99_23:
	s_wait_xcnt 0x0
	s_or_b32 exec_lo, exec_lo, s0
	s_wait_storecnt 0x0
	s_barrier_signal -1
	s_barrier_wait -1
	scratch_load_b64 v[76:77], off, off offset:32
	s_mov_b32 s0, exec_lo
	s_wait_loadcnt 0x0
	ds_store_b64 v1, v[76:77]
	s_wait_dscnt 0x0
	s_barrier_signal -1
	s_barrier_wait -1
	v_cmpx_gt_u32_e32 4, v0
	s_cbranch_execz .LBB99_27
; %bb.24:
	v_mov_b64_e32 v[76:77], 0
	v_dual_add_nc_u32 v9, -1, v0 :: v_dual_mov_b32 v13, v2
	v_add_nc_u32_e32 v11, 0x120, v2
	s_mov_b32 s1, 0
.LBB99_25:                              ; =>This Inner Loop Header: Depth=1
	scratch_load_b64 v[78:79], v13, off
	ds_load_b64 v[80:81], v11
	v_dual_add_nc_u32 v9, 1, v9 :: v_dual_add_nc_u32 v11, 8, v11
	s_wait_xcnt 0x0
	v_add_nc_u32_e32 v13, 8, v13
	s_delay_alu instid0(VALU_DEP_2)
	v_cmp_lt_u32_e32 vcc_lo, 2, v9
	s_or_b32 s1, vcc_lo, s1
	s_wait_loadcnt_dscnt 0x0
	v_fmac_f64_e32 v[76:77], v[78:79], v[80:81]
	s_and_not1_b32 exec_lo, exec_lo, s1
	s_cbranch_execnz .LBB99_25
; %bb.26:
	s_or_b32 exec_lo, exec_lo, s1
	v_mov_b32_e32 v9, 0
	ds_load_b64 v[78:79], v9 offset:32
	s_wait_dscnt 0x0
	v_mul_f64_e32 v[76:77], v[76:77], v[78:79]
	scratch_store_b64 off, v[76:77], off offset:32
.LBB99_27:
	s_wait_xcnt 0x0
	s_or_b32 exec_lo, exec_lo, s0
	s_wait_storecnt 0x0
	s_barrier_signal -1
	s_barrier_wait -1
	scratch_load_b64 v[76:77], off, off offset:40
	;; [unrolled: 40-line block ×20, first 2 shown]
	s_mov_b32 s0, exec_lo
	s_wait_loadcnt 0x0
	ds_store_b64 v1, v[76:77]
	s_wait_dscnt 0x0
	s_barrier_signal -1
	s_barrier_wait -1
	v_cmpx_gt_u32_e32 23, v0
	s_cbranch_execz .LBB99_103
; %bb.100:
	v_mov_b64_e32 v[76:77], 0
	v_dual_add_nc_u32 v9, -1, v0 :: v_dual_mov_b32 v13, v2
	v_add_nc_u32_e32 v11, 0x120, v2
	s_mov_b32 s1, 0
.LBB99_101:                             ; =>This Inner Loop Header: Depth=1
	scratch_load_b64 v[78:79], v13, off
	ds_load_b64 v[80:81], v11
	v_dual_add_nc_u32 v9, 1, v9 :: v_dual_add_nc_u32 v11, 8, v11
	s_wait_xcnt 0x0
	v_add_nc_u32_e32 v13, 8, v13
	s_delay_alu instid0(VALU_DEP_2)
	v_cmp_lt_u32_e32 vcc_lo, 21, v9
	s_or_b32 s1, vcc_lo, s1
	s_wait_loadcnt_dscnt 0x0
	v_fmac_f64_e32 v[76:77], v[78:79], v[80:81]
	s_and_not1_b32 exec_lo, exec_lo, s1
	s_cbranch_execnz .LBB99_101
; %bb.102:
	s_or_b32 exec_lo, exec_lo, s1
	v_mov_b32_e32 v9, 0
	ds_load_b64 v[78:79], v9 offset:184
	s_wait_dscnt 0x0
	v_mul_f64_e32 v[76:77], v[76:77], v[78:79]
	scratch_store_b64 off, v[76:77], off offset:184
.LBB99_103:
	s_wait_xcnt 0x0
	s_or_b32 exec_lo, exec_lo, s0
	s_wait_storecnt 0x0
	s_barrier_signal -1
	s_barrier_wait -1
	scratch_load_b64 v[76:77], off, off offset:192
	s_mov_b32 s0, exec_lo
	s_wait_loadcnt 0x0
	ds_store_b64 v1, v[76:77]
	s_wait_dscnt 0x0
	s_barrier_signal -1
	s_barrier_wait -1
	v_cmpx_gt_u32_e32 24, v0
	s_cbranch_execz .LBB99_107
; %bb.104:
	v_mov_b64_e32 v[76:77], 0
	v_dual_add_nc_u32 v9, -1, v0 :: v_dual_mov_b32 v13, v2
	v_add_nc_u32_e32 v11, 0x120, v2
	s_mov_b32 s1, 0
.LBB99_105:                             ; =>This Inner Loop Header: Depth=1
	scratch_load_b64 v[78:79], v13, off
	ds_load_b64 v[80:81], v11
	v_dual_add_nc_u32 v9, 1, v9 :: v_dual_add_nc_u32 v11, 8, v11
	s_wait_xcnt 0x0
	v_add_nc_u32_e32 v13, 8, v13
	s_delay_alu instid0(VALU_DEP_2)
	v_cmp_lt_u32_e32 vcc_lo, 22, v9
	s_or_b32 s1, vcc_lo, s1
	s_wait_loadcnt_dscnt 0x0
	v_fmac_f64_e32 v[76:77], v[78:79], v[80:81]
	s_and_not1_b32 exec_lo, exec_lo, s1
	s_cbranch_execnz .LBB99_105
; %bb.106:
	s_or_b32 exec_lo, exec_lo, s1
	v_mov_b32_e32 v9, 0
	ds_load_b64 v[78:79], v9 offset:192
	s_wait_dscnt 0x0
	v_mul_f64_e32 v[76:77], v[76:77], v[78:79]
	scratch_store_b64 off, v[76:77], off offset:192
.LBB99_107:
	s_wait_xcnt 0x0
	s_or_b32 exec_lo, exec_lo, s0
	s_wait_storecnt 0x0
	s_barrier_signal -1
	s_barrier_wait -1
	scratch_load_b64 v[76:77], off, off offset:200
	;; [unrolled: 40-line block ×12, first 2 shown]
	s_mov_b32 s0, exec_lo
	s_wait_loadcnt 0x0
	ds_store_b64 v1, v[76:77]
	s_wait_dscnt 0x0
	s_barrier_signal -1
	s_barrier_wait -1
	v_cmpx_ne_u32_e32 35, v0
	s_cbranch_execz .LBB99_151
; %bb.148:
	v_mov_b64_e32 v[76:77], 0
	s_mov_b32 s1, 0
.LBB99_149:                             ; =>This Inner Loop Header: Depth=1
	scratch_load_b64 v[78:79], v2, off
	ds_load_b64 v[80:81], v1
	v_dual_add_nc_u32 v3, 1, v3 :: v_dual_add_nc_u32 v1, 8, v1
	s_wait_xcnt 0x0
	v_add_nc_u32_e32 v2, 8, v2
	s_delay_alu instid0(VALU_DEP_2)
	v_cmp_lt_u32_e32 vcc_lo, 33, v3
	s_or_b32 s1, vcc_lo, s1
	s_wait_loadcnt_dscnt 0x0
	v_fmac_f64_e32 v[76:77], v[78:79], v[80:81]
	s_and_not1_b32 exec_lo, exec_lo, s1
	s_cbranch_execnz .LBB99_149
; %bb.150:
	s_or_b32 exec_lo, exec_lo, s1
	v_mov_b32_e32 v1, 0
	ds_load_b64 v[2:3], v1 offset:280
	s_wait_dscnt 0x0
	v_mul_f64_e32 v[2:3], v[76:77], v[2:3]
	scratch_store_b64 off, v[2:3], off offset:280
.LBB99_151:
	s_wait_xcnt 0x0
	s_or_b32 exec_lo, exec_lo, s0
	s_mov_b32 s1, -1
	s_wait_storecnt 0x0
	s_barrier_signal -1
	s_barrier_wait -1
.LBB99_152:
	s_and_b32 vcc_lo, exec_lo, s1
	s_cbranch_vccz .LBB99_154
; %bb.153:
	v_mov_b32_e32 v1, 0
	s_lshl_b64 s[0:1], s[10:11], 2
	s_delay_alu instid0(SALU_CYCLE_1)
	s_add_nc_u64 s[0:1], s[6:7], s[0:1]
	global_load_b32 v1, v1, s[0:1]
	s_wait_loadcnt 0x0
	v_cmp_ne_u32_e32 vcc_lo, 0, v1
	s_cbranch_vccz .LBB99_155
.LBB99_154:
	s_sendmsg sendmsg(MSG_DEALLOC_VGPRS)
	s_endpgm
.LBB99_155:
	s_wait_xcnt 0x0
	v_lshl_add_u32 v1, v0, 3, 0x120
	s_mov_b32 s0, exec_lo
	v_cmpx_eq_u32_e32 35, v0
	s_cbranch_execz .LBB99_157
; %bb.156:
	scratch_load_b64 v[2:3], off, off offset:272
	v_mov_b64_e32 v[76:77], 0
	scratch_store_b64 off, v[76:77], off offset:272
	s_wait_loadcnt 0x0
	ds_store_b64 v1, v[2:3]
.LBB99_157:
	s_wait_xcnt 0x0
	s_or_b32 exec_lo, exec_lo, s0
	s_wait_storecnt_dscnt 0x0
	s_barrier_signal -1
	s_barrier_wait -1
	scratch_load_b128 v[76:79], off, off offset:272
	v_mov_b32_e32 v2, 0
	s_mov_b32 s0, exec_lo
	ds_load_b64 v[80:81], v2 offset:568
	s_wait_loadcnt_dscnt 0x0
	v_fma_f64 v[78:79], v[78:79], v[80:81], 0
	s_delay_alu instid0(VALU_DEP_1)
	v_add_f64_e64 v[76:77], v[76:77], -v[78:79]
	scratch_store_b64 off, v[76:77], off offset:272
	s_wait_xcnt 0x0
	v_cmpx_lt_u32_e32 33, v0
	s_cbranch_execz .LBB99_159
; %bb.158:
	scratch_load_b64 v[76:77], off, off offset:264
	v_mov_b64_e32 v[78:79], 0
	scratch_store_b64 off, v[78:79], off offset:264
	s_wait_loadcnt 0x0
	ds_store_b64 v1, v[76:77]
.LBB99_159:
	s_wait_xcnt 0x0
	s_or_b32 exec_lo, exec_lo, s0
	s_wait_storecnt_dscnt 0x0
	s_barrier_signal -1
	s_barrier_wait -1
	s_clause 0x1
	scratch_load_b128 v[76:79], off, off offset:264
	scratch_load_b64 v[84:85], off, off offset:280
	ds_load_b128 v[80:83], v2 offset:560
	s_mov_b32 s0, exec_lo
	s_wait_loadcnt_dscnt 0x100
	v_fma_f64 v[2:3], v[78:79], v[80:81], 0
	s_wait_loadcnt 0x0
	s_delay_alu instid0(VALU_DEP_1) | instskip(NEXT) | instid1(VALU_DEP_1)
	v_fmac_f64_e32 v[2:3], v[84:85], v[82:83]
	v_add_f64_e64 v[2:3], v[76:77], -v[2:3]
	scratch_store_b64 off, v[2:3], off offset:264
	s_wait_xcnt 0x0
	v_cmpx_lt_u32_e32 32, v0
	s_cbranch_execz .LBB99_161
; %bb.160:
	scratch_load_b64 v[2:3], off, off offset:256
	v_mov_b64_e32 v[76:77], 0
	scratch_store_b64 off, v[76:77], off offset:256
	s_wait_loadcnt 0x0
	ds_store_b64 v1, v[2:3]
.LBB99_161:
	s_wait_xcnt 0x0
	s_or_b32 exec_lo, exec_lo, s0
	s_wait_storecnt_dscnt 0x0
	s_barrier_signal -1
	s_barrier_wait -1
	s_clause 0x1
	scratch_load_b128 v[76:79], off, off offset:256
	scratch_load_b128 v[80:83], off, off offset:272
	v_mov_b32_e32 v2, 0
	ds_load_2addr_b64 v[84:87], v2 offset0:69 offset1:70
	ds_load_b64 v[88:89], v2 offset:568
	s_mov_b32 s0, exec_lo
	s_wait_loadcnt_dscnt 0x101
	v_fma_f64 v[78:79], v[78:79], v[84:85], 0
	s_wait_loadcnt 0x0
	s_delay_alu instid0(VALU_DEP_1) | instskip(SKIP_1) | instid1(VALU_DEP_1)
	v_fmac_f64_e32 v[78:79], v[80:81], v[86:87]
	s_wait_dscnt 0x0
	v_fmac_f64_e32 v[78:79], v[82:83], v[88:89]
	s_delay_alu instid0(VALU_DEP_1)
	v_add_f64_e64 v[76:77], v[76:77], -v[78:79]
	scratch_store_b64 off, v[76:77], off offset:256
	s_wait_xcnt 0x0
	v_cmpx_lt_u32_e32 31, v0
	s_cbranch_execz .LBB99_163
; %bb.162:
	scratch_load_b64 v[76:77], off, off offset:248
	v_mov_b64_e32 v[78:79], 0
	scratch_store_b64 off, v[78:79], off offset:248
	s_wait_loadcnt 0x0
	ds_store_b64 v1, v[76:77]
.LBB99_163:
	s_wait_xcnt 0x0
	s_or_b32 exec_lo, exec_lo, s0
	s_wait_storecnt_dscnt 0x0
	s_barrier_signal -1
	s_barrier_wait -1
	s_clause 0x2
	scratch_load_b128 v[76:79], off, off offset:248
	scratch_load_b128 v[80:83], off, off offset:264
	scratch_load_b64 v[92:93], off, off offset:280
	ds_load_b128 v[84:87], v2 offset:544
	ds_load_b128 v[88:91], v2 offset:560
	s_mov_b32 s0, exec_lo
	s_wait_loadcnt_dscnt 0x201
	v_fma_f64 v[2:3], v[78:79], v[84:85], 0
	s_wait_loadcnt 0x1
	s_delay_alu instid0(VALU_DEP_1) | instskip(SKIP_1) | instid1(VALU_DEP_1)
	v_fmac_f64_e32 v[2:3], v[80:81], v[86:87]
	s_wait_dscnt 0x0
	v_fmac_f64_e32 v[2:3], v[82:83], v[88:89]
	s_wait_loadcnt 0x0
	s_delay_alu instid0(VALU_DEP_1) | instskip(NEXT) | instid1(VALU_DEP_1)
	v_fmac_f64_e32 v[2:3], v[92:93], v[90:91]
	v_add_f64_e64 v[2:3], v[76:77], -v[2:3]
	scratch_store_b64 off, v[2:3], off offset:248
	s_wait_xcnt 0x0
	v_cmpx_lt_u32_e32 30, v0
	s_cbranch_execz .LBB99_165
; %bb.164:
	scratch_load_b64 v[2:3], off, off offset:240
	v_mov_b64_e32 v[76:77], 0
	scratch_store_b64 off, v[76:77], off offset:240
	s_wait_loadcnt 0x0
	ds_store_b64 v1, v[2:3]
.LBB99_165:
	s_wait_xcnt 0x0
	s_or_b32 exec_lo, exec_lo, s0
	s_wait_storecnt_dscnt 0x0
	s_barrier_signal -1
	s_barrier_wait -1
	s_clause 0x2
	scratch_load_b128 v[76:79], off, off offset:240
	scratch_load_b128 v[80:83], off, off offset:256
	scratch_load_b128 v[84:87], off, off offset:272
	v_mov_b32_e32 v2, 0
	ds_load_2addr_b64 v[88:91], v2 offset0:67 offset1:68
	ds_load_2addr_b64 v[92:95], v2 offset0:69 offset1:70
	s_mov_b32 s0, exec_lo
	s_wait_loadcnt_dscnt 0x201
	v_fma_f64 v[78:79], v[78:79], v[88:89], 0
	s_wait_loadcnt 0x1
	s_delay_alu instid0(VALU_DEP_1) | instskip(SKIP_4) | instid1(VALU_DEP_1)
	v_fmac_f64_e32 v[78:79], v[80:81], v[90:91]
	ds_load_b64 v[80:81], v2 offset:568
	s_wait_dscnt 0x1
	v_fmac_f64_e32 v[78:79], v[82:83], v[92:93]
	s_wait_loadcnt 0x0
	v_fmac_f64_e32 v[78:79], v[84:85], v[94:95]
	s_wait_dscnt 0x0
	s_delay_alu instid0(VALU_DEP_1) | instskip(NEXT) | instid1(VALU_DEP_1)
	v_fmac_f64_e32 v[78:79], v[86:87], v[80:81]
	v_add_f64_e64 v[76:77], v[76:77], -v[78:79]
	scratch_store_b64 off, v[76:77], off offset:240
	s_wait_xcnt 0x0
	v_cmpx_lt_u32_e32 29, v0
	s_cbranch_execz .LBB99_167
; %bb.166:
	scratch_load_b64 v[76:77], off, off offset:232
	v_mov_b64_e32 v[78:79], 0
	scratch_store_b64 off, v[78:79], off offset:232
	s_wait_loadcnt 0x0
	ds_store_b64 v1, v[76:77]
.LBB99_167:
	s_wait_xcnt 0x0
	s_or_b32 exec_lo, exec_lo, s0
	s_wait_storecnt_dscnt 0x0
	s_barrier_signal -1
	s_barrier_wait -1
	s_clause 0x3
	scratch_load_b128 v[76:79], off, off offset:232
	scratch_load_b128 v[80:83], off, off offset:248
	;; [unrolled: 1-line block ×3, first 2 shown]
	scratch_load_b64 v[96:97], off, off offset:280
	ds_load_b128 v[88:91], v2 offset:528
	ds_load_b128 v[92:95], v2 offset:544
	s_mov_b32 s0, exec_lo
	s_wait_loadcnt_dscnt 0x301
	v_fma_f64 v[88:89], v[78:79], v[88:89], 0
	s_wait_loadcnt 0x2
	s_delay_alu instid0(VALU_DEP_1) | instskip(SKIP_4) | instid1(VALU_DEP_1)
	v_fmac_f64_e32 v[88:89], v[80:81], v[90:91]
	ds_load_b128 v[78:81], v2 offset:560
	s_wait_dscnt 0x1
	v_fmac_f64_e32 v[88:89], v[82:83], v[92:93]
	s_wait_loadcnt 0x1
	v_fmac_f64_e32 v[88:89], v[84:85], v[94:95]
	s_wait_dscnt 0x0
	s_delay_alu instid0(VALU_DEP_1) | instskip(SKIP_1) | instid1(VALU_DEP_1)
	v_fmac_f64_e32 v[88:89], v[86:87], v[78:79]
	s_wait_loadcnt 0x0
	v_fmac_f64_e32 v[88:89], v[96:97], v[80:81]
	s_delay_alu instid0(VALU_DEP_1)
	v_add_f64_e64 v[2:3], v[76:77], -v[88:89]
	scratch_store_b64 off, v[2:3], off offset:232
	s_wait_xcnt 0x0
	v_cmpx_lt_u32_e32 28, v0
	s_cbranch_execz .LBB99_169
; %bb.168:
	scratch_load_b64 v[2:3], off, off offset:224
	v_mov_b64_e32 v[76:77], 0
	scratch_store_b64 off, v[76:77], off offset:224
	s_wait_loadcnt 0x0
	ds_store_b64 v1, v[2:3]
.LBB99_169:
	s_wait_xcnt 0x0
	s_or_b32 exec_lo, exec_lo, s0
	s_wait_storecnt_dscnt 0x0
	s_barrier_signal -1
	s_barrier_wait -1
	s_clause 0x3
	scratch_load_b128 v[76:79], off, off offset:224
	scratch_load_b128 v[80:83], off, off offset:240
	;; [unrolled: 1-line block ×4, first 2 shown]
	v_mov_b32_e32 v2, 0
	ds_load_2addr_b64 v[92:95], v2 offset0:65 offset1:66
	ds_load_2addr_b64 v[96:99], v2 offset0:67 offset1:68
	s_mov_b32 s0, exec_lo
	s_wait_loadcnt_dscnt 0x301
	v_fma_f64 v[92:93], v[78:79], v[92:93], 0
	s_wait_loadcnt 0x2
	s_delay_alu instid0(VALU_DEP_1) | instskip(SKIP_1) | instid1(VALU_DEP_1)
	v_fmac_f64_e32 v[92:93], v[80:81], v[94:95]
	s_wait_dscnt 0x0
	v_fmac_f64_e32 v[92:93], v[82:83], v[96:97]
	ds_load_2addr_b64 v[78:81], v2 offset0:69 offset1:70
	ds_load_b64 v[82:83], v2 offset:568
	s_wait_loadcnt 0x1
	v_fmac_f64_e32 v[92:93], v[84:85], v[98:99]
	s_wait_dscnt 0x1
	s_delay_alu instid0(VALU_DEP_1) | instskip(SKIP_1) | instid1(VALU_DEP_1)
	v_fmac_f64_e32 v[92:93], v[86:87], v[78:79]
	s_wait_loadcnt 0x0
	v_fmac_f64_e32 v[92:93], v[88:89], v[80:81]
	s_wait_dscnt 0x0
	s_delay_alu instid0(VALU_DEP_1) | instskip(NEXT) | instid1(VALU_DEP_1)
	v_fmac_f64_e32 v[92:93], v[90:91], v[82:83]
	v_add_f64_e64 v[76:77], v[76:77], -v[92:93]
	scratch_store_b64 off, v[76:77], off offset:224
	s_wait_xcnt 0x0
	v_cmpx_lt_u32_e32 27, v0
	s_cbranch_execz .LBB99_171
; %bb.170:
	scratch_load_b64 v[76:77], off, off offset:216
	v_mov_b64_e32 v[78:79], 0
	scratch_store_b64 off, v[78:79], off offset:216
	s_wait_loadcnt 0x0
	ds_store_b64 v1, v[76:77]
.LBB99_171:
	s_wait_xcnt 0x0
	s_or_b32 exec_lo, exec_lo, s0
	s_wait_storecnt_dscnt 0x0
	s_barrier_signal -1
	s_barrier_wait -1
	s_clause 0x4
	scratch_load_b128 v[76:79], off, off offset:216
	scratch_load_b128 v[80:83], off, off offset:232
	;; [unrolled: 1-line block ×4, first 2 shown]
	scratch_load_b64 v[100:101], off, off offset:280
	ds_load_b128 v[92:95], v2 offset:512
	ds_load_b128 v[96:99], v2 offset:528
	s_mov_b32 s0, exec_lo
	s_wait_loadcnt_dscnt 0x401
	v_fma_f64 v[92:93], v[78:79], v[92:93], 0
	s_wait_loadcnt 0x3
	s_delay_alu instid0(VALU_DEP_1) | instskip(SKIP_1) | instid1(VALU_DEP_1)
	v_fmac_f64_e32 v[92:93], v[80:81], v[94:95]
	s_wait_dscnt 0x0
	v_fmac_f64_e32 v[92:93], v[82:83], v[96:97]
	s_wait_loadcnt 0x2
	s_delay_alu instid0(VALU_DEP_1)
	v_fmac_f64_e32 v[92:93], v[84:85], v[98:99]
	ds_load_b128 v[78:81], v2 offset:544
	ds_load_b128 v[82:85], v2 offset:560
	s_wait_dscnt 0x1
	v_fmac_f64_e32 v[92:93], v[86:87], v[78:79]
	s_wait_loadcnt 0x1
	s_delay_alu instid0(VALU_DEP_1) | instskip(SKIP_1) | instid1(VALU_DEP_1)
	v_fmac_f64_e32 v[92:93], v[88:89], v[80:81]
	s_wait_dscnt 0x0
	v_fmac_f64_e32 v[92:93], v[90:91], v[82:83]
	s_wait_loadcnt 0x0
	s_delay_alu instid0(VALU_DEP_1) | instskip(NEXT) | instid1(VALU_DEP_1)
	v_fmac_f64_e32 v[92:93], v[100:101], v[84:85]
	v_add_f64_e64 v[2:3], v[76:77], -v[92:93]
	scratch_store_b64 off, v[2:3], off offset:216
	s_wait_xcnt 0x0
	v_cmpx_lt_u32_e32 26, v0
	s_cbranch_execz .LBB99_173
; %bb.172:
	scratch_load_b64 v[2:3], off, off offset:208
	v_mov_b64_e32 v[76:77], 0
	scratch_store_b64 off, v[76:77], off offset:208
	s_wait_loadcnt 0x0
	ds_store_b64 v1, v[2:3]
.LBB99_173:
	s_wait_xcnt 0x0
	s_or_b32 exec_lo, exec_lo, s0
	s_wait_storecnt_dscnt 0x0
	s_barrier_signal -1
	s_barrier_wait -1
	s_clause 0x4
	scratch_load_b128 v[76:79], off, off offset:208
	scratch_load_b128 v[80:83], off, off offset:224
	;; [unrolled: 1-line block ×5, first 2 shown]
	v_mov_b32_e32 v2, 0
	ds_load_2addr_b64 v[96:99], v2 offset0:63 offset1:64
	ds_load_2addr_b64 v[100:103], v2 offset0:65 offset1:66
	s_mov_b32 s0, exec_lo
	s_wait_loadcnt_dscnt 0x401
	v_fma_f64 v[96:97], v[78:79], v[96:97], 0
	s_wait_loadcnt 0x3
	s_delay_alu instid0(VALU_DEP_1) | instskip(SKIP_1) | instid1(VALU_DEP_1)
	v_fmac_f64_e32 v[96:97], v[80:81], v[98:99]
	s_wait_dscnt 0x0
	v_fmac_f64_e32 v[96:97], v[82:83], v[100:101]
	s_wait_loadcnt 0x2
	s_delay_alu instid0(VALU_DEP_1)
	v_fmac_f64_e32 v[96:97], v[84:85], v[102:103]
	ds_load_2addr_b64 v[78:81], v2 offset0:67 offset1:68
	ds_load_2addr_b64 v[82:85], v2 offset0:69 offset1:70
	s_wait_dscnt 0x1
	v_fmac_f64_e32 v[96:97], v[86:87], v[78:79]
	ds_load_b64 v[78:79], v2 offset:568
	s_wait_loadcnt 0x1
	v_fmac_f64_e32 v[96:97], v[88:89], v[80:81]
	s_wait_dscnt 0x1
	s_delay_alu instid0(VALU_DEP_1) | instskip(SKIP_1) | instid1(VALU_DEP_1)
	v_fmac_f64_e32 v[96:97], v[90:91], v[82:83]
	s_wait_loadcnt 0x0
	v_fmac_f64_e32 v[96:97], v[92:93], v[84:85]
	s_wait_dscnt 0x0
	s_delay_alu instid0(VALU_DEP_1) | instskip(NEXT) | instid1(VALU_DEP_1)
	v_fmac_f64_e32 v[96:97], v[94:95], v[78:79]
	v_add_f64_e64 v[76:77], v[76:77], -v[96:97]
	scratch_store_b64 off, v[76:77], off offset:208
	s_wait_xcnt 0x0
	v_cmpx_lt_u32_e32 25, v0
	s_cbranch_execz .LBB99_175
; %bb.174:
	scratch_load_b64 v[76:77], off, off offset:200
	v_mov_b64_e32 v[78:79], 0
	scratch_store_b64 off, v[78:79], off offset:200
	s_wait_loadcnt 0x0
	ds_store_b64 v1, v[76:77]
.LBB99_175:
	s_wait_xcnt 0x0
	s_or_b32 exec_lo, exec_lo, s0
	s_wait_storecnt_dscnt 0x0
	s_barrier_signal -1
	s_barrier_wait -1
	s_clause 0x5
	scratch_load_b128 v[76:79], off, off offset:200
	scratch_load_b128 v[80:83], off, off offset:216
	;; [unrolled: 1-line block ×5, first 2 shown]
	scratch_load_b64 v[104:105], off, off offset:280
	ds_load_b128 v[96:99], v2 offset:496
	ds_load_b128 v[100:103], v2 offset:512
	s_mov_b32 s0, exec_lo
	s_wait_loadcnt_dscnt 0x501
	v_fma_f64 v[96:97], v[78:79], v[96:97], 0
	s_wait_loadcnt 0x4
	s_delay_alu instid0(VALU_DEP_1) | instskip(SKIP_1) | instid1(VALU_DEP_1)
	v_fmac_f64_e32 v[96:97], v[80:81], v[98:99]
	s_wait_dscnt 0x0
	v_fmac_f64_e32 v[96:97], v[82:83], v[100:101]
	s_wait_loadcnt 0x3
	s_delay_alu instid0(VALU_DEP_1)
	v_fmac_f64_e32 v[96:97], v[84:85], v[102:103]
	ds_load_b128 v[78:81], v2 offset:528
	ds_load_b128 v[82:85], v2 offset:544
	s_wait_dscnt 0x1
	v_fmac_f64_e32 v[96:97], v[86:87], v[78:79]
	s_wait_loadcnt 0x2
	s_delay_alu instid0(VALU_DEP_1) | instskip(SKIP_4) | instid1(VALU_DEP_1)
	v_fmac_f64_e32 v[96:97], v[88:89], v[80:81]
	ds_load_b128 v[78:81], v2 offset:560
	s_wait_dscnt 0x1
	v_fmac_f64_e32 v[96:97], v[90:91], v[82:83]
	s_wait_loadcnt 0x1
	v_fmac_f64_e32 v[96:97], v[92:93], v[84:85]
	s_wait_dscnt 0x0
	s_delay_alu instid0(VALU_DEP_1) | instskip(SKIP_1) | instid1(VALU_DEP_1)
	v_fmac_f64_e32 v[96:97], v[94:95], v[78:79]
	s_wait_loadcnt 0x0
	v_fmac_f64_e32 v[96:97], v[104:105], v[80:81]
	s_delay_alu instid0(VALU_DEP_1)
	v_add_f64_e64 v[2:3], v[76:77], -v[96:97]
	scratch_store_b64 off, v[2:3], off offset:200
	s_wait_xcnt 0x0
	v_cmpx_lt_u32_e32 24, v0
	s_cbranch_execz .LBB99_177
; %bb.176:
	scratch_load_b64 v[2:3], off, off offset:192
	v_mov_b64_e32 v[76:77], 0
	scratch_store_b64 off, v[76:77], off offset:192
	s_wait_loadcnt 0x0
	ds_store_b64 v1, v[2:3]
.LBB99_177:
	s_wait_xcnt 0x0
	s_or_b32 exec_lo, exec_lo, s0
	s_wait_storecnt_dscnt 0x0
	s_barrier_signal -1
	s_barrier_wait -1
	s_clause 0x5
	scratch_load_b128 v[76:79], off, off offset:192
	scratch_load_b128 v[80:83], off, off offset:208
	;; [unrolled: 1-line block ×6, first 2 shown]
	v_mov_b32_e32 v2, 0
	ds_load_2addr_b64 v[100:103], v2 offset0:61 offset1:62
	ds_load_2addr_b64 v[104:107], v2 offset0:63 offset1:64
	s_mov_b32 s0, exec_lo
	s_wait_loadcnt_dscnt 0x501
	v_fma_f64 v[100:101], v[78:79], v[100:101], 0
	s_wait_loadcnt 0x4
	s_delay_alu instid0(VALU_DEP_1) | instskip(SKIP_1) | instid1(VALU_DEP_1)
	v_fmac_f64_e32 v[100:101], v[80:81], v[102:103]
	s_wait_dscnt 0x0
	v_fmac_f64_e32 v[100:101], v[82:83], v[104:105]
	s_wait_loadcnt 0x3
	s_delay_alu instid0(VALU_DEP_1)
	v_fmac_f64_e32 v[100:101], v[84:85], v[106:107]
	ds_load_2addr_b64 v[78:81], v2 offset0:65 offset1:66
	ds_load_2addr_b64 v[82:85], v2 offset0:67 offset1:68
	s_wait_dscnt 0x1
	v_fmac_f64_e32 v[100:101], v[86:87], v[78:79]
	s_wait_loadcnt 0x2
	s_delay_alu instid0(VALU_DEP_1) | instskip(SKIP_1) | instid1(VALU_DEP_1)
	v_fmac_f64_e32 v[100:101], v[88:89], v[80:81]
	s_wait_dscnt 0x0
	v_fmac_f64_e32 v[100:101], v[90:91], v[82:83]
	ds_load_2addr_b64 v[78:81], v2 offset0:69 offset1:70
	ds_load_b64 v[82:83], v2 offset:568
	s_wait_loadcnt 0x1
	v_fmac_f64_e32 v[100:101], v[92:93], v[84:85]
	s_wait_dscnt 0x1
	s_delay_alu instid0(VALU_DEP_1) | instskip(SKIP_1) | instid1(VALU_DEP_1)
	v_fmac_f64_e32 v[100:101], v[94:95], v[78:79]
	s_wait_loadcnt 0x0
	v_fmac_f64_e32 v[100:101], v[96:97], v[80:81]
	s_wait_dscnt 0x0
	s_delay_alu instid0(VALU_DEP_1) | instskip(NEXT) | instid1(VALU_DEP_1)
	v_fmac_f64_e32 v[100:101], v[98:99], v[82:83]
	v_add_f64_e64 v[76:77], v[76:77], -v[100:101]
	scratch_store_b64 off, v[76:77], off offset:192
	s_wait_xcnt 0x0
	v_cmpx_lt_u32_e32 23, v0
	s_cbranch_execz .LBB99_179
; %bb.178:
	scratch_load_b64 v[76:77], off, off offset:184
	v_mov_b64_e32 v[78:79], 0
	scratch_store_b64 off, v[78:79], off offset:184
	s_wait_loadcnt 0x0
	ds_store_b64 v1, v[76:77]
.LBB99_179:
	s_wait_xcnt 0x0
	s_or_b32 exec_lo, exec_lo, s0
	s_wait_storecnt_dscnt 0x0
	s_barrier_signal -1
	s_barrier_wait -1
	s_clause 0x5
	scratch_load_b128 v[76:79], off, off offset:184
	scratch_load_b128 v[80:83], off, off offset:200
	;; [unrolled: 1-line block ×6, first 2 shown]
	ds_load_b128 v[100:103], v2 offset:480
	ds_load_b128 v[104:107], v2 offset:496
	s_mov_b32 s0, exec_lo
	s_wait_loadcnt_dscnt 0x501
	v_fma_f64 v[100:101], v[78:79], v[100:101], 0
	s_wait_loadcnt 0x4
	s_delay_alu instid0(VALU_DEP_1) | instskip(SKIP_4) | instid1(VALU_DEP_1)
	v_fmac_f64_e32 v[100:101], v[80:81], v[102:103]
	scratch_load_b64 v[102:103], off, off offset:280
	s_wait_dscnt 0x0
	v_fmac_f64_e32 v[100:101], v[82:83], v[104:105]
	s_wait_loadcnt 0x4
	v_fmac_f64_e32 v[100:101], v[84:85], v[106:107]
	ds_load_b128 v[78:81], v2 offset:512
	ds_load_b128 v[82:85], v2 offset:528
	s_wait_dscnt 0x1
	v_fmac_f64_e32 v[100:101], v[86:87], v[78:79]
	s_wait_loadcnt 0x3
	s_delay_alu instid0(VALU_DEP_1) | instskip(SKIP_1) | instid1(VALU_DEP_1)
	v_fmac_f64_e32 v[100:101], v[88:89], v[80:81]
	s_wait_dscnt 0x0
	v_fmac_f64_e32 v[100:101], v[90:91], v[82:83]
	s_wait_loadcnt 0x2
	s_delay_alu instid0(VALU_DEP_1)
	v_fmac_f64_e32 v[100:101], v[92:93], v[84:85]
	ds_load_b128 v[78:81], v2 offset:544
	ds_load_b128 v[82:85], v2 offset:560
	s_wait_dscnt 0x1
	v_fmac_f64_e32 v[100:101], v[94:95], v[78:79]
	s_wait_loadcnt 0x1
	s_delay_alu instid0(VALU_DEP_1) | instskip(SKIP_1) | instid1(VALU_DEP_1)
	v_fmac_f64_e32 v[100:101], v[96:97], v[80:81]
	s_wait_dscnt 0x0
	v_fmac_f64_e32 v[100:101], v[98:99], v[82:83]
	s_wait_loadcnt 0x0
	s_delay_alu instid0(VALU_DEP_1) | instskip(NEXT) | instid1(VALU_DEP_1)
	v_fmac_f64_e32 v[100:101], v[102:103], v[84:85]
	v_add_f64_e64 v[2:3], v[76:77], -v[100:101]
	scratch_store_b64 off, v[2:3], off offset:184
	s_wait_xcnt 0x0
	v_cmpx_lt_u32_e32 22, v0
	s_cbranch_execz .LBB99_181
; %bb.180:
	scratch_load_b64 v[2:3], off, off offset:176
	v_mov_b64_e32 v[76:77], 0
	scratch_store_b64 off, v[76:77], off offset:176
	s_wait_loadcnt 0x0
	ds_store_b64 v1, v[2:3]
.LBB99_181:
	s_wait_xcnt 0x0
	s_or_b32 exec_lo, exec_lo, s0
	s_wait_storecnt_dscnt 0x0
	s_barrier_signal -1
	s_barrier_wait -1
	s_clause 0x5
	scratch_load_b128 v[76:79], off, off offset:176
	scratch_load_b128 v[80:83], off, off offset:192
	;; [unrolled: 1-line block ×6, first 2 shown]
	v_mov_b32_e32 v2, 0
	ds_load_2addr_b64 v[100:103], v2 offset0:59 offset1:60
	ds_load_2addr_b64 v[104:107], v2 offset0:61 offset1:62
	s_mov_b32 s0, exec_lo
	s_wait_loadcnt_dscnt 0x501
	v_fma_f64 v[108:109], v[78:79], v[100:101], 0
	s_wait_loadcnt 0x4
	s_delay_alu instid0(VALU_DEP_1) | instskip(SKIP_4) | instid1(VALU_DEP_1)
	v_fmac_f64_e32 v[108:109], v[80:81], v[102:103]
	scratch_load_b128 v[78:81], off, off offset:272
	s_wait_dscnt 0x0
	v_fmac_f64_e32 v[108:109], v[82:83], v[104:105]
	s_wait_loadcnt 0x4
	v_fmac_f64_e32 v[108:109], v[84:85], v[106:107]
	ds_load_2addr_b64 v[82:85], v2 offset0:63 offset1:64
	ds_load_2addr_b64 v[100:103], v2 offset0:65 offset1:66
	s_wait_dscnt 0x1
	v_fmac_f64_e32 v[108:109], v[86:87], v[82:83]
	s_wait_loadcnt 0x3
	s_delay_alu instid0(VALU_DEP_1)
	v_fmac_f64_e32 v[108:109], v[88:89], v[84:85]
	ds_load_2addr_b64 v[82:85], v2 offset0:67 offset1:68
	ds_load_2addr_b64 v[86:89], v2 offset0:69 offset1:70
	s_wait_dscnt 0x2
	v_fmac_f64_e32 v[108:109], v[90:91], v[100:101]
	s_wait_loadcnt 0x2
	s_delay_alu instid0(VALU_DEP_1) | instskip(SKIP_1) | instid1(VALU_DEP_1)
	v_fmac_f64_e32 v[108:109], v[92:93], v[102:103]
	s_wait_dscnt 0x1
	v_fmac_f64_e32 v[108:109], v[94:95], v[82:83]
	s_wait_loadcnt 0x1
	s_delay_alu instid0(VALU_DEP_1) | instskip(SKIP_1) | instid1(VALU_DEP_1)
	v_fmac_f64_e32 v[108:109], v[96:97], v[84:85]
	s_wait_dscnt 0x0
	v_fmac_f64_e32 v[108:109], v[98:99], v[86:87]
	s_wait_loadcnt 0x0
	s_delay_alu instid0(VALU_DEP_1) | instskip(SKIP_3) | instid1(VALU_DEP_1)
	v_fmac_f64_e32 v[108:109], v[78:79], v[88:89]
	ds_load_b64 v[78:79], v2 offset:568
	s_wait_dscnt 0x0
	v_fmac_f64_e32 v[108:109], v[80:81], v[78:79]
	v_add_f64_e64 v[76:77], v[76:77], -v[108:109]
	scratch_store_b64 off, v[76:77], off offset:176
	s_wait_xcnt 0x0
	v_cmpx_lt_u32_e32 21, v0
	s_cbranch_execz .LBB99_183
; %bb.182:
	scratch_load_b64 v[76:77], off, off offset:168
	v_mov_b64_e32 v[78:79], 0
	scratch_store_b64 off, v[78:79], off offset:168
	s_wait_loadcnt 0x0
	ds_store_b64 v1, v[76:77]
.LBB99_183:
	s_wait_xcnt 0x0
	s_or_b32 exec_lo, exec_lo, s0
	s_wait_storecnt_dscnt 0x0
	s_barrier_signal -1
	s_barrier_wait -1
	s_clause 0x5
	scratch_load_b128 v[76:79], off, off offset:168
	scratch_load_b128 v[80:83], off, off offset:184
	;; [unrolled: 1-line block ×6, first 2 shown]
	ds_load_b128 v[100:103], v2 offset:464
	ds_load_b128 v[104:107], v2 offset:480
	s_mov_b32 s0, exec_lo
	s_wait_loadcnt_dscnt 0x501
	v_fma_f64 v[108:109], v[78:79], v[100:101], 0
	s_wait_loadcnt 0x4
	s_delay_alu instid0(VALU_DEP_1)
	v_fmac_f64_e32 v[108:109], v[80:81], v[102:103]
	scratch_load_b128 v[78:81], off, off offset:264
	s_wait_dscnt 0x0
	v_fmac_f64_e32 v[108:109], v[82:83], v[104:105]
	scratch_load_b64 v[104:105], off, off offset:280
	s_wait_loadcnt 0x5
	v_fmac_f64_e32 v[108:109], v[84:85], v[106:107]
	ds_load_b128 v[82:85], v2 offset:496
	ds_load_b128 v[100:103], v2 offset:512
	s_wait_dscnt 0x1
	v_fmac_f64_e32 v[108:109], v[86:87], v[82:83]
	s_wait_loadcnt 0x4
	s_delay_alu instid0(VALU_DEP_1)
	v_fmac_f64_e32 v[108:109], v[88:89], v[84:85]
	ds_load_b128 v[82:85], v2 offset:528
	ds_load_b128 v[86:89], v2 offset:544
	s_wait_dscnt 0x2
	v_fmac_f64_e32 v[108:109], v[90:91], v[100:101]
	s_wait_loadcnt 0x3
	s_delay_alu instid0(VALU_DEP_1) | instskip(SKIP_1) | instid1(VALU_DEP_1)
	v_fmac_f64_e32 v[108:109], v[92:93], v[102:103]
	s_wait_dscnt 0x1
	v_fmac_f64_e32 v[108:109], v[94:95], v[82:83]
	s_wait_loadcnt 0x2
	s_delay_alu instid0(VALU_DEP_1) | instskip(SKIP_4) | instid1(VALU_DEP_1)
	v_fmac_f64_e32 v[108:109], v[96:97], v[84:85]
	ds_load_b128 v[82:85], v2 offset:560
	s_wait_dscnt 0x1
	v_fmac_f64_e32 v[108:109], v[98:99], v[86:87]
	s_wait_loadcnt 0x1
	v_fmac_f64_e32 v[108:109], v[78:79], v[88:89]
	s_wait_dscnt 0x0
	s_delay_alu instid0(VALU_DEP_1) | instskip(SKIP_1) | instid1(VALU_DEP_1)
	v_fmac_f64_e32 v[108:109], v[80:81], v[82:83]
	s_wait_loadcnt 0x0
	v_fmac_f64_e32 v[108:109], v[104:105], v[84:85]
	s_delay_alu instid0(VALU_DEP_1)
	v_add_f64_e64 v[2:3], v[76:77], -v[108:109]
	scratch_store_b64 off, v[2:3], off offset:168
	s_wait_xcnt 0x0
	v_cmpx_lt_u32_e32 20, v0
	s_cbranch_execz .LBB99_185
; %bb.184:
	scratch_load_b64 v[2:3], off, off offset:160
	v_mov_b64_e32 v[76:77], 0
	scratch_store_b64 off, v[76:77], off offset:160
	s_wait_loadcnt 0x0
	ds_store_b64 v1, v[2:3]
.LBB99_185:
	s_wait_xcnt 0x0
	s_or_b32 exec_lo, exec_lo, s0
	s_wait_storecnt_dscnt 0x0
	s_barrier_signal -1
	s_barrier_wait -1
	s_clause 0x5
	scratch_load_b128 v[76:79], off, off offset:160
	scratch_load_b128 v[80:83], off, off offset:176
	;; [unrolled: 1-line block ×6, first 2 shown]
	v_mov_b32_e32 v2, 0
	ds_load_2addr_b64 v[100:103], v2 offset0:57 offset1:58
	ds_load_2addr_b64 v[104:107], v2 offset0:59 offset1:60
	s_mov_b32 s0, exec_lo
	s_wait_loadcnt_dscnt 0x501
	v_fma_f64 v[108:109], v[78:79], v[100:101], 0
	s_wait_loadcnt 0x4
	s_delay_alu instid0(VALU_DEP_1) | instskip(SKIP_4) | instid1(VALU_DEP_1)
	v_fmac_f64_e32 v[108:109], v[80:81], v[102:103]
	scratch_load_b128 v[78:81], off, off offset:256
	s_wait_dscnt 0x0
	v_fmac_f64_e32 v[108:109], v[82:83], v[104:105]
	s_wait_loadcnt 0x4
	v_fmac_f64_e32 v[108:109], v[84:85], v[106:107]
	scratch_load_b128 v[82:85], off, off offset:272
	ds_load_2addr_b64 v[100:103], v2 offset0:61 offset1:62
	ds_load_2addr_b64 v[104:107], v2 offset0:63 offset1:64
	s_wait_dscnt 0x1
	v_fmac_f64_e32 v[108:109], v[86:87], v[100:101]
	s_wait_loadcnt 0x4
	s_delay_alu instid0(VALU_DEP_1) | instskip(SKIP_1) | instid1(VALU_DEP_1)
	v_fmac_f64_e32 v[108:109], v[88:89], v[102:103]
	s_wait_dscnt 0x0
	v_fmac_f64_e32 v[108:109], v[90:91], v[104:105]
	s_wait_loadcnt 0x3
	s_delay_alu instid0(VALU_DEP_1)
	v_fmac_f64_e32 v[108:109], v[92:93], v[106:107]
	ds_load_2addr_b64 v[86:89], v2 offset0:65 offset1:66
	ds_load_2addr_b64 v[90:93], v2 offset0:67 offset1:68
	s_wait_dscnt 0x1
	v_fmac_f64_e32 v[108:109], v[94:95], v[86:87]
	s_wait_loadcnt 0x2
	s_delay_alu instid0(VALU_DEP_1) | instskip(SKIP_1) | instid1(VALU_DEP_1)
	v_fmac_f64_e32 v[108:109], v[96:97], v[88:89]
	s_wait_dscnt 0x0
	v_fmac_f64_e32 v[108:109], v[98:99], v[90:91]
	s_wait_loadcnt 0x1
	s_delay_alu instid0(VALU_DEP_1)
	v_fmac_f64_e32 v[108:109], v[78:79], v[92:93]
	ds_load_2addr_b64 v[86:89], v2 offset0:69 offset1:70
	ds_load_b64 v[78:79], v2 offset:568
	s_wait_dscnt 0x1
	v_fmac_f64_e32 v[108:109], v[80:81], v[86:87]
	s_wait_loadcnt 0x0
	s_delay_alu instid0(VALU_DEP_1) | instskip(SKIP_1) | instid1(VALU_DEP_1)
	v_fmac_f64_e32 v[108:109], v[82:83], v[88:89]
	s_wait_dscnt 0x0
	v_fmac_f64_e32 v[108:109], v[84:85], v[78:79]
	s_delay_alu instid0(VALU_DEP_1)
	v_add_f64_e64 v[76:77], v[76:77], -v[108:109]
	scratch_store_b64 off, v[76:77], off offset:160
	s_wait_xcnt 0x0
	v_cmpx_lt_u32_e32 19, v0
	s_cbranch_execz .LBB99_187
; %bb.186:
	scratch_load_b64 v[76:77], off, off offset:152
	v_mov_b64_e32 v[78:79], 0
	scratch_store_b64 off, v[78:79], off offset:152
	s_wait_loadcnt 0x0
	ds_store_b64 v1, v[76:77]
.LBB99_187:
	s_wait_xcnt 0x0
	s_or_b32 exec_lo, exec_lo, s0
	s_wait_storecnt_dscnt 0x0
	s_barrier_signal -1
	s_barrier_wait -1
	s_clause 0x5
	scratch_load_b128 v[76:79], off, off offset:152
	scratch_load_b128 v[80:83], off, off offset:168
	;; [unrolled: 1-line block ×6, first 2 shown]
	ds_load_b128 v[100:103], v2 offset:448
	ds_load_b128 v[104:107], v2 offset:464
	s_mov_b32 s0, exec_lo
	s_wait_loadcnt_dscnt 0x501
	v_fma_f64 v[108:109], v[78:79], v[100:101], 0
	s_wait_loadcnt 0x4
	s_delay_alu instid0(VALU_DEP_1) | instskip(SKIP_4) | instid1(VALU_DEP_1)
	v_fmac_f64_e32 v[108:109], v[80:81], v[102:103]
	scratch_load_b128 v[78:81], off, off offset:248
	s_wait_dscnt 0x0
	v_fmac_f64_e32 v[108:109], v[82:83], v[104:105]
	s_wait_loadcnt 0x4
	v_fmac_f64_e32 v[108:109], v[84:85], v[106:107]
	scratch_load_b128 v[82:85], off, off offset:264
	ds_load_b128 v[100:103], v2 offset:480
	ds_load_b128 v[104:107], v2 offset:496
	s_wait_dscnt 0x1
	v_fmac_f64_e32 v[108:109], v[86:87], v[100:101]
	scratch_load_b64 v[100:101], off, off offset:280
	s_wait_loadcnt 0x5
	v_fmac_f64_e32 v[108:109], v[88:89], v[102:103]
	s_wait_dscnt 0x0
	s_delay_alu instid0(VALU_DEP_1) | instskip(SKIP_1) | instid1(VALU_DEP_1)
	v_fmac_f64_e32 v[108:109], v[90:91], v[104:105]
	s_wait_loadcnt 0x4
	v_fmac_f64_e32 v[108:109], v[92:93], v[106:107]
	ds_load_b128 v[86:89], v2 offset:512
	ds_load_b128 v[90:93], v2 offset:528
	s_wait_dscnt 0x1
	v_fmac_f64_e32 v[108:109], v[94:95], v[86:87]
	s_wait_loadcnt 0x3
	s_delay_alu instid0(VALU_DEP_1) | instskip(SKIP_1) | instid1(VALU_DEP_1)
	v_fmac_f64_e32 v[108:109], v[96:97], v[88:89]
	s_wait_dscnt 0x0
	v_fmac_f64_e32 v[108:109], v[98:99], v[90:91]
	s_wait_loadcnt 0x2
	s_delay_alu instid0(VALU_DEP_1)
	v_fmac_f64_e32 v[108:109], v[78:79], v[92:93]
	ds_load_b128 v[86:89], v2 offset:544
	ds_load_b128 v[90:93], v2 offset:560
	s_wait_dscnt 0x1
	v_fmac_f64_e32 v[108:109], v[80:81], v[86:87]
	s_wait_loadcnt 0x1
	s_delay_alu instid0(VALU_DEP_1) | instskip(SKIP_1) | instid1(VALU_DEP_1)
	v_fmac_f64_e32 v[108:109], v[82:83], v[88:89]
	s_wait_dscnt 0x0
	v_fmac_f64_e32 v[108:109], v[84:85], v[90:91]
	s_wait_loadcnt 0x0
	s_delay_alu instid0(VALU_DEP_1) | instskip(NEXT) | instid1(VALU_DEP_1)
	v_fmac_f64_e32 v[108:109], v[100:101], v[92:93]
	v_add_f64_e64 v[2:3], v[76:77], -v[108:109]
	scratch_store_b64 off, v[2:3], off offset:152
	s_wait_xcnt 0x0
	v_cmpx_lt_u32_e32 18, v0
	s_cbranch_execz .LBB99_189
; %bb.188:
	scratch_load_b64 v[2:3], off, off offset:144
	v_mov_b64_e32 v[76:77], 0
	scratch_store_b64 off, v[76:77], off offset:144
	s_wait_loadcnt 0x0
	ds_store_b64 v1, v[2:3]
.LBB99_189:
	s_wait_xcnt 0x0
	s_or_b32 exec_lo, exec_lo, s0
	s_wait_storecnt_dscnt 0x0
	s_barrier_signal -1
	s_barrier_wait -1
	s_clause 0x5
	scratch_load_b128 v[76:79], off, off offset:144
	scratch_load_b128 v[80:83], off, off offset:160
	;; [unrolled: 1-line block ×6, first 2 shown]
	v_mov_b32_e32 v2, 0
	ds_load_2addr_b64 v[100:103], v2 offset0:55 offset1:56
	ds_load_2addr_b64 v[104:107], v2 offset0:57 offset1:58
	s_mov_b32 s0, exec_lo
	s_wait_loadcnt_dscnt 0x501
	v_fma_f64 v[108:109], v[78:79], v[100:101], 0
	s_wait_loadcnt 0x4
	s_delay_alu instid0(VALU_DEP_1) | instskip(SKIP_4) | instid1(VALU_DEP_1)
	v_fmac_f64_e32 v[108:109], v[80:81], v[102:103]
	scratch_load_b128 v[78:81], off, off offset:240
	s_wait_dscnt 0x0
	v_fmac_f64_e32 v[108:109], v[82:83], v[104:105]
	s_wait_loadcnt 0x4
	v_fmac_f64_e32 v[108:109], v[84:85], v[106:107]
	scratch_load_b128 v[82:85], off, off offset:256
	ds_load_2addr_b64 v[100:103], v2 offset0:59 offset1:60
	ds_load_2addr_b64 v[104:107], v2 offset0:61 offset1:62
	s_wait_dscnt 0x1
	v_fmac_f64_e32 v[108:109], v[86:87], v[100:101]
	s_wait_loadcnt 0x4
	s_delay_alu instid0(VALU_DEP_1) | instskip(SKIP_4) | instid1(VALU_DEP_1)
	v_fmac_f64_e32 v[108:109], v[88:89], v[102:103]
	scratch_load_b128 v[86:89], off, off offset:272
	s_wait_dscnt 0x0
	v_fmac_f64_e32 v[108:109], v[90:91], v[104:105]
	s_wait_loadcnt 0x4
	v_fmac_f64_e32 v[108:109], v[92:93], v[106:107]
	ds_load_2addr_b64 v[90:93], v2 offset0:63 offset1:64
	ds_load_2addr_b64 v[100:103], v2 offset0:65 offset1:66
	s_wait_dscnt 0x1
	v_fmac_f64_e32 v[108:109], v[94:95], v[90:91]
	s_wait_loadcnt 0x3
	s_delay_alu instid0(VALU_DEP_1)
	v_fmac_f64_e32 v[108:109], v[96:97], v[92:93]
	ds_load_2addr_b64 v[90:93], v2 offset0:67 offset1:68
	ds_load_2addr_b64 v[94:97], v2 offset0:69 offset1:70
	s_wait_dscnt 0x2
	v_fmac_f64_e32 v[108:109], v[98:99], v[100:101]
	s_wait_loadcnt 0x2
	s_delay_alu instid0(VALU_DEP_1) | instskip(SKIP_4) | instid1(VALU_DEP_1)
	v_fmac_f64_e32 v[108:109], v[78:79], v[102:103]
	ds_load_b64 v[78:79], v2 offset:568
	s_wait_dscnt 0x2
	v_fmac_f64_e32 v[108:109], v[80:81], v[90:91]
	s_wait_loadcnt 0x1
	v_fmac_f64_e32 v[108:109], v[82:83], v[92:93]
	s_wait_dscnt 0x1
	s_delay_alu instid0(VALU_DEP_1) | instskip(SKIP_1) | instid1(VALU_DEP_1)
	v_fmac_f64_e32 v[108:109], v[84:85], v[94:95]
	s_wait_loadcnt 0x0
	v_fmac_f64_e32 v[108:109], v[86:87], v[96:97]
	s_wait_dscnt 0x0
	s_delay_alu instid0(VALU_DEP_1) | instskip(NEXT) | instid1(VALU_DEP_1)
	v_fmac_f64_e32 v[108:109], v[88:89], v[78:79]
	v_add_f64_e64 v[76:77], v[76:77], -v[108:109]
	scratch_store_b64 off, v[76:77], off offset:144
	s_wait_xcnt 0x0
	v_cmpx_lt_u32_e32 17, v0
	s_cbranch_execz .LBB99_191
; %bb.190:
	scratch_load_b64 v[76:77], off, off offset:136
	v_mov_b64_e32 v[78:79], 0
	scratch_store_b64 off, v[78:79], off offset:136
	s_wait_loadcnt 0x0
	ds_store_b64 v1, v[76:77]
.LBB99_191:
	s_wait_xcnt 0x0
	s_or_b32 exec_lo, exec_lo, s0
	s_wait_storecnt_dscnt 0x0
	s_barrier_signal -1
	s_barrier_wait -1
	s_clause 0x5
	scratch_load_b128 v[76:79], off, off offset:136
	scratch_load_b128 v[80:83], off, off offset:152
	;; [unrolled: 1-line block ×6, first 2 shown]
	ds_load_b128 v[100:103], v2 offset:432
	ds_load_b128 v[104:107], v2 offset:448
	s_mov_b32 s0, exec_lo
	s_wait_loadcnt_dscnt 0x501
	v_fma_f64 v[108:109], v[78:79], v[100:101], 0
	s_wait_loadcnt 0x4
	s_delay_alu instid0(VALU_DEP_1) | instskip(SKIP_4) | instid1(VALU_DEP_1)
	v_fmac_f64_e32 v[108:109], v[80:81], v[102:103]
	scratch_load_b128 v[78:81], off, off offset:232
	s_wait_dscnt 0x0
	v_fmac_f64_e32 v[108:109], v[82:83], v[104:105]
	s_wait_loadcnt 0x4
	v_fmac_f64_e32 v[108:109], v[84:85], v[106:107]
	scratch_load_b128 v[82:85], off, off offset:248
	ds_load_b128 v[100:103], v2 offset:464
	ds_load_b128 v[104:107], v2 offset:480
	s_wait_dscnt 0x1
	v_fmac_f64_e32 v[108:109], v[86:87], v[100:101]
	s_wait_loadcnt 0x4
	s_delay_alu instid0(VALU_DEP_1)
	v_fmac_f64_e32 v[108:109], v[88:89], v[102:103]
	scratch_load_b128 v[86:89], off, off offset:264
	s_wait_dscnt 0x0
	v_fmac_f64_e32 v[108:109], v[90:91], v[104:105]
	scratch_load_b64 v[104:105], off, off offset:280
	s_wait_loadcnt 0x5
	v_fmac_f64_e32 v[108:109], v[92:93], v[106:107]
	ds_load_b128 v[90:93], v2 offset:496
	ds_load_b128 v[100:103], v2 offset:512
	s_wait_dscnt 0x1
	v_fmac_f64_e32 v[108:109], v[94:95], v[90:91]
	s_wait_loadcnt 0x4
	s_delay_alu instid0(VALU_DEP_1)
	v_fmac_f64_e32 v[108:109], v[96:97], v[92:93]
	ds_load_b128 v[90:93], v2 offset:528
	ds_load_b128 v[94:97], v2 offset:544
	s_wait_dscnt 0x2
	v_fmac_f64_e32 v[108:109], v[98:99], v[100:101]
	s_wait_loadcnt 0x3
	s_delay_alu instid0(VALU_DEP_1) | instskip(SKIP_1) | instid1(VALU_DEP_1)
	v_fmac_f64_e32 v[108:109], v[78:79], v[102:103]
	s_wait_dscnt 0x1
	v_fmac_f64_e32 v[108:109], v[80:81], v[90:91]
	ds_load_b128 v[78:81], v2 offset:560
	s_wait_loadcnt 0x2
	v_fmac_f64_e32 v[108:109], v[82:83], v[92:93]
	s_wait_dscnt 0x1
	s_delay_alu instid0(VALU_DEP_1) | instskip(SKIP_1) | instid1(VALU_DEP_1)
	v_fmac_f64_e32 v[108:109], v[84:85], v[94:95]
	s_wait_loadcnt 0x1
	v_fmac_f64_e32 v[108:109], v[86:87], v[96:97]
	s_wait_dscnt 0x0
	s_delay_alu instid0(VALU_DEP_1) | instskip(SKIP_1) | instid1(VALU_DEP_1)
	v_fmac_f64_e32 v[108:109], v[88:89], v[78:79]
	s_wait_loadcnt 0x0
	v_fmac_f64_e32 v[108:109], v[104:105], v[80:81]
	s_delay_alu instid0(VALU_DEP_1)
	v_add_f64_e64 v[2:3], v[76:77], -v[108:109]
	scratch_store_b64 off, v[2:3], off offset:136
	s_wait_xcnt 0x0
	v_cmpx_lt_u32_e32 16, v0
	s_cbranch_execz .LBB99_193
; %bb.192:
	scratch_load_b64 v[2:3], off, off offset:128
	v_mov_b64_e32 v[76:77], 0
	scratch_store_b64 off, v[76:77], off offset:128
	s_wait_loadcnt 0x0
	ds_store_b64 v1, v[2:3]
.LBB99_193:
	s_wait_xcnt 0x0
	s_or_b32 exec_lo, exec_lo, s0
	s_wait_storecnt_dscnt 0x0
	s_barrier_signal -1
	s_barrier_wait -1
	s_clause 0x5
	scratch_load_b128 v[76:79], off, off offset:128
	scratch_load_b128 v[80:83], off, off offset:144
	;; [unrolled: 1-line block ×6, first 2 shown]
	v_mov_b32_e32 v2, 0
	ds_load_2addr_b64 v[100:103], v2 offset0:53 offset1:54
	ds_load_2addr_b64 v[104:107], v2 offset0:55 offset1:56
	s_mov_b32 s0, exec_lo
	s_wait_loadcnt_dscnt 0x501
	v_fma_f64 v[108:109], v[78:79], v[100:101], 0
	s_wait_loadcnt 0x4
	s_delay_alu instid0(VALU_DEP_1) | instskip(SKIP_4) | instid1(VALU_DEP_1)
	v_fmac_f64_e32 v[108:109], v[80:81], v[102:103]
	scratch_load_b128 v[78:81], off, off offset:224
	s_wait_dscnt 0x0
	v_fmac_f64_e32 v[108:109], v[82:83], v[104:105]
	s_wait_loadcnt 0x4
	v_fmac_f64_e32 v[108:109], v[84:85], v[106:107]
	scratch_load_b128 v[82:85], off, off offset:240
	ds_load_2addr_b64 v[100:103], v2 offset0:57 offset1:58
	ds_load_2addr_b64 v[104:107], v2 offset0:59 offset1:60
	s_wait_dscnt 0x1
	v_fmac_f64_e32 v[108:109], v[86:87], v[100:101]
	s_wait_loadcnt 0x4
	s_delay_alu instid0(VALU_DEP_1) | instskip(SKIP_4) | instid1(VALU_DEP_1)
	v_fmac_f64_e32 v[108:109], v[88:89], v[102:103]
	scratch_load_b128 v[86:89], off, off offset:256
	s_wait_dscnt 0x0
	v_fmac_f64_e32 v[108:109], v[90:91], v[104:105]
	s_wait_loadcnt 0x4
	v_fmac_f64_e32 v[108:109], v[92:93], v[106:107]
	scratch_load_b128 v[90:93], off, off offset:272
	ds_load_2addr_b64 v[100:103], v2 offset0:61 offset1:62
	ds_load_2addr_b64 v[104:107], v2 offset0:63 offset1:64
	s_wait_dscnt 0x1
	v_fmac_f64_e32 v[108:109], v[94:95], v[100:101]
	s_wait_loadcnt 0x4
	s_delay_alu instid0(VALU_DEP_1) | instskip(SKIP_1) | instid1(VALU_DEP_1)
	v_fmac_f64_e32 v[108:109], v[96:97], v[102:103]
	s_wait_dscnt 0x0
	v_fmac_f64_e32 v[108:109], v[98:99], v[104:105]
	ds_load_2addr_b64 v[94:97], v2 offset0:65 offset1:66
	ds_load_2addr_b64 v[98:101], v2 offset0:67 offset1:68
	s_wait_loadcnt 0x3
	v_fmac_f64_e32 v[108:109], v[78:79], v[106:107]
	s_wait_dscnt 0x1
	s_delay_alu instid0(VALU_DEP_1) | instskip(SKIP_1) | instid1(VALU_DEP_1)
	v_fmac_f64_e32 v[108:109], v[80:81], v[94:95]
	s_wait_loadcnt 0x2
	v_fmac_f64_e32 v[108:109], v[82:83], v[96:97]
	ds_load_2addr_b64 v[78:81], v2 offset0:69 offset1:70
	ds_load_b64 v[82:83], v2 offset:568
	s_wait_dscnt 0x2
	v_fmac_f64_e32 v[108:109], v[84:85], v[98:99]
	s_wait_loadcnt 0x1
	s_delay_alu instid0(VALU_DEP_1) | instskip(SKIP_1) | instid1(VALU_DEP_1)
	v_fmac_f64_e32 v[108:109], v[86:87], v[100:101]
	s_wait_dscnt 0x1
	v_fmac_f64_e32 v[108:109], v[88:89], v[78:79]
	s_wait_loadcnt 0x0
	s_delay_alu instid0(VALU_DEP_1) | instskip(SKIP_1) | instid1(VALU_DEP_1)
	v_fmac_f64_e32 v[108:109], v[90:91], v[80:81]
	s_wait_dscnt 0x0
	v_fmac_f64_e32 v[108:109], v[92:93], v[82:83]
	s_delay_alu instid0(VALU_DEP_1)
	v_add_f64_e64 v[76:77], v[76:77], -v[108:109]
	scratch_store_b64 off, v[76:77], off offset:128
	s_wait_xcnt 0x0
	v_cmpx_lt_u32_e32 15, v0
	s_cbranch_execz .LBB99_195
; %bb.194:
	scratch_load_b64 v[76:77], off, off offset:120
	v_mov_b64_e32 v[78:79], 0
	scratch_store_b64 off, v[78:79], off offset:120
	s_wait_loadcnt 0x0
	ds_store_b64 v1, v[76:77]
.LBB99_195:
	s_wait_xcnt 0x0
	s_or_b32 exec_lo, exec_lo, s0
	s_wait_storecnt_dscnt 0x0
	s_barrier_signal -1
	s_barrier_wait -1
	s_clause 0x5
	scratch_load_b128 v[76:79], off, off offset:120
	scratch_load_b128 v[80:83], off, off offset:136
	;; [unrolled: 1-line block ×6, first 2 shown]
	ds_load_b128 v[100:103], v2 offset:416
	ds_load_b128 v[104:107], v2 offset:432
	s_mov_b32 s0, exec_lo
	s_wait_loadcnt_dscnt 0x501
	v_fma_f64 v[108:109], v[78:79], v[100:101], 0
	s_wait_loadcnt 0x4
	s_delay_alu instid0(VALU_DEP_1) | instskip(SKIP_4) | instid1(VALU_DEP_1)
	v_fmac_f64_e32 v[108:109], v[80:81], v[102:103]
	scratch_load_b128 v[78:81], off, off offset:216
	s_wait_dscnt 0x0
	v_fmac_f64_e32 v[108:109], v[82:83], v[104:105]
	s_wait_loadcnt 0x4
	v_fmac_f64_e32 v[108:109], v[84:85], v[106:107]
	scratch_load_b128 v[82:85], off, off offset:232
	ds_load_b128 v[100:103], v2 offset:448
	ds_load_b128 v[104:107], v2 offset:464
	s_wait_dscnt 0x1
	v_fmac_f64_e32 v[108:109], v[86:87], v[100:101]
	s_wait_loadcnt 0x4
	s_delay_alu instid0(VALU_DEP_1) | instskip(SKIP_4) | instid1(VALU_DEP_1)
	v_fmac_f64_e32 v[108:109], v[88:89], v[102:103]
	scratch_load_b128 v[86:89], off, off offset:248
	s_wait_dscnt 0x0
	v_fmac_f64_e32 v[108:109], v[90:91], v[104:105]
	s_wait_loadcnt 0x4
	v_fmac_f64_e32 v[108:109], v[92:93], v[106:107]
	scratch_load_b128 v[90:93], off, off offset:264
	ds_load_b128 v[100:103], v2 offset:480
	ds_load_b128 v[104:107], v2 offset:496
	s_wait_dscnt 0x1
	v_fmac_f64_e32 v[108:109], v[94:95], v[100:101]
	s_wait_loadcnt 0x4
	s_delay_alu instid0(VALU_DEP_1)
	v_fmac_f64_e32 v[108:109], v[96:97], v[102:103]
	scratch_load_b64 v[102:103], off, off offset:280
	s_wait_dscnt 0x0
	v_fmac_f64_e32 v[108:109], v[98:99], v[104:105]
	ds_load_b128 v[94:97], v2 offset:512
	ds_load_b128 v[98:101], v2 offset:528
	s_wait_loadcnt 0x4
	v_fmac_f64_e32 v[108:109], v[78:79], v[106:107]
	s_wait_dscnt 0x1
	s_delay_alu instid0(VALU_DEP_1) | instskip(SKIP_1) | instid1(VALU_DEP_1)
	v_fmac_f64_e32 v[108:109], v[80:81], v[94:95]
	s_wait_loadcnt 0x3
	v_fmac_f64_e32 v[108:109], v[82:83], v[96:97]
	s_wait_dscnt 0x0
	s_delay_alu instid0(VALU_DEP_1)
	v_fmac_f64_e32 v[108:109], v[84:85], v[98:99]
	ds_load_b128 v[78:81], v2 offset:544
	ds_load_b128 v[82:85], v2 offset:560
	s_wait_loadcnt 0x2
	v_fmac_f64_e32 v[108:109], v[86:87], v[100:101]
	s_wait_dscnt 0x1
	s_delay_alu instid0(VALU_DEP_1) | instskip(SKIP_1) | instid1(VALU_DEP_1)
	v_fmac_f64_e32 v[108:109], v[88:89], v[78:79]
	s_wait_loadcnt 0x1
	v_fmac_f64_e32 v[108:109], v[90:91], v[80:81]
	s_wait_dscnt 0x0
	s_delay_alu instid0(VALU_DEP_1) | instskip(SKIP_1) | instid1(VALU_DEP_1)
	v_fmac_f64_e32 v[108:109], v[92:93], v[82:83]
	s_wait_loadcnt 0x0
	v_fmac_f64_e32 v[108:109], v[102:103], v[84:85]
	s_delay_alu instid0(VALU_DEP_1)
	v_add_f64_e64 v[2:3], v[76:77], -v[108:109]
	scratch_store_b64 off, v[2:3], off offset:120
	s_wait_xcnt 0x0
	v_cmpx_lt_u32_e32 14, v0
	s_cbranch_execz .LBB99_197
; %bb.196:
	scratch_load_b64 v[2:3], off, off offset:112
	v_mov_b64_e32 v[76:77], 0
	scratch_store_b64 off, v[76:77], off offset:112
	s_wait_loadcnt 0x0
	ds_store_b64 v1, v[2:3]
.LBB99_197:
	s_wait_xcnt 0x0
	s_or_b32 exec_lo, exec_lo, s0
	s_wait_storecnt_dscnt 0x0
	s_barrier_signal -1
	s_barrier_wait -1
	s_clause 0x5
	scratch_load_b128 v[76:79], off, off offset:112
	scratch_load_b128 v[80:83], off, off offset:128
	;; [unrolled: 1-line block ×6, first 2 shown]
	v_mov_b32_e32 v2, 0
	ds_load_2addr_b64 v[100:103], v2 offset0:51 offset1:52
	ds_load_2addr_b64 v[104:107], v2 offset0:53 offset1:54
	s_mov_b32 s0, exec_lo
	s_wait_loadcnt_dscnt 0x501
	v_fma_f64 v[108:109], v[78:79], v[100:101], 0
	s_wait_loadcnt 0x4
	s_delay_alu instid0(VALU_DEP_1) | instskip(SKIP_4) | instid1(VALU_DEP_1)
	v_fmac_f64_e32 v[108:109], v[80:81], v[102:103]
	scratch_load_b128 v[78:81], off, off offset:208
	s_wait_dscnt 0x0
	v_fmac_f64_e32 v[108:109], v[82:83], v[104:105]
	s_wait_loadcnt 0x4
	v_fmac_f64_e32 v[108:109], v[84:85], v[106:107]
	scratch_load_b128 v[82:85], off, off offset:224
	ds_load_2addr_b64 v[100:103], v2 offset0:55 offset1:56
	ds_load_2addr_b64 v[104:107], v2 offset0:57 offset1:58
	s_wait_dscnt 0x1
	v_fmac_f64_e32 v[108:109], v[86:87], v[100:101]
	s_wait_loadcnt 0x4
	s_delay_alu instid0(VALU_DEP_1) | instskip(SKIP_4) | instid1(VALU_DEP_1)
	v_fmac_f64_e32 v[108:109], v[88:89], v[102:103]
	scratch_load_b128 v[86:89], off, off offset:240
	s_wait_dscnt 0x0
	v_fmac_f64_e32 v[108:109], v[90:91], v[104:105]
	s_wait_loadcnt 0x4
	v_fmac_f64_e32 v[108:109], v[92:93], v[106:107]
	scratch_load_b128 v[90:93], off, off offset:256
	ds_load_2addr_b64 v[100:103], v2 offset0:59 offset1:60
	ds_load_2addr_b64 v[104:107], v2 offset0:61 offset1:62
	s_wait_dscnt 0x1
	v_fmac_f64_e32 v[108:109], v[94:95], v[100:101]
	s_wait_loadcnt 0x4
	s_delay_alu instid0(VALU_DEP_1)
	v_fmac_f64_e32 v[108:109], v[96:97], v[102:103]
	scratch_load_b128 v[94:97], off, off offset:272
	s_wait_dscnt 0x0
	v_fmac_f64_e32 v[108:109], v[98:99], v[104:105]
	ds_load_2addr_b64 v[98:101], v2 offset0:63 offset1:64
	ds_load_2addr_b64 v[102:105], v2 offset0:65 offset1:66
	s_wait_loadcnt 0x4
	v_fmac_f64_e32 v[108:109], v[78:79], v[106:107]
	s_wait_dscnt 0x1
	s_delay_alu instid0(VALU_DEP_1) | instskip(SKIP_1) | instid1(VALU_DEP_1)
	v_fmac_f64_e32 v[108:109], v[80:81], v[98:99]
	s_wait_loadcnt 0x3
	v_fmac_f64_e32 v[108:109], v[82:83], v[100:101]
	s_wait_dscnt 0x0
	s_delay_alu instid0(VALU_DEP_1)
	v_fmac_f64_e32 v[108:109], v[84:85], v[102:103]
	ds_load_2addr_b64 v[78:81], v2 offset0:67 offset1:68
	ds_load_2addr_b64 v[82:85], v2 offset0:69 offset1:70
	s_wait_loadcnt 0x2
	v_fmac_f64_e32 v[108:109], v[86:87], v[104:105]
	s_wait_dscnt 0x1
	s_delay_alu instid0(VALU_DEP_1) | instskip(SKIP_4) | instid1(VALU_DEP_1)
	v_fmac_f64_e32 v[108:109], v[88:89], v[78:79]
	ds_load_b64 v[78:79], v2 offset:568
	s_wait_loadcnt 0x1
	v_fmac_f64_e32 v[108:109], v[90:91], v[80:81]
	s_wait_dscnt 0x1
	v_fmac_f64_e32 v[108:109], v[92:93], v[82:83]
	s_wait_loadcnt 0x0
	s_delay_alu instid0(VALU_DEP_1) | instskip(SKIP_1) | instid1(VALU_DEP_1)
	v_fmac_f64_e32 v[108:109], v[94:95], v[84:85]
	s_wait_dscnt 0x0
	v_fmac_f64_e32 v[108:109], v[96:97], v[78:79]
	s_delay_alu instid0(VALU_DEP_1)
	v_add_f64_e64 v[76:77], v[76:77], -v[108:109]
	scratch_store_b64 off, v[76:77], off offset:112
	s_wait_xcnt 0x0
	v_cmpx_lt_u32_e32 13, v0
	s_cbranch_execz .LBB99_199
; %bb.198:
	scratch_load_b64 v[76:77], off, off offset:104
	v_mov_b64_e32 v[78:79], 0
	scratch_store_b64 off, v[78:79], off offset:104
	s_wait_loadcnt 0x0
	ds_store_b64 v1, v[76:77]
.LBB99_199:
	s_wait_xcnt 0x0
	s_or_b32 exec_lo, exec_lo, s0
	s_wait_storecnt_dscnt 0x0
	s_barrier_signal -1
	s_barrier_wait -1
	s_clause 0x5
	scratch_load_b128 v[76:79], off, off offset:104
	scratch_load_b128 v[80:83], off, off offset:120
	;; [unrolled: 1-line block ×6, first 2 shown]
	ds_load_b128 v[100:103], v2 offset:400
	ds_load_b128 v[104:107], v2 offset:416
	scratch_load_b128 v[108:111], off, off offset:200
	s_mov_b32 s0, exec_lo
	s_wait_loadcnt_dscnt 0x601
	v_fma_f64 v[112:113], v[78:79], v[100:101], 0
	s_wait_loadcnt 0x5
	s_delay_alu instid0(VALU_DEP_1) | instskip(SKIP_4) | instid1(VALU_DEP_1)
	v_fmac_f64_e32 v[112:113], v[80:81], v[102:103]
	scratch_load_b128 v[78:81], off, off offset:216
	s_wait_dscnt 0x0
	v_fmac_f64_e32 v[112:113], v[82:83], v[104:105]
	s_wait_loadcnt 0x5
	v_fmac_f64_e32 v[112:113], v[84:85], v[106:107]
	ds_load_b128 v[82:85], v2 offset:432
	ds_load_b128 v[100:103], v2 offset:448
	s_wait_dscnt 0x1
	v_fmac_f64_e32 v[112:113], v[86:87], v[82:83]
	s_wait_loadcnt 0x4
	s_delay_alu instid0(VALU_DEP_1)
	v_fmac_f64_e32 v[112:113], v[88:89], v[84:85]
	s_clause 0x1
	scratch_load_b128 v[82:85], off, off offset:232
	scratch_load_b128 v[86:89], off, off offset:248
	s_wait_dscnt 0x0
	v_fmac_f64_e32 v[112:113], v[90:91], v[100:101]
	s_wait_loadcnt 0x5
	s_delay_alu instid0(VALU_DEP_1)
	v_fmac_f64_e32 v[112:113], v[92:93], v[102:103]
	ds_load_b128 v[90:93], v2 offset:464
	ds_load_b128 v[100:103], v2 offset:480
	s_wait_dscnt 0x1
	v_fmac_f64_e32 v[112:113], v[94:95], v[90:91]
	s_wait_loadcnt 0x4
	s_delay_alu instid0(VALU_DEP_1) | instskip(SKIP_4) | instid1(VALU_DEP_1)
	v_fmac_f64_e32 v[112:113], v[96:97], v[92:93]
	scratch_load_b128 v[90:93], off, off offset:264
	s_wait_dscnt 0x0
	v_fmac_f64_e32 v[112:113], v[98:99], v[100:101]
	s_wait_loadcnt 0x4
	v_fmac_f64_e32 v[112:113], v[108:109], v[102:103]
	scratch_load_b64 v[102:103], off, off offset:280
	ds_load_b128 v[94:97], v2 offset:496
	ds_load_b128 v[98:101], v2 offset:512
	s_wait_dscnt 0x1
	v_fmac_f64_e32 v[112:113], v[110:111], v[94:95]
	s_wait_loadcnt 0x4
	s_delay_alu instid0(VALU_DEP_1) | instskip(SKIP_1) | instid1(VALU_DEP_1)
	v_fmac_f64_e32 v[112:113], v[78:79], v[96:97]
	s_wait_dscnt 0x0
	v_fmac_f64_e32 v[112:113], v[80:81], v[98:99]
	ds_load_b128 v[78:81], v2 offset:528
	ds_load_b128 v[94:97], v2 offset:544
	s_wait_loadcnt 0x3
	v_fmac_f64_e32 v[112:113], v[82:83], v[100:101]
	s_wait_dscnt 0x1
	s_delay_alu instid0(VALU_DEP_1) | instskip(SKIP_1) | instid1(VALU_DEP_1)
	v_fmac_f64_e32 v[112:113], v[84:85], v[78:79]
	s_wait_loadcnt 0x2
	v_fmac_f64_e32 v[112:113], v[86:87], v[80:81]
	ds_load_b128 v[78:81], v2 offset:560
	s_wait_dscnt 0x1
	v_fmac_f64_e32 v[112:113], v[88:89], v[94:95]
	s_wait_loadcnt 0x1
	s_delay_alu instid0(VALU_DEP_1) | instskip(SKIP_1) | instid1(VALU_DEP_1)
	v_fmac_f64_e32 v[112:113], v[90:91], v[96:97]
	s_wait_dscnt 0x0
	v_fmac_f64_e32 v[112:113], v[92:93], v[78:79]
	s_wait_loadcnt 0x0
	s_delay_alu instid0(VALU_DEP_1) | instskip(NEXT) | instid1(VALU_DEP_1)
	v_fmac_f64_e32 v[112:113], v[102:103], v[80:81]
	v_add_f64_e64 v[2:3], v[76:77], -v[112:113]
	scratch_store_b64 off, v[2:3], off offset:104
	s_wait_xcnt 0x0
	v_cmpx_lt_u32_e32 12, v0
	s_cbranch_execz .LBB99_201
; %bb.200:
	scratch_load_b64 v[2:3], off, off offset:96
	v_mov_b64_e32 v[76:77], 0
	scratch_store_b64 off, v[76:77], off offset:96
	s_wait_loadcnt 0x0
	ds_store_b64 v1, v[2:3]
.LBB99_201:
	s_wait_xcnt 0x0
	s_or_b32 exec_lo, exec_lo, s0
	s_wait_storecnt_dscnt 0x0
	s_barrier_signal -1
	s_barrier_wait -1
	s_clause 0x5
	scratch_load_b128 v[76:79], off, off offset:96
	scratch_load_b128 v[80:83], off, off offset:112
	;; [unrolled: 1-line block ×6, first 2 shown]
	v_mov_b32_e32 v2, 0
	ds_load_2addr_b64 v[100:103], v2 offset0:49 offset1:50
	ds_load_2addr_b64 v[104:107], v2 offset0:51 offset1:52
	scratch_load_b128 v[108:111], off, off offset:192
	s_mov_b32 s0, exec_lo
	s_wait_loadcnt_dscnt 0x601
	v_fma_f64 v[112:113], v[78:79], v[100:101], 0
	s_wait_loadcnt 0x5
	s_delay_alu instid0(VALU_DEP_1) | instskip(SKIP_4) | instid1(VALU_DEP_1)
	v_fmac_f64_e32 v[112:113], v[80:81], v[102:103]
	scratch_load_b128 v[78:81], off, off offset:208
	s_wait_dscnt 0x0
	v_fmac_f64_e32 v[112:113], v[82:83], v[104:105]
	s_wait_loadcnt 0x5
	v_fmac_f64_e32 v[112:113], v[84:85], v[106:107]
	ds_load_2addr_b64 v[82:85], v2 offset0:53 offset1:54
	ds_load_2addr_b64 v[100:103], v2 offset0:55 offset1:56
	s_wait_dscnt 0x1
	v_fmac_f64_e32 v[112:113], v[86:87], v[82:83]
	s_wait_loadcnt 0x4
	s_delay_alu instid0(VALU_DEP_1)
	v_fmac_f64_e32 v[112:113], v[88:89], v[84:85]
	s_clause 0x1
	scratch_load_b128 v[82:85], off, off offset:224
	scratch_load_b128 v[86:89], off, off offset:240
	s_wait_dscnt 0x0
	v_fmac_f64_e32 v[112:113], v[90:91], v[100:101]
	s_wait_loadcnt 0x5
	s_delay_alu instid0(VALU_DEP_1)
	v_fmac_f64_e32 v[112:113], v[92:93], v[102:103]
	ds_load_2addr_b64 v[90:93], v2 offset0:57 offset1:58
	ds_load_2addr_b64 v[100:103], v2 offset0:59 offset1:60
	s_wait_dscnt 0x1
	v_fmac_f64_e32 v[112:113], v[94:95], v[90:91]
	s_wait_loadcnt 0x4
	s_delay_alu instid0(VALU_DEP_1)
	v_fmac_f64_e32 v[112:113], v[96:97], v[92:93]
	s_clause 0x1
	scratch_load_b128 v[90:93], off, off offset:256
	scratch_load_b128 v[94:97], off, off offset:272
	s_wait_dscnt 0x0
	v_fmac_f64_e32 v[112:113], v[98:99], v[100:101]
	s_wait_loadcnt 0x5
	s_delay_alu instid0(VALU_DEP_1)
	v_fmac_f64_e32 v[112:113], v[108:109], v[102:103]
	ds_load_2addr_b64 v[98:101], v2 offset0:61 offset1:62
	ds_load_2addr_b64 v[102:105], v2 offset0:63 offset1:64
	s_wait_dscnt 0x1
	v_fmac_f64_e32 v[112:113], v[110:111], v[98:99]
	s_wait_loadcnt 0x4
	s_delay_alu instid0(VALU_DEP_1) | instskip(SKIP_1) | instid1(VALU_DEP_1)
	v_fmac_f64_e32 v[112:113], v[78:79], v[100:101]
	s_wait_dscnt 0x0
	v_fmac_f64_e32 v[112:113], v[80:81], v[102:103]
	ds_load_2addr_b64 v[78:81], v2 offset0:65 offset1:66
	ds_load_2addr_b64 v[98:101], v2 offset0:67 offset1:68
	s_wait_loadcnt 0x3
	v_fmac_f64_e32 v[112:113], v[82:83], v[104:105]
	s_wait_dscnt 0x1
	s_delay_alu instid0(VALU_DEP_1) | instskip(SKIP_1) | instid1(VALU_DEP_1)
	v_fmac_f64_e32 v[112:113], v[84:85], v[78:79]
	s_wait_loadcnt 0x2
	v_fmac_f64_e32 v[112:113], v[86:87], v[80:81]
	ds_load_2addr_b64 v[78:81], v2 offset0:69 offset1:70
	ds_load_b64 v[82:83], v2 offset:568
	s_wait_dscnt 0x2
	v_fmac_f64_e32 v[112:113], v[88:89], v[98:99]
	s_wait_loadcnt 0x1
	s_delay_alu instid0(VALU_DEP_1) | instskip(SKIP_1) | instid1(VALU_DEP_1)
	v_fmac_f64_e32 v[112:113], v[90:91], v[100:101]
	s_wait_dscnt 0x1
	v_fmac_f64_e32 v[112:113], v[92:93], v[78:79]
	s_wait_loadcnt 0x0
	s_delay_alu instid0(VALU_DEP_1) | instskip(SKIP_1) | instid1(VALU_DEP_1)
	v_fmac_f64_e32 v[112:113], v[94:95], v[80:81]
	s_wait_dscnt 0x0
	v_fmac_f64_e32 v[112:113], v[96:97], v[82:83]
	s_delay_alu instid0(VALU_DEP_1)
	v_add_f64_e64 v[76:77], v[76:77], -v[112:113]
	scratch_store_b64 off, v[76:77], off offset:96
	s_wait_xcnt 0x0
	v_cmpx_lt_u32_e32 11, v0
	s_cbranch_execz .LBB99_203
; %bb.202:
	scratch_load_b64 v[76:77], off, off offset:88
	v_mov_b64_e32 v[78:79], 0
	scratch_store_b64 off, v[78:79], off offset:88
	s_wait_loadcnt 0x0
	ds_store_b64 v1, v[76:77]
.LBB99_203:
	s_wait_xcnt 0x0
	s_or_b32 exec_lo, exec_lo, s0
	s_wait_storecnt_dscnt 0x0
	s_barrier_signal -1
	s_barrier_wait -1
	s_clause 0x5
	scratch_load_b128 v[76:79], off, off offset:88
	scratch_load_b128 v[80:83], off, off offset:104
	;; [unrolled: 1-line block ×6, first 2 shown]
	ds_load_b128 v[100:103], v2 offset:384
	ds_load_b128 v[104:107], v2 offset:400
	scratch_load_b128 v[108:111], off, off offset:184
	s_mov_b32 s0, exec_lo
	s_wait_loadcnt_dscnt 0x601
	v_fma_f64 v[112:113], v[78:79], v[100:101], 0
	s_wait_loadcnt 0x5
	s_delay_alu instid0(VALU_DEP_1) | instskip(SKIP_4) | instid1(VALU_DEP_1)
	v_fmac_f64_e32 v[112:113], v[80:81], v[102:103]
	scratch_load_b128 v[78:81], off, off offset:200
	s_wait_dscnt 0x0
	v_fmac_f64_e32 v[112:113], v[82:83], v[104:105]
	s_wait_loadcnt 0x5
	v_fmac_f64_e32 v[112:113], v[84:85], v[106:107]
	ds_load_b128 v[82:85], v2 offset:416
	ds_load_b128 v[100:103], v2 offset:432
	s_wait_dscnt 0x1
	v_fmac_f64_e32 v[112:113], v[86:87], v[82:83]
	s_wait_loadcnt 0x4
	s_delay_alu instid0(VALU_DEP_1)
	v_fmac_f64_e32 v[112:113], v[88:89], v[84:85]
	s_clause 0x1
	scratch_load_b128 v[82:85], off, off offset:216
	scratch_load_b128 v[86:89], off, off offset:232
	s_wait_dscnt 0x0
	v_fmac_f64_e32 v[112:113], v[90:91], v[100:101]
	s_wait_loadcnt 0x5
	s_delay_alu instid0(VALU_DEP_1)
	v_fmac_f64_e32 v[112:113], v[92:93], v[102:103]
	ds_load_b128 v[90:93], v2 offset:448
	ds_load_b128 v[100:103], v2 offset:464
	s_wait_dscnt 0x1
	v_fmac_f64_e32 v[112:113], v[94:95], v[90:91]
	s_wait_loadcnt 0x4
	s_delay_alu instid0(VALU_DEP_1)
	v_fmac_f64_e32 v[112:113], v[96:97], v[92:93]
	s_clause 0x1
	scratch_load_b128 v[90:93], off, off offset:248
	scratch_load_b128 v[94:97], off, off offset:264
	s_wait_dscnt 0x0
	v_fmac_f64_e32 v[112:113], v[98:99], v[100:101]
	s_wait_loadcnt 0x5
	s_delay_alu instid0(VALU_DEP_1)
	v_fmac_f64_e32 v[112:113], v[108:109], v[102:103]
	ds_load_b128 v[98:101], v2 offset:480
	ds_load_b128 v[102:105], v2 offset:496
	scratch_load_b64 v[106:107], off, off offset:280
	s_wait_dscnt 0x1
	v_fmac_f64_e32 v[112:113], v[110:111], v[98:99]
	s_wait_loadcnt 0x5
	s_delay_alu instid0(VALU_DEP_1) | instskip(SKIP_1) | instid1(VALU_DEP_1)
	v_fmac_f64_e32 v[112:113], v[78:79], v[100:101]
	s_wait_dscnt 0x0
	v_fmac_f64_e32 v[112:113], v[80:81], v[102:103]
	ds_load_b128 v[78:81], v2 offset:512
	ds_load_b128 v[98:101], v2 offset:528
	s_wait_loadcnt 0x4
	v_fmac_f64_e32 v[112:113], v[82:83], v[104:105]
	s_wait_dscnt 0x1
	s_delay_alu instid0(VALU_DEP_1) | instskip(SKIP_1) | instid1(VALU_DEP_1)
	v_fmac_f64_e32 v[112:113], v[84:85], v[78:79]
	s_wait_loadcnt 0x3
	v_fmac_f64_e32 v[112:113], v[86:87], v[80:81]
	ds_load_b128 v[78:81], v2 offset:544
	ds_load_b128 v[82:85], v2 offset:560
	s_wait_dscnt 0x2
	v_fmac_f64_e32 v[112:113], v[88:89], v[98:99]
	s_wait_loadcnt 0x2
	s_delay_alu instid0(VALU_DEP_1) | instskip(SKIP_1) | instid1(VALU_DEP_1)
	v_fmac_f64_e32 v[112:113], v[90:91], v[100:101]
	s_wait_dscnt 0x1
	v_fmac_f64_e32 v[112:113], v[92:93], v[78:79]
	s_wait_loadcnt 0x1
	s_delay_alu instid0(VALU_DEP_1) | instskip(SKIP_1) | instid1(VALU_DEP_1)
	v_fmac_f64_e32 v[112:113], v[94:95], v[80:81]
	s_wait_dscnt 0x0
	v_fmac_f64_e32 v[112:113], v[96:97], v[82:83]
	s_wait_loadcnt 0x0
	s_delay_alu instid0(VALU_DEP_1) | instskip(NEXT) | instid1(VALU_DEP_1)
	v_fmac_f64_e32 v[112:113], v[106:107], v[84:85]
	v_add_f64_e64 v[2:3], v[76:77], -v[112:113]
	scratch_store_b64 off, v[2:3], off offset:88
	s_wait_xcnt 0x0
	v_cmpx_lt_u32_e32 10, v0
	s_cbranch_execz .LBB99_205
; %bb.204:
	scratch_load_b64 v[2:3], off, off offset:80
	v_mov_b64_e32 v[76:77], 0
	scratch_store_b64 off, v[76:77], off offset:80
	s_wait_loadcnt 0x0
	ds_store_b64 v1, v[2:3]
.LBB99_205:
	s_wait_xcnt 0x0
	s_or_b32 exec_lo, exec_lo, s0
	s_wait_storecnt_dscnt 0x0
	s_barrier_signal -1
	s_barrier_wait -1
	s_clause 0x5
	scratch_load_b128 v[76:79], off, off offset:80
	scratch_load_b128 v[80:83], off, off offset:96
	;; [unrolled: 1-line block ×6, first 2 shown]
	v_mov_b32_e32 v2, 0
	ds_load_2addr_b64 v[100:103], v2 offset0:47 offset1:48
	ds_load_2addr_b64 v[104:107], v2 offset0:49 offset1:50
	scratch_load_b128 v[108:111], off, off offset:176
	s_mov_b32 s0, exec_lo
	s_wait_loadcnt_dscnt 0x601
	v_fma_f64 v[112:113], v[78:79], v[100:101], 0
	s_wait_loadcnt 0x5
	s_delay_alu instid0(VALU_DEP_1) | instskip(SKIP_4) | instid1(VALU_DEP_1)
	v_fmac_f64_e32 v[112:113], v[80:81], v[102:103]
	scratch_load_b128 v[78:81], off, off offset:192
	s_wait_dscnt 0x0
	v_fmac_f64_e32 v[112:113], v[82:83], v[104:105]
	s_wait_loadcnt 0x5
	v_fmac_f64_e32 v[112:113], v[84:85], v[106:107]
	ds_load_2addr_b64 v[82:85], v2 offset0:51 offset1:52
	ds_load_2addr_b64 v[100:103], v2 offset0:53 offset1:54
	s_wait_dscnt 0x1
	v_fmac_f64_e32 v[112:113], v[86:87], v[82:83]
	s_wait_loadcnt 0x4
	s_delay_alu instid0(VALU_DEP_1)
	v_fmac_f64_e32 v[112:113], v[88:89], v[84:85]
	s_clause 0x1
	scratch_load_b128 v[82:85], off, off offset:208
	scratch_load_b128 v[86:89], off, off offset:224
	s_wait_dscnt 0x0
	v_fmac_f64_e32 v[112:113], v[90:91], v[100:101]
	s_wait_loadcnt 0x5
	s_delay_alu instid0(VALU_DEP_1)
	v_fmac_f64_e32 v[112:113], v[92:93], v[102:103]
	ds_load_2addr_b64 v[90:93], v2 offset0:55 offset1:56
	ds_load_2addr_b64 v[100:103], v2 offset0:57 offset1:58
	s_wait_dscnt 0x1
	v_fmac_f64_e32 v[112:113], v[94:95], v[90:91]
	s_wait_loadcnt 0x4
	s_delay_alu instid0(VALU_DEP_1)
	v_fmac_f64_e32 v[112:113], v[96:97], v[92:93]
	s_clause 0x1
	scratch_load_b128 v[90:93], off, off offset:240
	scratch_load_b128 v[94:97], off, off offset:256
	s_wait_dscnt 0x0
	v_fmac_f64_e32 v[112:113], v[98:99], v[100:101]
	s_wait_loadcnt 0x5
	s_delay_alu instid0(VALU_DEP_1)
	v_fmac_f64_e32 v[112:113], v[108:109], v[102:103]
	ds_load_2addr_b64 v[98:101], v2 offset0:59 offset1:60
	ds_load_2addr_b64 v[102:105], v2 offset0:61 offset1:62
	s_wait_dscnt 0x1
	v_fmac_f64_e32 v[112:113], v[110:111], v[98:99]
	s_wait_loadcnt 0x4
	s_delay_alu instid0(VALU_DEP_1) | instskip(SKIP_4) | instid1(VALU_DEP_1)
	v_fmac_f64_e32 v[112:113], v[78:79], v[100:101]
	scratch_load_b128 v[98:101], off, off offset:272
	s_wait_dscnt 0x0
	v_fmac_f64_e32 v[112:113], v[80:81], v[102:103]
	s_wait_loadcnt 0x4
	v_fmac_f64_e32 v[112:113], v[82:83], v[104:105]
	ds_load_2addr_b64 v[78:81], v2 offset0:63 offset1:64
	ds_load_2addr_b64 v[102:105], v2 offset0:65 offset1:66
	s_wait_dscnt 0x1
	v_fmac_f64_e32 v[112:113], v[84:85], v[78:79]
	s_wait_loadcnt 0x3
	s_delay_alu instid0(VALU_DEP_1)
	v_fmac_f64_e32 v[112:113], v[86:87], v[80:81]
	ds_load_2addr_b64 v[78:81], v2 offset0:67 offset1:68
	ds_load_2addr_b64 v[82:85], v2 offset0:69 offset1:70
	s_wait_dscnt 0x2
	v_fmac_f64_e32 v[112:113], v[88:89], v[102:103]
	s_wait_loadcnt 0x2
	s_delay_alu instid0(VALU_DEP_1) | instskip(SKIP_1) | instid1(VALU_DEP_1)
	v_fmac_f64_e32 v[112:113], v[90:91], v[104:105]
	s_wait_dscnt 0x1
	v_fmac_f64_e32 v[112:113], v[92:93], v[78:79]
	ds_load_b64 v[78:79], v2 offset:568
	s_wait_loadcnt 0x1
	v_fmac_f64_e32 v[112:113], v[94:95], v[80:81]
	s_wait_dscnt 0x1
	s_delay_alu instid0(VALU_DEP_1) | instskip(SKIP_1) | instid1(VALU_DEP_1)
	v_fmac_f64_e32 v[112:113], v[96:97], v[82:83]
	s_wait_loadcnt 0x0
	v_fmac_f64_e32 v[112:113], v[98:99], v[84:85]
	s_wait_dscnt 0x0
	s_delay_alu instid0(VALU_DEP_1) | instskip(NEXT) | instid1(VALU_DEP_1)
	v_fmac_f64_e32 v[112:113], v[100:101], v[78:79]
	v_add_f64_e64 v[76:77], v[76:77], -v[112:113]
	scratch_store_b64 off, v[76:77], off offset:80
	s_wait_xcnt 0x0
	v_cmpx_lt_u32_e32 9, v0
	s_cbranch_execz .LBB99_207
; %bb.206:
	scratch_load_b64 v[76:77], off, off offset:72
	v_mov_b64_e32 v[78:79], 0
	scratch_store_b64 off, v[78:79], off offset:72
	s_wait_loadcnt 0x0
	ds_store_b64 v1, v[76:77]
.LBB99_207:
	s_wait_xcnt 0x0
	s_or_b32 exec_lo, exec_lo, s0
	s_wait_storecnt_dscnt 0x0
	s_barrier_signal -1
	s_barrier_wait -1
	s_clause 0x5
	scratch_load_b128 v[76:79], off, off offset:72
	scratch_load_b128 v[80:83], off, off offset:88
	;; [unrolled: 1-line block ×6, first 2 shown]
	ds_load_b128 v[100:103], v2 offset:368
	ds_load_b128 v[104:107], v2 offset:384
	scratch_load_b128 v[108:111], off, off offset:168
	s_mov_b32 s0, exec_lo
	s_wait_loadcnt_dscnt 0x601
	v_fma_f64 v[112:113], v[78:79], v[100:101], 0
	s_wait_loadcnt 0x5
	s_delay_alu instid0(VALU_DEP_1) | instskip(SKIP_4) | instid1(VALU_DEP_1)
	v_fmac_f64_e32 v[112:113], v[80:81], v[102:103]
	scratch_load_b128 v[78:81], off, off offset:184
	s_wait_dscnt 0x0
	v_fmac_f64_e32 v[112:113], v[82:83], v[104:105]
	s_wait_loadcnt 0x5
	v_fmac_f64_e32 v[112:113], v[84:85], v[106:107]
	ds_load_b128 v[82:85], v2 offset:400
	ds_load_b128 v[100:103], v2 offset:416
	scratch_load_b128 v[104:107], off, off offset:200
	s_wait_dscnt 0x1
	v_fmac_f64_e32 v[112:113], v[86:87], v[82:83]
	s_wait_loadcnt 0x5
	s_delay_alu instid0(VALU_DEP_1) | instskip(SKIP_4) | instid1(VALU_DEP_1)
	v_fmac_f64_e32 v[112:113], v[88:89], v[84:85]
	scratch_load_b128 v[82:85], off, off offset:216
	s_wait_dscnt 0x0
	v_fmac_f64_e32 v[112:113], v[90:91], v[100:101]
	s_wait_loadcnt 0x5
	v_fmac_f64_e32 v[112:113], v[92:93], v[102:103]
	ds_load_b128 v[86:89], v2 offset:432
	ds_load_b128 v[90:93], v2 offset:448
	s_wait_dscnt 0x1
	v_fmac_f64_e32 v[112:113], v[94:95], v[86:87]
	s_wait_loadcnt 0x4
	s_delay_alu instid0(VALU_DEP_1) | instskip(SKIP_4) | instid1(VALU_DEP_1)
	v_fmac_f64_e32 v[112:113], v[96:97], v[88:89]
	scratch_load_b128 v[86:89], off, off offset:232
	s_wait_dscnt 0x0
	v_fmac_f64_e32 v[112:113], v[98:99], v[90:91]
	s_wait_loadcnt 0x4
	v_fmac_f64_e32 v[112:113], v[108:109], v[92:93]
	scratch_load_b128 v[90:93], off, off offset:248
	ds_load_b128 v[94:97], v2 offset:464
	ds_load_b128 v[98:101], v2 offset:480
	scratch_load_b64 v[102:103], off, off offset:280
	s_wait_dscnt 0x1
	v_fmac_f64_e32 v[112:113], v[110:111], v[94:95]
	s_wait_loadcnt 0x5
	s_delay_alu instid0(VALU_DEP_1) | instskip(SKIP_4) | instid1(VALU_DEP_1)
	v_fmac_f64_e32 v[112:113], v[78:79], v[96:97]
	scratch_load_b128 v[94:97], off, off offset:264
	s_wait_dscnt 0x0
	v_fmac_f64_e32 v[112:113], v[80:81], v[98:99]
	s_wait_loadcnt 0x5
	v_fmac_f64_e32 v[112:113], v[104:105], v[100:101]
	ds_load_b128 v[78:81], v2 offset:496
	ds_load_b128 v[98:101], v2 offset:512
	s_wait_dscnt 0x1
	v_fmac_f64_e32 v[112:113], v[106:107], v[78:79]
	s_wait_loadcnt 0x4
	s_delay_alu instid0(VALU_DEP_1) | instskip(SKIP_1) | instid1(VALU_DEP_1)
	v_fmac_f64_e32 v[112:113], v[82:83], v[80:81]
	s_wait_dscnt 0x0
	v_fmac_f64_e32 v[112:113], v[84:85], v[98:99]
	ds_load_b128 v[78:81], v2 offset:528
	ds_load_b128 v[82:85], v2 offset:544
	s_wait_loadcnt 0x3
	v_fmac_f64_e32 v[112:113], v[86:87], v[100:101]
	s_wait_dscnt 0x1
	s_delay_alu instid0(VALU_DEP_1) | instskip(SKIP_1) | instid1(VALU_DEP_1)
	v_fmac_f64_e32 v[112:113], v[88:89], v[78:79]
	s_wait_loadcnt 0x2
	v_fmac_f64_e32 v[112:113], v[90:91], v[80:81]
	ds_load_b128 v[78:81], v2 offset:560
	s_wait_dscnt 0x1
	v_fmac_f64_e32 v[112:113], v[92:93], v[82:83]
	s_wait_loadcnt 0x0
	s_delay_alu instid0(VALU_DEP_1) | instskip(SKIP_1) | instid1(VALU_DEP_1)
	v_fmac_f64_e32 v[112:113], v[94:95], v[84:85]
	s_wait_dscnt 0x0
	v_fmac_f64_e32 v[112:113], v[96:97], v[78:79]
	s_delay_alu instid0(VALU_DEP_1) | instskip(NEXT) | instid1(VALU_DEP_1)
	v_fmac_f64_e32 v[112:113], v[102:103], v[80:81]
	v_add_f64_e64 v[2:3], v[76:77], -v[112:113]
	scratch_store_b64 off, v[2:3], off offset:72
	s_wait_xcnt 0x0
	v_cmpx_lt_u32_e32 8, v0
	s_cbranch_execz .LBB99_209
; %bb.208:
	scratch_load_b64 v[2:3], off, off offset:64
	v_mov_b64_e32 v[76:77], 0
	scratch_store_b64 off, v[76:77], off offset:64
	s_wait_loadcnt 0x0
	ds_store_b64 v1, v[2:3]
.LBB99_209:
	s_wait_xcnt 0x0
	s_or_b32 exec_lo, exec_lo, s0
	s_wait_storecnt_dscnt 0x0
	s_barrier_signal -1
	s_barrier_wait -1
	s_clause 0x5
	scratch_load_b128 v[76:79], off, off offset:64
	scratch_load_b128 v[80:83], off, off offset:80
	;; [unrolled: 1-line block ×6, first 2 shown]
	v_mov_b32_e32 v2, 0
	ds_load_2addr_b64 v[100:103], v2 offset0:45 offset1:46
	ds_load_2addr_b64 v[104:107], v2 offset0:47 offset1:48
	scratch_load_b128 v[108:111], off, off offset:160
	s_mov_b32 s0, exec_lo
	s_wait_loadcnt_dscnt 0x601
	v_fma_f64 v[112:113], v[78:79], v[100:101], 0
	s_wait_loadcnt 0x5
	s_delay_alu instid0(VALU_DEP_1) | instskip(SKIP_4) | instid1(VALU_DEP_1)
	v_fmac_f64_e32 v[112:113], v[80:81], v[102:103]
	scratch_load_b128 v[78:81], off, off offset:176
	s_wait_dscnt 0x0
	v_fmac_f64_e32 v[112:113], v[82:83], v[104:105]
	s_wait_loadcnt 0x5
	v_fmac_f64_e32 v[112:113], v[84:85], v[106:107]
	ds_load_2addr_b64 v[82:85], v2 offset0:49 offset1:50
	ds_load_2addr_b64 v[100:103], v2 offset0:51 offset1:52
	scratch_load_b128 v[104:107], off, off offset:192
	s_wait_dscnt 0x1
	v_fmac_f64_e32 v[112:113], v[86:87], v[82:83]
	s_wait_loadcnt 0x5
	s_delay_alu instid0(VALU_DEP_1) | instskip(SKIP_4) | instid1(VALU_DEP_1)
	v_fmac_f64_e32 v[112:113], v[88:89], v[84:85]
	scratch_load_b128 v[82:85], off, off offset:208
	s_wait_dscnt 0x0
	v_fmac_f64_e32 v[112:113], v[90:91], v[100:101]
	s_wait_loadcnt 0x5
	v_fmac_f64_e32 v[112:113], v[92:93], v[102:103]
	ds_load_2addr_b64 v[86:89], v2 offset0:53 offset1:54
	ds_load_2addr_b64 v[90:93], v2 offset0:55 offset1:56
	s_wait_dscnt 0x1
	v_fmac_f64_e32 v[112:113], v[94:95], v[86:87]
	s_wait_loadcnt 0x4
	s_delay_alu instid0(VALU_DEP_1) | instskip(SKIP_4) | instid1(VALU_DEP_1)
	v_fmac_f64_e32 v[112:113], v[96:97], v[88:89]
	scratch_load_b128 v[86:89], off, off offset:224
	s_wait_dscnt 0x0
	v_fmac_f64_e32 v[112:113], v[98:99], v[90:91]
	s_wait_loadcnt 0x4
	v_fmac_f64_e32 v[112:113], v[108:109], v[92:93]
	scratch_load_b128 v[90:93], off, off offset:240
	ds_load_2addr_b64 v[94:97], v2 offset0:57 offset1:58
	ds_load_2addr_b64 v[98:101], v2 offset0:59 offset1:60
	s_wait_dscnt 0x1
	v_fmac_f64_e32 v[112:113], v[110:111], v[94:95]
	s_wait_loadcnt 0x4
	s_delay_alu instid0(VALU_DEP_1)
	v_fmac_f64_e32 v[112:113], v[78:79], v[96:97]
	scratch_load_b128 v[94:97], off, off offset:256
	s_wait_dscnt 0x0
	v_fmac_f64_e32 v[112:113], v[80:81], v[98:99]
	scratch_load_b128 v[78:81], off, off offset:272
	s_wait_loadcnt 0x5
	v_fmac_f64_e32 v[112:113], v[104:105], v[100:101]
	ds_load_2addr_b64 v[98:101], v2 offset0:61 offset1:62
	ds_load_2addr_b64 v[102:105], v2 offset0:63 offset1:64
	s_wait_dscnt 0x1
	v_fmac_f64_e32 v[112:113], v[106:107], v[98:99]
	s_wait_loadcnt 0x4
	s_delay_alu instid0(VALU_DEP_1) | instskip(SKIP_1) | instid1(VALU_DEP_1)
	v_fmac_f64_e32 v[112:113], v[82:83], v[100:101]
	s_wait_dscnt 0x0
	v_fmac_f64_e32 v[112:113], v[84:85], v[102:103]
	ds_load_2addr_b64 v[82:85], v2 offset0:65 offset1:66
	ds_load_2addr_b64 v[98:101], v2 offset0:67 offset1:68
	s_wait_loadcnt 0x3
	v_fmac_f64_e32 v[112:113], v[86:87], v[104:105]
	s_wait_dscnt 0x1
	s_delay_alu instid0(VALU_DEP_1) | instskip(SKIP_1) | instid1(VALU_DEP_1)
	v_fmac_f64_e32 v[112:113], v[88:89], v[82:83]
	s_wait_loadcnt 0x2
	v_fmac_f64_e32 v[112:113], v[90:91], v[84:85]
	ds_load_2addr_b64 v[82:85], v2 offset0:69 offset1:70
	ds_load_b64 v[86:87], v2 offset:568
	s_wait_dscnt 0x2
	v_fmac_f64_e32 v[112:113], v[92:93], v[98:99]
	s_wait_loadcnt 0x1
	s_delay_alu instid0(VALU_DEP_1) | instskip(SKIP_1) | instid1(VALU_DEP_1)
	v_fmac_f64_e32 v[112:113], v[94:95], v[100:101]
	s_wait_dscnt 0x1
	v_fmac_f64_e32 v[112:113], v[96:97], v[82:83]
	s_wait_loadcnt 0x0
	s_delay_alu instid0(VALU_DEP_1) | instskip(SKIP_1) | instid1(VALU_DEP_1)
	v_fmac_f64_e32 v[112:113], v[78:79], v[84:85]
	s_wait_dscnt 0x0
	v_fmac_f64_e32 v[112:113], v[80:81], v[86:87]
	s_delay_alu instid0(VALU_DEP_1)
	v_add_f64_e64 v[76:77], v[76:77], -v[112:113]
	scratch_store_b64 off, v[76:77], off offset:64
	s_wait_xcnt 0x0
	v_cmpx_lt_u32_e32 7, v0
	s_cbranch_execz .LBB99_211
; %bb.210:
	scratch_load_b64 v[76:77], off, off offset:56
	v_mov_b64_e32 v[78:79], 0
	scratch_store_b64 off, v[78:79], off offset:56
	s_wait_loadcnt 0x0
	ds_store_b64 v1, v[76:77]
.LBB99_211:
	s_wait_xcnt 0x0
	s_or_b32 exec_lo, exec_lo, s0
	s_wait_storecnt_dscnt 0x0
	s_barrier_signal -1
	s_barrier_wait -1
	s_clause 0x5
	scratch_load_b128 v[76:79], off, off offset:56
	scratch_load_b128 v[80:83], off, off offset:72
	;; [unrolled: 1-line block ×6, first 2 shown]
	ds_load_b128 v[100:103], v2 offset:352
	ds_load_b128 v[104:107], v2 offset:368
	scratch_load_b128 v[108:111], off, off offset:152
	s_mov_b32 s0, exec_lo
	s_wait_loadcnt_dscnt 0x601
	v_fma_f64 v[112:113], v[78:79], v[100:101], 0
	s_wait_loadcnt 0x5
	s_delay_alu instid0(VALU_DEP_1) | instskip(SKIP_4) | instid1(VALU_DEP_1)
	v_fmac_f64_e32 v[112:113], v[80:81], v[102:103]
	scratch_load_b128 v[78:81], off, off offset:168
	s_wait_dscnt 0x0
	v_fmac_f64_e32 v[112:113], v[82:83], v[104:105]
	s_wait_loadcnt 0x5
	v_fmac_f64_e32 v[112:113], v[84:85], v[106:107]
	ds_load_b128 v[82:85], v2 offset:384
	ds_load_b128 v[100:103], v2 offset:400
	scratch_load_b128 v[104:107], off, off offset:184
	s_wait_dscnt 0x1
	v_fmac_f64_e32 v[112:113], v[86:87], v[82:83]
	s_wait_loadcnt 0x5
	s_delay_alu instid0(VALU_DEP_1) | instskip(SKIP_4) | instid1(VALU_DEP_1)
	v_fmac_f64_e32 v[112:113], v[88:89], v[84:85]
	scratch_load_b128 v[82:85], off, off offset:200
	s_wait_dscnt 0x0
	v_fmac_f64_e32 v[112:113], v[90:91], v[100:101]
	s_wait_loadcnt 0x5
	v_fmac_f64_e32 v[112:113], v[92:93], v[102:103]
	ds_load_b128 v[86:89], v2 offset:416
	ds_load_b128 v[90:93], v2 offset:432
	s_wait_dscnt 0x1
	v_fmac_f64_e32 v[112:113], v[94:95], v[86:87]
	s_wait_loadcnt 0x4
	s_delay_alu instid0(VALU_DEP_1) | instskip(SKIP_4) | instid1(VALU_DEP_1)
	v_fmac_f64_e32 v[112:113], v[96:97], v[88:89]
	scratch_load_b128 v[86:89], off, off offset:216
	s_wait_dscnt 0x0
	v_fmac_f64_e32 v[112:113], v[98:99], v[90:91]
	s_wait_loadcnt 0x4
	v_fmac_f64_e32 v[112:113], v[108:109], v[92:93]
	scratch_load_b128 v[90:93], off, off offset:232
	ds_load_b128 v[94:97], v2 offset:448
	ds_load_b128 v[98:101], v2 offset:464
	s_wait_dscnt 0x1
	v_fmac_f64_e32 v[112:113], v[110:111], v[94:95]
	s_wait_loadcnt 0x4
	s_delay_alu instid0(VALU_DEP_1)
	v_fmac_f64_e32 v[112:113], v[78:79], v[96:97]
	scratch_load_b128 v[94:97], off, off offset:248
	s_wait_dscnt 0x0
	v_fmac_f64_e32 v[112:113], v[80:81], v[98:99]
	scratch_load_b128 v[78:81], off, off offset:264
	s_wait_loadcnt 0x5
	v_fmac_f64_e32 v[112:113], v[104:105], v[100:101]
	ds_load_b128 v[98:101], v2 offset:480
	ds_load_b128 v[102:105], v2 offset:496
	s_wait_dscnt 0x1
	v_fmac_f64_e32 v[112:113], v[106:107], v[98:99]
	scratch_load_b64 v[106:107], off, off offset:280
	s_wait_loadcnt 0x5
	v_fmac_f64_e32 v[112:113], v[82:83], v[100:101]
	s_wait_dscnt 0x0
	s_delay_alu instid0(VALU_DEP_1)
	v_fmac_f64_e32 v[112:113], v[84:85], v[102:103]
	ds_load_b128 v[82:85], v2 offset:512
	ds_load_b128 v[98:101], v2 offset:528
	s_wait_loadcnt 0x4
	v_fmac_f64_e32 v[112:113], v[86:87], v[104:105]
	s_wait_dscnt 0x1
	s_delay_alu instid0(VALU_DEP_1) | instskip(SKIP_1) | instid1(VALU_DEP_1)
	v_fmac_f64_e32 v[112:113], v[88:89], v[82:83]
	s_wait_loadcnt 0x3
	v_fmac_f64_e32 v[112:113], v[90:91], v[84:85]
	ds_load_b128 v[82:85], v2 offset:544
	ds_load_b128 v[86:89], v2 offset:560
	s_wait_dscnt 0x2
	v_fmac_f64_e32 v[112:113], v[92:93], v[98:99]
	s_wait_loadcnt 0x2
	s_delay_alu instid0(VALU_DEP_1) | instskip(SKIP_1) | instid1(VALU_DEP_1)
	v_fmac_f64_e32 v[112:113], v[94:95], v[100:101]
	s_wait_dscnt 0x1
	v_fmac_f64_e32 v[112:113], v[96:97], v[82:83]
	s_wait_loadcnt 0x1
	s_delay_alu instid0(VALU_DEP_1) | instskip(SKIP_1) | instid1(VALU_DEP_1)
	v_fmac_f64_e32 v[112:113], v[78:79], v[84:85]
	s_wait_dscnt 0x0
	v_fmac_f64_e32 v[112:113], v[80:81], v[86:87]
	s_wait_loadcnt 0x0
	s_delay_alu instid0(VALU_DEP_1) | instskip(NEXT) | instid1(VALU_DEP_1)
	v_fmac_f64_e32 v[112:113], v[106:107], v[88:89]
	v_add_f64_e64 v[2:3], v[76:77], -v[112:113]
	scratch_store_b64 off, v[2:3], off offset:56
	s_wait_xcnt 0x0
	v_cmpx_lt_u32_e32 6, v0
	s_cbranch_execz .LBB99_213
; %bb.212:
	scratch_load_b64 v[2:3], off, off offset:48
	v_mov_b64_e32 v[76:77], 0
	scratch_store_b64 off, v[76:77], off offset:48
	s_wait_loadcnt 0x0
	ds_store_b64 v1, v[2:3]
.LBB99_213:
	s_wait_xcnt 0x0
	s_or_b32 exec_lo, exec_lo, s0
	s_wait_storecnt_dscnt 0x0
	s_barrier_signal -1
	s_barrier_wait -1
	s_clause 0x5
	scratch_load_b128 v[76:79], off, off offset:48
	scratch_load_b128 v[80:83], off, off offset:64
	;; [unrolled: 1-line block ×6, first 2 shown]
	v_mov_b32_e32 v2, 0
	ds_load_2addr_b64 v[100:103], v2 offset0:43 offset1:44
	ds_load_2addr_b64 v[104:107], v2 offset0:45 offset1:46
	scratch_load_b128 v[108:111], off, off offset:144
	s_mov_b32 s0, exec_lo
	s_wait_loadcnt_dscnt 0x601
	v_fma_f64 v[112:113], v[78:79], v[100:101], 0
	s_wait_loadcnt 0x5
	s_delay_alu instid0(VALU_DEP_1) | instskip(SKIP_4) | instid1(VALU_DEP_1)
	v_fmac_f64_e32 v[112:113], v[80:81], v[102:103]
	scratch_load_b128 v[78:81], off, off offset:160
	s_wait_dscnt 0x0
	v_fmac_f64_e32 v[112:113], v[82:83], v[104:105]
	s_wait_loadcnt 0x5
	v_fmac_f64_e32 v[112:113], v[84:85], v[106:107]
	ds_load_2addr_b64 v[82:85], v2 offset0:47 offset1:48
	ds_load_2addr_b64 v[100:103], v2 offset0:49 offset1:50
	scratch_load_b128 v[104:107], off, off offset:176
	s_wait_dscnt 0x1
	v_fmac_f64_e32 v[112:113], v[86:87], v[82:83]
	s_wait_loadcnt 0x5
	s_delay_alu instid0(VALU_DEP_1) | instskip(SKIP_4) | instid1(VALU_DEP_1)
	v_fmac_f64_e32 v[112:113], v[88:89], v[84:85]
	scratch_load_b128 v[82:85], off, off offset:192
	s_wait_dscnt 0x0
	v_fmac_f64_e32 v[112:113], v[90:91], v[100:101]
	s_wait_loadcnt 0x5
	v_fmac_f64_e32 v[112:113], v[92:93], v[102:103]
	ds_load_2addr_b64 v[86:89], v2 offset0:51 offset1:52
	ds_load_2addr_b64 v[90:93], v2 offset0:53 offset1:54
	s_wait_dscnt 0x1
	v_fmac_f64_e32 v[112:113], v[94:95], v[86:87]
	s_wait_loadcnt 0x4
	s_delay_alu instid0(VALU_DEP_1) | instskip(SKIP_4) | instid1(VALU_DEP_1)
	v_fmac_f64_e32 v[112:113], v[96:97], v[88:89]
	scratch_load_b128 v[86:89], off, off offset:208
	s_wait_dscnt 0x0
	v_fmac_f64_e32 v[112:113], v[98:99], v[90:91]
	s_wait_loadcnt 0x4
	v_fmac_f64_e32 v[112:113], v[108:109], v[92:93]
	scratch_load_b128 v[90:93], off, off offset:224
	ds_load_2addr_b64 v[94:97], v2 offset0:55 offset1:56
	ds_load_2addr_b64 v[98:101], v2 offset0:57 offset1:58
	s_wait_dscnt 0x1
	v_fmac_f64_e32 v[112:113], v[110:111], v[94:95]
	s_wait_loadcnt 0x4
	s_delay_alu instid0(VALU_DEP_1)
	v_fmac_f64_e32 v[112:113], v[78:79], v[96:97]
	scratch_load_b128 v[94:97], off, off offset:240
	s_wait_dscnt 0x0
	v_fmac_f64_e32 v[112:113], v[80:81], v[98:99]
	scratch_load_b128 v[78:81], off, off offset:256
	s_wait_loadcnt 0x5
	v_fmac_f64_e32 v[112:113], v[104:105], v[100:101]
	ds_load_2addr_b64 v[98:101], v2 offset0:59 offset1:60
	ds_load_2addr_b64 v[102:105], v2 offset0:61 offset1:62
	s_wait_dscnt 0x1
	v_fmac_f64_e32 v[112:113], v[106:107], v[98:99]
	s_wait_loadcnt 0x4
	s_delay_alu instid0(VALU_DEP_1) | instskip(SKIP_4) | instid1(VALU_DEP_1)
	v_fmac_f64_e32 v[112:113], v[82:83], v[100:101]
	scratch_load_b128 v[98:101], off, off offset:272
	s_wait_dscnt 0x0
	v_fmac_f64_e32 v[112:113], v[84:85], v[102:103]
	s_wait_loadcnt 0x4
	v_fmac_f64_e32 v[112:113], v[86:87], v[104:105]
	ds_load_2addr_b64 v[82:85], v2 offset0:63 offset1:64
	ds_load_2addr_b64 v[102:105], v2 offset0:65 offset1:66
	s_wait_dscnt 0x1
	v_fmac_f64_e32 v[112:113], v[88:89], v[82:83]
	s_wait_loadcnt 0x3
	s_delay_alu instid0(VALU_DEP_1)
	v_fmac_f64_e32 v[112:113], v[90:91], v[84:85]
	ds_load_2addr_b64 v[82:85], v2 offset0:67 offset1:68
	ds_load_2addr_b64 v[86:89], v2 offset0:69 offset1:70
	s_wait_dscnt 0x2
	v_fmac_f64_e32 v[112:113], v[92:93], v[102:103]
	s_wait_loadcnt 0x2
	s_delay_alu instid0(VALU_DEP_1) | instskip(SKIP_1) | instid1(VALU_DEP_1)
	v_fmac_f64_e32 v[112:113], v[94:95], v[104:105]
	s_wait_dscnt 0x1
	v_fmac_f64_e32 v[112:113], v[96:97], v[82:83]
	s_wait_loadcnt 0x1
	s_delay_alu instid0(VALU_DEP_1) | instskip(SKIP_4) | instid1(VALU_DEP_1)
	v_fmac_f64_e32 v[112:113], v[78:79], v[84:85]
	ds_load_b64 v[78:79], v2 offset:568
	s_wait_dscnt 0x1
	v_fmac_f64_e32 v[112:113], v[80:81], v[86:87]
	s_wait_loadcnt 0x0
	v_fmac_f64_e32 v[112:113], v[98:99], v[88:89]
	s_wait_dscnt 0x0
	s_delay_alu instid0(VALU_DEP_1) | instskip(NEXT) | instid1(VALU_DEP_1)
	v_fmac_f64_e32 v[112:113], v[100:101], v[78:79]
	v_add_f64_e64 v[76:77], v[76:77], -v[112:113]
	scratch_store_b64 off, v[76:77], off offset:48
	s_wait_xcnt 0x0
	v_cmpx_lt_u32_e32 5, v0
	s_cbranch_execz .LBB99_215
; %bb.214:
	scratch_load_b64 v[76:77], off, off offset:40
	v_mov_b64_e32 v[78:79], 0
	scratch_store_b64 off, v[78:79], off offset:40
	s_wait_loadcnt 0x0
	ds_store_b64 v1, v[76:77]
.LBB99_215:
	s_wait_xcnt 0x0
	s_or_b32 exec_lo, exec_lo, s0
	s_wait_storecnt_dscnt 0x0
	s_barrier_signal -1
	s_barrier_wait -1
	s_clause 0x5
	scratch_load_b128 v[76:79], off, off offset:40
	scratch_load_b128 v[80:83], off, off offset:56
	;; [unrolled: 1-line block ×6, first 2 shown]
	ds_load_b128 v[100:103], v2 offset:336
	ds_load_b128 v[104:107], v2 offset:352
	scratch_load_b128 v[108:111], off, off offset:136
	s_mov_b32 s0, exec_lo
	s_wait_loadcnt_dscnt 0x601
	v_fma_f64 v[112:113], v[78:79], v[100:101], 0
	s_wait_loadcnt 0x5
	s_delay_alu instid0(VALU_DEP_1) | instskip(SKIP_4) | instid1(VALU_DEP_1)
	v_fmac_f64_e32 v[112:113], v[80:81], v[102:103]
	scratch_load_b128 v[78:81], off, off offset:152
	s_wait_dscnt 0x0
	v_fmac_f64_e32 v[112:113], v[82:83], v[104:105]
	s_wait_loadcnt 0x5
	v_fmac_f64_e32 v[112:113], v[84:85], v[106:107]
	ds_load_b128 v[82:85], v2 offset:368
	ds_load_b128 v[100:103], v2 offset:384
	scratch_load_b128 v[104:107], off, off offset:168
	s_wait_dscnt 0x1
	v_fmac_f64_e32 v[112:113], v[86:87], v[82:83]
	s_wait_loadcnt 0x5
	s_delay_alu instid0(VALU_DEP_1) | instskip(SKIP_4) | instid1(VALU_DEP_1)
	v_fmac_f64_e32 v[112:113], v[88:89], v[84:85]
	scratch_load_b128 v[82:85], off, off offset:184
	s_wait_dscnt 0x0
	v_fmac_f64_e32 v[112:113], v[90:91], v[100:101]
	s_wait_loadcnt 0x5
	v_fmac_f64_e32 v[112:113], v[92:93], v[102:103]
	ds_load_b128 v[86:89], v2 offset:400
	ds_load_b128 v[90:93], v2 offset:416
	scratch_load_b128 v[100:103], off, off offset:200
	s_wait_dscnt 0x1
	v_fmac_f64_e32 v[112:113], v[94:95], v[86:87]
	s_wait_loadcnt 0x5
	s_delay_alu instid0(VALU_DEP_1) | instskip(SKIP_4) | instid1(VALU_DEP_1)
	v_fmac_f64_e32 v[112:113], v[96:97], v[88:89]
	scratch_load_b128 v[86:89], off, off offset:216
	s_wait_dscnt 0x0
	v_fmac_f64_e32 v[112:113], v[98:99], v[90:91]
	s_wait_loadcnt 0x5
	v_fmac_f64_e32 v[112:113], v[108:109], v[92:93]
	ds_load_b128 v[90:93], v2 offset:432
	ds_load_b128 v[94:97], v2 offset:448
	s_wait_dscnt 0x1
	v_fmac_f64_e32 v[112:113], v[110:111], v[90:91]
	s_wait_loadcnt 0x4
	s_delay_alu instid0(VALU_DEP_1)
	v_fmac_f64_e32 v[112:113], v[78:79], v[92:93]
	scratch_load_b128 v[90:93], off, off offset:232
	s_wait_dscnt 0x0
	v_fmac_f64_e32 v[112:113], v[80:81], v[94:95]
	scratch_load_b128 v[78:81], off, off offset:248
	s_wait_loadcnt 0x5
	v_fmac_f64_e32 v[112:113], v[104:105], v[96:97]
	ds_load_b128 v[94:97], v2 offset:464
	ds_load_b128 v[108:111], v2 offset:480
	scratch_load_b64 v[104:105], off, off offset:280
	s_wait_dscnt 0x1
	v_fmac_f64_e32 v[112:113], v[106:107], v[94:95]
	s_wait_loadcnt 0x5
	s_delay_alu instid0(VALU_DEP_1) | instskip(SKIP_4) | instid1(VALU_DEP_1)
	v_fmac_f64_e32 v[112:113], v[82:83], v[96:97]
	scratch_load_b128 v[94:97], off, off offset:264
	s_wait_dscnt 0x0
	v_fmac_f64_e32 v[112:113], v[84:85], v[108:109]
	s_wait_loadcnt 0x5
	v_fmac_f64_e32 v[112:113], v[100:101], v[110:111]
	ds_load_b128 v[82:85], v2 offset:496
	ds_load_b128 v[98:101], v2 offset:512
	s_wait_dscnt 0x1
	v_fmac_f64_e32 v[112:113], v[102:103], v[82:83]
	s_wait_loadcnt 0x4
	s_delay_alu instid0(VALU_DEP_1) | instskip(SKIP_1) | instid1(VALU_DEP_1)
	v_fmac_f64_e32 v[112:113], v[86:87], v[84:85]
	s_wait_dscnt 0x0
	v_fmac_f64_e32 v[112:113], v[88:89], v[98:99]
	ds_load_b128 v[82:85], v2 offset:528
	ds_load_b128 v[86:89], v2 offset:544
	s_wait_loadcnt 0x3
	v_fmac_f64_e32 v[112:113], v[90:91], v[100:101]
	s_wait_dscnt 0x1
	s_delay_alu instid0(VALU_DEP_1) | instskip(SKIP_1) | instid1(VALU_DEP_1)
	v_fmac_f64_e32 v[112:113], v[92:93], v[82:83]
	s_wait_loadcnt 0x2
	v_fmac_f64_e32 v[112:113], v[78:79], v[84:85]
	s_wait_dscnt 0x0
	s_delay_alu instid0(VALU_DEP_1) | instskip(SKIP_4) | instid1(VALU_DEP_1)
	v_fmac_f64_e32 v[112:113], v[80:81], v[86:87]
	ds_load_b128 v[78:81], v2 offset:560
	s_wait_loadcnt 0x0
	v_fmac_f64_e32 v[112:113], v[94:95], v[88:89]
	s_wait_dscnt 0x0
	v_fmac_f64_e32 v[112:113], v[96:97], v[78:79]
	s_delay_alu instid0(VALU_DEP_1) | instskip(NEXT) | instid1(VALU_DEP_1)
	v_fmac_f64_e32 v[112:113], v[104:105], v[80:81]
	v_add_f64_e64 v[2:3], v[76:77], -v[112:113]
	scratch_store_b64 off, v[2:3], off offset:40
	s_wait_xcnt 0x0
	v_cmpx_lt_u32_e32 4, v0
	s_cbranch_execz .LBB99_217
; %bb.216:
	scratch_load_b64 v[2:3], off, off offset:32
	v_mov_b64_e32 v[76:77], 0
	scratch_store_b64 off, v[76:77], off offset:32
	s_wait_loadcnt 0x0
	ds_store_b64 v1, v[2:3]
.LBB99_217:
	s_wait_xcnt 0x0
	s_or_b32 exec_lo, exec_lo, s0
	s_wait_storecnt_dscnt 0x0
	s_barrier_signal -1
	s_barrier_wait -1
	s_clause 0x5
	scratch_load_b128 v[76:79], off, off offset:32
	scratch_load_b128 v[80:83], off, off offset:48
	;; [unrolled: 1-line block ×6, first 2 shown]
	v_mov_b32_e32 v2, 0
	ds_load_2addr_b64 v[100:103], v2 offset0:41 offset1:42
	ds_load_2addr_b64 v[104:107], v2 offset0:43 offset1:44
	scratch_load_b128 v[108:111], off, off offset:128
	s_mov_b32 s0, exec_lo
	s_wait_loadcnt_dscnt 0x601
	v_fma_f64 v[112:113], v[78:79], v[100:101], 0
	s_wait_loadcnt 0x5
	s_delay_alu instid0(VALU_DEP_1) | instskip(SKIP_4) | instid1(VALU_DEP_1)
	v_fmac_f64_e32 v[112:113], v[80:81], v[102:103]
	scratch_load_b128 v[78:81], off, off offset:144
	s_wait_dscnt 0x0
	v_fmac_f64_e32 v[112:113], v[82:83], v[104:105]
	s_wait_loadcnt 0x5
	v_fmac_f64_e32 v[112:113], v[84:85], v[106:107]
	ds_load_2addr_b64 v[82:85], v2 offset0:45 offset1:46
	ds_load_2addr_b64 v[100:103], v2 offset0:47 offset1:48
	scratch_load_b128 v[104:107], off, off offset:160
	s_wait_dscnt 0x1
	v_fmac_f64_e32 v[112:113], v[86:87], v[82:83]
	s_wait_loadcnt 0x5
	s_delay_alu instid0(VALU_DEP_1) | instskip(SKIP_4) | instid1(VALU_DEP_1)
	v_fmac_f64_e32 v[112:113], v[88:89], v[84:85]
	scratch_load_b128 v[82:85], off, off offset:176
	s_wait_dscnt 0x0
	v_fmac_f64_e32 v[112:113], v[90:91], v[100:101]
	s_wait_loadcnt 0x5
	v_fmac_f64_e32 v[112:113], v[92:93], v[102:103]
	ds_load_2addr_b64 v[86:89], v2 offset0:49 offset1:50
	ds_load_2addr_b64 v[90:93], v2 offset0:51 offset1:52
	scratch_load_b128 v[100:103], off, off offset:192
	s_wait_dscnt 0x1
	v_fmac_f64_e32 v[112:113], v[94:95], v[86:87]
	s_wait_loadcnt 0x5
	s_delay_alu instid0(VALU_DEP_1) | instskip(SKIP_4) | instid1(VALU_DEP_1)
	v_fmac_f64_e32 v[112:113], v[96:97], v[88:89]
	scratch_load_b128 v[86:89], off, off offset:208
	s_wait_dscnt 0x0
	v_fmac_f64_e32 v[112:113], v[98:99], v[90:91]
	s_wait_loadcnt 0x5
	v_fmac_f64_e32 v[112:113], v[108:109], v[92:93]
	ds_load_2addr_b64 v[90:93], v2 offset0:53 offset1:54
	ds_load_2addr_b64 v[94:97], v2 offset0:55 offset1:56
	s_wait_dscnt 0x1
	v_fmac_f64_e32 v[112:113], v[110:111], v[90:91]
	s_wait_loadcnt 0x4
	s_delay_alu instid0(VALU_DEP_1)
	v_fmac_f64_e32 v[112:113], v[78:79], v[92:93]
	scratch_load_b128 v[90:93], off, off offset:224
	s_wait_dscnt 0x0
	v_fmac_f64_e32 v[112:113], v[80:81], v[94:95]
	scratch_load_b128 v[78:81], off, off offset:240
	s_wait_loadcnt 0x5
	v_fmac_f64_e32 v[112:113], v[104:105], v[96:97]
	ds_load_2addr_b64 v[94:97], v2 offset0:57 offset1:58
	ds_load_2addr_b64 v[108:111], v2 offset0:59 offset1:60
	s_wait_dscnt 0x1
	v_fmac_f64_e32 v[112:113], v[106:107], v[94:95]
	s_wait_loadcnt 0x4
	s_delay_alu instid0(VALU_DEP_1)
	v_fmac_f64_e32 v[112:113], v[82:83], v[96:97]
	scratch_load_b128 v[94:97], off, off offset:256
	s_wait_dscnt 0x0
	v_fmac_f64_e32 v[112:113], v[84:85], v[108:109]
	scratch_load_b128 v[82:85], off, off offset:272
	s_wait_loadcnt 0x5
	v_fmac_f64_e32 v[112:113], v[100:101], v[110:111]
	ds_load_2addr_b64 v[98:101], v2 offset0:61 offset1:62
	ds_load_2addr_b64 v[104:107], v2 offset0:63 offset1:64
	s_wait_dscnt 0x1
	v_fmac_f64_e32 v[112:113], v[102:103], v[98:99]
	s_wait_loadcnt 0x4
	s_delay_alu instid0(VALU_DEP_1) | instskip(SKIP_1) | instid1(VALU_DEP_1)
	v_fmac_f64_e32 v[112:113], v[86:87], v[100:101]
	s_wait_dscnt 0x0
	v_fmac_f64_e32 v[112:113], v[88:89], v[104:105]
	ds_load_2addr_b64 v[86:89], v2 offset0:65 offset1:66
	ds_load_2addr_b64 v[98:101], v2 offset0:67 offset1:68
	s_wait_loadcnt 0x3
	v_fmac_f64_e32 v[112:113], v[90:91], v[106:107]
	s_wait_dscnt 0x1
	s_delay_alu instid0(VALU_DEP_1) | instskip(SKIP_1) | instid1(VALU_DEP_1)
	v_fmac_f64_e32 v[112:113], v[92:93], v[86:87]
	s_wait_loadcnt 0x2
	v_fmac_f64_e32 v[112:113], v[78:79], v[88:89]
	s_wait_dscnt 0x0
	s_delay_alu instid0(VALU_DEP_1)
	v_fmac_f64_e32 v[112:113], v[80:81], v[98:99]
	ds_load_2addr_b64 v[78:81], v2 offset0:69 offset1:70
	ds_load_b64 v[86:87], v2 offset:568
	s_wait_loadcnt 0x1
	v_fmac_f64_e32 v[112:113], v[94:95], v[100:101]
	s_wait_dscnt 0x1
	s_delay_alu instid0(VALU_DEP_1) | instskip(SKIP_1) | instid1(VALU_DEP_1)
	v_fmac_f64_e32 v[112:113], v[96:97], v[78:79]
	s_wait_loadcnt 0x0
	v_fmac_f64_e32 v[112:113], v[82:83], v[80:81]
	s_wait_dscnt 0x0
	s_delay_alu instid0(VALU_DEP_1) | instskip(NEXT) | instid1(VALU_DEP_1)
	v_fmac_f64_e32 v[112:113], v[84:85], v[86:87]
	v_add_f64_e64 v[76:77], v[76:77], -v[112:113]
	scratch_store_b64 off, v[76:77], off offset:32
	s_wait_xcnt 0x0
	v_cmpx_lt_u32_e32 3, v0
	s_cbranch_execz .LBB99_219
; %bb.218:
	scratch_load_b64 v[76:77], off, off offset:24
	v_mov_b64_e32 v[78:79], 0
	scratch_store_b64 off, v[78:79], off offset:24
	s_wait_loadcnt 0x0
	ds_store_b64 v1, v[76:77]
.LBB99_219:
	s_wait_xcnt 0x0
	s_or_b32 exec_lo, exec_lo, s0
	s_wait_storecnt_dscnt 0x0
	s_barrier_signal -1
	s_barrier_wait -1
	s_clause 0x5
	scratch_load_b128 v[76:79], off, off offset:24
	scratch_load_b128 v[80:83], off, off offset:40
	;; [unrolled: 1-line block ×6, first 2 shown]
	ds_load_b128 v[100:103], v2 offset:320
	ds_load_b128 v[104:107], v2 offset:336
	scratch_load_b128 v[108:111], off, off offset:120
	s_mov_b32 s0, exec_lo
	s_wait_loadcnt_dscnt 0x601
	v_fma_f64 v[112:113], v[78:79], v[100:101], 0
	s_wait_loadcnt 0x5
	s_delay_alu instid0(VALU_DEP_1) | instskip(SKIP_4) | instid1(VALU_DEP_1)
	v_fmac_f64_e32 v[112:113], v[80:81], v[102:103]
	scratch_load_b128 v[78:81], off, off offset:136
	s_wait_dscnt 0x0
	v_fmac_f64_e32 v[112:113], v[82:83], v[104:105]
	s_wait_loadcnt 0x5
	v_fmac_f64_e32 v[112:113], v[84:85], v[106:107]
	ds_load_b128 v[82:85], v2 offset:352
	ds_load_b128 v[100:103], v2 offset:368
	scratch_load_b128 v[104:107], off, off offset:152
	s_wait_dscnt 0x1
	v_fmac_f64_e32 v[112:113], v[86:87], v[82:83]
	s_wait_loadcnt 0x5
	s_delay_alu instid0(VALU_DEP_1) | instskip(SKIP_4) | instid1(VALU_DEP_1)
	v_fmac_f64_e32 v[112:113], v[88:89], v[84:85]
	scratch_load_b128 v[82:85], off, off offset:168
	s_wait_dscnt 0x0
	v_fmac_f64_e32 v[112:113], v[90:91], v[100:101]
	s_wait_loadcnt 0x5
	v_fmac_f64_e32 v[112:113], v[92:93], v[102:103]
	ds_load_b128 v[86:89], v2 offset:384
	ds_load_b128 v[90:93], v2 offset:400
	scratch_load_b128 v[100:103], off, off offset:184
	s_wait_dscnt 0x1
	v_fmac_f64_e32 v[112:113], v[94:95], v[86:87]
	s_wait_loadcnt 0x5
	s_delay_alu instid0(VALU_DEP_1) | instskip(SKIP_4) | instid1(VALU_DEP_1)
	v_fmac_f64_e32 v[112:113], v[96:97], v[88:89]
	scratch_load_b128 v[86:89], off, off offset:200
	s_wait_dscnt 0x0
	v_fmac_f64_e32 v[112:113], v[98:99], v[90:91]
	s_wait_loadcnt 0x5
	v_fmac_f64_e32 v[112:113], v[108:109], v[92:93]
	ds_load_b128 v[90:93], v2 offset:416
	ds_load_b128 v[94:97], v2 offset:432
	s_wait_dscnt 0x1
	v_fmac_f64_e32 v[112:113], v[110:111], v[90:91]
	s_wait_loadcnt 0x4
	s_delay_alu instid0(VALU_DEP_1)
	v_fmac_f64_e32 v[112:113], v[78:79], v[92:93]
	scratch_load_b128 v[90:93], off, off offset:216
	s_wait_dscnt 0x0
	v_fmac_f64_e32 v[112:113], v[80:81], v[94:95]
	scratch_load_b128 v[78:81], off, off offset:232
	s_wait_loadcnt 0x5
	v_fmac_f64_e32 v[112:113], v[104:105], v[96:97]
	ds_load_b128 v[94:97], v2 offset:448
	ds_load_b128 v[108:111], v2 offset:464
	s_wait_dscnt 0x1
	v_fmac_f64_e32 v[112:113], v[106:107], v[94:95]
	s_wait_loadcnt 0x4
	s_delay_alu instid0(VALU_DEP_1)
	v_fmac_f64_e32 v[112:113], v[82:83], v[96:97]
	scratch_load_b128 v[94:97], off, off offset:248
	s_wait_dscnt 0x0
	v_fmac_f64_e32 v[112:113], v[84:85], v[108:109]
	scratch_load_b128 v[82:85], off, off offset:264
	s_wait_loadcnt 0x5
	v_fmac_f64_e32 v[112:113], v[100:101], v[110:111]
	ds_load_b128 v[98:101], v2 offset:480
	ds_load_b128 v[104:107], v2 offset:496
	s_wait_dscnt 0x1
	v_fmac_f64_e32 v[112:113], v[102:103], v[98:99]
	scratch_load_b64 v[102:103], off, off offset:280
	s_wait_loadcnt 0x5
	v_fmac_f64_e32 v[112:113], v[86:87], v[100:101]
	s_wait_dscnt 0x0
	s_delay_alu instid0(VALU_DEP_1)
	v_fmac_f64_e32 v[112:113], v[88:89], v[104:105]
	ds_load_b128 v[86:89], v2 offset:512
	ds_load_b128 v[98:101], v2 offset:528
	s_wait_loadcnt 0x4
	v_fmac_f64_e32 v[112:113], v[90:91], v[106:107]
	s_wait_dscnt 0x1
	s_delay_alu instid0(VALU_DEP_1) | instskip(SKIP_1) | instid1(VALU_DEP_1)
	v_fmac_f64_e32 v[112:113], v[92:93], v[86:87]
	s_wait_loadcnt 0x3
	v_fmac_f64_e32 v[112:113], v[78:79], v[88:89]
	s_wait_dscnt 0x0
	s_delay_alu instid0(VALU_DEP_1)
	v_fmac_f64_e32 v[112:113], v[80:81], v[98:99]
	ds_load_b128 v[78:81], v2 offset:544
	ds_load_b128 v[86:89], v2 offset:560
	s_wait_loadcnt 0x2
	v_fmac_f64_e32 v[112:113], v[94:95], v[100:101]
	s_wait_dscnt 0x1
	s_delay_alu instid0(VALU_DEP_1) | instskip(SKIP_1) | instid1(VALU_DEP_1)
	v_fmac_f64_e32 v[112:113], v[96:97], v[78:79]
	s_wait_loadcnt 0x1
	v_fmac_f64_e32 v[112:113], v[82:83], v[80:81]
	s_wait_dscnt 0x0
	s_delay_alu instid0(VALU_DEP_1) | instskip(SKIP_1) | instid1(VALU_DEP_1)
	v_fmac_f64_e32 v[112:113], v[84:85], v[86:87]
	s_wait_loadcnt 0x0
	v_fmac_f64_e32 v[112:113], v[102:103], v[88:89]
	s_delay_alu instid0(VALU_DEP_1)
	v_add_f64_e64 v[2:3], v[76:77], -v[112:113]
	scratch_store_b64 off, v[2:3], off offset:24
	s_wait_xcnt 0x0
	v_cmpx_lt_u32_e32 2, v0
	s_cbranch_execz .LBB99_221
; %bb.220:
	scratch_load_b64 v[2:3], off, off offset:16
	v_mov_b64_e32 v[76:77], 0
	scratch_store_b64 off, v[76:77], off offset:16
	s_wait_loadcnt 0x0
	ds_store_b64 v1, v[2:3]
.LBB99_221:
	s_wait_xcnt 0x0
	s_or_b32 exec_lo, exec_lo, s0
	s_wait_storecnt_dscnt 0x0
	s_barrier_signal -1
	s_barrier_wait -1
	s_clause 0x5
	scratch_load_b128 v[76:79], off, off offset:16
	scratch_load_b128 v[80:83], off, off offset:32
	;; [unrolled: 1-line block ×6, first 2 shown]
	v_mov_b32_e32 v2, 0
	ds_load_2addr_b64 v[100:103], v2 offset0:39 offset1:40
	ds_load_2addr_b64 v[104:107], v2 offset0:41 offset1:42
	scratch_load_b128 v[108:111], off, off offset:112
	s_mov_b32 s0, exec_lo
	s_wait_loadcnt_dscnt 0x601
	v_fma_f64 v[112:113], v[78:79], v[100:101], 0
	s_wait_loadcnt 0x5
	s_delay_alu instid0(VALU_DEP_1) | instskip(SKIP_4) | instid1(VALU_DEP_1)
	v_fmac_f64_e32 v[112:113], v[80:81], v[102:103]
	scratch_load_b128 v[78:81], off, off offset:128
	s_wait_dscnt 0x0
	v_fmac_f64_e32 v[112:113], v[82:83], v[104:105]
	s_wait_loadcnt 0x5
	v_fmac_f64_e32 v[112:113], v[84:85], v[106:107]
	ds_load_2addr_b64 v[82:85], v2 offset0:43 offset1:44
	ds_load_2addr_b64 v[100:103], v2 offset0:45 offset1:46
	scratch_load_b128 v[104:107], off, off offset:144
	s_wait_dscnt 0x1
	v_fmac_f64_e32 v[112:113], v[86:87], v[82:83]
	s_wait_loadcnt 0x5
	s_delay_alu instid0(VALU_DEP_1) | instskip(SKIP_4) | instid1(VALU_DEP_1)
	v_fmac_f64_e32 v[112:113], v[88:89], v[84:85]
	scratch_load_b128 v[82:85], off, off offset:160
	s_wait_dscnt 0x0
	v_fmac_f64_e32 v[112:113], v[90:91], v[100:101]
	s_wait_loadcnt 0x5
	v_fmac_f64_e32 v[112:113], v[92:93], v[102:103]
	ds_load_2addr_b64 v[86:89], v2 offset0:47 offset1:48
	ds_load_2addr_b64 v[90:93], v2 offset0:49 offset1:50
	scratch_load_b128 v[100:103], off, off offset:176
	s_wait_dscnt 0x1
	v_fmac_f64_e32 v[112:113], v[94:95], v[86:87]
	s_wait_loadcnt 0x5
	s_delay_alu instid0(VALU_DEP_1) | instskip(SKIP_4) | instid1(VALU_DEP_1)
	v_fmac_f64_e32 v[112:113], v[96:97], v[88:89]
	scratch_load_b128 v[86:89], off, off offset:192
	s_wait_dscnt 0x0
	v_fmac_f64_e32 v[112:113], v[98:99], v[90:91]
	s_wait_loadcnt 0x5
	v_fmac_f64_e32 v[112:113], v[108:109], v[92:93]
	ds_load_2addr_b64 v[90:93], v2 offset0:51 offset1:52
	ds_load_2addr_b64 v[94:97], v2 offset0:53 offset1:54
	s_wait_dscnt 0x1
	v_fmac_f64_e32 v[112:113], v[110:111], v[90:91]
	s_wait_loadcnt 0x4
	s_delay_alu instid0(VALU_DEP_1)
	v_fmac_f64_e32 v[112:113], v[78:79], v[92:93]
	scratch_load_b128 v[90:93], off, off offset:208
	s_wait_dscnt 0x0
	v_fmac_f64_e32 v[112:113], v[80:81], v[94:95]
	scratch_load_b128 v[78:81], off, off offset:224
	s_wait_loadcnt 0x5
	v_fmac_f64_e32 v[112:113], v[104:105], v[96:97]
	ds_load_2addr_b64 v[94:97], v2 offset0:55 offset1:56
	ds_load_2addr_b64 v[108:111], v2 offset0:57 offset1:58
	s_wait_dscnt 0x1
	v_fmac_f64_e32 v[112:113], v[106:107], v[94:95]
	s_wait_loadcnt 0x4
	s_delay_alu instid0(VALU_DEP_1)
	v_fmac_f64_e32 v[112:113], v[82:83], v[96:97]
	scratch_load_b128 v[94:97], off, off offset:240
	s_wait_dscnt 0x0
	v_fmac_f64_e32 v[112:113], v[84:85], v[108:109]
	scratch_load_b128 v[82:85], off, off offset:256
	s_wait_loadcnt 0x5
	v_fmac_f64_e32 v[112:113], v[100:101], v[110:111]
	ds_load_2addr_b64 v[98:101], v2 offset0:59 offset1:60
	ds_load_2addr_b64 v[104:107], v2 offset0:61 offset1:62
	s_wait_dscnt 0x1
	v_fmac_f64_e32 v[112:113], v[102:103], v[98:99]
	s_wait_loadcnt 0x4
	s_delay_alu instid0(VALU_DEP_1)
	v_fmac_f64_e32 v[112:113], v[86:87], v[100:101]
	scratch_load_b128 v[98:101], off, off offset:272
	s_wait_dscnt 0x0
	v_fmac_f64_e32 v[112:113], v[88:89], v[104:105]
	ds_load_2addr_b64 v[86:89], v2 offset0:63 offset1:64
	ds_load_2addr_b64 v[102:105], v2 offset0:65 offset1:66
	s_wait_loadcnt 0x4
	v_fmac_f64_e32 v[112:113], v[90:91], v[106:107]
	s_wait_dscnt 0x1
	s_delay_alu instid0(VALU_DEP_1) | instskip(SKIP_1) | instid1(VALU_DEP_1)
	v_fmac_f64_e32 v[112:113], v[92:93], v[86:87]
	s_wait_loadcnt 0x3
	v_fmac_f64_e32 v[112:113], v[78:79], v[88:89]
	s_wait_dscnt 0x0
	s_delay_alu instid0(VALU_DEP_1)
	v_fmac_f64_e32 v[112:113], v[80:81], v[102:103]
	ds_load_2addr_b64 v[78:81], v2 offset0:67 offset1:68
	ds_load_2addr_b64 v[86:89], v2 offset0:69 offset1:70
	s_wait_loadcnt 0x2
	v_fmac_f64_e32 v[112:113], v[94:95], v[104:105]
	s_wait_dscnt 0x1
	s_delay_alu instid0(VALU_DEP_1) | instskip(SKIP_4) | instid1(VALU_DEP_1)
	v_fmac_f64_e32 v[112:113], v[96:97], v[78:79]
	ds_load_b64 v[78:79], v2 offset:568
	s_wait_loadcnt 0x1
	v_fmac_f64_e32 v[112:113], v[82:83], v[80:81]
	s_wait_dscnt 0x1
	v_fmac_f64_e32 v[112:113], v[84:85], v[86:87]
	s_wait_loadcnt 0x0
	s_delay_alu instid0(VALU_DEP_1) | instskip(SKIP_1) | instid1(VALU_DEP_1)
	v_fmac_f64_e32 v[112:113], v[98:99], v[88:89]
	s_wait_dscnt 0x0
	v_fmac_f64_e32 v[112:113], v[100:101], v[78:79]
	s_delay_alu instid0(VALU_DEP_1)
	v_add_f64_e64 v[76:77], v[76:77], -v[112:113]
	scratch_store_b64 off, v[76:77], off offset:16
	s_wait_xcnt 0x0
	v_cmpx_lt_u32_e32 1, v0
	s_cbranch_execz .LBB99_223
; %bb.222:
	scratch_load_b64 v[76:77], off, off offset:8
	v_mov_b64_e32 v[78:79], 0
	scratch_store_b64 off, v[78:79], off offset:8
	s_wait_loadcnt 0x0
	ds_store_b64 v1, v[76:77]
.LBB99_223:
	s_wait_xcnt 0x0
	s_or_b32 exec_lo, exec_lo, s0
	s_wait_storecnt_dscnt 0x0
	s_barrier_signal -1
	s_barrier_wait -1
	s_clause 0x5
	scratch_load_b128 v[76:79], off, off offset:8
	scratch_load_b128 v[80:83], off, off offset:24
	;; [unrolled: 1-line block ×6, first 2 shown]
	ds_load_b128 v[100:103], v2 offset:304
	ds_load_b128 v[104:107], v2 offset:320
	scratch_load_b128 v[108:111], off, off offset:104
	v_dual_ashrrev_i32 v9, 31, v8 :: v_dual_ashrrev_i32 v11, 31, v10
	v_dual_ashrrev_i32 v13, 31, v12 :: v_dual_ashrrev_i32 v15, 31, v14
	;; [unrolled: 1-line block ×16, first 2 shown]
	v_ashrrev_i32_e32 v73, 31, v72
	s_mov_b32 s0, exec_lo
	v_ashrrev_i32_e32 v27, 31, v26
	s_wait_loadcnt_dscnt 0x601
	v_fma_f64 v[112:113], v[78:79], v[100:101], 0
	s_wait_loadcnt 0x5
	s_delay_alu instid0(VALU_DEP_1) | instskip(SKIP_4) | instid1(VALU_DEP_1)
	v_fmac_f64_e32 v[112:113], v[80:81], v[102:103]
	scratch_load_b128 v[78:81], off, off offset:120
	s_wait_dscnt 0x0
	v_fmac_f64_e32 v[112:113], v[82:83], v[104:105]
	s_wait_loadcnt 0x5
	v_fmac_f64_e32 v[112:113], v[84:85], v[106:107]
	ds_load_b128 v[82:85], v2 offset:336
	ds_load_b128 v[100:103], v2 offset:352
	scratch_load_b128 v[104:107], off, off offset:136
	s_wait_dscnt 0x1
	v_fmac_f64_e32 v[112:113], v[86:87], v[82:83]
	s_wait_loadcnt 0x5
	s_delay_alu instid0(VALU_DEP_1) | instskip(SKIP_4) | instid1(VALU_DEP_1)
	v_fmac_f64_e32 v[112:113], v[88:89], v[84:85]
	scratch_load_b128 v[82:85], off, off offset:152
	s_wait_dscnt 0x0
	v_fmac_f64_e32 v[112:113], v[90:91], v[100:101]
	s_wait_loadcnt 0x5
	v_fmac_f64_e32 v[112:113], v[92:93], v[102:103]
	ds_load_b128 v[86:89], v2 offset:368
	ds_load_b128 v[90:93], v2 offset:384
	scratch_load_b128 v[100:103], off, off offset:168
	s_wait_dscnt 0x1
	v_fmac_f64_e32 v[112:113], v[94:95], v[86:87]
	s_wait_loadcnt 0x5
	s_delay_alu instid0(VALU_DEP_1) | instskip(SKIP_4) | instid1(VALU_DEP_1)
	v_fmac_f64_e32 v[112:113], v[96:97], v[88:89]
	scratch_load_b128 v[86:89], off, off offset:184
	s_wait_dscnt 0x0
	v_fmac_f64_e32 v[112:113], v[98:99], v[90:91]
	s_wait_loadcnt 0x5
	v_fmac_f64_e32 v[112:113], v[108:109], v[92:93]
	ds_load_b128 v[90:93], v2 offset:400
	ds_load_b128 v[94:97], v2 offset:416
	s_wait_dscnt 0x1
	v_fmac_f64_e32 v[112:113], v[110:111], v[90:91]
	s_wait_loadcnt 0x4
	s_delay_alu instid0(VALU_DEP_1)
	v_fmac_f64_e32 v[112:113], v[78:79], v[92:93]
	scratch_load_b128 v[90:93], off, off offset:200
	s_wait_dscnt 0x0
	v_fmac_f64_e32 v[112:113], v[80:81], v[94:95]
	scratch_load_b128 v[78:81], off, off offset:216
	s_wait_loadcnt 0x5
	v_fmac_f64_e32 v[112:113], v[104:105], v[96:97]
	ds_load_b128 v[94:97], v2 offset:432
	ds_load_b128 v[108:111], v2 offset:448
	s_wait_dscnt 0x1
	v_fmac_f64_e32 v[112:113], v[106:107], v[94:95]
	s_wait_loadcnt 0x4
	s_delay_alu instid0(VALU_DEP_1)
	v_fmac_f64_e32 v[112:113], v[82:83], v[96:97]
	scratch_load_b128 v[94:97], off, off offset:232
	s_wait_dscnt 0x0
	v_fmac_f64_e32 v[112:113], v[84:85], v[108:109]
	scratch_load_b128 v[82:85], off, off offset:248
	s_wait_loadcnt 0x5
	v_fmac_f64_e32 v[112:113], v[100:101], v[110:111]
	ds_load_b128 v[98:101], v2 offset:464
	ds_load_b128 v[104:107], v2 offset:480
	scratch_load_b64 v[108:109], off, off offset:280
	s_wait_dscnt 0x1
	v_fmac_f64_e32 v[112:113], v[102:103], v[98:99]
	s_wait_loadcnt 0x5
	s_delay_alu instid0(VALU_DEP_1)
	v_fmac_f64_e32 v[112:113], v[86:87], v[100:101]
	scratch_load_b128 v[98:101], off, off offset:264
	s_wait_dscnt 0x0
	v_fmac_f64_e32 v[112:113], v[88:89], v[104:105]
	ds_load_b128 v[86:89], v2 offset:496
	ds_load_b128 v[102:105], v2 offset:512
	s_wait_loadcnt 0x5
	v_fmac_f64_e32 v[112:113], v[90:91], v[106:107]
	s_wait_dscnt 0x1
	s_delay_alu instid0(VALU_DEP_1) | instskip(SKIP_1) | instid1(VALU_DEP_1)
	v_fmac_f64_e32 v[112:113], v[92:93], v[86:87]
	s_wait_loadcnt 0x4
	v_fmac_f64_e32 v[112:113], v[78:79], v[88:89]
	s_wait_dscnt 0x0
	s_delay_alu instid0(VALU_DEP_1)
	v_fmac_f64_e32 v[112:113], v[80:81], v[102:103]
	ds_load_b128 v[78:81], v2 offset:528
	ds_load_b128 v[86:89], v2 offset:544
	s_wait_loadcnt 0x3
	v_fmac_f64_e32 v[112:113], v[94:95], v[104:105]
	s_wait_dscnt 0x1
	s_delay_alu instid0(VALU_DEP_1) | instskip(SKIP_1) | instid1(VALU_DEP_1)
	v_fmac_f64_e32 v[112:113], v[96:97], v[78:79]
	s_wait_loadcnt 0x2
	v_fmac_f64_e32 v[112:113], v[82:83], v[80:81]
	ds_load_b128 v[78:81], v2 offset:560
	s_wait_dscnt 0x1
	v_fmac_f64_e32 v[112:113], v[84:85], v[86:87]
	s_wait_loadcnt 0x0
	s_delay_alu instid0(VALU_DEP_1) | instskip(SKIP_1) | instid1(VALU_DEP_1)
	v_fmac_f64_e32 v[112:113], v[98:99], v[88:89]
	s_wait_dscnt 0x0
	v_fmac_f64_e32 v[112:113], v[100:101], v[78:79]
	s_delay_alu instid0(VALU_DEP_1) | instskip(NEXT) | instid1(VALU_DEP_1)
	v_fmac_f64_e32 v[112:113], v[108:109], v[80:81]
	v_add_f64_e64 v[2:3], v[76:77], -v[112:113]
	scratch_store_b64 off, v[2:3], off offset:8
	s_wait_xcnt 0x0
	v_cmpx_ne_u32_e32 0, v0
	s_cbranch_execz .LBB99_225
; %bb.224:
	scratch_load_b64 v[2:3], off, off
	v_mov_b64_e32 v[76:77], 0
	scratch_store_b64 off, v[76:77], off
	s_wait_loadcnt 0x0
	ds_store_b64 v1, v[2:3]
.LBB99_225:
	s_wait_xcnt 0x0
	s_or_b32 exec_lo, exec_lo, s0
	s_wait_storecnt_dscnt 0x0
	s_barrier_signal -1
	s_barrier_wait -1
	s_clause 0x5
	scratch_load_b128 v[80:83], off, off
	scratch_load_b128 v[0:3], off, off offset:16
	scratch_load_b128 v[84:87], off, off offset:32
	;; [unrolled: 1-line block ×5, first 2 shown]
	v_mov_b32_e32 v78, 0
	scratch_load_b128 v[104:107], off, off offset:96
	s_and_b32 vcc_lo, exec_lo, s12
	scratch_load_b128 v[108:111], off, off offset:208
	ds_load_2addr_b64 v[100:103], v78 offset0:37 offset1:38
	s_wait_loadcnt_dscnt 0x700
	v_fma_f64 v[76:77], v[82:83], v[100:101], 0
	s_wait_loadcnt 0x6
	s_delay_alu instid0(VALU_DEP_1)
	v_fmac_f64_e32 v[76:77], v[0:1], v[102:103]
	ds_load_2addr_b64 v[100:103], v78 offset0:39 offset1:40
	s_wait_dscnt 0x0
	v_fmac_f64_e32 v[76:77], v[2:3], v[100:101]
	scratch_load_b128 v[0:3], off, off offset:112
	s_wait_loadcnt 0x6
	v_fmac_f64_e32 v[76:77], v[84:85], v[102:103]
	ds_load_2addr_b64 v[82:85], v78 offset0:41 offset1:42
	scratch_load_b128 v[100:103], off, off offset:128
	s_wait_dscnt 0x0
	v_fmac_f64_e32 v[76:77], v[86:87], v[82:83]
	s_wait_loadcnt 0x6
	s_delay_alu instid0(VALU_DEP_1)
	v_fmac_f64_e32 v[76:77], v[88:89], v[84:85]
	ds_load_2addr_b64 v[82:85], v78 offset0:43 offset1:44
	scratch_load_b128 v[86:89], off, off offset:144
	s_wait_dscnt 0x0
	v_fmac_f64_e32 v[76:77], v[90:91], v[82:83]
	s_wait_loadcnt 0x6
	s_delay_alu instid0(VALU_DEP_1)
	;; [unrolled: 7-line block ×4, first 2 shown]
	v_fmac_f64_e32 v[76:77], v[104:105], v[84:85]
	ds_load_2addr_b64 v[82:85], v78 offset0:49 offset1:50
	s_wait_dscnt 0x0
	v_fmac_f64_e32 v[76:77], v[106:107], v[82:83]
	scratch_load_b128 v[104:107], off, off offset:192
	s_wait_loadcnt 0x5
	v_fmac_f64_e32 v[76:77], v[0:1], v[84:85]
	ds_load_2addr_b64 v[82:85], v78 offset0:51 offset1:52
	s_wait_dscnt 0x0
	v_fmac_f64_e32 v[76:77], v[2:3], v[82:83]
	ds_load_2addr_b64 v[0:3], v78 offset0:53 offset1:54
	s_wait_loadcnt 0x4
	v_fmac_f64_e32 v[76:77], v[100:101], v[84:85]
	ds_load_2addr_b64 v[98:101], v78 offset0:59 offset1:60
	scratch_load_b128 v[82:85], off, off offset:224
	s_wait_dscnt 0x1
	v_fmac_f64_e32 v[76:77], v[102:103], v[0:1]
	s_wait_loadcnt 0x4
	s_delay_alu instid0(VALU_DEP_1)
	v_fmac_f64_e32 v[76:77], v[86:87], v[2:3]
	ds_load_2addr_b64 v[0:3], v78 offset0:55 offset1:56
	s_wait_dscnt 0x0
	v_fmac_f64_e32 v[76:77], v[88:89], v[0:1]
	scratch_load_b128 v[86:89], off, off offset:240
	s_wait_loadcnt 0x4
	v_fmac_f64_e32 v[76:77], v[90:91], v[2:3]
	ds_load_2addr_b64 v[0:3], v78 offset0:57 offset1:58
	s_wait_dscnt 0x0
	v_fmac_f64_e32 v[76:77], v[92:93], v[0:1]
	scratch_load_b128 v[90:93], off, off offset:256
	s_wait_loadcnt 0x4
	v_fmac_f64_e32 v[76:77], v[94:95], v[2:3]
	scratch_load_b128 v[0:3], off, off offset:272
	v_fmac_f64_e32 v[76:77], v[96:97], v[98:99]
	ds_load_2addr_b64 v[94:97], v78 offset0:61 offset1:62
	s_wait_loadcnt 0x4
	v_fmac_f64_e32 v[76:77], v[104:105], v[100:101]
	s_wait_dscnt 0x0
	s_delay_alu instid0(VALU_DEP_1) | instskip(NEXT) | instid1(VALU_DEP_1)
	v_fmac_f64_e32 v[76:77], v[106:107], v[94:95]
	v_fmac_f64_e32 v[76:77], v[108:109], v[96:97]
	ds_load_2addr_b64 v[94:97], v78 offset0:63 offset1:64
	s_wait_dscnt 0x0
	v_fmac_f64_e32 v[76:77], v[110:111], v[94:95]
	s_wait_loadcnt 0x3
	s_delay_alu instid0(VALU_DEP_1)
	v_fmac_f64_e32 v[76:77], v[82:83], v[96:97]
	ds_load_2addr_b64 v[94:97], v78 offset0:65 offset1:66
	s_wait_dscnt 0x0
	v_fmac_f64_e32 v[76:77], v[84:85], v[94:95]
	ds_load_2addr_b64 v[82:85], v78 offset0:67 offset1:68
	s_wait_loadcnt 0x2
	v_fmac_f64_e32 v[76:77], v[86:87], v[96:97]
	s_wait_dscnt 0x0
	s_delay_alu instid0(VALU_DEP_1) | instskip(SKIP_1) | instid1(VALU_DEP_1)
	v_fmac_f64_e32 v[76:77], v[88:89], v[82:83]
	s_wait_loadcnt 0x1
	v_fmac_f64_e32 v[76:77], v[90:91], v[84:85]
	ds_load_2addr_b64 v[82:85], v78 offset0:69 offset1:70
	s_wait_dscnt 0x0
	v_fmac_f64_e32 v[76:77], v[92:93], v[82:83]
	ds_load_b64 v[82:83], v78 offset:568
	s_wait_loadcnt 0x0
	v_fmac_f64_e32 v[76:77], v[0:1], v[84:85]
	s_wait_dscnt 0x0
	s_delay_alu instid0(VALU_DEP_1) | instskip(NEXT) | instid1(VALU_DEP_1)
	v_fmac_f64_e32 v[76:77], v[2:3], v[82:83]
	v_add_f64_e64 v[76:77], v[80:81], -v[76:77]
	scratch_store_b64 off, v[76:77], off
	s_cbranch_vccz .LBB99_296
; %bb.226:
	global_load_b32 v2, v78, s[8:9] offset:136
	s_wait_loadcnt 0x0
	v_cmp_ne_u32_e32 vcc_lo, 35, v2
	s_cbranch_vccz .LBB99_228
; %bb.227:
	v_lshlrev_b32_e32 v2, 3, v2
	s_wait_xcnt 0x1
	s_delay_alu instid0(VALU_DEP_1)
	v_mov_b32_e32 v76, v2
	scratch_load_b64 v[2:3], v76, off offset:-8
	s_wait_loadcnt 0x0
	scratch_store_b64 off, v[2:3], off offset:272
	scratch_store_b64 v76, v[0:1], off offset:-8
.LBB99_228:
	s_wait_xcnt 0x0
	v_mov_b32_e32 v0, 0
	global_load_b32 v1, v0, s[8:9] offset:132
	s_wait_loadcnt 0x0
	v_cmp_eq_u32_e32 vcc_lo, 34, v1
	s_cbranch_vccnz .LBB99_230
; %bb.229:
	v_lshlrev_b32_e32 v1, 3, v1
	scratch_load_b64 v[2:3], v1, off offset:-8
	scratch_load_b64 v[76:77], off, off offset:264
	s_wait_loadcnt 0x1
	scratch_store_b64 off, v[2:3], off offset:264
	s_wait_loadcnt 0x0
	scratch_store_b64 v1, v[76:77], off offset:-8
.LBB99_230:
	global_load_b32 v0, v0, s[8:9] offset:128
	s_wait_loadcnt 0x0
	v_cmp_eq_u32_e32 vcc_lo, 33, v0
	s_cbranch_vccnz .LBB99_232
; %bb.231:
	s_wait_xcnt 0x0
	v_lshlrev_b32_e32 v0, 3, v0
	s_delay_alu instid0(VALU_DEP_1)
	v_mov_b32_e32 v76, v0
	scratch_load_b64 v[0:1], v76, off offset:-8
	scratch_load_b64 v[2:3], off, off offset:256
	s_wait_loadcnt 0x1
	scratch_store_b64 off, v[0:1], off offset:256
	s_wait_loadcnt 0x0
	scratch_store_b64 v76, v[2:3], off offset:-8
.LBB99_232:
	s_wait_xcnt 0x0
	v_mov_b32_e32 v0, 0
	global_load_b32 v1, v0, s[8:9] offset:124
	s_wait_loadcnt 0x0
	v_cmp_eq_u32_e32 vcc_lo, 32, v1
	s_cbranch_vccnz .LBB99_234
; %bb.233:
	v_lshlrev_b32_e32 v1, 3, v1
	scratch_load_b64 v[2:3], v1, off offset:-8
	scratch_load_b64 v[76:77], off, off offset:248
	s_wait_loadcnt 0x1
	scratch_store_b64 off, v[2:3], off offset:248
	s_wait_loadcnt 0x0
	scratch_store_b64 v1, v[76:77], off offset:-8
.LBB99_234:
	global_load_b32 v0, v0, s[8:9] offset:120
	s_wait_loadcnt 0x0
	v_cmp_eq_u32_e32 vcc_lo, 31, v0
	s_cbranch_vccnz .LBB99_236
; %bb.235:
	s_wait_xcnt 0x0
	v_lshlrev_b32_e32 v0, 3, v0
	s_delay_alu instid0(VALU_DEP_1)
	v_mov_b32_e32 v76, v0
	scratch_load_b64 v[0:1], v76, off offset:-8
	scratch_load_b64 v[2:3], off, off offset:240
	s_wait_loadcnt 0x1
	scratch_store_b64 off, v[0:1], off offset:240
	s_wait_loadcnt 0x0
	scratch_store_b64 v76, v[2:3], off offset:-8
.LBB99_236:
	;; [unrolled: 31-line block ×16, first 2 shown]
	s_wait_xcnt 0x0
	v_mov_b32_e32 v0, 0
	global_load_b32 v1, v0, s[8:9] offset:4
	s_wait_loadcnt 0x0
	v_cmp_eq_u32_e32 vcc_lo, 2, v1
	s_cbranch_vccnz .LBB99_294
; %bb.293:
	v_lshlrev_b32_e32 v1, 3, v1
	scratch_load_b64 v[2:3], v1, off offset:-8
	scratch_load_b64 v[76:77], off, off offset:8
	s_wait_loadcnt 0x1
	scratch_store_b64 off, v[2:3], off offset:8
	s_wait_loadcnt 0x0
	scratch_store_b64 v1, v[76:77], off offset:-8
.LBB99_294:
	global_load_b32 v0, v0, s[8:9]
	scratch_load_b64 v[76:77], off, off
	s_wait_loadcnt 0x1
	v_cmp_eq_u32_e32 vcc_lo, 1, v0
	s_cbranch_vccnz .LBB99_296
; %bb.295:
	s_wait_xcnt 0x1
	v_lshlrev_b32_e32 v0, 3, v0
	s_delay_alu instid0(VALU_DEP_1)
	v_mov_b32_e32 v2, v0
	scratch_load_b64 v[0:1], v2, off offset:-8
	s_wait_loadcnt 0x0
	scratch_store_b64 off, v[0:1], off
	scratch_store_b64 v2, v[76:77], off offset:-8
	scratch_load_b64 v[76:77], off, off
.LBB99_296:
	s_wait_loadcnt 0x0
	flat_store_b64 v[4:5], v[76:77]
	scratch_load_b64 v[4:5], off, off offset:8
	v_lshl_add_u64 v[108:109], v[8:9], 3, s[2:3]
	v_lshl_add_u64 v[106:107], v[10:11], 3, s[2:3]
	v_lshl_add_u64 v[104:105], v[12:13], 3, s[2:3]
	v_lshl_add_u64 v[102:103], v[14:15], 3, s[2:3]
	v_lshl_add_u64 v[100:101], v[16:17], 3, s[2:3]
	v_lshl_add_u64 v[98:99], v[18:19], 3, s[2:3]
	v_lshl_add_u64 v[96:97], v[20:21], 3, s[2:3]
	v_lshl_add_u64 v[94:95], v[22:23], 3, s[2:3]
	v_lshl_add_u64 v[92:93], v[24:25], 3, s[2:3]
	v_lshl_add_u64 v[90:91], v[26:27], 3, s[2:3]
	v_lshl_add_u64 v[88:89], v[28:29], 3, s[2:3]
	v_lshl_add_u64 v[86:87], v[30:31], 3, s[2:3]
	v_lshl_add_u64 v[84:85], v[32:33], 3, s[2:3]
	v_lshl_add_u64 v[82:83], v[34:35], 3, s[2:3]
	v_lshl_add_u64 v[80:81], v[36:37], 3, s[2:3]
	v_lshl_add_u64 v[78:79], v[38:39], 3, s[2:3]
	v_lshl_add_u64 v[38:39], v[40:41], 3, s[2:3]
	v_lshl_add_u64 v[36:37], v[42:43], 3, s[2:3]
	v_lshl_add_u64 v[34:35], v[44:45], 3, s[2:3]
	v_lshl_add_u64 v[32:33], v[46:47], 3, s[2:3]
	v_lshl_add_u64 v[30:31], v[48:49], 3, s[2:3]
	v_lshl_add_u64 v[28:29], v[50:51], 3, s[2:3]
	v_lshl_add_u64 v[26:27], v[52:53], 3, s[2:3]
	v_lshl_add_u64 v[24:25], v[54:55], 3, s[2:3]
	v_lshl_add_u64 v[22:23], v[56:57], 3, s[2:3]
	v_lshl_add_u64 v[20:21], v[58:59], 3, s[2:3]
	v_lshl_add_u64 v[18:19], v[60:61], 3, s[2:3]
	v_lshl_add_u64 v[16:17], v[62:63], 3, s[2:3]
	v_lshl_add_u64 v[14:15], v[64:65], 3, s[2:3]
	v_lshl_add_u64 v[12:13], v[66:67], 3, s[2:3]
	v_lshl_add_u64 v[10:11], v[68:69], 3, s[2:3]
	v_lshl_add_u64 v[8:9], v[70:71], 3, s[2:3]
	v_lshl_add_u64 v[2:3], v[72:73], 3, s[2:3]
	v_lshl_add_u64 v[0:1], v[74:75], 3, s[2:3]
	s_wait_loadcnt 0x0
	flat_store_b64 v[6:7], v[4:5]
	scratch_load_b64 v[4:5], off, off offset:16
	s_wait_loadcnt 0x0
	flat_store_b64 v[108:109], v[4:5]
	scratch_load_b64 v[4:5], off, off offset:24
	s_wait_loadcnt 0x0
	flat_store_b64 v[106:107], v[4:5]
	scratch_load_b64 v[4:5], off, off offset:32
	s_wait_loadcnt 0x0
	flat_store_b64 v[104:105], v[4:5]
	scratch_load_b64 v[4:5], off, off offset:40
	s_wait_loadcnt 0x0
	flat_store_b64 v[102:103], v[4:5]
	scratch_load_b64 v[4:5], off, off offset:48
	s_wait_loadcnt 0x0
	flat_store_b64 v[100:101], v[4:5]
	scratch_load_b64 v[4:5], off, off offset:56
	s_wait_loadcnt 0x0
	flat_store_b64 v[98:99], v[4:5]
	scratch_load_b64 v[4:5], off, off offset:64
	s_wait_loadcnt 0x0
	flat_store_b64 v[96:97], v[4:5]
	scratch_load_b64 v[4:5], off, off offset:72
	s_wait_loadcnt 0x0
	flat_store_b64 v[94:95], v[4:5]
	scratch_load_b64 v[4:5], off, off offset:80
	s_wait_loadcnt 0x0
	flat_store_b64 v[92:93], v[4:5]
	scratch_load_b64 v[4:5], off, off offset:88
	s_wait_loadcnt 0x0
	flat_store_b64 v[90:91], v[4:5]
	scratch_load_b64 v[4:5], off, off offset:96
	s_wait_loadcnt 0x0
	flat_store_b64 v[88:89], v[4:5]
	scratch_load_b64 v[4:5], off, off offset:104
	s_wait_loadcnt 0x0
	flat_store_b64 v[86:87], v[4:5]
	scratch_load_b64 v[4:5], off, off offset:112
	s_wait_loadcnt 0x0
	flat_store_b64 v[84:85], v[4:5]
	scratch_load_b64 v[4:5], off, off offset:120
	s_wait_loadcnt 0x0
	flat_store_b64 v[82:83], v[4:5]
	scratch_load_b64 v[4:5], off, off offset:128
	s_wait_loadcnt 0x0
	flat_store_b64 v[80:81], v[4:5]
	scratch_load_b64 v[4:5], off, off offset:136
	s_wait_loadcnt 0x0
	flat_store_b64 v[78:79], v[4:5]
	scratch_load_b64 v[4:5], off, off offset:144
	s_wait_loadcnt 0x0
	flat_store_b64 v[38:39], v[4:5]
	scratch_load_b64 v[4:5], off, off offset:152
	s_wait_loadcnt 0x0
	flat_store_b64 v[36:37], v[4:5]
	scratch_load_b64 v[4:5], off, off offset:160
	s_wait_loadcnt 0x0
	flat_store_b64 v[34:35], v[4:5]
	scratch_load_b64 v[4:5], off, off offset:168
	s_wait_loadcnt 0x0
	flat_store_b64 v[32:33], v[4:5]
	scratch_load_b64 v[4:5], off, off offset:176
	s_wait_loadcnt 0x0
	flat_store_b64 v[30:31], v[4:5]
	scratch_load_b64 v[4:5], off, off offset:184
	s_wait_loadcnt 0x0
	flat_store_b64 v[28:29], v[4:5]
	scratch_load_b64 v[4:5], off, off offset:192
	s_wait_loadcnt 0x0
	flat_store_b64 v[26:27], v[4:5]
	scratch_load_b64 v[4:5], off, off offset:200
	s_wait_loadcnt 0x0
	flat_store_b64 v[24:25], v[4:5]
	scratch_load_b64 v[4:5], off, off offset:208
	s_wait_loadcnt 0x0
	flat_store_b64 v[22:23], v[4:5]
	scratch_load_b64 v[4:5], off, off offset:216
	s_wait_loadcnt 0x0
	flat_store_b64 v[20:21], v[4:5]
	scratch_load_b64 v[4:5], off, off offset:224
	s_wait_loadcnt 0x0
	flat_store_b64 v[18:19], v[4:5]
	scratch_load_b64 v[4:5], off, off offset:232
	s_wait_loadcnt 0x0
	flat_store_b64 v[16:17], v[4:5]
	scratch_load_b64 v[4:5], off, off offset:240
	s_wait_loadcnt 0x0
	flat_store_b64 v[14:15], v[4:5]
	scratch_load_b64 v[4:5], off, off offset:248
	s_wait_loadcnt 0x0
	flat_store_b64 v[12:13], v[4:5]
	scratch_load_b64 v[4:5], off, off offset:256
	s_wait_loadcnt 0x0
	flat_store_b64 v[10:11], v[4:5]
	scratch_load_b64 v[4:5], off, off offset:264
	s_wait_loadcnt 0x0
	flat_store_b64 v[8:9], v[4:5]
	scratch_load_b64 v[4:5], off, off offset:272
	s_wait_loadcnt 0x0
	flat_store_b64 v[2:3], v[4:5]
	scratch_load_b64 v[2:3], off, off offset:280
	s_wait_loadcnt 0x0
	flat_store_b64 v[0:1], v[2:3]
	s_sendmsg sendmsg(MSG_DEALLOC_VGPRS)
	s_endpgm
	.section	.rodata,"a",@progbits
	.p2align	6, 0x0
	.amdhsa_kernel _ZN9rocsolver6v33100L18getri_kernel_smallILi36EdPKPdEEvT1_iilPiilS6_bb
		.amdhsa_group_segment_fixed_size 584
		.amdhsa_private_segment_fixed_size 304
		.amdhsa_kernarg_size 60
		.amdhsa_user_sgpr_count 2
		.amdhsa_user_sgpr_dispatch_ptr 0
		.amdhsa_user_sgpr_queue_ptr 0
		.amdhsa_user_sgpr_kernarg_segment_ptr 1
		.amdhsa_user_sgpr_dispatch_id 0
		.amdhsa_user_sgpr_kernarg_preload_length 0
		.amdhsa_user_sgpr_kernarg_preload_offset 0
		.amdhsa_user_sgpr_private_segment_size 0
		.amdhsa_wavefront_size32 1
		.amdhsa_uses_dynamic_stack 0
		.amdhsa_enable_private_segment 1
		.amdhsa_system_sgpr_workgroup_id_x 1
		.amdhsa_system_sgpr_workgroup_id_y 0
		.amdhsa_system_sgpr_workgroup_id_z 0
		.amdhsa_system_sgpr_workgroup_info 0
		.amdhsa_system_vgpr_workitem_id 0
		.amdhsa_next_free_vgpr 114
		.amdhsa_next_free_sgpr 19
		.amdhsa_named_barrier_count 0
		.amdhsa_reserve_vcc 1
		.amdhsa_float_round_mode_32 0
		.amdhsa_float_round_mode_16_64 0
		.amdhsa_float_denorm_mode_32 3
		.amdhsa_float_denorm_mode_16_64 3
		.amdhsa_fp16_overflow 0
		.amdhsa_memory_ordered 1
		.amdhsa_forward_progress 1
		.amdhsa_inst_pref_size 235
		.amdhsa_round_robin_scheduling 0
		.amdhsa_exception_fp_ieee_invalid_op 0
		.amdhsa_exception_fp_denorm_src 0
		.amdhsa_exception_fp_ieee_div_zero 0
		.amdhsa_exception_fp_ieee_overflow 0
		.amdhsa_exception_fp_ieee_underflow 0
		.amdhsa_exception_fp_ieee_inexact 0
		.amdhsa_exception_int_div_zero 0
	.end_amdhsa_kernel
	.section	.text._ZN9rocsolver6v33100L18getri_kernel_smallILi36EdPKPdEEvT1_iilPiilS6_bb,"axG",@progbits,_ZN9rocsolver6v33100L18getri_kernel_smallILi36EdPKPdEEvT1_iilPiilS6_bb,comdat
.Lfunc_end99:
	.size	_ZN9rocsolver6v33100L18getri_kernel_smallILi36EdPKPdEEvT1_iilPiilS6_bb, .Lfunc_end99-_ZN9rocsolver6v33100L18getri_kernel_smallILi36EdPKPdEEvT1_iilPiilS6_bb
                                        ; -- End function
	.set _ZN9rocsolver6v33100L18getri_kernel_smallILi36EdPKPdEEvT1_iilPiilS6_bb.num_vgpr, 114
	.set _ZN9rocsolver6v33100L18getri_kernel_smallILi36EdPKPdEEvT1_iilPiilS6_bb.num_agpr, 0
	.set _ZN9rocsolver6v33100L18getri_kernel_smallILi36EdPKPdEEvT1_iilPiilS6_bb.numbered_sgpr, 19
	.set _ZN9rocsolver6v33100L18getri_kernel_smallILi36EdPKPdEEvT1_iilPiilS6_bb.num_named_barrier, 0
	.set _ZN9rocsolver6v33100L18getri_kernel_smallILi36EdPKPdEEvT1_iilPiilS6_bb.private_seg_size, 304
	.set _ZN9rocsolver6v33100L18getri_kernel_smallILi36EdPKPdEEvT1_iilPiilS6_bb.uses_vcc, 1
	.set _ZN9rocsolver6v33100L18getri_kernel_smallILi36EdPKPdEEvT1_iilPiilS6_bb.uses_flat_scratch, 1
	.set _ZN9rocsolver6v33100L18getri_kernel_smallILi36EdPKPdEEvT1_iilPiilS6_bb.has_dyn_sized_stack, 0
	.set _ZN9rocsolver6v33100L18getri_kernel_smallILi36EdPKPdEEvT1_iilPiilS6_bb.has_recursion, 0
	.set _ZN9rocsolver6v33100L18getri_kernel_smallILi36EdPKPdEEvT1_iilPiilS6_bb.has_indirect_call, 0
	.section	.AMDGPU.csdata,"",@progbits
; Kernel info:
; codeLenInByte = 30076
; TotalNumSgprs: 21
; NumVgprs: 114
; ScratchSize: 304
; MemoryBound: 0
; FloatMode: 240
; IeeeMode: 1
; LDSByteSize: 584 bytes/workgroup (compile time only)
; SGPRBlocks: 0
; VGPRBlocks: 7
; NumSGPRsForWavesPerEU: 21
; NumVGPRsForWavesPerEU: 114
; NamedBarCnt: 0
; Occupancy: 8
; WaveLimiterHint : 1
; COMPUTE_PGM_RSRC2:SCRATCH_EN: 1
; COMPUTE_PGM_RSRC2:USER_SGPR: 2
; COMPUTE_PGM_RSRC2:TRAP_HANDLER: 0
; COMPUTE_PGM_RSRC2:TGID_X_EN: 1
; COMPUTE_PGM_RSRC2:TGID_Y_EN: 0
; COMPUTE_PGM_RSRC2:TGID_Z_EN: 0
; COMPUTE_PGM_RSRC2:TIDIG_COMP_CNT: 0
	.section	.text._ZN9rocsolver6v33100L18getri_kernel_smallILi37EdPKPdEEvT1_iilPiilS6_bb,"axG",@progbits,_ZN9rocsolver6v33100L18getri_kernel_smallILi37EdPKPdEEvT1_iilPiilS6_bb,comdat
	.globl	_ZN9rocsolver6v33100L18getri_kernel_smallILi37EdPKPdEEvT1_iilPiilS6_bb ; -- Begin function _ZN9rocsolver6v33100L18getri_kernel_smallILi37EdPKPdEEvT1_iilPiilS6_bb
	.p2align	8
	.type	_ZN9rocsolver6v33100L18getri_kernel_smallILi37EdPKPdEEvT1_iilPiilS6_bb,@function
_ZN9rocsolver6v33100L18getri_kernel_smallILi37EdPKPdEEvT1_iilPiilS6_bb: ; @_ZN9rocsolver6v33100L18getri_kernel_smallILi37EdPKPdEEvT1_iilPiilS6_bb
; %bb.0:
	s_mov_b32 s2, exec_lo
	v_cmpx_gt_u32_e32 37, v0
	s_cbranch_execz .LBB100_158
; %bb.1:
	s_clause 0x1
	s_load_b32 s13, s[0:1], 0x38
	s_load_b64 s[2:3], s[0:1], 0x0
	s_getreg_b32 s6, hwreg(HW_REG_IB_STS2, 6, 4)
	s_wait_kmcnt 0x0
	s_bitcmp1_b32 s13, 8
	s_cselect_b32 s12, -1, 0
	s_bfe_u32 s4, ttmp6, 0x4000c
	s_and_b32 s5, ttmp6, 15
	s_add_co_i32 s4, s4, 1
	s_delay_alu instid0(SALU_CYCLE_1) | instskip(NEXT) | instid1(SALU_CYCLE_1)
	s_mul_i32 s4, ttmp9, s4
	s_add_co_i32 s5, s5, s4
	s_cmp_eq_u32 s6, 0
	s_cselect_b32 s10, ttmp9, s5
	s_load_b128 s[4:7], s[0:1], 0x28
	s_ashr_i32 s11, s10, 31
	s_delay_alu instid0(SALU_CYCLE_1) | instskip(NEXT) | instid1(SALU_CYCLE_1)
	s_lshl_b64 s[8:9], s[10:11], 3
	s_add_nc_u64 s[2:3], s[2:3], s[8:9]
	s_bfe_u32 s8, s13, 0x10008
	s_load_b64 s[2:3], s[2:3], 0x0
	s_cmp_eq_u32 s8, 0
                                        ; implicit-def: $sgpr8_sgpr9
	s_cbranch_scc1 .LBB100_3
; %bb.2:
	s_load_b96 s[16:18], s[0:1], 0x18
	s_wait_kmcnt 0x0
	s_mul_u64 s[4:5], s[4:5], s[10:11]
	s_delay_alu instid0(SALU_CYCLE_1) | instskip(SKIP_4) | instid1(SALU_CYCLE_1)
	s_lshl_b64 s[4:5], s[4:5], 2
	s_ashr_i32 s9, s18, 31
	s_mov_b32 s8, s18
	s_add_nc_u64 s[4:5], s[16:17], s[4:5]
	s_lshl_b64 s[8:9], s[8:9], 2
	s_add_nc_u64 s[8:9], s[4:5], s[8:9]
.LBB100_3:
	s_wait_kmcnt 0x0
	s_clause 0x1
	s_load_b64 s[4:5], s[0:1], 0x8
	s_load_b32 s13, s[0:1], 0x38
	v_dual_mov_b32 v3, 0 :: v_dual_lshlrev_b32 v2, 3, v0
	s_wait_kmcnt 0x0
	s_ashr_i32 s1, s4, 31
	s_mov_b32 s0, s4
	s_delay_alu instid0(SALU_CYCLE_1) | instskip(NEXT) | instid1(SALU_CYCLE_1)
	s_lshl_b64 s[0:1], s[0:1], 3
	s_add_nc_u64 s[2:3], s[2:3], s[0:1]
	s_ashr_i32 s1, s5, 31
	flat_load_b64 v[8:9], v0, s[2:3] scale_offset
	v_add_nc_u64_e32 v[4:5], s[2:3], v[2:3]
	s_mov_b32 s0, s5
	s_bitcmp0_b32 s13, 0
	s_delay_alu instid0(VALU_DEP_1)
	v_lshl_add_u64 v[6:7], s[0:1], 3, v[4:5]
	s_mov_b32 s1, -1
	s_wait_loadcnt_dscnt 0x0
	scratch_store_b64 off, v[8:9], off
	flat_load_b64 v[10:11], v[6:7]
	s_wait_xcnt 0x1
	v_add3_u32 v8, s5, s5, v0
	s_wait_loadcnt_dscnt 0x0
	scratch_store_b64 off, v[10:11], off offset:8
	flat_load_b64 v[12:13], v8, s[2:3] scale_offset
	s_wait_xcnt 0x1
	v_add_nc_u32_e32 v10, s5, v8
	s_wait_loadcnt_dscnt 0x0
	scratch_store_b64 off, v[12:13], off offset:16
	flat_load_b64 v[14:15], v10, s[2:3] scale_offset
	s_wait_xcnt 0x1
	v_add_nc_u32_e32 v12, s5, v10
	;; [unrolled: 5-line block ×34, first 2 shown]
	s_wait_loadcnt_dscnt 0x0
	scratch_store_b64 off, v[78:79], off offset:280
	flat_load_b64 v[78:79], v76, s[2:3] scale_offset
	s_wait_loadcnt_dscnt 0x0
	scratch_store_b64 off, v[78:79], off offset:288
	s_cbranch_scc1 .LBB100_156
; %bb.4:
	v_cmp_eq_u32_e64 s0, 0, v0
	s_wait_xcnt 0x0
	s_and_saveexec_b32 s1, s0
; %bb.5:
	v_mov_b32_e32 v1, 0
	ds_store_b32 v1, v1 offset:296
; %bb.6:
	s_or_b32 exec_lo, exec_lo, s1
	s_wait_storecnt_dscnt 0x0
	s_barrier_signal -1
	s_barrier_wait -1
	scratch_load_b64 v[78:79], v0, off scale_offset
	s_mov_b32 s4, exec_lo
	s_wait_loadcnt 0x0
	v_cmpx_eq_f64_e32 0, v[78:79]
	s_cbranch_execz .LBB100_10
; %bb.7:
	v_mov_b32_e32 v1, 0
	s_mov_b32 s5, 0
	ds_load_b32 v3, v1 offset:296
	s_wait_dscnt 0x0
	v_readfirstlane_b32 s1, v3
	v_add_nc_u32_e32 v3, 1, v0
	s_cmp_eq_u32 s1, 0
	s_delay_alu instid0(VALU_DEP_1) | instskip(SKIP_1) | instid1(SALU_CYCLE_1)
	v_cmp_gt_i32_e32 vcc_lo, s1, v3
	s_cselect_b32 s13, -1, 0
	s_or_b32 s13, s13, vcc_lo
	s_delay_alu instid0(SALU_CYCLE_1)
	s_and_b32 exec_lo, exec_lo, s13
	s_cbranch_execz .LBB100_10
; %bb.8:
	v_mov_b32_e32 v9, s1
.LBB100_9:                              ; =>This Inner Loop Header: Depth=1
	ds_cmpstore_rtn_b32 v9, v1, v3, v9 offset:296
	s_wait_dscnt 0x0
	v_cmp_ne_u32_e32 vcc_lo, 0, v9
	v_cmp_le_i32_e64 s1, v9, v3
	s_and_b32 s1, vcc_lo, s1
	s_delay_alu instid0(SALU_CYCLE_1) | instskip(NEXT) | instid1(SALU_CYCLE_1)
	s_and_b32 s1, exec_lo, s1
	s_or_b32 s5, s1, s5
	s_delay_alu instid0(SALU_CYCLE_1)
	s_and_not1_b32 exec_lo, exec_lo, s5
	s_cbranch_execnz .LBB100_9
.LBB100_10:
	s_or_b32 exec_lo, exec_lo, s4
	v_mov_b32_e32 v1, 0
	s_barrier_signal -1
	s_barrier_wait -1
	ds_load_b32 v3, v1 offset:296
	s_and_saveexec_b32 s1, s0
	s_cbranch_execz .LBB100_12
; %bb.11:
	s_lshl_b64 s[4:5], s[10:11], 2
	s_delay_alu instid0(SALU_CYCLE_1)
	s_add_nc_u64 s[4:5], s[6:7], s[4:5]
	s_wait_dscnt 0x0
	global_store_b32 v1, v3, s[4:5]
.LBB100_12:
	s_wait_xcnt 0x0
	s_or_b32 exec_lo, exec_lo, s1
	s_wait_dscnt 0x0
	v_cmp_ne_u32_e32 vcc_lo, 0, v3
	s_mov_b32 s1, 0
	s_cbranch_vccnz .LBB100_156
; %bb.13:
	v_lshl_add_u32 v3, v0, 3, 0
	v_add_nc_u32_e32 v1, 0x130, v2
	scratch_load_b64 v[78:79], v3, off
	s_wait_loadcnt 0x0
	v_div_scale_f64 v[80:81], null, v[78:79], v[78:79], 1.0
	v_div_scale_f64 v[86:87], vcc_lo, 1.0, v[78:79], 1.0
	s_delay_alu instid0(VALU_DEP_2) | instskip(SKIP_1) | instid1(TRANS32_DEP_1)
	v_rcp_f64_e32 v[82:83], v[80:81]
	v_nop
	v_fma_f64 v[84:85], -v[80:81], v[82:83], 1.0
	s_delay_alu instid0(VALU_DEP_1) | instskip(NEXT) | instid1(VALU_DEP_1)
	v_fmac_f64_e32 v[82:83], v[82:83], v[84:85]
	v_fma_f64 v[84:85], -v[80:81], v[82:83], 1.0
	s_delay_alu instid0(VALU_DEP_1) | instskip(NEXT) | instid1(VALU_DEP_1)
	v_fmac_f64_e32 v[82:83], v[82:83], v[84:85]
	v_mul_f64_e32 v[84:85], v[86:87], v[82:83]
	s_delay_alu instid0(VALU_DEP_1) | instskip(NEXT) | instid1(VALU_DEP_1)
	v_fma_f64 v[80:81], -v[80:81], v[84:85], v[86:87]
	v_div_fmas_f64 v[80:81], v[80:81], v[82:83], v[84:85]
	s_delay_alu instid0(VALU_DEP_1)
	v_div_fixup_f64 v[78:79], v[80:81], v[78:79], 1.0
	scratch_store_b64 v3, v[78:79], off
	scratch_load_b64 v[80:81], off, off offset:8
	s_wait_xcnt 0x1
	v_xor_b32_e32 v79, 0x80000000, v79
	s_wait_loadcnt 0x0
	ds_store_2addr_b64 v2, v[78:79], v[80:81] offset1:38
	s_wait_storecnt_dscnt 0x0
	s_barrier_signal -1
	s_barrier_wait -1
	s_wait_xcnt 0x0
	s_and_saveexec_b32 s1, s0
	s_cbranch_execz .LBB100_15
; %bb.14:
	scratch_load_b64 v[78:79], v3, off
	ds_load_b64 v[80:81], v1
	s_wait_loadcnt_dscnt 0x0
	v_fma_f64 v[78:79], v[78:79], v[80:81], 0
	v_mov_b32_e32 v9, 0
	ds_load_b64 v[82:83], v9 offset:8
	s_wait_dscnt 0x0
	v_mul_f64_e32 v[78:79], v[78:79], v[82:83]
	scratch_store_b64 off, v[78:79], off offset:8
.LBB100_15:
	s_wait_xcnt 0x0
	s_or_b32 exec_lo, exec_lo, s1
	s_wait_storecnt 0x0
	s_barrier_signal -1
	s_barrier_wait -1
	scratch_load_b64 v[78:79], off, off offset:16
	s_mov_b32 s1, exec_lo
	s_wait_loadcnt 0x0
	ds_store_b64 v1, v[78:79]
	s_wait_dscnt 0x0
	s_barrier_signal -1
	s_barrier_wait -1
	v_cmpx_gt_u32_e32 2, v0
	s_cbranch_execz .LBB100_19
; %bb.16:
	scratch_load_b64 v[78:79], v3, off
	ds_load_b64 v[80:81], v1
	s_wait_loadcnt_dscnt 0x0
	v_fma_f64 v[78:79], v[78:79], v[80:81], 0
	s_and_saveexec_b32 s4, s0
	s_cbranch_execz .LBB100_18
; %bb.17:
	scratch_load_b64 v[80:81], off, off offset:8
	v_mov_b32_e32 v3, 0
	ds_load_b64 v[82:83], v3 offset:312
	s_wait_loadcnt_dscnt 0x0
	v_fmac_f64_e32 v[78:79], v[80:81], v[82:83]
.LBB100_18:
	s_or_b32 exec_lo, exec_lo, s4
	v_mov_b32_e32 v3, 0
	ds_load_b64 v[80:81], v3 offset:16
	s_wait_dscnt 0x0
	v_mul_f64_e32 v[78:79], v[78:79], v[80:81]
	scratch_store_b64 off, v[78:79], off offset:16
.LBB100_19:
	s_wait_xcnt 0x0
	s_or_b32 exec_lo, exec_lo, s1
	s_wait_storecnt 0x0
	s_barrier_signal -1
	s_barrier_wait -1
	scratch_load_b64 v[78:79], off, off offset:24
	v_add_nc_u32_e32 v3, -1, v0
	s_mov_b32 s0, exec_lo
	s_wait_loadcnt 0x0
	ds_store_b64 v1, v[78:79]
	s_wait_dscnt 0x0
	s_barrier_signal -1
	s_barrier_wait -1
	v_cmpx_gt_u32_e32 3, v0
	s_cbranch_execz .LBB100_23
; %bb.20:
	v_mov_b64_e32 v[78:79], 0
	v_dual_add_nc_u32 v9, -1, v0 :: v_dual_mov_b32 v13, v2
	v_add_nc_u32_e32 v11, 0x130, v2
	s_mov_b32 s1, 0
.LBB100_21:                             ; =>This Inner Loop Header: Depth=1
	scratch_load_b64 v[80:81], v13, off
	ds_load_b64 v[82:83], v11
	v_dual_add_nc_u32 v9, 1, v9 :: v_dual_add_nc_u32 v11, 8, v11
	s_wait_xcnt 0x0
	v_add_nc_u32_e32 v13, 8, v13
	s_delay_alu instid0(VALU_DEP_2)
	v_cmp_lt_u32_e32 vcc_lo, 1, v9
	s_or_b32 s1, vcc_lo, s1
	s_wait_loadcnt_dscnt 0x0
	v_fmac_f64_e32 v[78:79], v[80:81], v[82:83]
	s_and_not1_b32 exec_lo, exec_lo, s1
	s_cbranch_execnz .LBB100_21
; %bb.22:
	s_or_b32 exec_lo, exec_lo, s1
	v_mov_b32_e32 v9, 0
	ds_load_b64 v[80:81], v9 offset:24
	s_wait_dscnt 0x0
	v_mul_f64_e32 v[78:79], v[78:79], v[80:81]
	scratch_store_b64 off, v[78:79], off offset:24
.LBB100_23:
	s_wait_xcnt 0x0
	s_or_b32 exec_lo, exec_lo, s0
	s_wait_storecnt 0x0
	s_barrier_signal -1
	s_barrier_wait -1
	scratch_load_b64 v[78:79], off, off offset:32
	s_mov_b32 s0, exec_lo
	s_wait_loadcnt 0x0
	ds_store_b64 v1, v[78:79]
	s_wait_dscnt 0x0
	s_barrier_signal -1
	s_barrier_wait -1
	v_cmpx_gt_u32_e32 4, v0
	s_cbranch_execz .LBB100_27
; %bb.24:
	v_mov_b64_e32 v[78:79], 0
	v_dual_add_nc_u32 v9, -1, v0 :: v_dual_mov_b32 v13, v2
	v_add_nc_u32_e32 v11, 0x130, v2
	s_mov_b32 s1, 0
.LBB100_25:                             ; =>This Inner Loop Header: Depth=1
	scratch_load_b64 v[80:81], v13, off
	ds_load_b64 v[82:83], v11
	v_dual_add_nc_u32 v9, 1, v9 :: v_dual_add_nc_u32 v11, 8, v11
	s_wait_xcnt 0x0
	v_add_nc_u32_e32 v13, 8, v13
	s_delay_alu instid0(VALU_DEP_2)
	v_cmp_lt_u32_e32 vcc_lo, 2, v9
	s_or_b32 s1, vcc_lo, s1
	s_wait_loadcnt_dscnt 0x0
	v_fmac_f64_e32 v[78:79], v[80:81], v[82:83]
	s_and_not1_b32 exec_lo, exec_lo, s1
	s_cbranch_execnz .LBB100_25
; %bb.26:
	s_or_b32 exec_lo, exec_lo, s1
	v_mov_b32_e32 v9, 0
	ds_load_b64 v[80:81], v9 offset:32
	s_wait_dscnt 0x0
	v_mul_f64_e32 v[78:79], v[78:79], v[80:81]
	scratch_store_b64 off, v[78:79], off offset:32
.LBB100_27:
	s_wait_xcnt 0x0
	s_or_b32 exec_lo, exec_lo, s0
	s_wait_storecnt 0x0
	s_barrier_signal -1
	s_barrier_wait -1
	scratch_load_b64 v[78:79], off, off offset:40
	;; [unrolled: 40-line block ×20, first 2 shown]
	s_mov_b32 s0, exec_lo
	s_wait_loadcnt 0x0
	ds_store_b64 v1, v[78:79]
	s_wait_dscnt 0x0
	s_barrier_signal -1
	s_barrier_wait -1
	v_cmpx_gt_u32_e32 23, v0
	s_cbranch_execz .LBB100_103
; %bb.100:
	v_mov_b64_e32 v[78:79], 0
	v_dual_add_nc_u32 v9, -1, v0 :: v_dual_mov_b32 v13, v2
	v_add_nc_u32_e32 v11, 0x130, v2
	s_mov_b32 s1, 0
.LBB100_101:                            ; =>This Inner Loop Header: Depth=1
	scratch_load_b64 v[80:81], v13, off
	ds_load_b64 v[82:83], v11
	v_dual_add_nc_u32 v9, 1, v9 :: v_dual_add_nc_u32 v11, 8, v11
	s_wait_xcnt 0x0
	v_add_nc_u32_e32 v13, 8, v13
	s_delay_alu instid0(VALU_DEP_2)
	v_cmp_lt_u32_e32 vcc_lo, 21, v9
	s_or_b32 s1, vcc_lo, s1
	s_wait_loadcnt_dscnt 0x0
	v_fmac_f64_e32 v[78:79], v[80:81], v[82:83]
	s_and_not1_b32 exec_lo, exec_lo, s1
	s_cbranch_execnz .LBB100_101
; %bb.102:
	s_or_b32 exec_lo, exec_lo, s1
	v_mov_b32_e32 v9, 0
	ds_load_b64 v[80:81], v9 offset:184
	s_wait_dscnt 0x0
	v_mul_f64_e32 v[78:79], v[78:79], v[80:81]
	scratch_store_b64 off, v[78:79], off offset:184
.LBB100_103:
	s_wait_xcnt 0x0
	s_or_b32 exec_lo, exec_lo, s0
	s_wait_storecnt 0x0
	s_barrier_signal -1
	s_barrier_wait -1
	scratch_load_b64 v[78:79], off, off offset:192
	s_mov_b32 s0, exec_lo
	s_wait_loadcnt 0x0
	ds_store_b64 v1, v[78:79]
	s_wait_dscnt 0x0
	s_barrier_signal -1
	s_barrier_wait -1
	v_cmpx_gt_u32_e32 24, v0
	s_cbranch_execz .LBB100_107
; %bb.104:
	v_mov_b64_e32 v[78:79], 0
	v_dual_add_nc_u32 v9, -1, v0 :: v_dual_mov_b32 v13, v2
	v_add_nc_u32_e32 v11, 0x130, v2
	s_mov_b32 s1, 0
.LBB100_105:                            ; =>This Inner Loop Header: Depth=1
	scratch_load_b64 v[80:81], v13, off
	ds_load_b64 v[82:83], v11
	v_dual_add_nc_u32 v9, 1, v9 :: v_dual_add_nc_u32 v11, 8, v11
	s_wait_xcnt 0x0
	v_add_nc_u32_e32 v13, 8, v13
	s_delay_alu instid0(VALU_DEP_2)
	v_cmp_lt_u32_e32 vcc_lo, 22, v9
	s_or_b32 s1, vcc_lo, s1
	s_wait_loadcnt_dscnt 0x0
	v_fmac_f64_e32 v[78:79], v[80:81], v[82:83]
	s_and_not1_b32 exec_lo, exec_lo, s1
	s_cbranch_execnz .LBB100_105
; %bb.106:
	s_or_b32 exec_lo, exec_lo, s1
	v_mov_b32_e32 v9, 0
	ds_load_b64 v[80:81], v9 offset:192
	s_wait_dscnt 0x0
	v_mul_f64_e32 v[78:79], v[78:79], v[80:81]
	scratch_store_b64 off, v[78:79], off offset:192
.LBB100_107:
	s_wait_xcnt 0x0
	s_or_b32 exec_lo, exec_lo, s0
	s_wait_storecnt 0x0
	s_barrier_signal -1
	s_barrier_wait -1
	scratch_load_b64 v[78:79], off, off offset:200
	;; [unrolled: 40-line block ×13, first 2 shown]
	s_mov_b32 s0, exec_lo
	s_wait_loadcnt 0x0
	ds_store_b64 v1, v[78:79]
	s_wait_dscnt 0x0
	s_barrier_signal -1
	s_barrier_wait -1
	v_cmpx_ne_u32_e32 36, v0
	s_cbranch_execz .LBB100_155
; %bb.152:
	v_mov_b64_e32 v[78:79], 0
	s_mov_b32 s1, 0
.LBB100_153:                            ; =>This Inner Loop Header: Depth=1
	scratch_load_b64 v[80:81], v2, off
	ds_load_b64 v[82:83], v1
	v_dual_add_nc_u32 v3, 1, v3 :: v_dual_add_nc_u32 v1, 8, v1
	s_wait_xcnt 0x0
	v_add_nc_u32_e32 v2, 8, v2
	s_delay_alu instid0(VALU_DEP_2)
	v_cmp_lt_u32_e32 vcc_lo, 34, v3
	s_or_b32 s1, vcc_lo, s1
	s_wait_loadcnt_dscnt 0x0
	v_fmac_f64_e32 v[78:79], v[80:81], v[82:83]
	s_and_not1_b32 exec_lo, exec_lo, s1
	s_cbranch_execnz .LBB100_153
; %bb.154:
	s_or_b32 exec_lo, exec_lo, s1
	v_mov_b32_e32 v1, 0
	ds_load_b64 v[2:3], v1 offset:288
	s_wait_dscnt 0x0
	v_mul_f64_e32 v[2:3], v[78:79], v[2:3]
	scratch_store_b64 off, v[2:3], off offset:288
.LBB100_155:
	s_wait_xcnt 0x0
	s_or_b32 exec_lo, exec_lo, s0
	s_mov_b32 s1, -1
	s_wait_storecnt 0x0
	s_barrier_signal -1
	s_barrier_wait -1
.LBB100_156:
	s_and_b32 vcc_lo, exec_lo, s1
	s_cbranch_vccz .LBB100_158
; %bb.157:
	v_mov_b32_e32 v1, 0
	s_lshl_b64 s[0:1], s[10:11], 2
	s_delay_alu instid0(SALU_CYCLE_1)
	s_add_nc_u64 s[0:1], s[6:7], s[0:1]
	global_load_b32 v1, v1, s[0:1]
	s_wait_loadcnt 0x0
	v_cmp_ne_u32_e32 vcc_lo, 0, v1
	s_cbranch_vccz .LBB100_159
.LBB100_158:
	s_sendmsg sendmsg(MSG_DEALLOC_VGPRS)
	s_endpgm
.LBB100_159:
	s_wait_xcnt 0x0
	v_lshl_add_u32 v1, v0, 3, 0x130
	s_mov_b32 s0, exec_lo
	v_cmpx_eq_u32_e32 36, v0
	s_cbranch_execz .LBB100_161
; %bb.160:
	scratch_load_b64 v[2:3], off, off offset:280
	v_mov_b64_e32 v[78:79], 0
	scratch_store_b64 off, v[78:79], off offset:280
	s_wait_loadcnt 0x0
	ds_store_b64 v1, v[2:3]
.LBB100_161:
	s_wait_xcnt 0x0
	s_or_b32 exec_lo, exec_lo, s0
	s_wait_storecnt_dscnt 0x0
	s_barrier_signal -1
	s_barrier_wait -1
	scratch_load_b128 v[78:81], off, off offset:280
	v_mov_b32_e32 v2, 0
	s_mov_b32 s0, exec_lo
	ds_load_b64 v[82:83], v2 offset:592
	s_wait_loadcnt_dscnt 0x0
	v_fma_f64 v[80:81], v[80:81], v[82:83], 0
	s_delay_alu instid0(VALU_DEP_1)
	v_add_f64_e64 v[78:79], v[78:79], -v[80:81]
	scratch_store_b64 off, v[78:79], off offset:280
	s_wait_xcnt 0x0
	v_cmpx_lt_u32_e32 34, v0
	s_cbranch_execz .LBB100_163
; %bb.162:
	scratch_load_b64 v[78:79], off, off offset:272
	v_mov_b64_e32 v[80:81], 0
	scratch_store_b64 off, v[80:81], off offset:272
	s_wait_loadcnt 0x0
	ds_store_b64 v1, v[78:79]
.LBB100_163:
	s_wait_xcnt 0x0
	s_or_b32 exec_lo, exec_lo, s0
	s_wait_storecnt_dscnt 0x0
	s_barrier_signal -1
	s_barrier_wait -1
	s_clause 0x1
	scratch_load_b128 v[78:81], off, off offset:272
	scratch_load_b64 v[86:87], off, off offset:288
	ds_load_2addr_b64 v[82:85], v2 offset0:73 offset1:74
	s_mov_b32 s0, exec_lo
	s_wait_loadcnt_dscnt 0x100
	v_fma_f64 v[2:3], v[80:81], v[82:83], 0
	s_wait_loadcnt 0x0
	s_delay_alu instid0(VALU_DEP_1) | instskip(NEXT) | instid1(VALU_DEP_1)
	v_fmac_f64_e32 v[2:3], v[86:87], v[84:85]
	v_add_f64_e64 v[2:3], v[78:79], -v[2:3]
	scratch_store_b64 off, v[2:3], off offset:272
	s_wait_xcnt 0x0
	v_cmpx_lt_u32_e32 33, v0
	s_cbranch_execz .LBB100_165
; %bb.164:
	scratch_load_b64 v[2:3], off, off offset:264
	v_mov_b64_e32 v[78:79], 0
	scratch_store_b64 off, v[78:79], off offset:264
	s_wait_loadcnt 0x0
	ds_store_b64 v1, v[2:3]
.LBB100_165:
	s_wait_xcnt 0x0
	s_or_b32 exec_lo, exec_lo, s0
	s_wait_storecnt_dscnt 0x0
	s_barrier_signal -1
	s_barrier_wait -1
	s_clause 0x1
	scratch_load_b128 v[78:81], off, off offset:264
	scratch_load_b128 v[82:85], off, off offset:280
	v_mov_b32_e32 v2, 0
	ds_load_b128 v[86:89], v2 offset:576
	ds_load_b64 v[90:91], v2 offset:592
	s_mov_b32 s0, exec_lo
	s_wait_loadcnt_dscnt 0x101
	v_fma_f64 v[80:81], v[80:81], v[86:87], 0
	s_wait_loadcnt 0x0
	s_delay_alu instid0(VALU_DEP_1) | instskip(SKIP_1) | instid1(VALU_DEP_1)
	v_fmac_f64_e32 v[80:81], v[82:83], v[88:89]
	s_wait_dscnt 0x0
	v_fmac_f64_e32 v[80:81], v[84:85], v[90:91]
	s_delay_alu instid0(VALU_DEP_1)
	v_add_f64_e64 v[78:79], v[78:79], -v[80:81]
	scratch_store_b64 off, v[78:79], off offset:264
	s_wait_xcnt 0x0
	v_cmpx_lt_u32_e32 32, v0
	s_cbranch_execz .LBB100_167
; %bb.166:
	scratch_load_b64 v[78:79], off, off offset:256
	v_mov_b64_e32 v[80:81], 0
	scratch_store_b64 off, v[80:81], off offset:256
	s_wait_loadcnt 0x0
	ds_store_b64 v1, v[78:79]
.LBB100_167:
	s_wait_xcnt 0x0
	s_or_b32 exec_lo, exec_lo, s0
	s_wait_storecnt_dscnt 0x0
	s_barrier_signal -1
	s_barrier_wait -1
	s_clause 0x2
	scratch_load_b128 v[78:81], off, off offset:256
	scratch_load_b128 v[82:85], off, off offset:272
	scratch_load_b64 v[94:95], off, off offset:288
	ds_load_2addr_b64 v[86:89], v2 offset0:71 offset1:72
	ds_load_2addr_b64 v[90:93], v2 offset0:73 offset1:74
	s_mov_b32 s0, exec_lo
	s_wait_loadcnt_dscnt 0x201
	v_fma_f64 v[2:3], v[80:81], v[86:87], 0
	s_wait_loadcnt 0x1
	s_delay_alu instid0(VALU_DEP_1) | instskip(SKIP_1) | instid1(VALU_DEP_1)
	v_fmac_f64_e32 v[2:3], v[82:83], v[88:89]
	s_wait_dscnt 0x0
	v_fmac_f64_e32 v[2:3], v[84:85], v[90:91]
	s_wait_loadcnt 0x0
	s_delay_alu instid0(VALU_DEP_1) | instskip(NEXT) | instid1(VALU_DEP_1)
	v_fmac_f64_e32 v[2:3], v[94:95], v[92:93]
	v_add_f64_e64 v[2:3], v[78:79], -v[2:3]
	scratch_store_b64 off, v[2:3], off offset:256
	s_wait_xcnt 0x0
	v_cmpx_lt_u32_e32 31, v0
	s_cbranch_execz .LBB100_169
; %bb.168:
	scratch_load_b64 v[2:3], off, off offset:248
	v_mov_b64_e32 v[78:79], 0
	scratch_store_b64 off, v[78:79], off offset:248
	s_wait_loadcnt 0x0
	ds_store_b64 v1, v[2:3]
.LBB100_169:
	s_wait_xcnt 0x0
	s_or_b32 exec_lo, exec_lo, s0
	s_wait_storecnt_dscnt 0x0
	s_barrier_signal -1
	s_barrier_wait -1
	s_clause 0x2
	scratch_load_b128 v[78:81], off, off offset:248
	scratch_load_b128 v[82:85], off, off offset:264
	;; [unrolled: 1-line block ×3, first 2 shown]
	v_mov_b32_e32 v2, 0
	ds_load_b128 v[90:93], v2 offset:560
	ds_load_b128 v[94:97], v2 offset:576
	s_mov_b32 s0, exec_lo
	s_wait_loadcnt_dscnt 0x201
	v_fma_f64 v[80:81], v[80:81], v[90:91], 0
	s_wait_loadcnt 0x1
	s_delay_alu instid0(VALU_DEP_1) | instskip(SKIP_4) | instid1(VALU_DEP_1)
	v_fmac_f64_e32 v[80:81], v[82:83], v[92:93]
	ds_load_b64 v[82:83], v2 offset:592
	s_wait_dscnt 0x1
	v_fmac_f64_e32 v[80:81], v[84:85], v[94:95]
	s_wait_loadcnt 0x0
	v_fmac_f64_e32 v[80:81], v[86:87], v[96:97]
	s_wait_dscnt 0x0
	s_delay_alu instid0(VALU_DEP_1) | instskip(NEXT) | instid1(VALU_DEP_1)
	v_fmac_f64_e32 v[80:81], v[88:89], v[82:83]
	v_add_f64_e64 v[78:79], v[78:79], -v[80:81]
	scratch_store_b64 off, v[78:79], off offset:248
	s_wait_xcnt 0x0
	v_cmpx_lt_u32_e32 30, v0
	s_cbranch_execz .LBB100_171
; %bb.170:
	scratch_load_b64 v[78:79], off, off offset:240
	v_mov_b64_e32 v[80:81], 0
	scratch_store_b64 off, v[80:81], off offset:240
	s_wait_loadcnt 0x0
	ds_store_b64 v1, v[78:79]
.LBB100_171:
	s_wait_xcnt 0x0
	s_or_b32 exec_lo, exec_lo, s0
	s_wait_storecnt_dscnt 0x0
	s_barrier_signal -1
	s_barrier_wait -1
	s_clause 0x3
	scratch_load_b128 v[78:81], off, off offset:240
	scratch_load_b128 v[82:85], off, off offset:256
	scratch_load_b128 v[86:89], off, off offset:272
	scratch_load_b64 v[98:99], off, off offset:288
	ds_load_2addr_b64 v[90:93], v2 offset0:69 offset1:70
	ds_load_2addr_b64 v[94:97], v2 offset0:71 offset1:72
	s_mov_b32 s0, exec_lo
	s_wait_loadcnt_dscnt 0x301
	v_fma_f64 v[90:91], v[80:81], v[90:91], 0
	s_wait_loadcnt 0x2
	s_delay_alu instid0(VALU_DEP_1) | instskip(SKIP_4) | instid1(VALU_DEP_1)
	v_fmac_f64_e32 v[90:91], v[82:83], v[92:93]
	ds_load_2addr_b64 v[80:83], v2 offset0:73 offset1:74
	s_wait_dscnt 0x1
	v_fmac_f64_e32 v[90:91], v[84:85], v[94:95]
	s_wait_loadcnt 0x1
	v_fmac_f64_e32 v[90:91], v[86:87], v[96:97]
	s_wait_dscnt 0x0
	s_delay_alu instid0(VALU_DEP_1) | instskip(SKIP_1) | instid1(VALU_DEP_1)
	v_fmac_f64_e32 v[90:91], v[88:89], v[80:81]
	s_wait_loadcnt 0x0
	v_fmac_f64_e32 v[90:91], v[98:99], v[82:83]
	s_delay_alu instid0(VALU_DEP_1)
	v_add_f64_e64 v[2:3], v[78:79], -v[90:91]
	scratch_store_b64 off, v[2:3], off offset:240
	s_wait_xcnt 0x0
	v_cmpx_lt_u32_e32 29, v0
	s_cbranch_execz .LBB100_173
; %bb.172:
	scratch_load_b64 v[2:3], off, off offset:232
	v_mov_b64_e32 v[78:79], 0
	scratch_store_b64 off, v[78:79], off offset:232
	s_wait_loadcnt 0x0
	ds_store_b64 v1, v[2:3]
.LBB100_173:
	s_wait_xcnt 0x0
	s_or_b32 exec_lo, exec_lo, s0
	s_wait_storecnt_dscnt 0x0
	s_barrier_signal -1
	s_barrier_wait -1
	s_clause 0x3
	scratch_load_b128 v[78:81], off, off offset:232
	scratch_load_b128 v[82:85], off, off offset:248
	;; [unrolled: 1-line block ×4, first 2 shown]
	v_mov_b32_e32 v2, 0
	ds_load_b128 v[94:97], v2 offset:544
	ds_load_b128 v[98:101], v2 offset:560
	s_mov_b32 s0, exec_lo
	s_wait_loadcnt_dscnt 0x301
	v_fma_f64 v[94:95], v[80:81], v[94:95], 0
	s_wait_loadcnt 0x2
	s_delay_alu instid0(VALU_DEP_1) | instskip(SKIP_1) | instid1(VALU_DEP_1)
	v_fmac_f64_e32 v[94:95], v[82:83], v[96:97]
	s_wait_dscnt 0x0
	v_fmac_f64_e32 v[94:95], v[84:85], v[98:99]
	ds_load_b128 v[80:83], v2 offset:576
	ds_load_b64 v[84:85], v2 offset:592
	s_wait_loadcnt 0x1
	v_fmac_f64_e32 v[94:95], v[86:87], v[100:101]
	s_wait_dscnt 0x1
	s_delay_alu instid0(VALU_DEP_1) | instskip(SKIP_1) | instid1(VALU_DEP_1)
	v_fmac_f64_e32 v[94:95], v[88:89], v[80:81]
	s_wait_loadcnt 0x0
	v_fmac_f64_e32 v[94:95], v[90:91], v[82:83]
	s_wait_dscnt 0x0
	s_delay_alu instid0(VALU_DEP_1) | instskip(NEXT) | instid1(VALU_DEP_1)
	v_fmac_f64_e32 v[94:95], v[92:93], v[84:85]
	v_add_f64_e64 v[78:79], v[78:79], -v[94:95]
	scratch_store_b64 off, v[78:79], off offset:232
	s_wait_xcnt 0x0
	v_cmpx_lt_u32_e32 28, v0
	s_cbranch_execz .LBB100_175
; %bb.174:
	scratch_load_b64 v[78:79], off, off offset:224
	v_mov_b64_e32 v[80:81], 0
	scratch_store_b64 off, v[80:81], off offset:224
	s_wait_loadcnt 0x0
	ds_store_b64 v1, v[78:79]
.LBB100_175:
	s_wait_xcnt 0x0
	s_or_b32 exec_lo, exec_lo, s0
	s_wait_storecnt_dscnt 0x0
	s_barrier_signal -1
	s_barrier_wait -1
	s_clause 0x4
	scratch_load_b128 v[78:81], off, off offset:224
	scratch_load_b128 v[82:85], off, off offset:240
	;; [unrolled: 1-line block ×4, first 2 shown]
	scratch_load_b64 v[102:103], off, off offset:288
	ds_load_2addr_b64 v[94:97], v2 offset0:67 offset1:68
	ds_load_2addr_b64 v[98:101], v2 offset0:69 offset1:70
	s_mov_b32 s0, exec_lo
	s_wait_loadcnt_dscnt 0x401
	v_fma_f64 v[94:95], v[80:81], v[94:95], 0
	s_wait_loadcnt 0x3
	s_delay_alu instid0(VALU_DEP_1) | instskip(SKIP_1) | instid1(VALU_DEP_1)
	v_fmac_f64_e32 v[94:95], v[82:83], v[96:97]
	s_wait_dscnt 0x0
	v_fmac_f64_e32 v[94:95], v[84:85], v[98:99]
	s_wait_loadcnt 0x2
	s_delay_alu instid0(VALU_DEP_1)
	v_fmac_f64_e32 v[94:95], v[86:87], v[100:101]
	ds_load_2addr_b64 v[80:83], v2 offset0:71 offset1:72
	ds_load_2addr_b64 v[84:87], v2 offset0:73 offset1:74
	s_wait_dscnt 0x1
	v_fmac_f64_e32 v[94:95], v[88:89], v[80:81]
	s_wait_loadcnt 0x1
	s_delay_alu instid0(VALU_DEP_1) | instskip(SKIP_1) | instid1(VALU_DEP_1)
	v_fmac_f64_e32 v[94:95], v[90:91], v[82:83]
	s_wait_dscnt 0x0
	v_fmac_f64_e32 v[94:95], v[92:93], v[84:85]
	s_wait_loadcnt 0x0
	s_delay_alu instid0(VALU_DEP_1) | instskip(NEXT) | instid1(VALU_DEP_1)
	v_fmac_f64_e32 v[94:95], v[102:103], v[86:87]
	v_add_f64_e64 v[2:3], v[78:79], -v[94:95]
	scratch_store_b64 off, v[2:3], off offset:224
	s_wait_xcnt 0x0
	v_cmpx_lt_u32_e32 27, v0
	s_cbranch_execz .LBB100_177
; %bb.176:
	scratch_load_b64 v[2:3], off, off offset:216
	v_mov_b64_e32 v[78:79], 0
	scratch_store_b64 off, v[78:79], off offset:216
	s_wait_loadcnt 0x0
	ds_store_b64 v1, v[2:3]
.LBB100_177:
	s_wait_xcnt 0x0
	s_or_b32 exec_lo, exec_lo, s0
	s_wait_storecnt_dscnt 0x0
	s_barrier_signal -1
	s_barrier_wait -1
	s_clause 0x4
	scratch_load_b128 v[78:81], off, off offset:216
	scratch_load_b128 v[82:85], off, off offset:232
	;; [unrolled: 1-line block ×5, first 2 shown]
	v_mov_b32_e32 v2, 0
	ds_load_b128 v[98:101], v2 offset:528
	ds_load_b128 v[102:105], v2 offset:544
	s_mov_b32 s0, exec_lo
	s_wait_loadcnt_dscnt 0x401
	v_fma_f64 v[98:99], v[80:81], v[98:99], 0
	s_wait_loadcnt 0x3
	s_delay_alu instid0(VALU_DEP_1) | instskip(SKIP_1) | instid1(VALU_DEP_1)
	v_fmac_f64_e32 v[98:99], v[82:83], v[100:101]
	s_wait_dscnt 0x0
	v_fmac_f64_e32 v[98:99], v[84:85], v[102:103]
	s_wait_loadcnt 0x2
	s_delay_alu instid0(VALU_DEP_1)
	v_fmac_f64_e32 v[98:99], v[86:87], v[104:105]
	ds_load_b128 v[80:83], v2 offset:560
	ds_load_b128 v[84:87], v2 offset:576
	s_wait_dscnt 0x1
	v_fmac_f64_e32 v[98:99], v[88:89], v[80:81]
	ds_load_b64 v[80:81], v2 offset:592
	s_wait_loadcnt 0x1
	v_fmac_f64_e32 v[98:99], v[90:91], v[82:83]
	s_wait_dscnt 0x1
	s_delay_alu instid0(VALU_DEP_1) | instskip(SKIP_1) | instid1(VALU_DEP_1)
	v_fmac_f64_e32 v[98:99], v[92:93], v[84:85]
	s_wait_loadcnt 0x0
	v_fmac_f64_e32 v[98:99], v[94:95], v[86:87]
	s_wait_dscnt 0x0
	s_delay_alu instid0(VALU_DEP_1) | instskip(NEXT) | instid1(VALU_DEP_1)
	v_fmac_f64_e32 v[98:99], v[96:97], v[80:81]
	v_add_f64_e64 v[78:79], v[78:79], -v[98:99]
	scratch_store_b64 off, v[78:79], off offset:216
	s_wait_xcnt 0x0
	v_cmpx_lt_u32_e32 26, v0
	s_cbranch_execz .LBB100_179
; %bb.178:
	scratch_load_b64 v[78:79], off, off offset:208
	v_mov_b64_e32 v[80:81], 0
	scratch_store_b64 off, v[80:81], off offset:208
	s_wait_loadcnt 0x0
	ds_store_b64 v1, v[78:79]
.LBB100_179:
	s_wait_xcnt 0x0
	s_or_b32 exec_lo, exec_lo, s0
	s_wait_storecnt_dscnt 0x0
	s_barrier_signal -1
	s_barrier_wait -1
	s_clause 0x5
	scratch_load_b128 v[78:81], off, off offset:208
	scratch_load_b128 v[82:85], off, off offset:224
	;; [unrolled: 1-line block ×5, first 2 shown]
	scratch_load_b64 v[106:107], off, off offset:288
	ds_load_2addr_b64 v[98:101], v2 offset0:65 offset1:66
	ds_load_2addr_b64 v[102:105], v2 offset0:67 offset1:68
	s_mov_b32 s0, exec_lo
	s_wait_loadcnt_dscnt 0x501
	v_fma_f64 v[98:99], v[80:81], v[98:99], 0
	s_wait_loadcnt 0x4
	s_delay_alu instid0(VALU_DEP_1) | instskip(SKIP_1) | instid1(VALU_DEP_1)
	v_fmac_f64_e32 v[98:99], v[82:83], v[100:101]
	s_wait_dscnt 0x0
	v_fmac_f64_e32 v[98:99], v[84:85], v[102:103]
	s_wait_loadcnt 0x3
	s_delay_alu instid0(VALU_DEP_1)
	v_fmac_f64_e32 v[98:99], v[86:87], v[104:105]
	ds_load_2addr_b64 v[80:83], v2 offset0:69 offset1:70
	ds_load_2addr_b64 v[84:87], v2 offset0:71 offset1:72
	s_wait_dscnt 0x1
	v_fmac_f64_e32 v[98:99], v[88:89], v[80:81]
	s_wait_loadcnt 0x2
	s_delay_alu instid0(VALU_DEP_1) | instskip(SKIP_4) | instid1(VALU_DEP_1)
	v_fmac_f64_e32 v[98:99], v[90:91], v[82:83]
	ds_load_2addr_b64 v[80:83], v2 offset0:73 offset1:74
	s_wait_dscnt 0x1
	v_fmac_f64_e32 v[98:99], v[92:93], v[84:85]
	s_wait_loadcnt 0x1
	v_fmac_f64_e32 v[98:99], v[94:95], v[86:87]
	s_wait_dscnt 0x0
	s_delay_alu instid0(VALU_DEP_1) | instskip(SKIP_1) | instid1(VALU_DEP_1)
	v_fmac_f64_e32 v[98:99], v[96:97], v[80:81]
	s_wait_loadcnt 0x0
	v_fmac_f64_e32 v[98:99], v[106:107], v[82:83]
	s_delay_alu instid0(VALU_DEP_1)
	v_add_f64_e64 v[2:3], v[78:79], -v[98:99]
	scratch_store_b64 off, v[2:3], off offset:208
	s_wait_xcnt 0x0
	v_cmpx_lt_u32_e32 25, v0
	s_cbranch_execz .LBB100_181
; %bb.180:
	scratch_load_b64 v[2:3], off, off offset:200
	v_mov_b64_e32 v[78:79], 0
	scratch_store_b64 off, v[78:79], off offset:200
	s_wait_loadcnt 0x0
	ds_store_b64 v1, v[2:3]
.LBB100_181:
	s_wait_xcnt 0x0
	s_or_b32 exec_lo, exec_lo, s0
	s_wait_storecnt_dscnt 0x0
	s_barrier_signal -1
	s_barrier_wait -1
	s_clause 0x5
	scratch_load_b128 v[78:81], off, off offset:200
	scratch_load_b128 v[82:85], off, off offset:216
	;; [unrolled: 1-line block ×6, first 2 shown]
	v_mov_b32_e32 v2, 0
	ds_load_b128 v[102:105], v2 offset:512
	ds_load_b128 v[106:109], v2 offset:528
	s_mov_b32 s0, exec_lo
	s_wait_loadcnt_dscnt 0x501
	v_fma_f64 v[102:103], v[80:81], v[102:103], 0
	s_wait_loadcnt 0x4
	s_delay_alu instid0(VALU_DEP_1) | instskip(SKIP_1) | instid1(VALU_DEP_1)
	v_fmac_f64_e32 v[102:103], v[82:83], v[104:105]
	s_wait_dscnt 0x0
	v_fmac_f64_e32 v[102:103], v[84:85], v[106:107]
	s_wait_loadcnt 0x3
	s_delay_alu instid0(VALU_DEP_1)
	v_fmac_f64_e32 v[102:103], v[86:87], v[108:109]
	ds_load_b128 v[80:83], v2 offset:544
	ds_load_b128 v[84:87], v2 offset:560
	s_wait_dscnt 0x1
	v_fmac_f64_e32 v[102:103], v[88:89], v[80:81]
	s_wait_loadcnt 0x2
	s_delay_alu instid0(VALU_DEP_1) | instskip(SKIP_1) | instid1(VALU_DEP_1)
	v_fmac_f64_e32 v[102:103], v[90:91], v[82:83]
	s_wait_dscnt 0x0
	v_fmac_f64_e32 v[102:103], v[92:93], v[84:85]
	ds_load_b128 v[80:83], v2 offset:576
	ds_load_b64 v[84:85], v2 offset:592
	s_wait_loadcnt 0x1
	v_fmac_f64_e32 v[102:103], v[94:95], v[86:87]
	s_wait_dscnt 0x1
	s_delay_alu instid0(VALU_DEP_1) | instskip(SKIP_1) | instid1(VALU_DEP_1)
	v_fmac_f64_e32 v[102:103], v[96:97], v[80:81]
	s_wait_loadcnt 0x0
	v_fmac_f64_e32 v[102:103], v[98:99], v[82:83]
	s_wait_dscnt 0x0
	s_delay_alu instid0(VALU_DEP_1) | instskip(NEXT) | instid1(VALU_DEP_1)
	v_fmac_f64_e32 v[102:103], v[100:101], v[84:85]
	v_add_f64_e64 v[78:79], v[78:79], -v[102:103]
	scratch_store_b64 off, v[78:79], off offset:200
	s_wait_xcnt 0x0
	v_cmpx_lt_u32_e32 24, v0
	s_cbranch_execz .LBB100_183
; %bb.182:
	scratch_load_b64 v[78:79], off, off offset:192
	v_mov_b64_e32 v[80:81], 0
	scratch_store_b64 off, v[80:81], off offset:192
	s_wait_loadcnt 0x0
	ds_store_b64 v1, v[78:79]
.LBB100_183:
	s_wait_xcnt 0x0
	s_or_b32 exec_lo, exec_lo, s0
	s_wait_storecnt_dscnt 0x0
	s_barrier_signal -1
	s_barrier_wait -1
	s_clause 0x5
	scratch_load_b128 v[78:81], off, off offset:192
	scratch_load_b128 v[82:85], off, off offset:208
	;; [unrolled: 1-line block ×6, first 2 shown]
	ds_load_2addr_b64 v[102:105], v2 offset0:63 offset1:64
	ds_load_2addr_b64 v[106:109], v2 offset0:65 offset1:66
	s_mov_b32 s0, exec_lo
	s_wait_loadcnt_dscnt 0x501
	v_fma_f64 v[102:103], v[80:81], v[102:103], 0
	s_wait_loadcnt 0x4
	s_delay_alu instid0(VALU_DEP_1) | instskip(SKIP_4) | instid1(VALU_DEP_1)
	v_fmac_f64_e32 v[102:103], v[82:83], v[104:105]
	scratch_load_b64 v[104:105], off, off offset:288
	s_wait_dscnt 0x0
	v_fmac_f64_e32 v[102:103], v[84:85], v[106:107]
	s_wait_loadcnt 0x4
	v_fmac_f64_e32 v[102:103], v[86:87], v[108:109]
	ds_load_2addr_b64 v[80:83], v2 offset0:67 offset1:68
	ds_load_2addr_b64 v[84:87], v2 offset0:69 offset1:70
	s_wait_dscnt 0x1
	v_fmac_f64_e32 v[102:103], v[88:89], v[80:81]
	s_wait_loadcnt 0x3
	s_delay_alu instid0(VALU_DEP_1) | instskip(SKIP_1) | instid1(VALU_DEP_1)
	v_fmac_f64_e32 v[102:103], v[90:91], v[82:83]
	s_wait_dscnt 0x0
	v_fmac_f64_e32 v[102:103], v[92:93], v[84:85]
	s_wait_loadcnt 0x2
	s_delay_alu instid0(VALU_DEP_1)
	v_fmac_f64_e32 v[102:103], v[94:95], v[86:87]
	ds_load_2addr_b64 v[80:83], v2 offset0:71 offset1:72
	ds_load_2addr_b64 v[84:87], v2 offset0:73 offset1:74
	s_wait_dscnt 0x1
	v_fmac_f64_e32 v[102:103], v[96:97], v[80:81]
	s_wait_loadcnt 0x1
	s_delay_alu instid0(VALU_DEP_1) | instskip(SKIP_1) | instid1(VALU_DEP_1)
	v_fmac_f64_e32 v[102:103], v[98:99], v[82:83]
	s_wait_dscnt 0x0
	v_fmac_f64_e32 v[102:103], v[100:101], v[84:85]
	s_wait_loadcnt 0x0
	s_delay_alu instid0(VALU_DEP_1) | instskip(NEXT) | instid1(VALU_DEP_1)
	v_fmac_f64_e32 v[102:103], v[104:105], v[86:87]
	v_add_f64_e64 v[2:3], v[78:79], -v[102:103]
	scratch_store_b64 off, v[2:3], off offset:192
	s_wait_xcnt 0x0
	v_cmpx_lt_u32_e32 23, v0
	s_cbranch_execz .LBB100_185
; %bb.184:
	scratch_load_b64 v[2:3], off, off offset:184
	v_mov_b64_e32 v[78:79], 0
	scratch_store_b64 off, v[78:79], off offset:184
	s_wait_loadcnt 0x0
	ds_store_b64 v1, v[2:3]
.LBB100_185:
	s_wait_xcnt 0x0
	s_or_b32 exec_lo, exec_lo, s0
	s_wait_storecnt_dscnt 0x0
	s_barrier_signal -1
	s_barrier_wait -1
	s_clause 0x5
	scratch_load_b128 v[78:81], off, off offset:184
	scratch_load_b128 v[82:85], off, off offset:200
	;; [unrolled: 1-line block ×6, first 2 shown]
	v_mov_b32_e32 v2, 0
	ds_load_b128 v[102:105], v2 offset:496
	ds_load_b128 v[106:109], v2 offset:512
	s_mov_b32 s0, exec_lo
	s_wait_loadcnt_dscnt 0x501
	v_fma_f64 v[110:111], v[80:81], v[102:103], 0
	s_wait_loadcnt 0x4
	s_delay_alu instid0(VALU_DEP_1) | instskip(SKIP_4) | instid1(VALU_DEP_1)
	v_fmac_f64_e32 v[110:111], v[82:83], v[104:105]
	scratch_load_b128 v[80:83], off, off offset:280
	s_wait_dscnt 0x0
	v_fmac_f64_e32 v[110:111], v[84:85], v[106:107]
	s_wait_loadcnt 0x4
	v_fmac_f64_e32 v[110:111], v[86:87], v[108:109]
	ds_load_b128 v[84:87], v2 offset:528
	ds_load_b128 v[102:105], v2 offset:544
	s_wait_dscnt 0x1
	v_fmac_f64_e32 v[110:111], v[88:89], v[84:85]
	s_wait_loadcnt 0x3
	s_delay_alu instid0(VALU_DEP_1)
	v_fmac_f64_e32 v[110:111], v[90:91], v[86:87]
	ds_load_b128 v[84:87], v2 offset:560
	ds_load_b128 v[88:91], v2 offset:576
	s_wait_dscnt 0x2
	v_fmac_f64_e32 v[110:111], v[92:93], v[102:103]
	s_wait_loadcnt 0x2
	s_delay_alu instid0(VALU_DEP_1) | instskip(SKIP_1) | instid1(VALU_DEP_1)
	v_fmac_f64_e32 v[110:111], v[94:95], v[104:105]
	s_wait_dscnt 0x1
	v_fmac_f64_e32 v[110:111], v[96:97], v[84:85]
	s_wait_loadcnt 0x1
	s_delay_alu instid0(VALU_DEP_1) | instskip(SKIP_1) | instid1(VALU_DEP_1)
	v_fmac_f64_e32 v[110:111], v[98:99], v[86:87]
	s_wait_dscnt 0x0
	v_fmac_f64_e32 v[110:111], v[100:101], v[88:89]
	s_wait_loadcnt 0x0
	s_delay_alu instid0(VALU_DEP_1) | instskip(SKIP_3) | instid1(VALU_DEP_1)
	v_fmac_f64_e32 v[110:111], v[80:81], v[90:91]
	ds_load_b64 v[80:81], v2 offset:592
	s_wait_dscnt 0x0
	v_fmac_f64_e32 v[110:111], v[82:83], v[80:81]
	v_add_f64_e64 v[78:79], v[78:79], -v[110:111]
	scratch_store_b64 off, v[78:79], off offset:184
	s_wait_xcnt 0x0
	v_cmpx_lt_u32_e32 22, v0
	s_cbranch_execz .LBB100_187
; %bb.186:
	scratch_load_b64 v[78:79], off, off offset:176
	v_mov_b64_e32 v[80:81], 0
	scratch_store_b64 off, v[80:81], off offset:176
	s_wait_loadcnt 0x0
	ds_store_b64 v1, v[78:79]
.LBB100_187:
	s_wait_xcnt 0x0
	s_or_b32 exec_lo, exec_lo, s0
	s_wait_storecnt_dscnt 0x0
	s_barrier_signal -1
	s_barrier_wait -1
	s_clause 0x5
	scratch_load_b128 v[78:81], off, off offset:176
	scratch_load_b128 v[82:85], off, off offset:192
	;; [unrolled: 1-line block ×6, first 2 shown]
	ds_load_2addr_b64 v[102:105], v2 offset0:61 offset1:62
	ds_load_2addr_b64 v[106:109], v2 offset0:63 offset1:64
	s_mov_b32 s0, exec_lo
	s_wait_loadcnt_dscnt 0x501
	v_fma_f64 v[110:111], v[80:81], v[102:103], 0
	s_wait_loadcnt 0x4
	s_delay_alu instid0(VALU_DEP_1)
	v_fmac_f64_e32 v[110:111], v[82:83], v[104:105]
	scratch_load_b128 v[80:83], off, off offset:272
	s_wait_dscnt 0x0
	v_fmac_f64_e32 v[110:111], v[84:85], v[106:107]
	scratch_load_b64 v[106:107], off, off offset:288
	s_wait_loadcnt 0x5
	v_fmac_f64_e32 v[110:111], v[86:87], v[108:109]
	ds_load_2addr_b64 v[84:87], v2 offset0:65 offset1:66
	ds_load_2addr_b64 v[102:105], v2 offset0:67 offset1:68
	s_wait_dscnt 0x1
	v_fmac_f64_e32 v[110:111], v[88:89], v[84:85]
	s_wait_loadcnt 0x4
	s_delay_alu instid0(VALU_DEP_1)
	v_fmac_f64_e32 v[110:111], v[90:91], v[86:87]
	ds_load_2addr_b64 v[84:87], v2 offset0:69 offset1:70
	ds_load_2addr_b64 v[88:91], v2 offset0:71 offset1:72
	s_wait_dscnt 0x2
	v_fmac_f64_e32 v[110:111], v[92:93], v[102:103]
	s_wait_loadcnt 0x3
	s_delay_alu instid0(VALU_DEP_1) | instskip(SKIP_1) | instid1(VALU_DEP_1)
	v_fmac_f64_e32 v[110:111], v[94:95], v[104:105]
	s_wait_dscnt 0x1
	v_fmac_f64_e32 v[110:111], v[96:97], v[84:85]
	s_wait_loadcnt 0x2
	s_delay_alu instid0(VALU_DEP_1) | instskip(SKIP_4) | instid1(VALU_DEP_1)
	v_fmac_f64_e32 v[110:111], v[98:99], v[86:87]
	ds_load_2addr_b64 v[84:87], v2 offset0:73 offset1:74
	s_wait_dscnt 0x1
	v_fmac_f64_e32 v[110:111], v[100:101], v[88:89]
	s_wait_loadcnt 0x1
	v_fmac_f64_e32 v[110:111], v[80:81], v[90:91]
	s_wait_dscnt 0x0
	s_delay_alu instid0(VALU_DEP_1) | instskip(SKIP_1) | instid1(VALU_DEP_1)
	v_fmac_f64_e32 v[110:111], v[82:83], v[84:85]
	s_wait_loadcnt 0x0
	v_fmac_f64_e32 v[110:111], v[106:107], v[86:87]
	s_delay_alu instid0(VALU_DEP_1)
	v_add_f64_e64 v[2:3], v[78:79], -v[110:111]
	scratch_store_b64 off, v[2:3], off offset:176
	s_wait_xcnt 0x0
	v_cmpx_lt_u32_e32 21, v0
	s_cbranch_execz .LBB100_189
; %bb.188:
	scratch_load_b64 v[2:3], off, off offset:168
	v_mov_b64_e32 v[78:79], 0
	scratch_store_b64 off, v[78:79], off offset:168
	s_wait_loadcnt 0x0
	ds_store_b64 v1, v[2:3]
.LBB100_189:
	s_wait_xcnt 0x0
	s_or_b32 exec_lo, exec_lo, s0
	s_wait_storecnt_dscnt 0x0
	s_barrier_signal -1
	s_barrier_wait -1
	s_clause 0x5
	scratch_load_b128 v[78:81], off, off offset:168
	scratch_load_b128 v[82:85], off, off offset:184
	;; [unrolled: 1-line block ×6, first 2 shown]
	v_mov_b32_e32 v2, 0
	ds_load_b128 v[102:105], v2 offset:480
	ds_load_b128 v[106:109], v2 offset:496
	s_mov_b32 s0, exec_lo
	s_wait_loadcnt_dscnt 0x501
	v_fma_f64 v[110:111], v[80:81], v[102:103], 0
	s_wait_loadcnt 0x4
	s_delay_alu instid0(VALU_DEP_1) | instskip(SKIP_4) | instid1(VALU_DEP_1)
	v_fmac_f64_e32 v[110:111], v[82:83], v[104:105]
	scratch_load_b128 v[80:83], off, off offset:264
	s_wait_dscnt 0x0
	v_fmac_f64_e32 v[110:111], v[84:85], v[106:107]
	s_wait_loadcnt 0x4
	v_fmac_f64_e32 v[110:111], v[86:87], v[108:109]
	scratch_load_b128 v[84:87], off, off offset:280
	ds_load_b128 v[102:105], v2 offset:512
	ds_load_b128 v[106:109], v2 offset:528
	s_wait_dscnt 0x1
	v_fmac_f64_e32 v[110:111], v[88:89], v[102:103]
	s_wait_loadcnt 0x4
	s_delay_alu instid0(VALU_DEP_1) | instskip(SKIP_1) | instid1(VALU_DEP_1)
	v_fmac_f64_e32 v[110:111], v[90:91], v[104:105]
	s_wait_dscnt 0x0
	v_fmac_f64_e32 v[110:111], v[92:93], v[106:107]
	s_wait_loadcnt 0x3
	s_delay_alu instid0(VALU_DEP_1)
	v_fmac_f64_e32 v[110:111], v[94:95], v[108:109]
	ds_load_b128 v[88:91], v2 offset:544
	ds_load_b128 v[92:95], v2 offset:560
	s_wait_dscnt 0x1
	v_fmac_f64_e32 v[110:111], v[96:97], v[88:89]
	s_wait_loadcnt 0x2
	s_delay_alu instid0(VALU_DEP_1) | instskip(SKIP_1) | instid1(VALU_DEP_1)
	v_fmac_f64_e32 v[110:111], v[98:99], v[90:91]
	s_wait_dscnt 0x0
	v_fmac_f64_e32 v[110:111], v[100:101], v[92:93]
	s_wait_loadcnt 0x1
	s_delay_alu instid0(VALU_DEP_1)
	v_fmac_f64_e32 v[110:111], v[80:81], v[94:95]
	ds_load_b128 v[88:91], v2 offset:576
	ds_load_b64 v[80:81], v2 offset:592
	s_wait_dscnt 0x1
	v_fmac_f64_e32 v[110:111], v[82:83], v[88:89]
	s_wait_loadcnt 0x0
	s_delay_alu instid0(VALU_DEP_1) | instskip(SKIP_1) | instid1(VALU_DEP_1)
	v_fmac_f64_e32 v[110:111], v[84:85], v[90:91]
	s_wait_dscnt 0x0
	v_fmac_f64_e32 v[110:111], v[86:87], v[80:81]
	s_delay_alu instid0(VALU_DEP_1)
	v_add_f64_e64 v[78:79], v[78:79], -v[110:111]
	scratch_store_b64 off, v[78:79], off offset:168
	s_wait_xcnt 0x0
	v_cmpx_lt_u32_e32 20, v0
	s_cbranch_execz .LBB100_191
; %bb.190:
	scratch_load_b64 v[78:79], off, off offset:160
	v_mov_b64_e32 v[80:81], 0
	scratch_store_b64 off, v[80:81], off offset:160
	s_wait_loadcnt 0x0
	ds_store_b64 v1, v[78:79]
.LBB100_191:
	s_wait_xcnt 0x0
	s_or_b32 exec_lo, exec_lo, s0
	s_wait_storecnt_dscnt 0x0
	s_barrier_signal -1
	s_barrier_wait -1
	s_clause 0x5
	scratch_load_b128 v[78:81], off, off offset:160
	scratch_load_b128 v[82:85], off, off offset:176
	;; [unrolled: 1-line block ×6, first 2 shown]
	ds_load_2addr_b64 v[102:105], v2 offset0:59 offset1:60
	ds_load_2addr_b64 v[106:109], v2 offset0:61 offset1:62
	s_mov_b32 s0, exec_lo
	s_wait_loadcnt_dscnt 0x501
	v_fma_f64 v[110:111], v[80:81], v[102:103], 0
	s_wait_loadcnt 0x4
	s_delay_alu instid0(VALU_DEP_1) | instskip(SKIP_4) | instid1(VALU_DEP_1)
	v_fmac_f64_e32 v[110:111], v[82:83], v[104:105]
	scratch_load_b128 v[80:83], off, off offset:256
	s_wait_dscnt 0x0
	v_fmac_f64_e32 v[110:111], v[84:85], v[106:107]
	s_wait_loadcnt 0x4
	v_fmac_f64_e32 v[110:111], v[86:87], v[108:109]
	scratch_load_b128 v[84:87], off, off offset:272
	ds_load_2addr_b64 v[102:105], v2 offset0:63 offset1:64
	ds_load_2addr_b64 v[106:109], v2 offset0:65 offset1:66
	s_wait_dscnt 0x1
	v_fmac_f64_e32 v[110:111], v[88:89], v[102:103]
	scratch_load_b64 v[102:103], off, off offset:288
	s_wait_loadcnt 0x5
	v_fmac_f64_e32 v[110:111], v[90:91], v[104:105]
	s_wait_dscnt 0x0
	s_delay_alu instid0(VALU_DEP_1) | instskip(SKIP_1) | instid1(VALU_DEP_1)
	v_fmac_f64_e32 v[110:111], v[92:93], v[106:107]
	s_wait_loadcnt 0x4
	v_fmac_f64_e32 v[110:111], v[94:95], v[108:109]
	ds_load_2addr_b64 v[88:91], v2 offset0:67 offset1:68
	ds_load_2addr_b64 v[92:95], v2 offset0:69 offset1:70
	s_wait_dscnt 0x1
	v_fmac_f64_e32 v[110:111], v[96:97], v[88:89]
	s_wait_loadcnt 0x3
	s_delay_alu instid0(VALU_DEP_1) | instskip(SKIP_1) | instid1(VALU_DEP_1)
	v_fmac_f64_e32 v[110:111], v[98:99], v[90:91]
	s_wait_dscnt 0x0
	v_fmac_f64_e32 v[110:111], v[100:101], v[92:93]
	s_wait_loadcnt 0x2
	s_delay_alu instid0(VALU_DEP_1)
	v_fmac_f64_e32 v[110:111], v[80:81], v[94:95]
	ds_load_2addr_b64 v[88:91], v2 offset0:71 offset1:72
	ds_load_2addr_b64 v[92:95], v2 offset0:73 offset1:74
	s_wait_dscnt 0x1
	v_fmac_f64_e32 v[110:111], v[82:83], v[88:89]
	s_wait_loadcnt 0x1
	s_delay_alu instid0(VALU_DEP_1) | instskip(SKIP_1) | instid1(VALU_DEP_1)
	v_fmac_f64_e32 v[110:111], v[84:85], v[90:91]
	s_wait_dscnt 0x0
	v_fmac_f64_e32 v[110:111], v[86:87], v[92:93]
	s_wait_loadcnt 0x0
	s_delay_alu instid0(VALU_DEP_1) | instskip(NEXT) | instid1(VALU_DEP_1)
	v_fmac_f64_e32 v[110:111], v[102:103], v[94:95]
	v_add_f64_e64 v[2:3], v[78:79], -v[110:111]
	scratch_store_b64 off, v[2:3], off offset:160
	s_wait_xcnt 0x0
	v_cmpx_lt_u32_e32 19, v0
	s_cbranch_execz .LBB100_193
; %bb.192:
	scratch_load_b64 v[2:3], off, off offset:152
	v_mov_b64_e32 v[78:79], 0
	scratch_store_b64 off, v[78:79], off offset:152
	s_wait_loadcnt 0x0
	ds_store_b64 v1, v[2:3]
.LBB100_193:
	s_wait_xcnt 0x0
	s_or_b32 exec_lo, exec_lo, s0
	s_wait_storecnt_dscnt 0x0
	s_barrier_signal -1
	s_barrier_wait -1
	s_clause 0x5
	scratch_load_b128 v[78:81], off, off offset:152
	scratch_load_b128 v[82:85], off, off offset:168
	;; [unrolled: 1-line block ×6, first 2 shown]
	v_mov_b32_e32 v2, 0
	ds_load_b128 v[102:105], v2 offset:464
	ds_load_b128 v[106:109], v2 offset:480
	s_mov_b32 s0, exec_lo
	s_wait_loadcnt_dscnt 0x501
	v_fma_f64 v[110:111], v[80:81], v[102:103], 0
	s_wait_loadcnt 0x4
	s_delay_alu instid0(VALU_DEP_1) | instskip(SKIP_4) | instid1(VALU_DEP_1)
	v_fmac_f64_e32 v[110:111], v[82:83], v[104:105]
	scratch_load_b128 v[80:83], off, off offset:248
	s_wait_dscnt 0x0
	v_fmac_f64_e32 v[110:111], v[84:85], v[106:107]
	s_wait_loadcnt 0x4
	v_fmac_f64_e32 v[110:111], v[86:87], v[108:109]
	scratch_load_b128 v[84:87], off, off offset:264
	ds_load_b128 v[102:105], v2 offset:496
	ds_load_b128 v[106:109], v2 offset:512
	s_wait_dscnt 0x1
	v_fmac_f64_e32 v[110:111], v[88:89], v[102:103]
	s_wait_loadcnt 0x4
	s_delay_alu instid0(VALU_DEP_1) | instskip(SKIP_4) | instid1(VALU_DEP_1)
	v_fmac_f64_e32 v[110:111], v[90:91], v[104:105]
	scratch_load_b128 v[88:91], off, off offset:280
	s_wait_dscnt 0x0
	v_fmac_f64_e32 v[110:111], v[92:93], v[106:107]
	s_wait_loadcnt 0x4
	v_fmac_f64_e32 v[110:111], v[94:95], v[108:109]
	ds_load_b128 v[92:95], v2 offset:528
	ds_load_b128 v[102:105], v2 offset:544
	s_wait_dscnt 0x1
	v_fmac_f64_e32 v[110:111], v[96:97], v[92:93]
	s_wait_loadcnt 0x3
	s_delay_alu instid0(VALU_DEP_1)
	v_fmac_f64_e32 v[110:111], v[98:99], v[94:95]
	ds_load_b128 v[92:95], v2 offset:560
	ds_load_b128 v[96:99], v2 offset:576
	s_wait_dscnt 0x2
	v_fmac_f64_e32 v[110:111], v[100:101], v[102:103]
	s_wait_loadcnt 0x2
	s_delay_alu instid0(VALU_DEP_1) | instskip(SKIP_4) | instid1(VALU_DEP_1)
	v_fmac_f64_e32 v[110:111], v[80:81], v[104:105]
	ds_load_b64 v[80:81], v2 offset:592
	s_wait_dscnt 0x2
	v_fmac_f64_e32 v[110:111], v[82:83], v[92:93]
	s_wait_loadcnt 0x1
	v_fmac_f64_e32 v[110:111], v[84:85], v[94:95]
	s_wait_dscnt 0x1
	s_delay_alu instid0(VALU_DEP_1) | instskip(SKIP_1) | instid1(VALU_DEP_1)
	v_fmac_f64_e32 v[110:111], v[86:87], v[96:97]
	s_wait_loadcnt 0x0
	v_fmac_f64_e32 v[110:111], v[88:89], v[98:99]
	s_wait_dscnt 0x0
	s_delay_alu instid0(VALU_DEP_1) | instskip(NEXT) | instid1(VALU_DEP_1)
	v_fmac_f64_e32 v[110:111], v[90:91], v[80:81]
	v_add_f64_e64 v[78:79], v[78:79], -v[110:111]
	scratch_store_b64 off, v[78:79], off offset:152
	s_wait_xcnt 0x0
	v_cmpx_lt_u32_e32 18, v0
	s_cbranch_execz .LBB100_195
; %bb.194:
	scratch_load_b64 v[78:79], off, off offset:144
	v_mov_b64_e32 v[80:81], 0
	scratch_store_b64 off, v[80:81], off offset:144
	s_wait_loadcnt 0x0
	ds_store_b64 v1, v[78:79]
.LBB100_195:
	s_wait_xcnt 0x0
	s_or_b32 exec_lo, exec_lo, s0
	s_wait_storecnt_dscnt 0x0
	s_barrier_signal -1
	s_barrier_wait -1
	s_clause 0x5
	scratch_load_b128 v[78:81], off, off offset:144
	scratch_load_b128 v[82:85], off, off offset:160
	;; [unrolled: 1-line block ×6, first 2 shown]
	ds_load_2addr_b64 v[102:105], v2 offset0:57 offset1:58
	ds_load_2addr_b64 v[106:109], v2 offset0:59 offset1:60
	s_mov_b32 s0, exec_lo
	s_wait_loadcnt_dscnt 0x501
	v_fma_f64 v[110:111], v[80:81], v[102:103], 0
	s_wait_loadcnt 0x4
	s_delay_alu instid0(VALU_DEP_1) | instskip(SKIP_4) | instid1(VALU_DEP_1)
	v_fmac_f64_e32 v[110:111], v[82:83], v[104:105]
	scratch_load_b128 v[80:83], off, off offset:240
	s_wait_dscnt 0x0
	v_fmac_f64_e32 v[110:111], v[84:85], v[106:107]
	s_wait_loadcnt 0x4
	v_fmac_f64_e32 v[110:111], v[86:87], v[108:109]
	scratch_load_b128 v[84:87], off, off offset:256
	ds_load_2addr_b64 v[102:105], v2 offset0:61 offset1:62
	ds_load_2addr_b64 v[106:109], v2 offset0:63 offset1:64
	s_wait_dscnt 0x1
	v_fmac_f64_e32 v[110:111], v[88:89], v[102:103]
	s_wait_loadcnt 0x4
	s_delay_alu instid0(VALU_DEP_1)
	v_fmac_f64_e32 v[110:111], v[90:91], v[104:105]
	scratch_load_b128 v[88:91], off, off offset:272
	s_wait_dscnt 0x0
	v_fmac_f64_e32 v[110:111], v[92:93], v[106:107]
	scratch_load_b64 v[106:107], off, off offset:288
	s_wait_loadcnt 0x5
	v_fmac_f64_e32 v[110:111], v[94:95], v[108:109]
	ds_load_2addr_b64 v[92:95], v2 offset0:65 offset1:66
	ds_load_2addr_b64 v[102:105], v2 offset0:67 offset1:68
	s_wait_dscnt 0x1
	v_fmac_f64_e32 v[110:111], v[96:97], v[92:93]
	s_wait_loadcnt 0x4
	s_delay_alu instid0(VALU_DEP_1)
	v_fmac_f64_e32 v[110:111], v[98:99], v[94:95]
	ds_load_2addr_b64 v[92:95], v2 offset0:69 offset1:70
	ds_load_2addr_b64 v[96:99], v2 offset0:71 offset1:72
	s_wait_dscnt 0x2
	v_fmac_f64_e32 v[110:111], v[100:101], v[102:103]
	s_wait_loadcnt 0x3
	s_delay_alu instid0(VALU_DEP_1) | instskip(SKIP_1) | instid1(VALU_DEP_1)
	v_fmac_f64_e32 v[110:111], v[80:81], v[104:105]
	s_wait_dscnt 0x1
	v_fmac_f64_e32 v[110:111], v[82:83], v[92:93]
	ds_load_2addr_b64 v[80:83], v2 offset0:73 offset1:74
	s_wait_loadcnt 0x2
	v_fmac_f64_e32 v[110:111], v[84:85], v[94:95]
	s_wait_dscnt 0x1
	s_delay_alu instid0(VALU_DEP_1) | instskip(SKIP_1) | instid1(VALU_DEP_1)
	v_fmac_f64_e32 v[110:111], v[86:87], v[96:97]
	s_wait_loadcnt 0x1
	v_fmac_f64_e32 v[110:111], v[88:89], v[98:99]
	s_wait_dscnt 0x0
	s_delay_alu instid0(VALU_DEP_1) | instskip(SKIP_1) | instid1(VALU_DEP_1)
	v_fmac_f64_e32 v[110:111], v[90:91], v[80:81]
	s_wait_loadcnt 0x0
	v_fmac_f64_e32 v[110:111], v[106:107], v[82:83]
	s_delay_alu instid0(VALU_DEP_1)
	v_add_f64_e64 v[2:3], v[78:79], -v[110:111]
	scratch_store_b64 off, v[2:3], off offset:144
	s_wait_xcnt 0x0
	v_cmpx_lt_u32_e32 17, v0
	s_cbranch_execz .LBB100_197
; %bb.196:
	scratch_load_b64 v[2:3], off, off offset:136
	v_mov_b64_e32 v[78:79], 0
	scratch_store_b64 off, v[78:79], off offset:136
	s_wait_loadcnt 0x0
	ds_store_b64 v1, v[2:3]
.LBB100_197:
	s_wait_xcnt 0x0
	s_or_b32 exec_lo, exec_lo, s0
	s_wait_storecnt_dscnt 0x0
	s_barrier_signal -1
	s_barrier_wait -1
	s_clause 0x5
	scratch_load_b128 v[78:81], off, off offset:136
	scratch_load_b128 v[82:85], off, off offset:152
	;; [unrolled: 1-line block ×6, first 2 shown]
	v_mov_b32_e32 v2, 0
	ds_load_b128 v[102:105], v2 offset:448
	ds_load_b128 v[106:109], v2 offset:464
	s_mov_b32 s0, exec_lo
	s_wait_loadcnt_dscnt 0x501
	v_fma_f64 v[110:111], v[80:81], v[102:103], 0
	s_wait_loadcnt 0x4
	s_delay_alu instid0(VALU_DEP_1) | instskip(SKIP_4) | instid1(VALU_DEP_1)
	v_fmac_f64_e32 v[110:111], v[82:83], v[104:105]
	scratch_load_b128 v[80:83], off, off offset:232
	s_wait_dscnt 0x0
	v_fmac_f64_e32 v[110:111], v[84:85], v[106:107]
	s_wait_loadcnt 0x4
	v_fmac_f64_e32 v[110:111], v[86:87], v[108:109]
	scratch_load_b128 v[84:87], off, off offset:248
	ds_load_b128 v[102:105], v2 offset:480
	ds_load_b128 v[106:109], v2 offset:496
	s_wait_dscnt 0x1
	v_fmac_f64_e32 v[110:111], v[88:89], v[102:103]
	s_wait_loadcnt 0x4
	s_delay_alu instid0(VALU_DEP_1) | instskip(SKIP_4) | instid1(VALU_DEP_1)
	v_fmac_f64_e32 v[110:111], v[90:91], v[104:105]
	scratch_load_b128 v[88:91], off, off offset:264
	s_wait_dscnt 0x0
	v_fmac_f64_e32 v[110:111], v[92:93], v[106:107]
	s_wait_loadcnt 0x4
	v_fmac_f64_e32 v[110:111], v[94:95], v[108:109]
	scratch_load_b128 v[92:95], off, off offset:280
	ds_load_b128 v[102:105], v2 offset:512
	ds_load_b128 v[106:109], v2 offset:528
	s_wait_dscnt 0x1
	v_fmac_f64_e32 v[110:111], v[96:97], v[102:103]
	s_wait_loadcnt 0x4
	s_delay_alu instid0(VALU_DEP_1) | instskip(SKIP_1) | instid1(VALU_DEP_1)
	v_fmac_f64_e32 v[110:111], v[98:99], v[104:105]
	s_wait_dscnt 0x0
	v_fmac_f64_e32 v[110:111], v[100:101], v[106:107]
	ds_load_b128 v[96:99], v2 offset:544
	ds_load_b128 v[100:103], v2 offset:560
	s_wait_loadcnt 0x3
	v_fmac_f64_e32 v[110:111], v[80:81], v[108:109]
	s_wait_dscnt 0x1
	s_delay_alu instid0(VALU_DEP_1) | instskip(SKIP_1) | instid1(VALU_DEP_1)
	v_fmac_f64_e32 v[110:111], v[82:83], v[96:97]
	s_wait_loadcnt 0x2
	v_fmac_f64_e32 v[110:111], v[84:85], v[98:99]
	ds_load_b128 v[80:83], v2 offset:576
	ds_load_b64 v[84:85], v2 offset:592
	s_wait_dscnt 0x2
	v_fmac_f64_e32 v[110:111], v[86:87], v[100:101]
	s_wait_loadcnt 0x1
	s_delay_alu instid0(VALU_DEP_1) | instskip(SKIP_1) | instid1(VALU_DEP_1)
	v_fmac_f64_e32 v[110:111], v[88:89], v[102:103]
	s_wait_dscnt 0x1
	v_fmac_f64_e32 v[110:111], v[90:91], v[80:81]
	s_wait_loadcnt 0x0
	s_delay_alu instid0(VALU_DEP_1) | instskip(SKIP_1) | instid1(VALU_DEP_1)
	v_fmac_f64_e32 v[110:111], v[92:93], v[82:83]
	s_wait_dscnt 0x0
	v_fmac_f64_e32 v[110:111], v[94:95], v[84:85]
	s_delay_alu instid0(VALU_DEP_1)
	v_add_f64_e64 v[78:79], v[78:79], -v[110:111]
	scratch_store_b64 off, v[78:79], off offset:136
	s_wait_xcnt 0x0
	v_cmpx_lt_u32_e32 16, v0
	s_cbranch_execz .LBB100_199
; %bb.198:
	scratch_load_b64 v[78:79], off, off offset:128
	v_mov_b64_e32 v[80:81], 0
	scratch_store_b64 off, v[80:81], off offset:128
	s_wait_loadcnt 0x0
	ds_store_b64 v1, v[78:79]
.LBB100_199:
	s_wait_xcnt 0x0
	s_or_b32 exec_lo, exec_lo, s0
	s_wait_storecnt_dscnt 0x0
	s_barrier_signal -1
	s_barrier_wait -1
	s_clause 0x5
	scratch_load_b128 v[78:81], off, off offset:128
	scratch_load_b128 v[82:85], off, off offset:144
	;; [unrolled: 1-line block ×6, first 2 shown]
	ds_load_2addr_b64 v[102:105], v2 offset0:55 offset1:56
	ds_load_2addr_b64 v[106:109], v2 offset0:57 offset1:58
	s_mov_b32 s0, exec_lo
	s_wait_loadcnt_dscnt 0x501
	v_fma_f64 v[110:111], v[80:81], v[102:103], 0
	s_wait_loadcnt 0x4
	s_delay_alu instid0(VALU_DEP_1) | instskip(SKIP_4) | instid1(VALU_DEP_1)
	v_fmac_f64_e32 v[110:111], v[82:83], v[104:105]
	scratch_load_b128 v[80:83], off, off offset:224
	s_wait_dscnt 0x0
	v_fmac_f64_e32 v[110:111], v[84:85], v[106:107]
	s_wait_loadcnt 0x4
	v_fmac_f64_e32 v[110:111], v[86:87], v[108:109]
	scratch_load_b128 v[84:87], off, off offset:240
	ds_load_2addr_b64 v[102:105], v2 offset0:59 offset1:60
	ds_load_2addr_b64 v[106:109], v2 offset0:61 offset1:62
	s_wait_dscnt 0x1
	v_fmac_f64_e32 v[110:111], v[88:89], v[102:103]
	s_wait_loadcnt 0x4
	s_delay_alu instid0(VALU_DEP_1) | instskip(SKIP_4) | instid1(VALU_DEP_1)
	v_fmac_f64_e32 v[110:111], v[90:91], v[104:105]
	scratch_load_b128 v[88:91], off, off offset:256
	s_wait_dscnt 0x0
	v_fmac_f64_e32 v[110:111], v[92:93], v[106:107]
	s_wait_loadcnt 0x4
	v_fmac_f64_e32 v[110:111], v[94:95], v[108:109]
	scratch_load_b128 v[92:95], off, off offset:272
	ds_load_2addr_b64 v[102:105], v2 offset0:63 offset1:64
	ds_load_2addr_b64 v[106:109], v2 offset0:65 offset1:66
	s_wait_dscnt 0x1
	v_fmac_f64_e32 v[110:111], v[96:97], v[102:103]
	s_wait_loadcnt 0x4
	s_delay_alu instid0(VALU_DEP_1)
	v_fmac_f64_e32 v[110:111], v[98:99], v[104:105]
	scratch_load_b64 v[104:105], off, off offset:288
	s_wait_dscnt 0x0
	v_fmac_f64_e32 v[110:111], v[100:101], v[106:107]
	ds_load_2addr_b64 v[96:99], v2 offset0:67 offset1:68
	ds_load_2addr_b64 v[100:103], v2 offset0:69 offset1:70
	s_wait_loadcnt 0x4
	v_fmac_f64_e32 v[110:111], v[80:81], v[108:109]
	s_wait_dscnt 0x1
	s_delay_alu instid0(VALU_DEP_1) | instskip(SKIP_1) | instid1(VALU_DEP_1)
	v_fmac_f64_e32 v[110:111], v[82:83], v[96:97]
	s_wait_loadcnt 0x3
	v_fmac_f64_e32 v[110:111], v[84:85], v[98:99]
	s_wait_dscnt 0x0
	s_delay_alu instid0(VALU_DEP_1)
	v_fmac_f64_e32 v[110:111], v[86:87], v[100:101]
	ds_load_2addr_b64 v[80:83], v2 offset0:71 offset1:72
	ds_load_2addr_b64 v[84:87], v2 offset0:73 offset1:74
	s_wait_loadcnt 0x2
	v_fmac_f64_e32 v[110:111], v[88:89], v[102:103]
	s_wait_dscnt 0x1
	s_delay_alu instid0(VALU_DEP_1) | instskip(SKIP_1) | instid1(VALU_DEP_1)
	v_fmac_f64_e32 v[110:111], v[90:91], v[80:81]
	s_wait_loadcnt 0x1
	v_fmac_f64_e32 v[110:111], v[92:93], v[82:83]
	s_wait_dscnt 0x0
	s_delay_alu instid0(VALU_DEP_1) | instskip(SKIP_1) | instid1(VALU_DEP_1)
	v_fmac_f64_e32 v[110:111], v[94:95], v[84:85]
	s_wait_loadcnt 0x0
	v_fmac_f64_e32 v[110:111], v[104:105], v[86:87]
	s_delay_alu instid0(VALU_DEP_1)
	v_add_f64_e64 v[2:3], v[78:79], -v[110:111]
	scratch_store_b64 off, v[2:3], off offset:128
	s_wait_xcnt 0x0
	v_cmpx_lt_u32_e32 15, v0
	s_cbranch_execz .LBB100_201
; %bb.200:
	scratch_load_b64 v[2:3], off, off offset:120
	v_mov_b64_e32 v[78:79], 0
	scratch_store_b64 off, v[78:79], off offset:120
	s_wait_loadcnt 0x0
	ds_store_b64 v1, v[2:3]
.LBB100_201:
	s_wait_xcnt 0x0
	s_or_b32 exec_lo, exec_lo, s0
	s_wait_storecnt_dscnt 0x0
	s_barrier_signal -1
	s_barrier_wait -1
	s_clause 0x5
	scratch_load_b128 v[78:81], off, off offset:120
	scratch_load_b128 v[82:85], off, off offset:136
	;; [unrolled: 1-line block ×6, first 2 shown]
	v_mov_b32_e32 v2, 0
	ds_load_b128 v[102:105], v2 offset:432
	ds_load_b128 v[106:109], v2 offset:448
	s_mov_b32 s0, exec_lo
	s_wait_loadcnt_dscnt 0x501
	v_fma_f64 v[110:111], v[80:81], v[102:103], 0
	s_wait_loadcnt 0x4
	s_delay_alu instid0(VALU_DEP_1) | instskip(SKIP_4) | instid1(VALU_DEP_1)
	v_fmac_f64_e32 v[110:111], v[82:83], v[104:105]
	scratch_load_b128 v[80:83], off, off offset:216
	s_wait_dscnt 0x0
	v_fmac_f64_e32 v[110:111], v[84:85], v[106:107]
	s_wait_loadcnt 0x4
	v_fmac_f64_e32 v[110:111], v[86:87], v[108:109]
	scratch_load_b128 v[84:87], off, off offset:232
	ds_load_b128 v[102:105], v2 offset:464
	ds_load_b128 v[106:109], v2 offset:480
	s_wait_dscnt 0x1
	v_fmac_f64_e32 v[110:111], v[88:89], v[102:103]
	s_wait_loadcnt 0x4
	s_delay_alu instid0(VALU_DEP_1) | instskip(SKIP_4) | instid1(VALU_DEP_1)
	v_fmac_f64_e32 v[110:111], v[90:91], v[104:105]
	scratch_load_b128 v[88:91], off, off offset:248
	s_wait_dscnt 0x0
	v_fmac_f64_e32 v[110:111], v[92:93], v[106:107]
	s_wait_loadcnt 0x4
	v_fmac_f64_e32 v[110:111], v[94:95], v[108:109]
	scratch_load_b128 v[92:95], off, off offset:264
	ds_load_b128 v[102:105], v2 offset:496
	ds_load_b128 v[106:109], v2 offset:512
	s_wait_dscnt 0x1
	v_fmac_f64_e32 v[110:111], v[96:97], v[102:103]
	s_wait_loadcnt 0x4
	s_delay_alu instid0(VALU_DEP_1)
	v_fmac_f64_e32 v[110:111], v[98:99], v[104:105]
	scratch_load_b128 v[96:99], off, off offset:280
	s_wait_dscnt 0x0
	v_fmac_f64_e32 v[110:111], v[100:101], v[106:107]
	ds_load_b128 v[100:103], v2 offset:528
	ds_load_b128 v[104:107], v2 offset:544
	s_wait_loadcnt 0x4
	v_fmac_f64_e32 v[110:111], v[80:81], v[108:109]
	s_wait_dscnt 0x1
	s_delay_alu instid0(VALU_DEP_1) | instskip(SKIP_1) | instid1(VALU_DEP_1)
	v_fmac_f64_e32 v[110:111], v[82:83], v[100:101]
	s_wait_loadcnt 0x3
	v_fmac_f64_e32 v[110:111], v[84:85], v[102:103]
	s_wait_dscnt 0x0
	s_delay_alu instid0(VALU_DEP_1)
	v_fmac_f64_e32 v[110:111], v[86:87], v[104:105]
	ds_load_b128 v[80:83], v2 offset:560
	ds_load_b128 v[84:87], v2 offset:576
	s_wait_loadcnt 0x2
	v_fmac_f64_e32 v[110:111], v[88:89], v[106:107]
	s_wait_dscnt 0x1
	s_delay_alu instid0(VALU_DEP_1) | instskip(SKIP_4) | instid1(VALU_DEP_1)
	v_fmac_f64_e32 v[110:111], v[90:91], v[80:81]
	ds_load_b64 v[80:81], v2 offset:592
	s_wait_loadcnt 0x1
	v_fmac_f64_e32 v[110:111], v[92:93], v[82:83]
	s_wait_dscnt 0x1
	v_fmac_f64_e32 v[110:111], v[94:95], v[84:85]
	s_wait_loadcnt 0x0
	s_delay_alu instid0(VALU_DEP_1) | instskip(SKIP_1) | instid1(VALU_DEP_1)
	v_fmac_f64_e32 v[110:111], v[96:97], v[86:87]
	s_wait_dscnt 0x0
	v_fmac_f64_e32 v[110:111], v[98:99], v[80:81]
	s_delay_alu instid0(VALU_DEP_1)
	v_add_f64_e64 v[78:79], v[78:79], -v[110:111]
	scratch_store_b64 off, v[78:79], off offset:120
	s_wait_xcnt 0x0
	v_cmpx_lt_u32_e32 14, v0
	s_cbranch_execz .LBB100_203
; %bb.202:
	scratch_load_b64 v[78:79], off, off offset:112
	v_mov_b64_e32 v[80:81], 0
	scratch_store_b64 off, v[80:81], off offset:112
	s_wait_loadcnt 0x0
	ds_store_b64 v1, v[78:79]
.LBB100_203:
	s_wait_xcnt 0x0
	s_or_b32 exec_lo, exec_lo, s0
	s_wait_storecnt_dscnt 0x0
	s_barrier_signal -1
	s_barrier_wait -1
	s_clause 0x5
	scratch_load_b128 v[78:81], off, off offset:112
	scratch_load_b128 v[82:85], off, off offset:128
	;; [unrolled: 1-line block ×6, first 2 shown]
	ds_load_2addr_b64 v[102:105], v2 offset0:53 offset1:54
	ds_load_2addr_b64 v[106:109], v2 offset0:55 offset1:56
	scratch_load_b128 v[110:113], off, off offset:208
	s_mov_b32 s0, exec_lo
	s_wait_loadcnt_dscnt 0x601
	v_fma_f64 v[114:115], v[80:81], v[102:103], 0
	s_wait_loadcnt 0x5
	s_delay_alu instid0(VALU_DEP_1) | instskip(SKIP_4) | instid1(VALU_DEP_1)
	v_fmac_f64_e32 v[114:115], v[82:83], v[104:105]
	scratch_load_b128 v[80:83], off, off offset:224
	s_wait_dscnt 0x0
	v_fmac_f64_e32 v[114:115], v[84:85], v[106:107]
	s_wait_loadcnt 0x5
	v_fmac_f64_e32 v[114:115], v[86:87], v[108:109]
	ds_load_2addr_b64 v[84:87], v2 offset0:57 offset1:58
	ds_load_2addr_b64 v[102:105], v2 offset0:59 offset1:60
	s_wait_dscnt 0x1
	v_fmac_f64_e32 v[114:115], v[88:89], v[84:85]
	s_wait_loadcnt 0x4
	s_delay_alu instid0(VALU_DEP_1)
	v_fmac_f64_e32 v[114:115], v[90:91], v[86:87]
	s_clause 0x1
	scratch_load_b128 v[84:87], off, off offset:240
	scratch_load_b128 v[88:91], off, off offset:256
	s_wait_dscnt 0x0
	v_fmac_f64_e32 v[114:115], v[92:93], v[102:103]
	s_wait_loadcnt 0x5
	s_delay_alu instid0(VALU_DEP_1)
	v_fmac_f64_e32 v[114:115], v[94:95], v[104:105]
	ds_load_2addr_b64 v[92:95], v2 offset0:61 offset1:62
	ds_load_2addr_b64 v[102:105], v2 offset0:63 offset1:64
	s_wait_dscnt 0x1
	v_fmac_f64_e32 v[114:115], v[96:97], v[92:93]
	s_wait_loadcnt 0x4
	s_delay_alu instid0(VALU_DEP_1) | instskip(SKIP_4) | instid1(VALU_DEP_1)
	v_fmac_f64_e32 v[114:115], v[98:99], v[94:95]
	scratch_load_b128 v[92:95], off, off offset:272
	s_wait_dscnt 0x0
	v_fmac_f64_e32 v[114:115], v[100:101], v[102:103]
	s_wait_loadcnt 0x4
	v_fmac_f64_e32 v[114:115], v[110:111], v[104:105]
	scratch_load_b64 v[104:105], off, off offset:288
	ds_load_2addr_b64 v[96:99], v2 offset0:65 offset1:66
	ds_load_2addr_b64 v[100:103], v2 offset0:67 offset1:68
	s_wait_dscnt 0x1
	v_fmac_f64_e32 v[114:115], v[112:113], v[96:97]
	s_wait_loadcnt 0x4
	s_delay_alu instid0(VALU_DEP_1) | instskip(SKIP_1) | instid1(VALU_DEP_1)
	v_fmac_f64_e32 v[114:115], v[80:81], v[98:99]
	s_wait_dscnt 0x0
	v_fmac_f64_e32 v[114:115], v[82:83], v[100:101]
	ds_load_2addr_b64 v[80:83], v2 offset0:69 offset1:70
	ds_load_2addr_b64 v[96:99], v2 offset0:71 offset1:72
	s_wait_loadcnt 0x3
	v_fmac_f64_e32 v[114:115], v[84:85], v[102:103]
	s_wait_dscnt 0x1
	s_delay_alu instid0(VALU_DEP_1) | instskip(SKIP_1) | instid1(VALU_DEP_1)
	v_fmac_f64_e32 v[114:115], v[86:87], v[80:81]
	s_wait_loadcnt 0x2
	v_fmac_f64_e32 v[114:115], v[88:89], v[82:83]
	ds_load_2addr_b64 v[80:83], v2 offset0:73 offset1:74
	s_wait_dscnt 0x1
	v_fmac_f64_e32 v[114:115], v[90:91], v[96:97]
	s_wait_loadcnt 0x1
	s_delay_alu instid0(VALU_DEP_1) | instskip(SKIP_1) | instid1(VALU_DEP_1)
	v_fmac_f64_e32 v[114:115], v[92:93], v[98:99]
	s_wait_dscnt 0x0
	v_fmac_f64_e32 v[114:115], v[94:95], v[80:81]
	s_wait_loadcnt 0x0
	s_delay_alu instid0(VALU_DEP_1) | instskip(NEXT) | instid1(VALU_DEP_1)
	v_fmac_f64_e32 v[114:115], v[104:105], v[82:83]
	v_add_f64_e64 v[2:3], v[78:79], -v[114:115]
	scratch_store_b64 off, v[2:3], off offset:112
	s_wait_xcnt 0x0
	v_cmpx_lt_u32_e32 13, v0
	s_cbranch_execz .LBB100_205
; %bb.204:
	scratch_load_b64 v[2:3], off, off offset:104
	v_mov_b64_e32 v[78:79], 0
	scratch_store_b64 off, v[78:79], off offset:104
	s_wait_loadcnt 0x0
	ds_store_b64 v1, v[2:3]
.LBB100_205:
	s_wait_xcnt 0x0
	s_or_b32 exec_lo, exec_lo, s0
	s_wait_storecnt_dscnt 0x0
	s_barrier_signal -1
	s_barrier_wait -1
	s_clause 0x5
	scratch_load_b128 v[78:81], off, off offset:104
	scratch_load_b128 v[82:85], off, off offset:120
	;; [unrolled: 1-line block ×6, first 2 shown]
	v_mov_b32_e32 v2, 0
	ds_load_b128 v[102:105], v2 offset:416
	ds_load_b128 v[106:109], v2 offset:432
	scratch_load_b128 v[110:113], off, off offset:200
	s_mov_b32 s0, exec_lo
	s_wait_loadcnt_dscnt 0x601
	v_fma_f64 v[114:115], v[80:81], v[102:103], 0
	s_wait_loadcnt 0x5
	s_delay_alu instid0(VALU_DEP_1) | instskip(SKIP_4) | instid1(VALU_DEP_1)
	v_fmac_f64_e32 v[114:115], v[82:83], v[104:105]
	scratch_load_b128 v[80:83], off, off offset:216
	s_wait_dscnt 0x0
	v_fmac_f64_e32 v[114:115], v[84:85], v[106:107]
	s_wait_loadcnt 0x5
	v_fmac_f64_e32 v[114:115], v[86:87], v[108:109]
	ds_load_b128 v[84:87], v2 offset:448
	ds_load_b128 v[102:105], v2 offset:464
	s_wait_dscnt 0x1
	v_fmac_f64_e32 v[114:115], v[88:89], v[84:85]
	s_wait_loadcnt 0x4
	s_delay_alu instid0(VALU_DEP_1)
	v_fmac_f64_e32 v[114:115], v[90:91], v[86:87]
	s_clause 0x1
	scratch_load_b128 v[84:87], off, off offset:232
	scratch_load_b128 v[88:91], off, off offset:248
	s_wait_dscnt 0x0
	v_fmac_f64_e32 v[114:115], v[92:93], v[102:103]
	s_wait_loadcnt 0x5
	s_delay_alu instid0(VALU_DEP_1)
	v_fmac_f64_e32 v[114:115], v[94:95], v[104:105]
	ds_load_b128 v[92:95], v2 offset:480
	ds_load_b128 v[102:105], v2 offset:496
	s_wait_dscnt 0x1
	v_fmac_f64_e32 v[114:115], v[96:97], v[92:93]
	s_wait_loadcnt 0x4
	s_delay_alu instid0(VALU_DEP_1)
	v_fmac_f64_e32 v[114:115], v[98:99], v[94:95]
	s_clause 0x1
	scratch_load_b128 v[92:95], off, off offset:264
	scratch_load_b128 v[96:99], off, off offset:280
	s_wait_dscnt 0x0
	v_fmac_f64_e32 v[114:115], v[100:101], v[102:103]
	s_wait_loadcnt 0x5
	s_delay_alu instid0(VALU_DEP_1)
	v_fmac_f64_e32 v[114:115], v[110:111], v[104:105]
	ds_load_b128 v[100:103], v2 offset:512
	ds_load_b128 v[104:107], v2 offset:528
	s_wait_dscnt 0x1
	v_fmac_f64_e32 v[114:115], v[112:113], v[100:101]
	s_wait_loadcnt 0x4
	s_delay_alu instid0(VALU_DEP_1) | instskip(SKIP_1) | instid1(VALU_DEP_1)
	v_fmac_f64_e32 v[114:115], v[80:81], v[102:103]
	s_wait_dscnt 0x0
	v_fmac_f64_e32 v[114:115], v[82:83], v[104:105]
	ds_load_b128 v[80:83], v2 offset:544
	ds_load_b128 v[100:103], v2 offset:560
	s_wait_loadcnt 0x3
	v_fmac_f64_e32 v[114:115], v[84:85], v[106:107]
	s_wait_dscnt 0x1
	s_delay_alu instid0(VALU_DEP_1) | instskip(SKIP_1) | instid1(VALU_DEP_1)
	v_fmac_f64_e32 v[114:115], v[86:87], v[80:81]
	s_wait_loadcnt 0x2
	v_fmac_f64_e32 v[114:115], v[88:89], v[82:83]
	ds_load_b128 v[80:83], v2 offset:576
	ds_load_b64 v[84:85], v2 offset:592
	s_wait_dscnt 0x2
	v_fmac_f64_e32 v[114:115], v[90:91], v[100:101]
	s_wait_loadcnt 0x1
	s_delay_alu instid0(VALU_DEP_1) | instskip(SKIP_1) | instid1(VALU_DEP_1)
	v_fmac_f64_e32 v[114:115], v[92:93], v[102:103]
	s_wait_dscnt 0x1
	v_fmac_f64_e32 v[114:115], v[94:95], v[80:81]
	s_wait_loadcnt 0x0
	s_delay_alu instid0(VALU_DEP_1) | instskip(SKIP_1) | instid1(VALU_DEP_1)
	v_fmac_f64_e32 v[114:115], v[96:97], v[82:83]
	s_wait_dscnt 0x0
	v_fmac_f64_e32 v[114:115], v[98:99], v[84:85]
	s_delay_alu instid0(VALU_DEP_1)
	v_add_f64_e64 v[78:79], v[78:79], -v[114:115]
	scratch_store_b64 off, v[78:79], off offset:104
	s_wait_xcnt 0x0
	v_cmpx_lt_u32_e32 12, v0
	s_cbranch_execz .LBB100_207
; %bb.206:
	scratch_load_b64 v[78:79], off, off offset:96
	v_mov_b64_e32 v[80:81], 0
	scratch_store_b64 off, v[80:81], off offset:96
	s_wait_loadcnt 0x0
	ds_store_b64 v1, v[78:79]
.LBB100_207:
	s_wait_xcnt 0x0
	s_or_b32 exec_lo, exec_lo, s0
	s_wait_storecnt_dscnt 0x0
	s_barrier_signal -1
	s_barrier_wait -1
	s_clause 0x5
	scratch_load_b128 v[78:81], off, off offset:96
	scratch_load_b128 v[82:85], off, off offset:112
	;; [unrolled: 1-line block ×6, first 2 shown]
	ds_load_2addr_b64 v[102:105], v2 offset0:51 offset1:52
	ds_load_2addr_b64 v[106:109], v2 offset0:53 offset1:54
	scratch_load_b128 v[110:113], off, off offset:192
	s_mov_b32 s0, exec_lo
	s_wait_loadcnt_dscnt 0x601
	v_fma_f64 v[114:115], v[80:81], v[102:103], 0
	s_wait_loadcnt 0x5
	s_delay_alu instid0(VALU_DEP_1) | instskip(SKIP_4) | instid1(VALU_DEP_1)
	v_fmac_f64_e32 v[114:115], v[82:83], v[104:105]
	scratch_load_b128 v[80:83], off, off offset:208
	s_wait_dscnt 0x0
	v_fmac_f64_e32 v[114:115], v[84:85], v[106:107]
	s_wait_loadcnt 0x5
	v_fmac_f64_e32 v[114:115], v[86:87], v[108:109]
	ds_load_2addr_b64 v[84:87], v2 offset0:55 offset1:56
	ds_load_2addr_b64 v[102:105], v2 offset0:57 offset1:58
	s_wait_dscnt 0x1
	v_fmac_f64_e32 v[114:115], v[88:89], v[84:85]
	s_wait_loadcnt 0x4
	s_delay_alu instid0(VALU_DEP_1)
	v_fmac_f64_e32 v[114:115], v[90:91], v[86:87]
	s_clause 0x1
	scratch_load_b128 v[84:87], off, off offset:224
	scratch_load_b128 v[88:91], off, off offset:240
	s_wait_dscnt 0x0
	v_fmac_f64_e32 v[114:115], v[92:93], v[102:103]
	s_wait_loadcnt 0x5
	s_delay_alu instid0(VALU_DEP_1)
	v_fmac_f64_e32 v[114:115], v[94:95], v[104:105]
	ds_load_2addr_b64 v[92:95], v2 offset0:59 offset1:60
	ds_load_2addr_b64 v[102:105], v2 offset0:61 offset1:62
	s_wait_dscnt 0x1
	v_fmac_f64_e32 v[114:115], v[96:97], v[92:93]
	s_wait_loadcnt 0x4
	s_delay_alu instid0(VALU_DEP_1)
	v_fmac_f64_e32 v[114:115], v[98:99], v[94:95]
	s_clause 0x1
	scratch_load_b128 v[92:95], off, off offset:256
	scratch_load_b128 v[96:99], off, off offset:272
	s_wait_dscnt 0x0
	v_fmac_f64_e32 v[114:115], v[100:101], v[102:103]
	s_wait_loadcnt 0x5
	s_delay_alu instid0(VALU_DEP_1)
	v_fmac_f64_e32 v[114:115], v[110:111], v[104:105]
	ds_load_2addr_b64 v[100:103], v2 offset0:63 offset1:64
	ds_load_2addr_b64 v[104:107], v2 offset0:65 offset1:66
	scratch_load_b64 v[108:109], off, off offset:288
	s_wait_dscnt 0x1
	v_fmac_f64_e32 v[114:115], v[112:113], v[100:101]
	s_wait_loadcnt 0x5
	s_delay_alu instid0(VALU_DEP_1) | instskip(SKIP_1) | instid1(VALU_DEP_1)
	v_fmac_f64_e32 v[114:115], v[80:81], v[102:103]
	s_wait_dscnt 0x0
	v_fmac_f64_e32 v[114:115], v[82:83], v[104:105]
	ds_load_2addr_b64 v[80:83], v2 offset0:67 offset1:68
	ds_load_2addr_b64 v[100:103], v2 offset0:69 offset1:70
	s_wait_loadcnt 0x4
	v_fmac_f64_e32 v[114:115], v[84:85], v[106:107]
	s_wait_dscnt 0x1
	s_delay_alu instid0(VALU_DEP_1) | instskip(SKIP_1) | instid1(VALU_DEP_1)
	v_fmac_f64_e32 v[114:115], v[86:87], v[80:81]
	s_wait_loadcnt 0x3
	v_fmac_f64_e32 v[114:115], v[88:89], v[82:83]
	ds_load_2addr_b64 v[80:83], v2 offset0:71 offset1:72
	ds_load_2addr_b64 v[84:87], v2 offset0:73 offset1:74
	s_wait_dscnt 0x2
	v_fmac_f64_e32 v[114:115], v[90:91], v[100:101]
	s_wait_loadcnt 0x2
	s_delay_alu instid0(VALU_DEP_1) | instskip(SKIP_1) | instid1(VALU_DEP_1)
	v_fmac_f64_e32 v[114:115], v[92:93], v[102:103]
	s_wait_dscnt 0x1
	v_fmac_f64_e32 v[114:115], v[94:95], v[80:81]
	s_wait_loadcnt 0x1
	s_delay_alu instid0(VALU_DEP_1) | instskip(SKIP_1) | instid1(VALU_DEP_1)
	v_fmac_f64_e32 v[114:115], v[96:97], v[82:83]
	s_wait_dscnt 0x0
	v_fmac_f64_e32 v[114:115], v[98:99], v[84:85]
	s_wait_loadcnt 0x0
	s_delay_alu instid0(VALU_DEP_1) | instskip(NEXT) | instid1(VALU_DEP_1)
	v_fmac_f64_e32 v[114:115], v[108:109], v[86:87]
	v_add_f64_e64 v[2:3], v[78:79], -v[114:115]
	scratch_store_b64 off, v[2:3], off offset:96
	s_wait_xcnt 0x0
	v_cmpx_lt_u32_e32 11, v0
	s_cbranch_execz .LBB100_209
; %bb.208:
	scratch_load_b64 v[2:3], off, off offset:88
	v_mov_b64_e32 v[78:79], 0
	scratch_store_b64 off, v[78:79], off offset:88
	s_wait_loadcnt 0x0
	ds_store_b64 v1, v[2:3]
.LBB100_209:
	s_wait_xcnt 0x0
	s_or_b32 exec_lo, exec_lo, s0
	s_wait_storecnt_dscnt 0x0
	s_barrier_signal -1
	s_barrier_wait -1
	s_clause 0x5
	scratch_load_b128 v[78:81], off, off offset:88
	scratch_load_b128 v[82:85], off, off offset:104
	;; [unrolled: 1-line block ×6, first 2 shown]
	v_mov_b32_e32 v2, 0
	ds_load_b128 v[102:105], v2 offset:400
	ds_load_b128 v[106:109], v2 offset:416
	scratch_load_b128 v[110:113], off, off offset:184
	s_mov_b32 s0, exec_lo
	s_wait_loadcnt_dscnt 0x601
	v_fma_f64 v[114:115], v[80:81], v[102:103], 0
	s_wait_loadcnt 0x5
	s_delay_alu instid0(VALU_DEP_1) | instskip(SKIP_4) | instid1(VALU_DEP_1)
	v_fmac_f64_e32 v[114:115], v[82:83], v[104:105]
	scratch_load_b128 v[80:83], off, off offset:200
	s_wait_dscnt 0x0
	v_fmac_f64_e32 v[114:115], v[84:85], v[106:107]
	s_wait_loadcnt 0x5
	v_fmac_f64_e32 v[114:115], v[86:87], v[108:109]
	ds_load_b128 v[84:87], v2 offset:432
	ds_load_b128 v[102:105], v2 offset:448
	s_wait_dscnt 0x1
	v_fmac_f64_e32 v[114:115], v[88:89], v[84:85]
	s_wait_loadcnt 0x4
	s_delay_alu instid0(VALU_DEP_1)
	v_fmac_f64_e32 v[114:115], v[90:91], v[86:87]
	s_clause 0x1
	scratch_load_b128 v[84:87], off, off offset:216
	scratch_load_b128 v[88:91], off, off offset:232
	s_wait_dscnt 0x0
	v_fmac_f64_e32 v[114:115], v[92:93], v[102:103]
	s_wait_loadcnt 0x5
	s_delay_alu instid0(VALU_DEP_1)
	v_fmac_f64_e32 v[114:115], v[94:95], v[104:105]
	ds_load_b128 v[92:95], v2 offset:464
	ds_load_b128 v[102:105], v2 offset:480
	s_wait_dscnt 0x1
	v_fmac_f64_e32 v[114:115], v[96:97], v[92:93]
	s_wait_loadcnt 0x4
	s_delay_alu instid0(VALU_DEP_1)
	v_fmac_f64_e32 v[114:115], v[98:99], v[94:95]
	s_clause 0x1
	scratch_load_b128 v[92:95], off, off offset:248
	scratch_load_b128 v[96:99], off, off offset:264
	s_wait_dscnt 0x0
	v_fmac_f64_e32 v[114:115], v[100:101], v[102:103]
	s_wait_loadcnt 0x5
	s_delay_alu instid0(VALU_DEP_1)
	v_fmac_f64_e32 v[114:115], v[110:111], v[104:105]
	ds_load_b128 v[100:103], v2 offset:496
	ds_load_b128 v[104:107], v2 offset:512
	s_wait_dscnt 0x1
	v_fmac_f64_e32 v[114:115], v[112:113], v[100:101]
	s_wait_loadcnt 0x4
	s_delay_alu instid0(VALU_DEP_1) | instskip(SKIP_4) | instid1(VALU_DEP_1)
	v_fmac_f64_e32 v[114:115], v[80:81], v[102:103]
	scratch_load_b128 v[100:103], off, off offset:280
	s_wait_dscnt 0x0
	v_fmac_f64_e32 v[114:115], v[82:83], v[104:105]
	s_wait_loadcnt 0x4
	v_fmac_f64_e32 v[114:115], v[84:85], v[106:107]
	ds_load_b128 v[80:83], v2 offset:528
	ds_load_b128 v[104:107], v2 offset:544
	s_wait_dscnt 0x1
	v_fmac_f64_e32 v[114:115], v[86:87], v[80:81]
	s_wait_loadcnt 0x3
	s_delay_alu instid0(VALU_DEP_1)
	v_fmac_f64_e32 v[114:115], v[88:89], v[82:83]
	ds_load_b128 v[80:83], v2 offset:560
	ds_load_b128 v[84:87], v2 offset:576
	s_wait_dscnt 0x2
	v_fmac_f64_e32 v[114:115], v[90:91], v[104:105]
	s_wait_loadcnt 0x2
	s_delay_alu instid0(VALU_DEP_1) | instskip(SKIP_1) | instid1(VALU_DEP_1)
	v_fmac_f64_e32 v[114:115], v[92:93], v[106:107]
	s_wait_dscnt 0x1
	v_fmac_f64_e32 v[114:115], v[94:95], v[80:81]
	ds_load_b64 v[80:81], v2 offset:592
	s_wait_loadcnt 0x1
	v_fmac_f64_e32 v[114:115], v[96:97], v[82:83]
	s_wait_dscnt 0x1
	s_delay_alu instid0(VALU_DEP_1) | instskip(SKIP_1) | instid1(VALU_DEP_1)
	v_fmac_f64_e32 v[114:115], v[98:99], v[84:85]
	s_wait_loadcnt 0x0
	v_fmac_f64_e32 v[114:115], v[100:101], v[86:87]
	s_wait_dscnt 0x0
	s_delay_alu instid0(VALU_DEP_1) | instskip(NEXT) | instid1(VALU_DEP_1)
	v_fmac_f64_e32 v[114:115], v[102:103], v[80:81]
	v_add_f64_e64 v[78:79], v[78:79], -v[114:115]
	scratch_store_b64 off, v[78:79], off offset:88
	s_wait_xcnt 0x0
	v_cmpx_lt_u32_e32 10, v0
	s_cbranch_execz .LBB100_211
; %bb.210:
	scratch_load_b64 v[78:79], off, off offset:80
	v_mov_b64_e32 v[80:81], 0
	scratch_store_b64 off, v[80:81], off offset:80
	s_wait_loadcnt 0x0
	ds_store_b64 v1, v[78:79]
.LBB100_211:
	s_wait_xcnt 0x0
	s_or_b32 exec_lo, exec_lo, s0
	s_wait_storecnt_dscnt 0x0
	s_barrier_signal -1
	s_barrier_wait -1
	s_clause 0x5
	scratch_load_b128 v[78:81], off, off offset:80
	scratch_load_b128 v[82:85], off, off offset:96
	;; [unrolled: 1-line block ×6, first 2 shown]
	ds_load_2addr_b64 v[102:105], v2 offset0:49 offset1:50
	ds_load_2addr_b64 v[106:109], v2 offset0:51 offset1:52
	scratch_load_b128 v[110:113], off, off offset:176
	s_mov_b32 s0, exec_lo
	s_wait_loadcnt_dscnt 0x601
	v_fma_f64 v[114:115], v[80:81], v[102:103], 0
	s_wait_loadcnt 0x5
	s_delay_alu instid0(VALU_DEP_1) | instskip(SKIP_4) | instid1(VALU_DEP_1)
	v_fmac_f64_e32 v[114:115], v[82:83], v[104:105]
	scratch_load_b128 v[80:83], off, off offset:192
	s_wait_dscnt 0x0
	v_fmac_f64_e32 v[114:115], v[84:85], v[106:107]
	s_wait_loadcnt 0x5
	v_fmac_f64_e32 v[114:115], v[86:87], v[108:109]
	ds_load_2addr_b64 v[84:87], v2 offset0:53 offset1:54
	ds_load_2addr_b64 v[102:105], v2 offset0:55 offset1:56
	scratch_load_b128 v[106:109], off, off offset:208
	s_wait_dscnt 0x1
	v_fmac_f64_e32 v[114:115], v[88:89], v[84:85]
	s_wait_loadcnt 0x5
	s_delay_alu instid0(VALU_DEP_1) | instskip(SKIP_4) | instid1(VALU_DEP_1)
	v_fmac_f64_e32 v[114:115], v[90:91], v[86:87]
	scratch_load_b128 v[84:87], off, off offset:224
	s_wait_dscnt 0x0
	v_fmac_f64_e32 v[114:115], v[92:93], v[102:103]
	s_wait_loadcnt 0x5
	v_fmac_f64_e32 v[114:115], v[94:95], v[104:105]
	ds_load_2addr_b64 v[88:91], v2 offset0:57 offset1:58
	ds_load_2addr_b64 v[92:95], v2 offset0:59 offset1:60
	s_wait_dscnt 0x1
	v_fmac_f64_e32 v[114:115], v[96:97], v[88:89]
	s_wait_loadcnt 0x4
	s_delay_alu instid0(VALU_DEP_1) | instskip(SKIP_4) | instid1(VALU_DEP_1)
	v_fmac_f64_e32 v[114:115], v[98:99], v[90:91]
	scratch_load_b128 v[88:91], off, off offset:240
	s_wait_dscnt 0x0
	v_fmac_f64_e32 v[114:115], v[100:101], v[92:93]
	s_wait_loadcnt 0x4
	v_fmac_f64_e32 v[114:115], v[110:111], v[94:95]
	scratch_load_b128 v[92:95], off, off offset:256
	ds_load_2addr_b64 v[96:99], v2 offset0:61 offset1:62
	ds_load_2addr_b64 v[100:103], v2 offset0:63 offset1:64
	scratch_load_b64 v[104:105], off, off offset:288
	s_wait_dscnt 0x1
	v_fmac_f64_e32 v[114:115], v[112:113], v[96:97]
	s_wait_loadcnt 0x5
	s_delay_alu instid0(VALU_DEP_1) | instskip(SKIP_4) | instid1(VALU_DEP_1)
	v_fmac_f64_e32 v[114:115], v[80:81], v[98:99]
	scratch_load_b128 v[96:99], off, off offset:272
	s_wait_dscnt 0x0
	v_fmac_f64_e32 v[114:115], v[82:83], v[100:101]
	s_wait_loadcnt 0x5
	v_fmac_f64_e32 v[114:115], v[106:107], v[102:103]
	ds_load_2addr_b64 v[80:83], v2 offset0:65 offset1:66
	ds_load_2addr_b64 v[100:103], v2 offset0:67 offset1:68
	s_wait_dscnt 0x1
	v_fmac_f64_e32 v[114:115], v[108:109], v[80:81]
	s_wait_loadcnt 0x4
	s_delay_alu instid0(VALU_DEP_1) | instskip(SKIP_1) | instid1(VALU_DEP_1)
	v_fmac_f64_e32 v[114:115], v[84:85], v[82:83]
	s_wait_dscnt 0x0
	v_fmac_f64_e32 v[114:115], v[86:87], v[100:101]
	ds_load_2addr_b64 v[80:83], v2 offset0:69 offset1:70
	ds_load_2addr_b64 v[84:87], v2 offset0:71 offset1:72
	s_wait_loadcnt 0x3
	v_fmac_f64_e32 v[114:115], v[88:89], v[102:103]
	s_wait_dscnt 0x1
	s_delay_alu instid0(VALU_DEP_1) | instskip(SKIP_1) | instid1(VALU_DEP_1)
	v_fmac_f64_e32 v[114:115], v[90:91], v[80:81]
	s_wait_loadcnt 0x2
	v_fmac_f64_e32 v[114:115], v[92:93], v[82:83]
	ds_load_2addr_b64 v[80:83], v2 offset0:73 offset1:74
	s_wait_dscnt 0x1
	v_fmac_f64_e32 v[114:115], v[94:95], v[84:85]
	s_wait_loadcnt 0x0
	s_delay_alu instid0(VALU_DEP_1) | instskip(SKIP_1) | instid1(VALU_DEP_1)
	v_fmac_f64_e32 v[114:115], v[96:97], v[86:87]
	s_wait_dscnt 0x0
	v_fmac_f64_e32 v[114:115], v[98:99], v[80:81]
	s_delay_alu instid0(VALU_DEP_1) | instskip(NEXT) | instid1(VALU_DEP_1)
	v_fmac_f64_e32 v[114:115], v[104:105], v[82:83]
	v_add_f64_e64 v[2:3], v[78:79], -v[114:115]
	scratch_store_b64 off, v[2:3], off offset:80
	s_wait_xcnt 0x0
	v_cmpx_lt_u32_e32 9, v0
	s_cbranch_execz .LBB100_213
; %bb.212:
	scratch_load_b64 v[2:3], off, off offset:72
	v_mov_b64_e32 v[78:79], 0
	scratch_store_b64 off, v[78:79], off offset:72
	s_wait_loadcnt 0x0
	ds_store_b64 v1, v[2:3]
.LBB100_213:
	s_wait_xcnt 0x0
	s_or_b32 exec_lo, exec_lo, s0
	s_wait_storecnt_dscnt 0x0
	s_barrier_signal -1
	s_barrier_wait -1
	s_clause 0x5
	scratch_load_b128 v[78:81], off, off offset:72
	scratch_load_b128 v[82:85], off, off offset:88
	;; [unrolled: 1-line block ×6, first 2 shown]
	v_mov_b32_e32 v2, 0
	ds_load_b128 v[102:105], v2 offset:384
	ds_load_b128 v[106:109], v2 offset:400
	scratch_load_b128 v[110:113], off, off offset:168
	s_mov_b32 s0, exec_lo
	s_wait_loadcnt_dscnt 0x601
	v_fma_f64 v[114:115], v[80:81], v[102:103], 0
	s_wait_loadcnt 0x5
	s_delay_alu instid0(VALU_DEP_1) | instskip(SKIP_4) | instid1(VALU_DEP_1)
	v_fmac_f64_e32 v[114:115], v[82:83], v[104:105]
	scratch_load_b128 v[80:83], off, off offset:184
	s_wait_dscnt 0x0
	v_fmac_f64_e32 v[114:115], v[84:85], v[106:107]
	s_wait_loadcnt 0x5
	v_fmac_f64_e32 v[114:115], v[86:87], v[108:109]
	ds_load_b128 v[84:87], v2 offset:416
	ds_load_b128 v[102:105], v2 offset:432
	scratch_load_b128 v[106:109], off, off offset:200
	s_wait_dscnt 0x1
	v_fmac_f64_e32 v[114:115], v[88:89], v[84:85]
	s_wait_loadcnt 0x5
	s_delay_alu instid0(VALU_DEP_1) | instskip(SKIP_4) | instid1(VALU_DEP_1)
	v_fmac_f64_e32 v[114:115], v[90:91], v[86:87]
	scratch_load_b128 v[84:87], off, off offset:216
	s_wait_dscnt 0x0
	v_fmac_f64_e32 v[114:115], v[92:93], v[102:103]
	s_wait_loadcnt 0x5
	v_fmac_f64_e32 v[114:115], v[94:95], v[104:105]
	ds_load_b128 v[88:91], v2 offset:448
	ds_load_b128 v[92:95], v2 offset:464
	s_wait_dscnt 0x1
	v_fmac_f64_e32 v[114:115], v[96:97], v[88:89]
	s_wait_loadcnt 0x4
	s_delay_alu instid0(VALU_DEP_1) | instskip(SKIP_4) | instid1(VALU_DEP_1)
	v_fmac_f64_e32 v[114:115], v[98:99], v[90:91]
	scratch_load_b128 v[88:91], off, off offset:232
	s_wait_dscnt 0x0
	v_fmac_f64_e32 v[114:115], v[100:101], v[92:93]
	s_wait_loadcnt 0x4
	v_fmac_f64_e32 v[114:115], v[110:111], v[94:95]
	scratch_load_b128 v[92:95], off, off offset:248
	ds_load_b128 v[96:99], v2 offset:480
	ds_load_b128 v[100:103], v2 offset:496
	s_wait_dscnt 0x1
	v_fmac_f64_e32 v[114:115], v[112:113], v[96:97]
	s_wait_loadcnt 0x4
	s_delay_alu instid0(VALU_DEP_1)
	v_fmac_f64_e32 v[114:115], v[80:81], v[98:99]
	scratch_load_b128 v[96:99], off, off offset:264
	s_wait_dscnt 0x0
	v_fmac_f64_e32 v[114:115], v[82:83], v[100:101]
	scratch_load_b128 v[80:83], off, off offset:280
	s_wait_loadcnt 0x5
	v_fmac_f64_e32 v[114:115], v[106:107], v[102:103]
	ds_load_b128 v[100:103], v2 offset:512
	ds_load_b128 v[104:107], v2 offset:528
	s_wait_dscnt 0x1
	v_fmac_f64_e32 v[114:115], v[108:109], v[100:101]
	s_wait_loadcnt 0x4
	s_delay_alu instid0(VALU_DEP_1) | instskip(SKIP_1) | instid1(VALU_DEP_1)
	v_fmac_f64_e32 v[114:115], v[84:85], v[102:103]
	s_wait_dscnt 0x0
	v_fmac_f64_e32 v[114:115], v[86:87], v[104:105]
	ds_load_b128 v[84:87], v2 offset:544
	ds_load_b128 v[100:103], v2 offset:560
	s_wait_loadcnt 0x3
	v_fmac_f64_e32 v[114:115], v[88:89], v[106:107]
	s_wait_dscnt 0x1
	s_delay_alu instid0(VALU_DEP_1) | instskip(SKIP_1) | instid1(VALU_DEP_1)
	v_fmac_f64_e32 v[114:115], v[90:91], v[84:85]
	s_wait_loadcnt 0x2
	v_fmac_f64_e32 v[114:115], v[92:93], v[86:87]
	ds_load_b128 v[84:87], v2 offset:576
	ds_load_b64 v[88:89], v2 offset:592
	s_wait_dscnt 0x2
	v_fmac_f64_e32 v[114:115], v[94:95], v[100:101]
	s_wait_loadcnt 0x1
	s_delay_alu instid0(VALU_DEP_1) | instskip(SKIP_1) | instid1(VALU_DEP_1)
	v_fmac_f64_e32 v[114:115], v[96:97], v[102:103]
	s_wait_dscnt 0x1
	v_fmac_f64_e32 v[114:115], v[98:99], v[84:85]
	s_wait_loadcnt 0x0
	s_delay_alu instid0(VALU_DEP_1) | instskip(SKIP_1) | instid1(VALU_DEP_1)
	v_fmac_f64_e32 v[114:115], v[80:81], v[86:87]
	s_wait_dscnt 0x0
	v_fmac_f64_e32 v[114:115], v[82:83], v[88:89]
	s_delay_alu instid0(VALU_DEP_1)
	v_add_f64_e64 v[78:79], v[78:79], -v[114:115]
	scratch_store_b64 off, v[78:79], off offset:72
	s_wait_xcnt 0x0
	v_cmpx_lt_u32_e32 8, v0
	s_cbranch_execz .LBB100_215
; %bb.214:
	scratch_load_b64 v[78:79], off, off offset:64
	v_mov_b64_e32 v[80:81], 0
	scratch_store_b64 off, v[80:81], off offset:64
	s_wait_loadcnt 0x0
	ds_store_b64 v1, v[78:79]
.LBB100_215:
	s_wait_xcnt 0x0
	s_or_b32 exec_lo, exec_lo, s0
	s_wait_storecnt_dscnt 0x0
	s_barrier_signal -1
	s_barrier_wait -1
	s_clause 0x5
	scratch_load_b128 v[78:81], off, off offset:64
	scratch_load_b128 v[82:85], off, off offset:80
	scratch_load_b128 v[86:89], off, off offset:96
	scratch_load_b128 v[90:93], off, off offset:112
	scratch_load_b128 v[94:97], off, off offset:128
	scratch_load_b128 v[98:101], off, off offset:144
	ds_load_2addr_b64 v[102:105], v2 offset0:47 offset1:48
	ds_load_2addr_b64 v[106:109], v2 offset0:49 offset1:50
	scratch_load_b128 v[110:113], off, off offset:160
	s_mov_b32 s0, exec_lo
	s_wait_loadcnt_dscnt 0x601
	v_fma_f64 v[114:115], v[80:81], v[102:103], 0
	s_wait_loadcnt 0x5
	s_delay_alu instid0(VALU_DEP_1) | instskip(SKIP_4) | instid1(VALU_DEP_1)
	v_fmac_f64_e32 v[114:115], v[82:83], v[104:105]
	scratch_load_b128 v[80:83], off, off offset:176
	s_wait_dscnt 0x0
	v_fmac_f64_e32 v[114:115], v[84:85], v[106:107]
	s_wait_loadcnt 0x5
	v_fmac_f64_e32 v[114:115], v[86:87], v[108:109]
	ds_load_2addr_b64 v[84:87], v2 offset0:51 offset1:52
	ds_load_2addr_b64 v[102:105], v2 offset0:53 offset1:54
	scratch_load_b128 v[106:109], off, off offset:192
	s_wait_dscnt 0x1
	v_fmac_f64_e32 v[114:115], v[88:89], v[84:85]
	s_wait_loadcnt 0x5
	s_delay_alu instid0(VALU_DEP_1) | instskip(SKIP_4) | instid1(VALU_DEP_1)
	v_fmac_f64_e32 v[114:115], v[90:91], v[86:87]
	scratch_load_b128 v[84:87], off, off offset:208
	s_wait_dscnt 0x0
	v_fmac_f64_e32 v[114:115], v[92:93], v[102:103]
	s_wait_loadcnt 0x5
	v_fmac_f64_e32 v[114:115], v[94:95], v[104:105]
	ds_load_2addr_b64 v[88:91], v2 offset0:55 offset1:56
	ds_load_2addr_b64 v[92:95], v2 offset0:57 offset1:58
	s_wait_dscnt 0x1
	v_fmac_f64_e32 v[114:115], v[96:97], v[88:89]
	s_wait_loadcnt 0x4
	s_delay_alu instid0(VALU_DEP_1) | instskip(SKIP_4) | instid1(VALU_DEP_1)
	v_fmac_f64_e32 v[114:115], v[98:99], v[90:91]
	scratch_load_b128 v[88:91], off, off offset:224
	s_wait_dscnt 0x0
	v_fmac_f64_e32 v[114:115], v[100:101], v[92:93]
	s_wait_loadcnt 0x4
	v_fmac_f64_e32 v[114:115], v[110:111], v[94:95]
	scratch_load_b128 v[92:95], off, off offset:240
	ds_load_2addr_b64 v[96:99], v2 offset0:59 offset1:60
	ds_load_2addr_b64 v[100:103], v2 offset0:61 offset1:62
	s_wait_dscnt 0x1
	v_fmac_f64_e32 v[114:115], v[112:113], v[96:97]
	s_wait_loadcnt 0x4
	s_delay_alu instid0(VALU_DEP_1)
	v_fmac_f64_e32 v[114:115], v[80:81], v[98:99]
	scratch_load_b128 v[96:99], off, off offset:256
	s_wait_dscnt 0x0
	v_fmac_f64_e32 v[114:115], v[82:83], v[100:101]
	scratch_load_b128 v[80:83], off, off offset:272
	s_wait_loadcnt 0x5
	v_fmac_f64_e32 v[114:115], v[106:107], v[102:103]
	ds_load_2addr_b64 v[100:103], v2 offset0:63 offset1:64
	ds_load_2addr_b64 v[104:107], v2 offset0:65 offset1:66
	s_wait_dscnt 0x1
	v_fmac_f64_e32 v[114:115], v[108:109], v[100:101]
	scratch_load_b64 v[108:109], off, off offset:288
	s_wait_loadcnt 0x5
	v_fmac_f64_e32 v[114:115], v[84:85], v[102:103]
	s_wait_dscnt 0x0
	s_delay_alu instid0(VALU_DEP_1)
	v_fmac_f64_e32 v[114:115], v[86:87], v[104:105]
	ds_load_2addr_b64 v[84:87], v2 offset0:67 offset1:68
	ds_load_2addr_b64 v[100:103], v2 offset0:69 offset1:70
	s_wait_loadcnt 0x4
	v_fmac_f64_e32 v[114:115], v[88:89], v[106:107]
	s_wait_dscnt 0x1
	s_delay_alu instid0(VALU_DEP_1) | instskip(SKIP_1) | instid1(VALU_DEP_1)
	v_fmac_f64_e32 v[114:115], v[90:91], v[84:85]
	s_wait_loadcnt 0x3
	v_fmac_f64_e32 v[114:115], v[92:93], v[86:87]
	ds_load_2addr_b64 v[84:87], v2 offset0:71 offset1:72
	ds_load_2addr_b64 v[88:91], v2 offset0:73 offset1:74
	s_wait_dscnt 0x2
	v_fmac_f64_e32 v[114:115], v[94:95], v[100:101]
	s_wait_loadcnt 0x2
	s_delay_alu instid0(VALU_DEP_1) | instskip(SKIP_1) | instid1(VALU_DEP_1)
	v_fmac_f64_e32 v[114:115], v[96:97], v[102:103]
	s_wait_dscnt 0x1
	v_fmac_f64_e32 v[114:115], v[98:99], v[84:85]
	s_wait_loadcnt 0x1
	s_delay_alu instid0(VALU_DEP_1) | instskip(SKIP_1) | instid1(VALU_DEP_1)
	v_fmac_f64_e32 v[114:115], v[80:81], v[86:87]
	s_wait_dscnt 0x0
	v_fmac_f64_e32 v[114:115], v[82:83], v[88:89]
	s_wait_loadcnt 0x0
	s_delay_alu instid0(VALU_DEP_1) | instskip(NEXT) | instid1(VALU_DEP_1)
	v_fmac_f64_e32 v[114:115], v[108:109], v[90:91]
	v_add_f64_e64 v[2:3], v[78:79], -v[114:115]
	scratch_store_b64 off, v[2:3], off offset:64
	s_wait_xcnt 0x0
	v_cmpx_lt_u32_e32 7, v0
	s_cbranch_execz .LBB100_217
; %bb.216:
	scratch_load_b64 v[2:3], off, off offset:56
	v_mov_b64_e32 v[78:79], 0
	scratch_store_b64 off, v[78:79], off offset:56
	s_wait_loadcnt 0x0
	ds_store_b64 v1, v[2:3]
.LBB100_217:
	s_wait_xcnt 0x0
	s_or_b32 exec_lo, exec_lo, s0
	s_wait_storecnt_dscnt 0x0
	s_barrier_signal -1
	s_barrier_wait -1
	s_clause 0x5
	scratch_load_b128 v[78:81], off, off offset:56
	scratch_load_b128 v[82:85], off, off offset:72
	;; [unrolled: 1-line block ×6, first 2 shown]
	v_mov_b32_e32 v2, 0
	ds_load_b128 v[102:105], v2 offset:368
	ds_load_b128 v[106:109], v2 offset:384
	scratch_load_b128 v[110:113], off, off offset:152
	s_mov_b32 s0, exec_lo
	s_wait_loadcnt_dscnt 0x601
	v_fma_f64 v[114:115], v[80:81], v[102:103], 0
	s_wait_loadcnt 0x5
	s_delay_alu instid0(VALU_DEP_1) | instskip(SKIP_4) | instid1(VALU_DEP_1)
	v_fmac_f64_e32 v[114:115], v[82:83], v[104:105]
	scratch_load_b128 v[80:83], off, off offset:168
	s_wait_dscnt 0x0
	v_fmac_f64_e32 v[114:115], v[84:85], v[106:107]
	s_wait_loadcnt 0x5
	v_fmac_f64_e32 v[114:115], v[86:87], v[108:109]
	ds_load_b128 v[84:87], v2 offset:400
	ds_load_b128 v[102:105], v2 offset:416
	scratch_load_b128 v[106:109], off, off offset:184
	s_wait_dscnt 0x1
	v_fmac_f64_e32 v[114:115], v[88:89], v[84:85]
	s_wait_loadcnt 0x5
	s_delay_alu instid0(VALU_DEP_1) | instskip(SKIP_4) | instid1(VALU_DEP_1)
	v_fmac_f64_e32 v[114:115], v[90:91], v[86:87]
	scratch_load_b128 v[84:87], off, off offset:200
	s_wait_dscnt 0x0
	v_fmac_f64_e32 v[114:115], v[92:93], v[102:103]
	s_wait_loadcnt 0x5
	v_fmac_f64_e32 v[114:115], v[94:95], v[104:105]
	ds_load_b128 v[88:91], v2 offset:432
	ds_load_b128 v[92:95], v2 offset:448
	s_wait_dscnt 0x1
	v_fmac_f64_e32 v[114:115], v[96:97], v[88:89]
	s_wait_loadcnt 0x4
	s_delay_alu instid0(VALU_DEP_1) | instskip(SKIP_4) | instid1(VALU_DEP_1)
	v_fmac_f64_e32 v[114:115], v[98:99], v[90:91]
	scratch_load_b128 v[88:91], off, off offset:216
	s_wait_dscnt 0x0
	v_fmac_f64_e32 v[114:115], v[100:101], v[92:93]
	s_wait_loadcnt 0x4
	v_fmac_f64_e32 v[114:115], v[110:111], v[94:95]
	scratch_load_b128 v[92:95], off, off offset:232
	ds_load_b128 v[96:99], v2 offset:464
	ds_load_b128 v[100:103], v2 offset:480
	s_wait_dscnt 0x1
	v_fmac_f64_e32 v[114:115], v[112:113], v[96:97]
	s_wait_loadcnt 0x4
	s_delay_alu instid0(VALU_DEP_1)
	v_fmac_f64_e32 v[114:115], v[80:81], v[98:99]
	scratch_load_b128 v[96:99], off, off offset:248
	s_wait_dscnt 0x0
	v_fmac_f64_e32 v[114:115], v[82:83], v[100:101]
	scratch_load_b128 v[80:83], off, off offset:264
	s_wait_loadcnt 0x5
	v_fmac_f64_e32 v[114:115], v[106:107], v[102:103]
	ds_load_b128 v[100:103], v2 offset:496
	ds_load_b128 v[104:107], v2 offset:512
	s_wait_dscnt 0x1
	v_fmac_f64_e32 v[114:115], v[108:109], v[100:101]
	s_wait_loadcnt 0x4
	s_delay_alu instid0(VALU_DEP_1) | instskip(SKIP_4) | instid1(VALU_DEP_1)
	v_fmac_f64_e32 v[114:115], v[84:85], v[102:103]
	scratch_load_b128 v[100:103], off, off offset:280
	s_wait_dscnt 0x0
	v_fmac_f64_e32 v[114:115], v[86:87], v[104:105]
	s_wait_loadcnt 0x4
	v_fmac_f64_e32 v[114:115], v[88:89], v[106:107]
	ds_load_b128 v[84:87], v2 offset:528
	ds_load_b128 v[104:107], v2 offset:544
	s_wait_dscnt 0x1
	v_fmac_f64_e32 v[114:115], v[90:91], v[84:85]
	s_wait_loadcnt 0x3
	s_delay_alu instid0(VALU_DEP_1)
	v_fmac_f64_e32 v[114:115], v[92:93], v[86:87]
	ds_load_b128 v[84:87], v2 offset:560
	ds_load_b128 v[88:91], v2 offset:576
	s_wait_dscnt 0x2
	v_fmac_f64_e32 v[114:115], v[94:95], v[104:105]
	s_wait_loadcnt 0x2
	s_delay_alu instid0(VALU_DEP_1) | instskip(SKIP_1) | instid1(VALU_DEP_1)
	v_fmac_f64_e32 v[114:115], v[96:97], v[106:107]
	s_wait_dscnt 0x1
	v_fmac_f64_e32 v[114:115], v[98:99], v[84:85]
	s_wait_loadcnt 0x1
	s_delay_alu instid0(VALU_DEP_1) | instskip(SKIP_4) | instid1(VALU_DEP_1)
	v_fmac_f64_e32 v[114:115], v[80:81], v[86:87]
	ds_load_b64 v[80:81], v2 offset:592
	s_wait_dscnt 0x1
	v_fmac_f64_e32 v[114:115], v[82:83], v[88:89]
	s_wait_loadcnt 0x0
	v_fmac_f64_e32 v[114:115], v[100:101], v[90:91]
	s_wait_dscnt 0x0
	s_delay_alu instid0(VALU_DEP_1) | instskip(NEXT) | instid1(VALU_DEP_1)
	v_fmac_f64_e32 v[114:115], v[102:103], v[80:81]
	v_add_f64_e64 v[78:79], v[78:79], -v[114:115]
	scratch_store_b64 off, v[78:79], off offset:56
	s_wait_xcnt 0x0
	v_cmpx_lt_u32_e32 6, v0
	s_cbranch_execz .LBB100_219
; %bb.218:
	scratch_load_b64 v[78:79], off, off offset:48
	v_mov_b64_e32 v[80:81], 0
	scratch_store_b64 off, v[80:81], off offset:48
	s_wait_loadcnt 0x0
	ds_store_b64 v1, v[78:79]
.LBB100_219:
	s_wait_xcnt 0x0
	s_or_b32 exec_lo, exec_lo, s0
	s_wait_storecnt_dscnt 0x0
	s_barrier_signal -1
	s_barrier_wait -1
	s_clause 0x5
	scratch_load_b128 v[78:81], off, off offset:48
	scratch_load_b128 v[82:85], off, off offset:64
	;; [unrolled: 1-line block ×6, first 2 shown]
	ds_load_2addr_b64 v[102:105], v2 offset0:45 offset1:46
	ds_load_2addr_b64 v[106:109], v2 offset0:47 offset1:48
	scratch_load_b128 v[110:113], off, off offset:144
	s_mov_b32 s0, exec_lo
	s_wait_loadcnt_dscnt 0x601
	v_fma_f64 v[114:115], v[80:81], v[102:103], 0
	s_wait_loadcnt 0x5
	s_delay_alu instid0(VALU_DEP_1) | instskip(SKIP_4) | instid1(VALU_DEP_1)
	v_fmac_f64_e32 v[114:115], v[82:83], v[104:105]
	scratch_load_b128 v[80:83], off, off offset:160
	s_wait_dscnt 0x0
	v_fmac_f64_e32 v[114:115], v[84:85], v[106:107]
	s_wait_loadcnt 0x5
	v_fmac_f64_e32 v[114:115], v[86:87], v[108:109]
	ds_load_2addr_b64 v[84:87], v2 offset0:49 offset1:50
	ds_load_2addr_b64 v[102:105], v2 offset0:51 offset1:52
	scratch_load_b128 v[106:109], off, off offset:176
	s_wait_dscnt 0x1
	v_fmac_f64_e32 v[114:115], v[88:89], v[84:85]
	s_wait_loadcnt 0x5
	s_delay_alu instid0(VALU_DEP_1) | instskip(SKIP_4) | instid1(VALU_DEP_1)
	v_fmac_f64_e32 v[114:115], v[90:91], v[86:87]
	scratch_load_b128 v[84:87], off, off offset:192
	s_wait_dscnt 0x0
	v_fmac_f64_e32 v[114:115], v[92:93], v[102:103]
	s_wait_loadcnt 0x5
	v_fmac_f64_e32 v[114:115], v[94:95], v[104:105]
	ds_load_2addr_b64 v[88:91], v2 offset0:53 offset1:54
	ds_load_2addr_b64 v[92:95], v2 offset0:55 offset1:56
	scratch_load_b128 v[102:105], off, off offset:208
	s_wait_dscnt 0x1
	v_fmac_f64_e32 v[114:115], v[96:97], v[88:89]
	s_wait_loadcnt 0x5
	s_delay_alu instid0(VALU_DEP_1) | instskip(SKIP_4) | instid1(VALU_DEP_1)
	v_fmac_f64_e32 v[114:115], v[98:99], v[90:91]
	scratch_load_b128 v[88:91], off, off offset:224
	s_wait_dscnt 0x0
	v_fmac_f64_e32 v[114:115], v[100:101], v[92:93]
	s_wait_loadcnt 0x5
	v_fmac_f64_e32 v[114:115], v[110:111], v[94:95]
	ds_load_2addr_b64 v[92:95], v2 offset0:57 offset1:58
	ds_load_2addr_b64 v[96:99], v2 offset0:59 offset1:60
	s_wait_dscnt 0x1
	v_fmac_f64_e32 v[114:115], v[112:113], v[92:93]
	s_wait_loadcnt 0x4
	s_delay_alu instid0(VALU_DEP_1)
	v_fmac_f64_e32 v[114:115], v[80:81], v[94:95]
	scratch_load_b128 v[92:95], off, off offset:240
	s_wait_dscnt 0x0
	v_fmac_f64_e32 v[114:115], v[82:83], v[96:97]
	scratch_load_b128 v[80:83], off, off offset:256
	s_wait_loadcnt 0x5
	v_fmac_f64_e32 v[114:115], v[106:107], v[98:99]
	ds_load_2addr_b64 v[96:99], v2 offset0:61 offset1:62
	ds_load_2addr_b64 v[110:113], v2 offset0:63 offset1:64
	scratch_load_b64 v[106:107], off, off offset:288
	s_wait_dscnt 0x1
	v_fmac_f64_e32 v[114:115], v[108:109], v[96:97]
	s_wait_loadcnt 0x5
	s_delay_alu instid0(VALU_DEP_1) | instskip(SKIP_4) | instid1(VALU_DEP_1)
	v_fmac_f64_e32 v[114:115], v[84:85], v[98:99]
	scratch_load_b128 v[96:99], off, off offset:272
	s_wait_dscnt 0x0
	v_fmac_f64_e32 v[114:115], v[86:87], v[110:111]
	s_wait_loadcnt 0x5
	v_fmac_f64_e32 v[114:115], v[102:103], v[112:113]
	ds_load_2addr_b64 v[84:87], v2 offset0:65 offset1:66
	ds_load_2addr_b64 v[100:103], v2 offset0:67 offset1:68
	s_wait_dscnt 0x1
	v_fmac_f64_e32 v[114:115], v[104:105], v[84:85]
	s_wait_loadcnt 0x4
	s_delay_alu instid0(VALU_DEP_1) | instskip(SKIP_1) | instid1(VALU_DEP_1)
	v_fmac_f64_e32 v[114:115], v[88:89], v[86:87]
	s_wait_dscnt 0x0
	v_fmac_f64_e32 v[114:115], v[90:91], v[100:101]
	ds_load_2addr_b64 v[84:87], v2 offset0:69 offset1:70
	ds_load_2addr_b64 v[88:91], v2 offset0:71 offset1:72
	s_wait_loadcnt 0x3
	v_fmac_f64_e32 v[114:115], v[92:93], v[102:103]
	s_wait_dscnt 0x1
	s_delay_alu instid0(VALU_DEP_1) | instskip(SKIP_1) | instid1(VALU_DEP_1)
	v_fmac_f64_e32 v[114:115], v[94:95], v[84:85]
	s_wait_loadcnt 0x2
	v_fmac_f64_e32 v[114:115], v[80:81], v[86:87]
	s_wait_dscnt 0x0
	s_delay_alu instid0(VALU_DEP_1) | instskip(SKIP_4) | instid1(VALU_DEP_1)
	v_fmac_f64_e32 v[114:115], v[82:83], v[88:89]
	ds_load_2addr_b64 v[80:83], v2 offset0:73 offset1:74
	s_wait_loadcnt 0x0
	v_fmac_f64_e32 v[114:115], v[96:97], v[90:91]
	s_wait_dscnt 0x0
	v_fmac_f64_e32 v[114:115], v[98:99], v[80:81]
	s_delay_alu instid0(VALU_DEP_1) | instskip(NEXT) | instid1(VALU_DEP_1)
	v_fmac_f64_e32 v[114:115], v[106:107], v[82:83]
	v_add_f64_e64 v[2:3], v[78:79], -v[114:115]
	scratch_store_b64 off, v[2:3], off offset:48
	s_wait_xcnt 0x0
	v_cmpx_lt_u32_e32 5, v0
	s_cbranch_execz .LBB100_221
; %bb.220:
	scratch_load_b64 v[2:3], off, off offset:40
	v_mov_b64_e32 v[78:79], 0
	scratch_store_b64 off, v[78:79], off offset:40
	s_wait_loadcnt 0x0
	ds_store_b64 v1, v[2:3]
.LBB100_221:
	s_wait_xcnt 0x0
	s_or_b32 exec_lo, exec_lo, s0
	s_wait_storecnt_dscnt 0x0
	s_barrier_signal -1
	s_barrier_wait -1
	s_clause 0x5
	scratch_load_b128 v[78:81], off, off offset:40
	scratch_load_b128 v[82:85], off, off offset:56
	;; [unrolled: 1-line block ×6, first 2 shown]
	v_mov_b32_e32 v2, 0
	ds_load_b128 v[102:105], v2 offset:352
	ds_load_b128 v[106:109], v2 offset:368
	scratch_load_b128 v[110:113], off, off offset:136
	s_mov_b32 s0, exec_lo
	s_wait_loadcnt_dscnt 0x601
	v_fma_f64 v[114:115], v[80:81], v[102:103], 0
	s_wait_loadcnt 0x5
	s_delay_alu instid0(VALU_DEP_1) | instskip(SKIP_4) | instid1(VALU_DEP_1)
	v_fmac_f64_e32 v[114:115], v[82:83], v[104:105]
	scratch_load_b128 v[80:83], off, off offset:152
	s_wait_dscnt 0x0
	v_fmac_f64_e32 v[114:115], v[84:85], v[106:107]
	s_wait_loadcnt 0x5
	v_fmac_f64_e32 v[114:115], v[86:87], v[108:109]
	ds_load_b128 v[84:87], v2 offset:384
	ds_load_b128 v[102:105], v2 offset:400
	scratch_load_b128 v[106:109], off, off offset:168
	s_wait_dscnt 0x1
	v_fmac_f64_e32 v[114:115], v[88:89], v[84:85]
	s_wait_loadcnt 0x5
	s_delay_alu instid0(VALU_DEP_1) | instskip(SKIP_4) | instid1(VALU_DEP_1)
	v_fmac_f64_e32 v[114:115], v[90:91], v[86:87]
	scratch_load_b128 v[84:87], off, off offset:184
	s_wait_dscnt 0x0
	v_fmac_f64_e32 v[114:115], v[92:93], v[102:103]
	s_wait_loadcnt 0x5
	v_fmac_f64_e32 v[114:115], v[94:95], v[104:105]
	ds_load_b128 v[88:91], v2 offset:416
	ds_load_b128 v[92:95], v2 offset:432
	scratch_load_b128 v[102:105], off, off offset:200
	s_wait_dscnt 0x1
	v_fmac_f64_e32 v[114:115], v[96:97], v[88:89]
	s_wait_loadcnt 0x5
	s_delay_alu instid0(VALU_DEP_1) | instskip(SKIP_4) | instid1(VALU_DEP_1)
	v_fmac_f64_e32 v[114:115], v[98:99], v[90:91]
	scratch_load_b128 v[88:91], off, off offset:216
	s_wait_dscnt 0x0
	v_fmac_f64_e32 v[114:115], v[100:101], v[92:93]
	s_wait_loadcnt 0x5
	v_fmac_f64_e32 v[114:115], v[110:111], v[94:95]
	ds_load_b128 v[92:95], v2 offset:448
	ds_load_b128 v[96:99], v2 offset:464
	s_wait_dscnt 0x1
	v_fmac_f64_e32 v[114:115], v[112:113], v[92:93]
	s_wait_loadcnt 0x4
	s_delay_alu instid0(VALU_DEP_1)
	v_fmac_f64_e32 v[114:115], v[80:81], v[94:95]
	scratch_load_b128 v[92:95], off, off offset:232
	s_wait_dscnt 0x0
	v_fmac_f64_e32 v[114:115], v[82:83], v[96:97]
	scratch_load_b128 v[80:83], off, off offset:248
	s_wait_loadcnt 0x5
	v_fmac_f64_e32 v[114:115], v[106:107], v[98:99]
	ds_load_b128 v[96:99], v2 offset:480
	ds_load_b128 v[110:113], v2 offset:496
	s_wait_dscnt 0x1
	v_fmac_f64_e32 v[114:115], v[108:109], v[96:97]
	s_wait_loadcnt 0x4
	s_delay_alu instid0(VALU_DEP_1)
	v_fmac_f64_e32 v[114:115], v[84:85], v[98:99]
	scratch_load_b128 v[96:99], off, off offset:264
	s_wait_dscnt 0x0
	v_fmac_f64_e32 v[114:115], v[86:87], v[110:111]
	scratch_load_b128 v[84:87], off, off offset:280
	s_wait_loadcnt 0x5
	v_fmac_f64_e32 v[114:115], v[102:103], v[112:113]
	ds_load_b128 v[100:103], v2 offset:512
	ds_load_b128 v[106:109], v2 offset:528
	s_wait_dscnt 0x1
	v_fmac_f64_e32 v[114:115], v[104:105], v[100:101]
	s_wait_loadcnt 0x4
	s_delay_alu instid0(VALU_DEP_1) | instskip(SKIP_1) | instid1(VALU_DEP_1)
	v_fmac_f64_e32 v[114:115], v[88:89], v[102:103]
	s_wait_dscnt 0x0
	v_fmac_f64_e32 v[114:115], v[90:91], v[106:107]
	ds_load_b128 v[88:91], v2 offset:544
	ds_load_b128 v[100:103], v2 offset:560
	s_wait_loadcnt 0x3
	v_fmac_f64_e32 v[114:115], v[92:93], v[108:109]
	s_wait_dscnt 0x1
	s_delay_alu instid0(VALU_DEP_1) | instskip(SKIP_1) | instid1(VALU_DEP_1)
	v_fmac_f64_e32 v[114:115], v[94:95], v[88:89]
	s_wait_loadcnt 0x2
	v_fmac_f64_e32 v[114:115], v[80:81], v[90:91]
	s_wait_dscnt 0x0
	s_delay_alu instid0(VALU_DEP_1)
	v_fmac_f64_e32 v[114:115], v[82:83], v[100:101]
	ds_load_b128 v[80:83], v2 offset:576
	ds_load_b64 v[88:89], v2 offset:592
	s_wait_loadcnt 0x1
	v_fmac_f64_e32 v[114:115], v[96:97], v[102:103]
	s_wait_dscnt 0x1
	s_delay_alu instid0(VALU_DEP_1) | instskip(SKIP_1) | instid1(VALU_DEP_1)
	v_fmac_f64_e32 v[114:115], v[98:99], v[80:81]
	s_wait_loadcnt 0x0
	v_fmac_f64_e32 v[114:115], v[84:85], v[82:83]
	s_wait_dscnt 0x0
	s_delay_alu instid0(VALU_DEP_1) | instskip(NEXT) | instid1(VALU_DEP_1)
	v_fmac_f64_e32 v[114:115], v[86:87], v[88:89]
	v_add_f64_e64 v[78:79], v[78:79], -v[114:115]
	scratch_store_b64 off, v[78:79], off offset:40
	s_wait_xcnt 0x0
	v_cmpx_lt_u32_e32 4, v0
	s_cbranch_execz .LBB100_223
; %bb.222:
	scratch_load_b64 v[78:79], off, off offset:32
	v_mov_b64_e32 v[80:81], 0
	scratch_store_b64 off, v[80:81], off offset:32
	s_wait_loadcnt 0x0
	ds_store_b64 v1, v[78:79]
.LBB100_223:
	s_wait_xcnt 0x0
	s_or_b32 exec_lo, exec_lo, s0
	s_wait_storecnt_dscnt 0x0
	s_barrier_signal -1
	s_barrier_wait -1
	s_clause 0x5
	scratch_load_b128 v[78:81], off, off offset:32
	scratch_load_b128 v[82:85], off, off offset:48
	scratch_load_b128 v[86:89], off, off offset:64
	scratch_load_b128 v[90:93], off, off offset:80
	scratch_load_b128 v[94:97], off, off offset:96
	scratch_load_b128 v[98:101], off, off offset:112
	ds_load_2addr_b64 v[102:105], v2 offset0:43 offset1:44
	ds_load_2addr_b64 v[106:109], v2 offset0:45 offset1:46
	scratch_load_b128 v[110:113], off, off offset:128
	s_mov_b32 s0, exec_lo
	s_wait_loadcnt_dscnt 0x601
	v_fma_f64 v[114:115], v[80:81], v[102:103], 0
	s_wait_loadcnt 0x5
	s_delay_alu instid0(VALU_DEP_1) | instskip(SKIP_4) | instid1(VALU_DEP_1)
	v_fmac_f64_e32 v[114:115], v[82:83], v[104:105]
	scratch_load_b128 v[80:83], off, off offset:144
	s_wait_dscnt 0x0
	v_fmac_f64_e32 v[114:115], v[84:85], v[106:107]
	s_wait_loadcnt 0x5
	v_fmac_f64_e32 v[114:115], v[86:87], v[108:109]
	ds_load_2addr_b64 v[84:87], v2 offset0:47 offset1:48
	ds_load_2addr_b64 v[102:105], v2 offset0:49 offset1:50
	scratch_load_b128 v[106:109], off, off offset:160
	s_wait_dscnt 0x1
	v_fmac_f64_e32 v[114:115], v[88:89], v[84:85]
	s_wait_loadcnt 0x5
	s_delay_alu instid0(VALU_DEP_1) | instskip(SKIP_4) | instid1(VALU_DEP_1)
	v_fmac_f64_e32 v[114:115], v[90:91], v[86:87]
	scratch_load_b128 v[84:87], off, off offset:176
	s_wait_dscnt 0x0
	v_fmac_f64_e32 v[114:115], v[92:93], v[102:103]
	s_wait_loadcnt 0x5
	v_fmac_f64_e32 v[114:115], v[94:95], v[104:105]
	ds_load_2addr_b64 v[88:91], v2 offset0:51 offset1:52
	ds_load_2addr_b64 v[92:95], v2 offset0:53 offset1:54
	scratch_load_b128 v[102:105], off, off offset:192
	s_wait_dscnt 0x1
	v_fmac_f64_e32 v[114:115], v[96:97], v[88:89]
	s_wait_loadcnt 0x5
	s_delay_alu instid0(VALU_DEP_1) | instskip(SKIP_4) | instid1(VALU_DEP_1)
	v_fmac_f64_e32 v[114:115], v[98:99], v[90:91]
	scratch_load_b128 v[88:91], off, off offset:208
	s_wait_dscnt 0x0
	v_fmac_f64_e32 v[114:115], v[100:101], v[92:93]
	s_wait_loadcnt 0x5
	v_fmac_f64_e32 v[114:115], v[110:111], v[94:95]
	ds_load_2addr_b64 v[92:95], v2 offset0:55 offset1:56
	ds_load_2addr_b64 v[96:99], v2 offset0:57 offset1:58
	s_wait_dscnt 0x1
	v_fmac_f64_e32 v[114:115], v[112:113], v[92:93]
	s_wait_loadcnt 0x4
	s_delay_alu instid0(VALU_DEP_1)
	v_fmac_f64_e32 v[114:115], v[80:81], v[94:95]
	scratch_load_b128 v[92:95], off, off offset:224
	s_wait_dscnt 0x0
	v_fmac_f64_e32 v[114:115], v[82:83], v[96:97]
	scratch_load_b128 v[80:83], off, off offset:240
	s_wait_loadcnt 0x5
	v_fmac_f64_e32 v[114:115], v[106:107], v[98:99]
	ds_load_2addr_b64 v[96:99], v2 offset0:59 offset1:60
	ds_load_2addr_b64 v[110:113], v2 offset0:61 offset1:62
	s_wait_dscnt 0x1
	v_fmac_f64_e32 v[114:115], v[108:109], v[96:97]
	s_wait_loadcnt 0x4
	s_delay_alu instid0(VALU_DEP_1)
	v_fmac_f64_e32 v[114:115], v[84:85], v[98:99]
	scratch_load_b128 v[96:99], off, off offset:256
	s_wait_dscnt 0x0
	v_fmac_f64_e32 v[114:115], v[86:87], v[110:111]
	scratch_load_b128 v[84:87], off, off offset:272
	s_wait_loadcnt 0x5
	v_fmac_f64_e32 v[114:115], v[102:103], v[112:113]
	ds_load_2addr_b64 v[100:103], v2 offset0:63 offset1:64
	ds_load_2addr_b64 v[106:109], v2 offset0:65 offset1:66
	s_wait_dscnt 0x1
	v_fmac_f64_e32 v[114:115], v[104:105], v[100:101]
	scratch_load_b64 v[104:105], off, off offset:288
	s_wait_loadcnt 0x5
	v_fmac_f64_e32 v[114:115], v[88:89], v[102:103]
	s_wait_dscnt 0x0
	s_delay_alu instid0(VALU_DEP_1)
	v_fmac_f64_e32 v[114:115], v[90:91], v[106:107]
	ds_load_2addr_b64 v[88:91], v2 offset0:67 offset1:68
	ds_load_2addr_b64 v[100:103], v2 offset0:69 offset1:70
	s_wait_loadcnt 0x4
	v_fmac_f64_e32 v[114:115], v[92:93], v[108:109]
	s_wait_dscnt 0x1
	s_delay_alu instid0(VALU_DEP_1) | instskip(SKIP_1) | instid1(VALU_DEP_1)
	v_fmac_f64_e32 v[114:115], v[94:95], v[88:89]
	s_wait_loadcnt 0x3
	v_fmac_f64_e32 v[114:115], v[80:81], v[90:91]
	s_wait_dscnt 0x0
	s_delay_alu instid0(VALU_DEP_1)
	v_fmac_f64_e32 v[114:115], v[82:83], v[100:101]
	ds_load_2addr_b64 v[80:83], v2 offset0:71 offset1:72
	ds_load_2addr_b64 v[88:91], v2 offset0:73 offset1:74
	s_wait_loadcnt 0x2
	v_fmac_f64_e32 v[114:115], v[96:97], v[102:103]
	s_wait_dscnt 0x1
	s_delay_alu instid0(VALU_DEP_1) | instskip(SKIP_1) | instid1(VALU_DEP_1)
	v_fmac_f64_e32 v[114:115], v[98:99], v[80:81]
	s_wait_loadcnt 0x1
	v_fmac_f64_e32 v[114:115], v[84:85], v[82:83]
	s_wait_dscnt 0x0
	s_delay_alu instid0(VALU_DEP_1) | instskip(SKIP_1) | instid1(VALU_DEP_1)
	v_fmac_f64_e32 v[114:115], v[86:87], v[88:89]
	s_wait_loadcnt 0x0
	v_fmac_f64_e32 v[114:115], v[104:105], v[90:91]
	s_delay_alu instid0(VALU_DEP_1)
	v_add_f64_e64 v[2:3], v[78:79], -v[114:115]
	scratch_store_b64 off, v[2:3], off offset:32
	s_wait_xcnt 0x0
	v_cmpx_lt_u32_e32 3, v0
	s_cbranch_execz .LBB100_225
; %bb.224:
	scratch_load_b64 v[2:3], off, off offset:24
	v_mov_b64_e32 v[78:79], 0
	scratch_store_b64 off, v[78:79], off offset:24
	s_wait_loadcnt 0x0
	ds_store_b64 v1, v[2:3]
.LBB100_225:
	s_wait_xcnt 0x0
	s_or_b32 exec_lo, exec_lo, s0
	s_wait_storecnt_dscnt 0x0
	s_barrier_signal -1
	s_barrier_wait -1
	s_clause 0x5
	scratch_load_b128 v[78:81], off, off offset:24
	scratch_load_b128 v[82:85], off, off offset:40
	;; [unrolled: 1-line block ×6, first 2 shown]
	v_mov_b32_e32 v2, 0
	ds_load_b128 v[102:105], v2 offset:336
	ds_load_b128 v[106:109], v2 offset:352
	scratch_load_b128 v[110:113], off, off offset:120
	s_mov_b32 s0, exec_lo
	s_wait_loadcnt_dscnt 0x601
	v_fma_f64 v[114:115], v[80:81], v[102:103], 0
	s_wait_loadcnt 0x5
	s_delay_alu instid0(VALU_DEP_1) | instskip(SKIP_4) | instid1(VALU_DEP_1)
	v_fmac_f64_e32 v[114:115], v[82:83], v[104:105]
	scratch_load_b128 v[80:83], off, off offset:136
	s_wait_dscnt 0x0
	v_fmac_f64_e32 v[114:115], v[84:85], v[106:107]
	s_wait_loadcnt 0x5
	v_fmac_f64_e32 v[114:115], v[86:87], v[108:109]
	ds_load_b128 v[84:87], v2 offset:368
	ds_load_b128 v[102:105], v2 offset:384
	scratch_load_b128 v[106:109], off, off offset:152
	s_wait_dscnt 0x1
	v_fmac_f64_e32 v[114:115], v[88:89], v[84:85]
	s_wait_loadcnt 0x5
	s_delay_alu instid0(VALU_DEP_1) | instskip(SKIP_4) | instid1(VALU_DEP_1)
	v_fmac_f64_e32 v[114:115], v[90:91], v[86:87]
	scratch_load_b128 v[84:87], off, off offset:168
	s_wait_dscnt 0x0
	v_fmac_f64_e32 v[114:115], v[92:93], v[102:103]
	s_wait_loadcnt 0x5
	v_fmac_f64_e32 v[114:115], v[94:95], v[104:105]
	ds_load_b128 v[88:91], v2 offset:400
	ds_load_b128 v[92:95], v2 offset:416
	scratch_load_b128 v[102:105], off, off offset:184
	s_wait_dscnt 0x1
	v_fmac_f64_e32 v[114:115], v[96:97], v[88:89]
	s_wait_loadcnt 0x5
	s_delay_alu instid0(VALU_DEP_1) | instskip(SKIP_4) | instid1(VALU_DEP_1)
	v_fmac_f64_e32 v[114:115], v[98:99], v[90:91]
	scratch_load_b128 v[88:91], off, off offset:200
	s_wait_dscnt 0x0
	v_fmac_f64_e32 v[114:115], v[100:101], v[92:93]
	s_wait_loadcnt 0x5
	v_fmac_f64_e32 v[114:115], v[110:111], v[94:95]
	ds_load_b128 v[92:95], v2 offset:432
	ds_load_b128 v[96:99], v2 offset:448
	s_wait_dscnt 0x1
	v_fmac_f64_e32 v[114:115], v[112:113], v[92:93]
	s_wait_loadcnt 0x4
	s_delay_alu instid0(VALU_DEP_1)
	v_fmac_f64_e32 v[114:115], v[80:81], v[94:95]
	scratch_load_b128 v[92:95], off, off offset:216
	s_wait_dscnt 0x0
	v_fmac_f64_e32 v[114:115], v[82:83], v[96:97]
	scratch_load_b128 v[80:83], off, off offset:232
	s_wait_loadcnt 0x5
	v_fmac_f64_e32 v[114:115], v[106:107], v[98:99]
	ds_load_b128 v[96:99], v2 offset:464
	ds_load_b128 v[110:113], v2 offset:480
	s_wait_dscnt 0x1
	v_fmac_f64_e32 v[114:115], v[108:109], v[96:97]
	s_wait_loadcnt 0x4
	s_delay_alu instid0(VALU_DEP_1)
	v_fmac_f64_e32 v[114:115], v[84:85], v[98:99]
	scratch_load_b128 v[96:99], off, off offset:248
	s_wait_dscnt 0x0
	v_fmac_f64_e32 v[114:115], v[86:87], v[110:111]
	scratch_load_b128 v[84:87], off, off offset:264
	s_wait_loadcnt 0x5
	v_fmac_f64_e32 v[114:115], v[102:103], v[112:113]
	ds_load_b128 v[100:103], v2 offset:496
	ds_load_b128 v[106:109], v2 offset:512
	s_wait_dscnt 0x1
	v_fmac_f64_e32 v[114:115], v[104:105], v[100:101]
	s_wait_loadcnt 0x4
	s_delay_alu instid0(VALU_DEP_1)
	v_fmac_f64_e32 v[114:115], v[88:89], v[102:103]
	scratch_load_b128 v[100:103], off, off offset:280
	s_wait_dscnt 0x0
	v_fmac_f64_e32 v[114:115], v[90:91], v[106:107]
	ds_load_b128 v[88:91], v2 offset:528
	ds_load_b128 v[104:107], v2 offset:544
	s_wait_loadcnt 0x4
	v_fmac_f64_e32 v[114:115], v[92:93], v[108:109]
	s_wait_dscnt 0x1
	s_delay_alu instid0(VALU_DEP_1) | instskip(SKIP_1) | instid1(VALU_DEP_1)
	v_fmac_f64_e32 v[114:115], v[94:95], v[88:89]
	s_wait_loadcnt 0x3
	v_fmac_f64_e32 v[114:115], v[80:81], v[90:91]
	s_wait_dscnt 0x0
	s_delay_alu instid0(VALU_DEP_1)
	v_fmac_f64_e32 v[114:115], v[82:83], v[104:105]
	ds_load_b128 v[80:83], v2 offset:560
	ds_load_b128 v[88:91], v2 offset:576
	s_wait_loadcnt 0x2
	v_fmac_f64_e32 v[114:115], v[96:97], v[106:107]
	s_wait_dscnt 0x1
	s_delay_alu instid0(VALU_DEP_1) | instskip(SKIP_4) | instid1(VALU_DEP_1)
	v_fmac_f64_e32 v[114:115], v[98:99], v[80:81]
	ds_load_b64 v[80:81], v2 offset:592
	s_wait_loadcnt 0x1
	v_fmac_f64_e32 v[114:115], v[84:85], v[82:83]
	s_wait_dscnt 0x1
	v_fmac_f64_e32 v[114:115], v[86:87], v[88:89]
	s_wait_loadcnt 0x0
	s_delay_alu instid0(VALU_DEP_1) | instskip(SKIP_1) | instid1(VALU_DEP_1)
	v_fmac_f64_e32 v[114:115], v[100:101], v[90:91]
	s_wait_dscnt 0x0
	v_fmac_f64_e32 v[114:115], v[102:103], v[80:81]
	s_delay_alu instid0(VALU_DEP_1)
	v_add_f64_e64 v[78:79], v[78:79], -v[114:115]
	scratch_store_b64 off, v[78:79], off offset:24
	s_wait_xcnt 0x0
	v_cmpx_lt_u32_e32 2, v0
	s_cbranch_execz .LBB100_227
; %bb.226:
	scratch_load_b64 v[78:79], off, off offset:16
	v_mov_b64_e32 v[80:81], 0
	scratch_store_b64 off, v[80:81], off offset:16
	s_wait_loadcnt 0x0
	ds_store_b64 v1, v[78:79]
.LBB100_227:
	s_wait_xcnt 0x0
	s_or_b32 exec_lo, exec_lo, s0
	s_wait_storecnt_dscnt 0x0
	s_barrier_signal -1
	s_barrier_wait -1
	s_clause 0x5
	scratch_load_b128 v[78:81], off, off offset:16
	scratch_load_b128 v[82:85], off, off offset:32
	;; [unrolled: 1-line block ×6, first 2 shown]
	ds_load_2addr_b64 v[102:105], v2 offset0:41 offset1:42
	ds_load_2addr_b64 v[106:109], v2 offset0:43 offset1:44
	scratch_load_b128 v[110:113], off, off offset:112
	s_mov_b32 s0, exec_lo
	s_wait_loadcnt_dscnt 0x601
	v_fma_f64 v[114:115], v[80:81], v[102:103], 0
	s_wait_loadcnt 0x5
	s_delay_alu instid0(VALU_DEP_1) | instskip(SKIP_4) | instid1(VALU_DEP_1)
	v_fmac_f64_e32 v[114:115], v[82:83], v[104:105]
	scratch_load_b128 v[80:83], off, off offset:128
	s_wait_dscnt 0x0
	v_fmac_f64_e32 v[114:115], v[84:85], v[106:107]
	s_wait_loadcnt 0x5
	v_fmac_f64_e32 v[114:115], v[86:87], v[108:109]
	ds_load_2addr_b64 v[84:87], v2 offset0:45 offset1:46
	ds_load_2addr_b64 v[102:105], v2 offset0:47 offset1:48
	scratch_load_b128 v[106:109], off, off offset:144
	s_wait_dscnt 0x1
	v_fmac_f64_e32 v[114:115], v[88:89], v[84:85]
	s_wait_loadcnt 0x5
	s_delay_alu instid0(VALU_DEP_1) | instskip(SKIP_4) | instid1(VALU_DEP_1)
	v_fmac_f64_e32 v[114:115], v[90:91], v[86:87]
	scratch_load_b128 v[84:87], off, off offset:160
	s_wait_dscnt 0x0
	v_fmac_f64_e32 v[114:115], v[92:93], v[102:103]
	s_wait_loadcnt 0x5
	v_fmac_f64_e32 v[114:115], v[94:95], v[104:105]
	ds_load_2addr_b64 v[88:91], v2 offset0:49 offset1:50
	ds_load_2addr_b64 v[92:95], v2 offset0:51 offset1:52
	scratch_load_b128 v[102:105], off, off offset:176
	s_wait_dscnt 0x1
	v_fmac_f64_e32 v[114:115], v[96:97], v[88:89]
	s_wait_loadcnt 0x5
	s_delay_alu instid0(VALU_DEP_1) | instskip(SKIP_4) | instid1(VALU_DEP_1)
	v_fmac_f64_e32 v[114:115], v[98:99], v[90:91]
	scratch_load_b128 v[88:91], off, off offset:192
	s_wait_dscnt 0x0
	v_fmac_f64_e32 v[114:115], v[100:101], v[92:93]
	s_wait_loadcnt 0x5
	v_fmac_f64_e32 v[114:115], v[110:111], v[94:95]
	ds_load_2addr_b64 v[92:95], v2 offset0:53 offset1:54
	ds_load_2addr_b64 v[96:99], v2 offset0:55 offset1:56
	s_wait_dscnt 0x1
	v_fmac_f64_e32 v[114:115], v[112:113], v[92:93]
	scratch_load_b128 v[110:113], off, off offset:208
	s_wait_loadcnt 0x5
	v_fmac_f64_e32 v[114:115], v[80:81], v[94:95]
	s_wait_dscnt 0x0
	s_delay_alu instid0(VALU_DEP_1)
	v_fmac_f64_e32 v[114:115], v[82:83], v[96:97]
	scratch_load_b128 v[80:83], off, off offset:224
	s_wait_loadcnt 0x5
	v_fmac_f64_e32 v[114:115], v[106:107], v[98:99]
	ds_load_2addr_b64 v[92:95], v2 offset0:57 offset1:58
	ds_load_2addr_b64 v[96:99], v2 offset0:59 offset1:60
	s_wait_dscnt 0x1
	v_fmac_f64_e32 v[114:115], v[108:109], v[92:93]
	s_wait_loadcnt 0x4
	s_delay_alu instid0(VALU_DEP_1)
	v_fmac_f64_e32 v[114:115], v[84:85], v[94:95]
	scratch_load_b128 v[92:95], off, off offset:240
	s_wait_dscnt 0x0
	v_fmac_f64_e32 v[114:115], v[86:87], v[96:97]
	scratch_load_b128 v[84:87], off, off offset:256
	s_wait_loadcnt 0x5
	v_fmac_f64_e32 v[114:115], v[102:103], v[98:99]
	ds_load_2addr_b64 v[96:99], v2 offset0:61 offset1:62
	ds_load_2addr_b64 v[100:103], v2 offset0:63 offset1:64
	s_wait_dscnt 0x1
	v_fmac_f64_e32 v[114:115], v[104:105], v[96:97]
	scratch_load_b64 v[104:105], off, off offset:288
	s_wait_loadcnt 0x5
	v_fmac_f64_e32 v[114:115], v[88:89], v[98:99]
	scratch_load_b128 v[96:99], off, off offset:272
	s_wait_dscnt 0x0
	v_fmac_f64_e32 v[114:115], v[90:91], v[100:101]
	s_wait_loadcnt 0x5
	s_delay_alu instid0(VALU_DEP_1)
	v_fmac_f64_e32 v[114:115], v[110:111], v[102:103]
	ds_load_2addr_b64 v[88:91], v2 offset0:65 offset1:66
	ds_load_2addr_b64 v[100:103], v2 offset0:67 offset1:68
	s_wait_dscnt 0x1
	v_fmac_f64_e32 v[114:115], v[112:113], v[88:89]
	s_wait_loadcnt 0x4
	s_delay_alu instid0(VALU_DEP_1) | instskip(SKIP_1) | instid1(VALU_DEP_1)
	v_fmac_f64_e32 v[114:115], v[80:81], v[90:91]
	s_wait_dscnt 0x0
	v_fmac_f64_e32 v[114:115], v[82:83], v[100:101]
	ds_load_2addr_b64 v[80:83], v2 offset0:69 offset1:70
	ds_load_2addr_b64 v[88:91], v2 offset0:71 offset1:72
	s_wait_loadcnt 0x3
	v_fmac_f64_e32 v[114:115], v[92:93], v[102:103]
	s_wait_dscnt 0x1
	s_delay_alu instid0(VALU_DEP_1) | instskip(SKIP_1) | instid1(VALU_DEP_1)
	v_fmac_f64_e32 v[114:115], v[94:95], v[80:81]
	s_wait_loadcnt 0x2
	v_fmac_f64_e32 v[114:115], v[84:85], v[82:83]
	ds_load_2addr_b64 v[80:83], v2 offset0:73 offset1:74
	s_wait_dscnt 0x1
	v_fmac_f64_e32 v[114:115], v[86:87], v[88:89]
	s_wait_loadcnt 0x0
	s_delay_alu instid0(VALU_DEP_1) | instskip(SKIP_1) | instid1(VALU_DEP_1)
	v_fmac_f64_e32 v[114:115], v[96:97], v[90:91]
	s_wait_dscnt 0x0
	v_fmac_f64_e32 v[114:115], v[98:99], v[80:81]
	s_delay_alu instid0(VALU_DEP_1) | instskip(NEXT) | instid1(VALU_DEP_1)
	v_fmac_f64_e32 v[114:115], v[104:105], v[82:83]
	v_add_f64_e64 v[2:3], v[78:79], -v[114:115]
	scratch_store_b64 off, v[2:3], off offset:16
	s_wait_xcnt 0x0
	v_cmpx_lt_u32_e32 1, v0
	s_cbranch_execz .LBB100_229
; %bb.228:
	scratch_load_b64 v[2:3], off, off offset:8
	v_mov_b64_e32 v[78:79], 0
	scratch_store_b64 off, v[78:79], off offset:8
	s_wait_loadcnt 0x0
	ds_store_b64 v1, v[2:3]
.LBB100_229:
	s_wait_xcnt 0x0
	s_or_b32 exec_lo, exec_lo, s0
	s_wait_storecnt_dscnt 0x0
	s_barrier_signal -1
	s_barrier_wait -1
	s_clause 0x5
	scratch_load_b128 v[80:83], off, off offset:8
	scratch_load_b128 v[84:87], off, off offset:24
	;; [unrolled: 1-line block ×6, first 2 shown]
	v_dual_mov_b32 v78, 0 :: v_dual_ashrrev_i32 v9, 31, v8
	ds_load_b128 v[104:107], v78 offset:320
	ds_load_b128 v[108:111], v78 offset:336
	v_dual_ashrrev_i32 v11, 31, v10 :: v_dual_ashrrev_i32 v13, 31, v12
	v_dual_ashrrev_i32 v15, 31, v14 :: v_dual_ashrrev_i32 v17, 31, v16
	;; [unrolled: 1-line block ×16, first 2 shown]
	v_ashrrev_i32_e32 v75, 31, v74
	s_mov_b32 s0, exec_lo
	v_ashrrev_i32_e32 v25, 31, v24
	s_wait_loadcnt_dscnt 0x501
	v_fma_f64 v[2:3], v[82:83], v[104:105], 0
	s_wait_loadcnt 0x4
	s_delay_alu instid0(VALU_DEP_1) | instskip(SKIP_4) | instid1(VALU_DEP_1)
	v_fmac_f64_e32 v[2:3], v[84:85], v[106:107]
	scratch_load_b128 v[82:85], off, off offset:104
	s_wait_dscnt 0x0
	v_fmac_f64_e32 v[2:3], v[86:87], v[108:109]
	s_wait_loadcnt 0x4
	v_fmac_f64_e32 v[2:3], v[88:89], v[110:111]
	ds_load_b128 v[86:89], v78 offset:352
	ds_load_b128 v[104:107], v78 offset:368
	scratch_load_b128 v[108:111], off, off offset:120
	s_wait_dscnt 0x1
	v_fmac_f64_e32 v[2:3], v[90:91], v[86:87]
	s_wait_loadcnt 0x4
	s_delay_alu instid0(VALU_DEP_1) | instskip(SKIP_4) | instid1(VALU_DEP_1)
	v_fmac_f64_e32 v[2:3], v[92:93], v[88:89]
	scratch_load_b128 v[86:89], off, off offset:136
	s_wait_dscnt 0x0
	v_fmac_f64_e32 v[2:3], v[94:95], v[104:105]
	s_wait_loadcnt 0x4
	v_fmac_f64_e32 v[2:3], v[96:97], v[106:107]
	ds_load_b128 v[90:93], v78 offset:384
	ds_load_b128 v[94:97], v78 offset:400
	scratch_load_b128 v[104:107], off, off offset:152
	s_wait_dscnt 0x1
	v_fmac_f64_e32 v[2:3], v[98:99], v[90:91]
	s_wait_loadcnt 0x4
	s_delay_alu instid0(VALU_DEP_1) | instskip(SKIP_4) | instid1(VALU_DEP_1)
	v_fmac_f64_e32 v[2:3], v[100:101], v[92:93]
	scratch_load_b128 v[90:93], off, off offset:168
	s_wait_dscnt 0x0
	v_fmac_f64_e32 v[2:3], v[102:103], v[94:95]
	s_wait_loadcnt 0x4
	v_fmac_f64_e32 v[2:3], v[82:83], v[96:97]
	ds_load_b128 v[94:97], v78 offset:416
	ds_load_b128 v[98:101], v78 offset:432
	s_wait_dscnt 0x1
	v_fmac_f64_e32 v[2:3], v[84:85], v[94:95]
	scratch_load_b128 v[82:85], off, off offset:184
	s_wait_loadcnt 0x4
	v_fmac_f64_e32 v[2:3], v[108:109], v[96:97]
	scratch_load_b128 v[94:97], off, off offset:200
	s_wait_dscnt 0x0
	v_fmac_f64_e32 v[2:3], v[110:111], v[98:99]
	s_wait_loadcnt 0x4
	s_delay_alu instid0(VALU_DEP_1)
	v_fmac_f64_e32 v[2:3], v[86:87], v[100:101]
	ds_load_b128 v[98:101], v78 offset:448
	ds_load_b128 v[108:111], v78 offset:464
	s_wait_dscnt 0x1
	v_fmac_f64_e32 v[2:3], v[88:89], v[98:99]
	scratch_load_b128 v[86:89], off, off offset:216
	s_wait_loadcnt 0x4
	v_fmac_f64_e32 v[2:3], v[104:105], v[100:101]
	scratch_load_b128 v[98:101], off, off offset:232
	s_wait_dscnt 0x0
	v_fmac_f64_e32 v[2:3], v[106:107], v[108:109]
	ds_load_b128 v[102:105], v78 offset:480
	ds_load_b128 v[106:109], v78 offset:496
	s_wait_loadcnt 0x4
	v_fmac_f64_e32 v[2:3], v[90:91], v[110:111]
	s_wait_dscnt 0x1
	s_delay_alu instid0(VALU_DEP_1) | instskip(SKIP_4) | instid1(VALU_DEP_1)
	v_fmac_f64_e32 v[2:3], v[92:93], v[102:103]
	scratch_load_b128 v[90:93], off, off offset:248
	s_wait_loadcnt 0x4
	v_fmac_f64_e32 v[2:3], v[82:83], v[104:105]
	s_wait_dscnt 0x0
	v_fmac_f64_e32 v[2:3], v[84:85], v[106:107]
	scratch_load_b128 v[82:85], off, off offset:264
	s_wait_loadcnt 0x4
	v_fmac_f64_e32 v[2:3], v[94:95], v[108:109]
	ds_load_b128 v[102:105], v78 offset:512
	ds_load_b128 v[106:109], v78 offset:528
	s_wait_dscnt 0x1
	v_fmac_f64_e32 v[2:3], v[96:97], v[102:103]
	scratch_load_b128 v[94:97], off, off offset:280
	s_wait_loadcnt 0x4
	v_fmac_f64_e32 v[2:3], v[86:87], v[104:105]
	s_wait_dscnt 0x0
	s_delay_alu instid0(VALU_DEP_1)
	v_fmac_f64_e32 v[2:3], v[88:89], v[106:107]
	ds_load_b128 v[86:89], v78 offset:544
	ds_load_b128 v[102:105], v78 offset:560
	s_wait_loadcnt 0x3
	v_fmac_f64_e32 v[2:3], v[98:99], v[108:109]
	s_wait_dscnt 0x1
	s_delay_alu instid0(VALU_DEP_1) | instskip(SKIP_1) | instid1(VALU_DEP_1)
	v_fmac_f64_e32 v[2:3], v[100:101], v[86:87]
	s_wait_loadcnt 0x2
	v_fmac_f64_e32 v[2:3], v[90:91], v[88:89]
	ds_load_b128 v[86:89], v78 offset:576
	s_wait_dscnt 0x1
	v_fmac_f64_e32 v[2:3], v[92:93], v[102:103]
	s_wait_loadcnt 0x1
	s_delay_alu instid0(VALU_DEP_1) | instskip(SKIP_4) | instid1(VALU_DEP_1)
	v_fmac_f64_e32 v[2:3], v[82:83], v[104:105]
	ds_load_b64 v[82:83], v78 offset:592
	s_wait_dscnt 0x1
	v_fmac_f64_e32 v[2:3], v[84:85], v[86:87]
	s_wait_loadcnt 0x0
	v_fmac_f64_e32 v[2:3], v[94:95], v[88:89]
	s_wait_dscnt 0x0
	s_delay_alu instid0(VALU_DEP_1) | instskip(NEXT) | instid1(VALU_DEP_1)
	v_fmac_f64_e32 v[2:3], v[96:97], v[82:83]
	v_add_f64_e64 v[2:3], v[80:81], -v[2:3]
	scratch_store_b64 off, v[2:3], off offset:8
	s_wait_xcnt 0x0
	v_cmpx_ne_u32_e32 0, v0
	s_cbranch_execz .LBB100_231
; %bb.230:
	scratch_load_b64 v[2:3], off, off
	v_mov_b64_e32 v[80:81], 0
	scratch_store_b64 off, v[80:81], off
	s_wait_loadcnt 0x0
	ds_store_b64 v1, v[2:3]
.LBB100_231:
	s_wait_xcnt 0x0
	s_or_b32 exec_lo, exec_lo, s0
	s_wait_storecnt_dscnt 0x0
	s_barrier_signal -1
	s_barrier_wait -1
	s_clause 0x5
	scratch_load_b128 v[80:83], off, off
	scratch_load_b128 v[0:3], off, off offset:16
	scratch_load_b128 v[84:87], off, off offset:32
	scratch_load_b128 v[88:91], off, off offset:48
	scratch_load_b128 v[92:95], off, off offset:64
	scratch_load_b128 v[96:99], off, off offset:80
	ds_load_2addr_b64 v[100:103], v78 offset0:39 offset1:40
	scratch_load_b128 v[104:107], off, off offset:96
	s_and_b32 vcc_lo, exec_lo, s12
	scratch_load_b128 v[108:111], off, off offset:208
	s_wait_loadcnt_dscnt 0x700
	v_fma_f64 v[112:113], v[82:83], v[100:101], 0
	s_wait_loadcnt 0x6
	s_delay_alu instid0(VALU_DEP_1)
	v_fmac_f64_e32 v[112:113], v[0:1], v[102:103]
	ds_load_2addr_b64 v[100:103], v78 offset0:41 offset1:42
	s_wait_dscnt 0x0
	v_fmac_f64_e32 v[112:113], v[2:3], v[100:101]
	scratch_load_b128 v[0:3], off, off offset:112
	s_wait_loadcnt 0x6
	v_fmac_f64_e32 v[112:113], v[84:85], v[102:103]
	ds_load_2addr_b64 v[82:85], v78 offset0:43 offset1:44
	scratch_load_b128 v[100:103], off, off offset:128
	s_wait_dscnt 0x0
	v_fmac_f64_e32 v[112:113], v[86:87], v[82:83]
	s_wait_loadcnt 0x6
	s_delay_alu instid0(VALU_DEP_1)
	v_fmac_f64_e32 v[112:113], v[88:89], v[84:85]
	ds_load_2addr_b64 v[82:85], v78 offset0:45 offset1:46
	scratch_load_b128 v[86:89], off, off offset:144
	s_wait_dscnt 0x0
	v_fmac_f64_e32 v[112:113], v[90:91], v[82:83]
	s_wait_loadcnt 0x6
	s_delay_alu instid0(VALU_DEP_1)
	;; [unrolled: 7-line block ×4, first 2 shown]
	v_fmac_f64_e32 v[112:113], v[104:105], v[84:85]
	ds_load_2addr_b64 v[82:85], v78 offset0:51 offset1:52
	s_wait_dscnt 0x0
	v_fmac_f64_e32 v[112:113], v[106:107], v[82:83]
	scratch_load_b128 v[104:107], off, off offset:192
	s_wait_loadcnt 0x5
	v_fmac_f64_e32 v[112:113], v[0:1], v[84:85]
	ds_load_2addr_b64 v[82:85], v78 offset0:53 offset1:54
	s_wait_dscnt 0x0
	v_fmac_f64_e32 v[112:113], v[2:3], v[82:83]
	ds_load_2addr_b64 v[0:3], v78 offset0:55 offset1:56
	s_wait_loadcnt 0x4
	v_fmac_f64_e32 v[112:113], v[100:101], v[84:85]
	ds_load_2addr_b64 v[98:101], v78 offset0:61 offset1:62
	scratch_load_b128 v[82:85], off, off offset:224
	s_wait_dscnt 0x1
	v_fmac_f64_e32 v[112:113], v[102:103], v[0:1]
	s_wait_loadcnt 0x4
	s_delay_alu instid0(VALU_DEP_1)
	v_fmac_f64_e32 v[112:113], v[86:87], v[2:3]
	ds_load_2addr_b64 v[0:3], v78 offset0:57 offset1:58
	s_wait_dscnt 0x0
	v_fmac_f64_e32 v[112:113], v[88:89], v[0:1]
	scratch_load_b128 v[86:89], off, off offset:240
	s_wait_loadcnt 0x4
	v_fmac_f64_e32 v[112:113], v[90:91], v[2:3]
	ds_load_2addr_b64 v[0:3], v78 offset0:59 offset1:60
	s_wait_dscnt 0x0
	v_fmac_f64_e32 v[112:113], v[92:93], v[0:1]
	scratch_load_b128 v[90:93], off, off offset:256
	s_wait_loadcnt 0x4
	v_fmac_f64_e32 v[112:113], v[94:95], v[2:3]
	scratch_load_b128 v[0:3], off, off offset:272
	v_fmac_f64_e32 v[112:113], v[96:97], v[98:99]
	ds_load_2addr_b64 v[94:97], v78 offset0:63 offset1:64
	scratch_load_b64 v[98:99], off, off offset:288
	s_wait_loadcnt 0x5
	v_fmac_f64_e32 v[112:113], v[104:105], v[100:101]
	s_wait_dscnt 0x0
	s_delay_alu instid0(VALU_DEP_1) | instskip(NEXT) | instid1(VALU_DEP_1)
	v_fmac_f64_e32 v[112:113], v[106:107], v[94:95]
	v_fmac_f64_e32 v[112:113], v[108:109], v[96:97]
	ds_load_2addr_b64 v[94:97], v78 offset0:65 offset1:66
	s_wait_dscnt 0x0
	v_fmac_f64_e32 v[112:113], v[110:111], v[94:95]
	s_wait_loadcnt 0x4
	s_delay_alu instid0(VALU_DEP_1)
	v_fmac_f64_e32 v[112:113], v[82:83], v[96:97]
	ds_load_2addr_b64 v[94:97], v78 offset0:67 offset1:68
	s_wait_dscnt 0x0
	v_fmac_f64_e32 v[112:113], v[84:85], v[94:95]
	ds_load_2addr_b64 v[82:85], v78 offset0:69 offset1:70
	s_wait_loadcnt 0x3
	v_fmac_f64_e32 v[112:113], v[86:87], v[96:97]
	s_wait_dscnt 0x0
	s_delay_alu instid0(VALU_DEP_1) | instskip(SKIP_1) | instid1(VALU_DEP_1)
	v_fmac_f64_e32 v[112:113], v[88:89], v[82:83]
	s_wait_loadcnt 0x2
	v_fmac_f64_e32 v[112:113], v[90:91], v[84:85]
	ds_load_2addr_b64 v[82:85], v78 offset0:71 offset1:72
	s_wait_dscnt 0x0
	v_fmac_f64_e32 v[112:113], v[92:93], v[82:83]
	s_wait_loadcnt 0x1
	s_delay_alu instid0(VALU_DEP_1) | instskip(SKIP_4) | instid1(VALU_DEP_1)
	v_fmac_f64_e32 v[112:113], v[0:1], v[84:85]
	ds_load_2addr_b64 v[82:85], v78 offset0:73 offset1:74
	s_wait_dscnt 0x0
	v_fmac_f64_e32 v[112:113], v[2:3], v[82:83]
	s_wait_loadcnt 0x0
	v_fmac_f64_e32 v[112:113], v[98:99], v[84:85]
	s_delay_alu instid0(VALU_DEP_1)
	v_add_f64_e64 v[78:79], v[80:81], -v[112:113]
	scratch_store_b64 off, v[78:79], off
	s_cbranch_vccz .LBB100_304
; %bb.232:
	v_mov_b32_e32 v0, 0
	global_load_b32 v1, v0, s[8:9] offset:140
	s_wait_loadcnt 0x0
	v_cmp_ne_u32_e32 vcc_lo, 36, v1
	s_cbranch_vccz .LBB100_234
; %bb.233:
	v_lshlrev_b32_e32 v1, 3, v1
	scratch_load_b64 v[78:79], v1, off offset:-8
	s_wait_loadcnt 0x0
	scratch_store_b64 off, v[78:79], off offset:280
	scratch_store_b64 v1, v[2:3], off offset:-8
.LBB100_234:
	global_load_b32 v0, v0, s[8:9] offset:136
	s_wait_loadcnt 0x0
	v_cmp_eq_u32_e32 vcc_lo, 35, v0
	s_cbranch_vccnz .LBB100_236
; %bb.235:
	s_wait_xcnt 0x0
	v_lshlrev_b32_e32 v0, 3, v0
	s_delay_alu instid0(VALU_DEP_1)
	v_mov_b32_e32 v78, v0
	scratch_load_b64 v[0:1], v78, off offset:-8
	scratch_load_b64 v[2:3], off, off offset:272
	s_wait_loadcnt 0x1
	scratch_store_b64 off, v[0:1], off offset:272
	s_wait_loadcnt 0x0
	scratch_store_b64 v78, v[2:3], off offset:-8
.LBB100_236:
	s_wait_xcnt 0x0
	v_mov_b32_e32 v0, 0
	global_load_b32 v1, v0, s[8:9] offset:132
	s_wait_loadcnt 0x0
	v_cmp_eq_u32_e32 vcc_lo, 34, v1
	s_cbranch_vccnz .LBB100_238
; %bb.237:
	v_lshlrev_b32_e32 v1, 3, v1
	scratch_load_b64 v[2:3], v1, off offset:-8
	scratch_load_b64 v[78:79], off, off offset:264
	s_wait_loadcnt 0x1
	scratch_store_b64 off, v[2:3], off offset:264
	s_wait_loadcnt 0x0
	scratch_store_b64 v1, v[78:79], off offset:-8
.LBB100_238:
	global_load_b32 v0, v0, s[8:9] offset:128
	s_wait_loadcnt 0x0
	v_cmp_eq_u32_e32 vcc_lo, 33, v0
	s_cbranch_vccnz .LBB100_240
; %bb.239:
	s_wait_xcnt 0x0
	v_lshlrev_b32_e32 v0, 3, v0
	s_delay_alu instid0(VALU_DEP_1)
	v_mov_b32_e32 v78, v0
	scratch_load_b64 v[0:1], v78, off offset:-8
	scratch_load_b64 v[2:3], off, off offset:256
	s_wait_loadcnt 0x1
	scratch_store_b64 off, v[0:1], off offset:256
	s_wait_loadcnt 0x0
	scratch_store_b64 v78, v[2:3], off offset:-8
.LBB100_240:
	s_wait_xcnt 0x0
	v_mov_b32_e32 v0, 0
	global_load_b32 v1, v0, s[8:9] offset:124
	s_wait_loadcnt 0x0
	v_cmp_eq_u32_e32 vcc_lo, 32, v1
	s_cbranch_vccnz .LBB100_242
; %bb.241:
	v_lshlrev_b32_e32 v1, 3, v1
	scratch_load_b64 v[2:3], v1, off offset:-8
	scratch_load_b64 v[78:79], off, off offset:248
	s_wait_loadcnt 0x1
	scratch_store_b64 off, v[2:3], off offset:248
	s_wait_loadcnt 0x0
	scratch_store_b64 v1, v[78:79], off offset:-8
.LBB100_242:
	global_load_b32 v0, v0, s[8:9] offset:120
	s_wait_loadcnt 0x0
	v_cmp_eq_u32_e32 vcc_lo, 31, v0
	s_cbranch_vccnz .LBB100_244
; %bb.243:
	s_wait_xcnt 0x0
	v_lshlrev_b32_e32 v0, 3, v0
	s_delay_alu instid0(VALU_DEP_1)
	v_mov_b32_e32 v78, v0
	scratch_load_b64 v[0:1], v78, off offset:-8
	scratch_load_b64 v[2:3], off, off offset:240
	s_wait_loadcnt 0x1
	scratch_store_b64 off, v[0:1], off offset:240
	s_wait_loadcnt 0x0
	scratch_store_b64 v78, v[2:3], off offset:-8
.LBB100_244:
	s_wait_xcnt 0x0
	v_mov_b32_e32 v0, 0
	global_load_b32 v1, v0, s[8:9] offset:116
	s_wait_loadcnt 0x0
	v_cmp_eq_u32_e32 vcc_lo, 30, v1
	s_cbranch_vccnz .LBB100_246
; %bb.245:
	v_lshlrev_b32_e32 v1, 3, v1
	scratch_load_b64 v[2:3], v1, off offset:-8
	scratch_load_b64 v[78:79], off, off offset:232
	s_wait_loadcnt 0x1
	scratch_store_b64 off, v[2:3], off offset:232
	s_wait_loadcnt 0x0
	scratch_store_b64 v1, v[78:79], off offset:-8
.LBB100_246:
	global_load_b32 v0, v0, s[8:9] offset:112
	s_wait_loadcnt 0x0
	v_cmp_eq_u32_e32 vcc_lo, 29, v0
	s_cbranch_vccnz .LBB100_248
; %bb.247:
	s_wait_xcnt 0x0
	v_lshlrev_b32_e32 v0, 3, v0
	s_delay_alu instid0(VALU_DEP_1)
	v_mov_b32_e32 v78, v0
	scratch_load_b64 v[0:1], v78, off offset:-8
	scratch_load_b64 v[2:3], off, off offset:224
	s_wait_loadcnt 0x1
	scratch_store_b64 off, v[0:1], off offset:224
	s_wait_loadcnt 0x0
	scratch_store_b64 v78, v[2:3], off offset:-8
.LBB100_248:
	s_wait_xcnt 0x0
	v_mov_b32_e32 v0, 0
	global_load_b32 v1, v0, s[8:9] offset:108
	s_wait_loadcnt 0x0
	v_cmp_eq_u32_e32 vcc_lo, 28, v1
	s_cbranch_vccnz .LBB100_250
; %bb.249:
	v_lshlrev_b32_e32 v1, 3, v1
	scratch_load_b64 v[2:3], v1, off offset:-8
	scratch_load_b64 v[78:79], off, off offset:216
	s_wait_loadcnt 0x1
	scratch_store_b64 off, v[2:3], off offset:216
	s_wait_loadcnt 0x0
	scratch_store_b64 v1, v[78:79], off offset:-8
.LBB100_250:
	global_load_b32 v0, v0, s[8:9] offset:104
	s_wait_loadcnt 0x0
	v_cmp_eq_u32_e32 vcc_lo, 27, v0
	s_cbranch_vccnz .LBB100_252
; %bb.251:
	s_wait_xcnt 0x0
	v_lshlrev_b32_e32 v0, 3, v0
	s_delay_alu instid0(VALU_DEP_1)
	v_mov_b32_e32 v78, v0
	scratch_load_b64 v[0:1], v78, off offset:-8
	scratch_load_b64 v[2:3], off, off offset:208
	s_wait_loadcnt 0x1
	scratch_store_b64 off, v[0:1], off offset:208
	s_wait_loadcnt 0x0
	scratch_store_b64 v78, v[2:3], off offset:-8
.LBB100_252:
	s_wait_xcnt 0x0
	v_mov_b32_e32 v0, 0
	global_load_b32 v1, v0, s[8:9] offset:100
	s_wait_loadcnt 0x0
	v_cmp_eq_u32_e32 vcc_lo, 26, v1
	s_cbranch_vccnz .LBB100_254
; %bb.253:
	v_lshlrev_b32_e32 v1, 3, v1
	scratch_load_b64 v[2:3], v1, off offset:-8
	scratch_load_b64 v[78:79], off, off offset:200
	s_wait_loadcnt 0x1
	scratch_store_b64 off, v[2:3], off offset:200
	s_wait_loadcnt 0x0
	scratch_store_b64 v1, v[78:79], off offset:-8
.LBB100_254:
	global_load_b32 v0, v0, s[8:9] offset:96
	s_wait_loadcnt 0x0
	v_cmp_eq_u32_e32 vcc_lo, 25, v0
	s_cbranch_vccnz .LBB100_256
; %bb.255:
	s_wait_xcnt 0x0
	v_lshlrev_b32_e32 v0, 3, v0
	s_delay_alu instid0(VALU_DEP_1)
	v_mov_b32_e32 v78, v0
	scratch_load_b64 v[0:1], v78, off offset:-8
	scratch_load_b64 v[2:3], off, off offset:192
	s_wait_loadcnt 0x1
	scratch_store_b64 off, v[0:1], off offset:192
	s_wait_loadcnt 0x0
	scratch_store_b64 v78, v[2:3], off offset:-8
.LBB100_256:
	s_wait_xcnt 0x0
	v_mov_b32_e32 v0, 0
	global_load_b32 v1, v0, s[8:9] offset:92
	s_wait_loadcnt 0x0
	v_cmp_eq_u32_e32 vcc_lo, 24, v1
	s_cbranch_vccnz .LBB100_258
; %bb.257:
	v_lshlrev_b32_e32 v1, 3, v1
	scratch_load_b64 v[2:3], v1, off offset:-8
	scratch_load_b64 v[78:79], off, off offset:184
	s_wait_loadcnt 0x1
	scratch_store_b64 off, v[2:3], off offset:184
	s_wait_loadcnt 0x0
	scratch_store_b64 v1, v[78:79], off offset:-8
.LBB100_258:
	global_load_b32 v0, v0, s[8:9] offset:88
	s_wait_loadcnt 0x0
	v_cmp_eq_u32_e32 vcc_lo, 23, v0
	s_cbranch_vccnz .LBB100_260
; %bb.259:
	s_wait_xcnt 0x0
	v_lshlrev_b32_e32 v0, 3, v0
	s_delay_alu instid0(VALU_DEP_1)
	v_mov_b32_e32 v78, v0
	scratch_load_b64 v[0:1], v78, off offset:-8
	scratch_load_b64 v[2:3], off, off offset:176
	s_wait_loadcnt 0x1
	scratch_store_b64 off, v[0:1], off offset:176
	s_wait_loadcnt 0x0
	scratch_store_b64 v78, v[2:3], off offset:-8
.LBB100_260:
	s_wait_xcnt 0x0
	v_mov_b32_e32 v0, 0
	global_load_b32 v1, v0, s[8:9] offset:84
	s_wait_loadcnt 0x0
	v_cmp_eq_u32_e32 vcc_lo, 22, v1
	s_cbranch_vccnz .LBB100_262
; %bb.261:
	v_lshlrev_b32_e32 v1, 3, v1
	scratch_load_b64 v[2:3], v1, off offset:-8
	scratch_load_b64 v[78:79], off, off offset:168
	s_wait_loadcnt 0x1
	scratch_store_b64 off, v[2:3], off offset:168
	s_wait_loadcnt 0x0
	scratch_store_b64 v1, v[78:79], off offset:-8
.LBB100_262:
	global_load_b32 v0, v0, s[8:9] offset:80
	s_wait_loadcnt 0x0
	v_cmp_eq_u32_e32 vcc_lo, 21, v0
	s_cbranch_vccnz .LBB100_264
; %bb.263:
	s_wait_xcnt 0x0
	v_lshlrev_b32_e32 v0, 3, v0
	s_delay_alu instid0(VALU_DEP_1)
	v_mov_b32_e32 v78, v0
	scratch_load_b64 v[0:1], v78, off offset:-8
	scratch_load_b64 v[2:3], off, off offset:160
	s_wait_loadcnt 0x1
	scratch_store_b64 off, v[0:1], off offset:160
	s_wait_loadcnt 0x0
	scratch_store_b64 v78, v[2:3], off offset:-8
.LBB100_264:
	s_wait_xcnt 0x0
	v_mov_b32_e32 v0, 0
	global_load_b32 v1, v0, s[8:9] offset:76
	s_wait_loadcnt 0x0
	v_cmp_eq_u32_e32 vcc_lo, 20, v1
	s_cbranch_vccnz .LBB100_266
; %bb.265:
	v_lshlrev_b32_e32 v1, 3, v1
	scratch_load_b64 v[2:3], v1, off offset:-8
	scratch_load_b64 v[78:79], off, off offset:152
	s_wait_loadcnt 0x1
	scratch_store_b64 off, v[2:3], off offset:152
	s_wait_loadcnt 0x0
	scratch_store_b64 v1, v[78:79], off offset:-8
.LBB100_266:
	global_load_b32 v0, v0, s[8:9] offset:72
	s_wait_loadcnt 0x0
	v_cmp_eq_u32_e32 vcc_lo, 19, v0
	s_cbranch_vccnz .LBB100_268
; %bb.267:
	s_wait_xcnt 0x0
	v_lshlrev_b32_e32 v0, 3, v0
	s_delay_alu instid0(VALU_DEP_1)
	v_mov_b32_e32 v78, v0
	scratch_load_b64 v[0:1], v78, off offset:-8
	scratch_load_b64 v[2:3], off, off offset:144
	s_wait_loadcnt 0x1
	scratch_store_b64 off, v[0:1], off offset:144
	s_wait_loadcnt 0x0
	scratch_store_b64 v78, v[2:3], off offset:-8
.LBB100_268:
	s_wait_xcnt 0x0
	v_mov_b32_e32 v0, 0
	global_load_b32 v1, v0, s[8:9] offset:68
	s_wait_loadcnt 0x0
	v_cmp_eq_u32_e32 vcc_lo, 18, v1
	s_cbranch_vccnz .LBB100_270
; %bb.269:
	v_lshlrev_b32_e32 v1, 3, v1
	scratch_load_b64 v[2:3], v1, off offset:-8
	scratch_load_b64 v[78:79], off, off offset:136
	s_wait_loadcnt 0x1
	scratch_store_b64 off, v[2:3], off offset:136
	s_wait_loadcnt 0x0
	scratch_store_b64 v1, v[78:79], off offset:-8
.LBB100_270:
	global_load_b32 v0, v0, s[8:9] offset:64
	s_wait_loadcnt 0x0
	v_cmp_eq_u32_e32 vcc_lo, 17, v0
	s_cbranch_vccnz .LBB100_272
; %bb.271:
	s_wait_xcnt 0x0
	v_lshlrev_b32_e32 v0, 3, v0
	s_delay_alu instid0(VALU_DEP_1)
	v_mov_b32_e32 v78, v0
	scratch_load_b64 v[0:1], v78, off offset:-8
	scratch_load_b64 v[2:3], off, off offset:128
	s_wait_loadcnt 0x1
	scratch_store_b64 off, v[0:1], off offset:128
	s_wait_loadcnt 0x0
	scratch_store_b64 v78, v[2:3], off offset:-8
.LBB100_272:
	s_wait_xcnt 0x0
	v_mov_b32_e32 v0, 0
	global_load_b32 v1, v0, s[8:9] offset:60
	s_wait_loadcnt 0x0
	v_cmp_eq_u32_e32 vcc_lo, 16, v1
	s_cbranch_vccnz .LBB100_274
; %bb.273:
	v_lshlrev_b32_e32 v1, 3, v1
	scratch_load_b64 v[2:3], v1, off offset:-8
	scratch_load_b64 v[78:79], off, off offset:120
	s_wait_loadcnt 0x1
	scratch_store_b64 off, v[2:3], off offset:120
	s_wait_loadcnt 0x0
	scratch_store_b64 v1, v[78:79], off offset:-8
.LBB100_274:
	global_load_b32 v0, v0, s[8:9] offset:56
	s_wait_loadcnt 0x0
	v_cmp_eq_u32_e32 vcc_lo, 15, v0
	s_cbranch_vccnz .LBB100_276
; %bb.275:
	s_wait_xcnt 0x0
	v_lshlrev_b32_e32 v0, 3, v0
	s_delay_alu instid0(VALU_DEP_1)
	v_mov_b32_e32 v78, v0
	scratch_load_b64 v[0:1], v78, off offset:-8
	scratch_load_b64 v[2:3], off, off offset:112
	s_wait_loadcnt 0x1
	scratch_store_b64 off, v[0:1], off offset:112
	s_wait_loadcnt 0x0
	scratch_store_b64 v78, v[2:3], off offset:-8
.LBB100_276:
	s_wait_xcnt 0x0
	v_mov_b32_e32 v0, 0
	global_load_b32 v1, v0, s[8:9] offset:52
	s_wait_loadcnt 0x0
	v_cmp_eq_u32_e32 vcc_lo, 14, v1
	s_cbranch_vccnz .LBB100_278
; %bb.277:
	v_lshlrev_b32_e32 v1, 3, v1
	scratch_load_b64 v[2:3], v1, off offset:-8
	scratch_load_b64 v[78:79], off, off offset:104
	s_wait_loadcnt 0x1
	scratch_store_b64 off, v[2:3], off offset:104
	s_wait_loadcnt 0x0
	scratch_store_b64 v1, v[78:79], off offset:-8
.LBB100_278:
	global_load_b32 v0, v0, s[8:9] offset:48
	s_wait_loadcnt 0x0
	v_cmp_eq_u32_e32 vcc_lo, 13, v0
	s_cbranch_vccnz .LBB100_280
; %bb.279:
	s_wait_xcnt 0x0
	v_lshlrev_b32_e32 v0, 3, v0
	s_delay_alu instid0(VALU_DEP_1)
	v_mov_b32_e32 v78, v0
	scratch_load_b64 v[0:1], v78, off offset:-8
	scratch_load_b64 v[2:3], off, off offset:96
	s_wait_loadcnt 0x1
	scratch_store_b64 off, v[0:1], off offset:96
	s_wait_loadcnt 0x0
	scratch_store_b64 v78, v[2:3], off offset:-8
.LBB100_280:
	s_wait_xcnt 0x0
	v_mov_b32_e32 v0, 0
	global_load_b32 v1, v0, s[8:9] offset:44
	s_wait_loadcnt 0x0
	v_cmp_eq_u32_e32 vcc_lo, 12, v1
	s_cbranch_vccnz .LBB100_282
; %bb.281:
	v_lshlrev_b32_e32 v1, 3, v1
	scratch_load_b64 v[2:3], v1, off offset:-8
	scratch_load_b64 v[78:79], off, off offset:88
	s_wait_loadcnt 0x1
	scratch_store_b64 off, v[2:3], off offset:88
	s_wait_loadcnt 0x0
	scratch_store_b64 v1, v[78:79], off offset:-8
.LBB100_282:
	global_load_b32 v0, v0, s[8:9] offset:40
	s_wait_loadcnt 0x0
	v_cmp_eq_u32_e32 vcc_lo, 11, v0
	s_cbranch_vccnz .LBB100_284
; %bb.283:
	s_wait_xcnt 0x0
	v_lshlrev_b32_e32 v0, 3, v0
	s_delay_alu instid0(VALU_DEP_1)
	v_mov_b32_e32 v78, v0
	scratch_load_b64 v[0:1], v78, off offset:-8
	scratch_load_b64 v[2:3], off, off offset:80
	s_wait_loadcnt 0x1
	scratch_store_b64 off, v[0:1], off offset:80
	s_wait_loadcnt 0x0
	scratch_store_b64 v78, v[2:3], off offset:-8
.LBB100_284:
	s_wait_xcnt 0x0
	v_mov_b32_e32 v0, 0
	global_load_b32 v1, v0, s[8:9] offset:36
	s_wait_loadcnt 0x0
	v_cmp_eq_u32_e32 vcc_lo, 10, v1
	s_cbranch_vccnz .LBB100_286
; %bb.285:
	v_lshlrev_b32_e32 v1, 3, v1
	scratch_load_b64 v[2:3], v1, off offset:-8
	scratch_load_b64 v[78:79], off, off offset:72
	s_wait_loadcnt 0x1
	scratch_store_b64 off, v[2:3], off offset:72
	s_wait_loadcnt 0x0
	scratch_store_b64 v1, v[78:79], off offset:-8
.LBB100_286:
	global_load_b32 v0, v0, s[8:9] offset:32
	s_wait_loadcnt 0x0
	v_cmp_eq_u32_e32 vcc_lo, 9, v0
	s_cbranch_vccnz .LBB100_288
; %bb.287:
	s_wait_xcnt 0x0
	v_lshlrev_b32_e32 v0, 3, v0
	s_delay_alu instid0(VALU_DEP_1)
	v_mov_b32_e32 v78, v0
	scratch_load_b64 v[0:1], v78, off offset:-8
	scratch_load_b64 v[2:3], off, off offset:64
	s_wait_loadcnt 0x1
	scratch_store_b64 off, v[0:1], off offset:64
	s_wait_loadcnt 0x0
	scratch_store_b64 v78, v[2:3], off offset:-8
.LBB100_288:
	s_wait_xcnt 0x0
	v_mov_b32_e32 v0, 0
	global_load_b32 v1, v0, s[8:9] offset:28
	s_wait_loadcnt 0x0
	v_cmp_eq_u32_e32 vcc_lo, 8, v1
	s_cbranch_vccnz .LBB100_290
; %bb.289:
	v_lshlrev_b32_e32 v1, 3, v1
	scratch_load_b64 v[2:3], v1, off offset:-8
	scratch_load_b64 v[78:79], off, off offset:56
	s_wait_loadcnt 0x1
	scratch_store_b64 off, v[2:3], off offset:56
	s_wait_loadcnt 0x0
	scratch_store_b64 v1, v[78:79], off offset:-8
.LBB100_290:
	global_load_b32 v0, v0, s[8:9] offset:24
	s_wait_loadcnt 0x0
	v_cmp_eq_u32_e32 vcc_lo, 7, v0
	s_cbranch_vccnz .LBB100_292
; %bb.291:
	s_wait_xcnt 0x0
	v_lshlrev_b32_e32 v0, 3, v0
	s_delay_alu instid0(VALU_DEP_1)
	v_mov_b32_e32 v78, v0
	scratch_load_b64 v[0:1], v78, off offset:-8
	scratch_load_b64 v[2:3], off, off offset:48
	s_wait_loadcnt 0x1
	scratch_store_b64 off, v[0:1], off offset:48
	s_wait_loadcnt 0x0
	scratch_store_b64 v78, v[2:3], off offset:-8
.LBB100_292:
	s_wait_xcnt 0x0
	v_mov_b32_e32 v0, 0
	global_load_b32 v1, v0, s[8:9] offset:20
	s_wait_loadcnt 0x0
	v_cmp_eq_u32_e32 vcc_lo, 6, v1
	s_cbranch_vccnz .LBB100_294
; %bb.293:
	v_lshlrev_b32_e32 v1, 3, v1
	scratch_load_b64 v[2:3], v1, off offset:-8
	scratch_load_b64 v[78:79], off, off offset:40
	s_wait_loadcnt 0x1
	scratch_store_b64 off, v[2:3], off offset:40
	s_wait_loadcnt 0x0
	scratch_store_b64 v1, v[78:79], off offset:-8
.LBB100_294:
	global_load_b32 v0, v0, s[8:9] offset:16
	s_wait_loadcnt 0x0
	v_cmp_eq_u32_e32 vcc_lo, 5, v0
	s_cbranch_vccnz .LBB100_296
; %bb.295:
	s_wait_xcnt 0x0
	v_lshlrev_b32_e32 v0, 3, v0
	s_delay_alu instid0(VALU_DEP_1)
	v_mov_b32_e32 v78, v0
	scratch_load_b64 v[0:1], v78, off offset:-8
	scratch_load_b64 v[2:3], off, off offset:32
	s_wait_loadcnt 0x1
	scratch_store_b64 off, v[0:1], off offset:32
	s_wait_loadcnt 0x0
	scratch_store_b64 v78, v[2:3], off offset:-8
.LBB100_296:
	s_wait_xcnt 0x0
	v_mov_b32_e32 v0, 0
	global_load_b32 v1, v0, s[8:9] offset:12
	s_wait_loadcnt 0x0
	v_cmp_eq_u32_e32 vcc_lo, 4, v1
	s_cbranch_vccnz .LBB100_298
; %bb.297:
	v_lshlrev_b32_e32 v1, 3, v1
	scratch_load_b64 v[2:3], v1, off offset:-8
	scratch_load_b64 v[78:79], off, off offset:24
	s_wait_loadcnt 0x1
	scratch_store_b64 off, v[2:3], off offset:24
	s_wait_loadcnt 0x0
	scratch_store_b64 v1, v[78:79], off offset:-8
.LBB100_298:
	global_load_b32 v0, v0, s[8:9] offset:8
	s_wait_loadcnt 0x0
	v_cmp_eq_u32_e32 vcc_lo, 3, v0
	s_cbranch_vccnz .LBB100_300
; %bb.299:
	s_wait_xcnt 0x0
	v_lshlrev_b32_e32 v0, 3, v0
	s_delay_alu instid0(VALU_DEP_1)
	v_mov_b32_e32 v78, v0
	scratch_load_b64 v[0:1], v78, off offset:-8
	scratch_load_b64 v[2:3], off, off offset:16
	s_wait_loadcnt 0x1
	scratch_store_b64 off, v[0:1], off offset:16
	s_wait_loadcnt 0x0
	scratch_store_b64 v78, v[2:3], off offset:-8
.LBB100_300:
	s_wait_xcnt 0x0
	v_mov_b32_e32 v0, 0
	global_load_b32 v1, v0, s[8:9] offset:4
	s_wait_loadcnt 0x0
	v_cmp_eq_u32_e32 vcc_lo, 2, v1
	s_cbranch_vccnz .LBB100_302
; %bb.301:
	v_lshlrev_b32_e32 v1, 3, v1
	scratch_load_b64 v[2:3], v1, off offset:-8
	scratch_load_b64 v[78:79], off, off offset:8
	s_wait_loadcnt 0x1
	scratch_store_b64 off, v[2:3], off offset:8
	s_wait_loadcnt 0x0
	scratch_store_b64 v1, v[78:79], off offset:-8
.LBB100_302:
	global_load_b32 v0, v0, s[8:9]
	scratch_load_b64 v[78:79], off, off
	s_wait_loadcnt 0x1
	v_cmp_eq_u32_e32 vcc_lo, 1, v0
	s_cbranch_vccnz .LBB100_304
; %bb.303:
	s_wait_xcnt 0x1
	v_lshlrev_b32_e32 v0, 3, v0
	s_delay_alu instid0(VALU_DEP_1)
	v_mov_b32_e32 v2, v0
	scratch_load_b64 v[0:1], v2, off offset:-8
	s_wait_loadcnt 0x0
	scratch_store_b64 off, v[0:1], off
	scratch_store_b64 v2, v[78:79], off offset:-8
	scratch_load_b64 v[78:79], off, off
.LBB100_304:
	s_wait_loadcnt 0x0
	flat_store_b64 v[4:5], v[78:79]
	scratch_load_b64 v[4:5], off, off offset:8
	v_lshl_add_u64 v[110:111], v[8:9], 3, s[2:3]
	v_lshl_add_u64 v[108:109], v[10:11], 3, s[2:3]
	;; [unrolled: 1-line block ×35, first 2 shown]
	s_wait_loadcnt 0x0
	flat_store_b64 v[6:7], v[4:5]
	scratch_load_b64 v[4:5], off, off offset:16
	s_wait_loadcnt 0x0
	flat_store_b64 v[110:111], v[4:5]
	scratch_load_b64 v[4:5], off, off offset:24
	;; [unrolled: 3-line block ×35, first 2 shown]
	s_wait_loadcnt 0x0
	flat_store_b64 v[0:1], v[2:3]
	s_sendmsg sendmsg(MSG_DEALLOC_VGPRS)
	s_endpgm
	.section	.rodata,"a",@progbits
	.p2align	6, 0x0
	.amdhsa_kernel _ZN9rocsolver6v33100L18getri_kernel_smallILi37EdPKPdEEvT1_iilPiilS6_bb
		.amdhsa_group_segment_fixed_size 600
		.amdhsa_private_segment_fixed_size 304
		.amdhsa_kernarg_size 60
		.amdhsa_user_sgpr_count 2
		.amdhsa_user_sgpr_dispatch_ptr 0
		.amdhsa_user_sgpr_queue_ptr 0
		.amdhsa_user_sgpr_kernarg_segment_ptr 1
		.amdhsa_user_sgpr_dispatch_id 0
		.amdhsa_user_sgpr_kernarg_preload_length 0
		.amdhsa_user_sgpr_kernarg_preload_offset 0
		.amdhsa_user_sgpr_private_segment_size 0
		.amdhsa_wavefront_size32 1
		.amdhsa_uses_dynamic_stack 0
		.amdhsa_enable_private_segment 1
		.amdhsa_system_sgpr_workgroup_id_x 1
		.amdhsa_system_sgpr_workgroup_id_y 0
		.amdhsa_system_sgpr_workgroup_id_z 0
		.amdhsa_system_sgpr_workgroup_info 0
		.amdhsa_system_vgpr_workitem_id 0
		.amdhsa_next_free_vgpr 116
		.amdhsa_next_free_sgpr 19
		.amdhsa_named_barrier_count 0
		.amdhsa_reserve_vcc 1
		.amdhsa_float_round_mode_32 0
		.amdhsa_float_round_mode_16_64 0
		.amdhsa_float_denorm_mode_32 3
		.amdhsa_float_denorm_mode_16_64 3
		.amdhsa_fp16_overflow 0
		.amdhsa_memory_ordered 1
		.amdhsa_forward_progress 1
		.amdhsa_inst_pref_size 245
		.amdhsa_round_robin_scheduling 0
		.amdhsa_exception_fp_ieee_invalid_op 0
		.amdhsa_exception_fp_denorm_src 0
		.amdhsa_exception_fp_ieee_div_zero 0
		.amdhsa_exception_fp_ieee_overflow 0
		.amdhsa_exception_fp_ieee_underflow 0
		.amdhsa_exception_fp_ieee_inexact 0
		.amdhsa_exception_int_div_zero 0
	.end_amdhsa_kernel
	.section	.text._ZN9rocsolver6v33100L18getri_kernel_smallILi37EdPKPdEEvT1_iilPiilS6_bb,"axG",@progbits,_ZN9rocsolver6v33100L18getri_kernel_smallILi37EdPKPdEEvT1_iilPiilS6_bb,comdat
.Lfunc_end100:
	.size	_ZN9rocsolver6v33100L18getri_kernel_smallILi37EdPKPdEEvT1_iilPiilS6_bb, .Lfunc_end100-_ZN9rocsolver6v33100L18getri_kernel_smallILi37EdPKPdEEvT1_iilPiilS6_bb
                                        ; -- End function
	.set _ZN9rocsolver6v33100L18getri_kernel_smallILi37EdPKPdEEvT1_iilPiilS6_bb.num_vgpr, 116
	.set _ZN9rocsolver6v33100L18getri_kernel_smallILi37EdPKPdEEvT1_iilPiilS6_bb.num_agpr, 0
	.set _ZN9rocsolver6v33100L18getri_kernel_smallILi37EdPKPdEEvT1_iilPiilS6_bb.numbered_sgpr, 19
	.set _ZN9rocsolver6v33100L18getri_kernel_smallILi37EdPKPdEEvT1_iilPiilS6_bb.num_named_barrier, 0
	.set _ZN9rocsolver6v33100L18getri_kernel_smallILi37EdPKPdEEvT1_iilPiilS6_bb.private_seg_size, 304
	.set _ZN9rocsolver6v33100L18getri_kernel_smallILi37EdPKPdEEvT1_iilPiilS6_bb.uses_vcc, 1
	.set _ZN9rocsolver6v33100L18getri_kernel_smallILi37EdPKPdEEvT1_iilPiilS6_bb.uses_flat_scratch, 1
	.set _ZN9rocsolver6v33100L18getri_kernel_smallILi37EdPKPdEEvT1_iilPiilS6_bb.has_dyn_sized_stack, 0
	.set _ZN9rocsolver6v33100L18getri_kernel_smallILi37EdPKPdEEvT1_iilPiilS6_bb.has_recursion, 0
	.set _ZN9rocsolver6v33100L18getri_kernel_smallILi37EdPKPdEEvT1_iilPiilS6_bb.has_indirect_call, 0
	.section	.AMDGPU.csdata,"",@progbits
; Kernel info:
; codeLenInByte = 31240
; TotalNumSgprs: 21
; NumVgprs: 116
; ScratchSize: 304
; MemoryBound: 0
; FloatMode: 240
; IeeeMode: 1
; LDSByteSize: 600 bytes/workgroup (compile time only)
; SGPRBlocks: 0
; VGPRBlocks: 7
; NumSGPRsForWavesPerEU: 21
; NumVGPRsForWavesPerEU: 116
; NamedBarCnt: 0
; Occupancy: 8
; WaveLimiterHint : 1
; COMPUTE_PGM_RSRC2:SCRATCH_EN: 1
; COMPUTE_PGM_RSRC2:USER_SGPR: 2
; COMPUTE_PGM_RSRC2:TRAP_HANDLER: 0
; COMPUTE_PGM_RSRC2:TGID_X_EN: 1
; COMPUTE_PGM_RSRC2:TGID_Y_EN: 0
; COMPUTE_PGM_RSRC2:TGID_Z_EN: 0
; COMPUTE_PGM_RSRC2:TIDIG_COMP_CNT: 0
	.section	.text._ZN9rocsolver6v33100L18getri_kernel_smallILi38EdPKPdEEvT1_iilPiilS6_bb,"axG",@progbits,_ZN9rocsolver6v33100L18getri_kernel_smallILi38EdPKPdEEvT1_iilPiilS6_bb,comdat
	.globl	_ZN9rocsolver6v33100L18getri_kernel_smallILi38EdPKPdEEvT1_iilPiilS6_bb ; -- Begin function _ZN9rocsolver6v33100L18getri_kernel_smallILi38EdPKPdEEvT1_iilPiilS6_bb
	.p2align	8
	.type	_ZN9rocsolver6v33100L18getri_kernel_smallILi38EdPKPdEEvT1_iilPiilS6_bb,@function
_ZN9rocsolver6v33100L18getri_kernel_smallILi38EdPKPdEEvT1_iilPiilS6_bb: ; @_ZN9rocsolver6v33100L18getri_kernel_smallILi38EdPKPdEEvT1_iilPiilS6_bb
; %bb.0:
	s_mov_b32 s2, exec_lo
	v_cmpx_gt_u32_e32 38, v0
	s_cbranch_execz .LBB101_162
; %bb.1:
	s_clause 0x1
	s_load_b32 s13, s[0:1], 0x38
	s_load_b64 s[2:3], s[0:1], 0x0
	s_getreg_b32 s6, hwreg(HW_REG_IB_STS2, 6, 4)
	s_wait_kmcnt 0x0
	s_bitcmp1_b32 s13, 8
	s_cselect_b32 s12, -1, 0
	s_bfe_u32 s4, ttmp6, 0x4000c
	s_and_b32 s5, ttmp6, 15
	s_add_co_i32 s4, s4, 1
	s_delay_alu instid0(SALU_CYCLE_1) | instskip(NEXT) | instid1(SALU_CYCLE_1)
	s_mul_i32 s4, ttmp9, s4
	s_add_co_i32 s5, s5, s4
	s_cmp_eq_u32 s6, 0
	s_cselect_b32 s10, ttmp9, s5
	s_load_b128 s[4:7], s[0:1], 0x28
	s_ashr_i32 s11, s10, 31
	s_delay_alu instid0(SALU_CYCLE_1) | instskip(NEXT) | instid1(SALU_CYCLE_1)
	s_lshl_b64 s[8:9], s[10:11], 3
	s_add_nc_u64 s[2:3], s[2:3], s[8:9]
	s_bfe_u32 s8, s13, 0x10008
	s_load_b64 s[2:3], s[2:3], 0x0
	s_cmp_eq_u32 s8, 0
                                        ; implicit-def: $sgpr8_sgpr9
	s_cbranch_scc1 .LBB101_3
; %bb.2:
	s_load_b96 s[16:18], s[0:1], 0x18
	s_wait_kmcnt 0x0
	s_mul_u64 s[4:5], s[4:5], s[10:11]
	s_delay_alu instid0(SALU_CYCLE_1) | instskip(SKIP_4) | instid1(SALU_CYCLE_1)
	s_lshl_b64 s[4:5], s[4:5], 2
	s_ashr_i32 s9, s18, 31
	s_mov_b32 s8, s18
	s_add_nc_u64 s[4:5], s[16:17], s[4:5]
	s_lshl_b64 s[8:9], s[8:9], 2
	s_add_nc_u64 s[8:9], s[4:5], s[8:9]
.LBB101_3:
	s_wait_kmcnt 0x0
	s_clause 0x1
	s_load_b64 s[4:5], s[0:1], 0x8
	s_load_b32 s13, s[0:1], 0x38
	v_dual_mov_b32 v3, 0 :: v_dual_lshlrev_b32 v2, 3, v0
	s_wait_kmcnt 0x0
	s_ashr_i32 s1, s4, 31
	s_mov_b32 s0, s4
	s_delay_alu instid0(SALU_CYCLE_1) | instskip(NEXT) | instid1(SALU_CYCLE_1)
	s_lshl_b64 s[0:1], s[0:1], 3
	s_add_nc_u64 s[2:3], s[2:3], s[0:1]
	s_ashr_i32 s1, s5, 31
	flat_load_b64 v[8:9], v0, s[2:3] scale_offset
	v_add_nc_u64_e32 v[4:5], s[2:3], v[2:3]
	s_mov_b32 s0, s5
	s_bitcmp0_b32 s13, 0
	s_delay_alu instid0(VALU_DEP_1)
	v_lshl_add_u64 v[6:7], s[0:1], 3, v[4:5]
	s_mov_b32 s1, -1
	s_wait_loadcnt_dscnt 0x0
	scratch_store_b64 off, v[8:9], off
	flat_load_b64 v[10:11], v[6:7]
	s_wait_xcnt 0x1
	v_add3_u32 v8, s5, s5, v0
	s_wait_loadcnt_dscnt 0x0
	scratch_store_b64 off, v[10:11], off offset:8
	flat_load_b64 v[12:13], v8, s[2:3] scale_offset
	s_wait_xcnt 0x1
	v_add_nc_u32_e32 v10, s5, v8
	s_wait_loadcnt_dscnt 0x0
	scratch_store_b64 off, v[12:13], off offset:16
	flat_load_b64 v[14:15], v10, s[2:3] scale_offset
	s_wait_xcnt 0x1
	v_add_nc_u32_e32 v12, s5, v10
	;; [unrolled: 5-line block ×35, first 2 shown]
	s_wait_loadcnt_dscnt 0x0
	scratch_store_b64 off, v[80:81], off offset:288
	flat_load_b64 v[80:81], v78, s[2:3] scale_offset
	s_wait_loadcnt_dscnt 0x0
	scratch_store_b64 off, v[80:81], off offset:296
	s_cbranch_scc1 .LBB101_160
; %bb.4:
	v_cmp_eq_u32_e64 s0, 0, v0
	s_wait_xcnt 0x0
	s_and_saveexec_b32 s1, s0
; %bb.5:
	v_mov_b32_e32 v1, 0
	ds_store_b32 v1, v1 offset:608
; %bb.6:
	s_or_b32 exec_lo, exec_lo, s1
	s_wait_storecnt_dscnt 0x0
	s_barrier_signal -1
	s_barrier_wait -1
	scratch_load_b64 v[80:81], v0, off scale_offset
	s_mov_b32 s4, exec_lo
	s_wait_loadcnt 0x0
	v_cmpx_eq_f64_e32 0, v[80:81]
	s_cbranch_execz .LBB101_10
; %bb.7:
	v_mov_b32_e32 v1, 0
	s_mov_b32 s5, 0
	ds_load_b32 v3, v1 offset:608
	s_wait_dscnt 0x0
	v_readfirstlane_b32 s1, v3
	v_add_nc_u32_e32 v3, 1, v0
	s_cmp_eq_u32 s1, 0
	s_delay_alu instid0(VALU_DEP_1) | instskip(SKIP_1) | instid1(SALU_CYCLE_1)
	v_cmp_gt_i32_e32 vcc_lo, s1, v3
	s_cselect_b32 s13, -1, 0
	s_or_b32 s13, s13, vcc_lo
	s_delay_alu instid0(SALU_CYCLE_1)
	s_and_b32 exec_lo, exec_lo, s13
	s_cbranch_execz .LBB101_10
; %bb.8:
	v_mov_b32_e32 v9, s1
.LBB101_9:                              ; =>This Inner Loop Header: Depth=1
	ds_cmpstore_rtn_b32 v9, v1, v3, v9 offset:608
	s_wait_dscnt 0x0
	v_cmp_ne_u32_e32 vcc_lo, 0, v9
	v_cmp_le_i32_e64 s1, v9, v3
	s_and_b32 s1, vcc_lo, s1
	s_delay_alu instid0(SALU_CYCLE_1) | instskip(NEXT) | instid1(SALU_CYCLE_1)
	s_and_b32 s1, exec_lo, s1
	s_or_b32 s5, s1, s5
	s_delay_alu instid0(SALU_CYCLE_1)
	s_and_not1_b32 exec_lo, exec_lo, s5
	s_cbranch_execnz .LBB101_9
.LBB101_10:
	s_or_b32 exec_lo, exec_lo, s4
	v_mov_b32_e32 v1, 0
	s_barrier_signal -1
	s_barrier_wait -1
	ds_load_b32 v3, v1 offset:608
	s_and_saveexec_b32 s1, s0
	s_cbranch_execz .LBB101_12
; %bb.11:
	s_lshl_b64 s[4:5], s[10:11], 2
	s_delay_alu instid0(SALU_CYCLE_1)
	s_add_nc_u64 s[4:5], s[6:7], s[4:5]
	s_wait_dscnt 0x0
	global_store_b32 v1, v3, s[4:5]
.LBB101_12:
	s_wait_xcnt 0x0
	s_or_b32 exec_lo, exec_lo, s1
	s_wait_dscnt 0x0
	v_cmp_ne_u32_e32 vcc_lo, 0, v3
	s_mov_b32 s1, 0
	s_cbranch_vccnz .LBB101_160
; %bb.13:
	v_lshl_add_u32 v3, v0, 3, 0
	v_add_nc_u32_e32 v1, 0x130, v2
	scratch_load_b64 v[80:81], v3, off
	s_wait_loadcnt 0x0
	v_div_scale_f64 v[82:83], null, v[80:81], v[80:81], 1.0
	v_div_scale_f64 v[88:89], vcc_lo, 1.0, v[80:81], 1.0
	s_delay_alu instid0(VALU_DEP_2) | instskip(SKIP_1) | instid1(TRANS32_DEP_1)
	v_rcp_f64_e32 v[84:85], v[82:83]
	v_nop
	v_fma_f64 v[86:87], -v[82:83], v[84:85], 1.0
	s_delay_alu instid0(VALU_DEP_1) | instskip(NEXT) | instid1(VALU_DEP_1)
	v_fmac_f64_e32 v[84:85], v[84:85], v[86:87]
	v_fma_f64 v[86:87], -v[82:83], v[84:85], 1.0
	s_delay_alu instid0(VALU_DEP_1) | instskip(NEXT) | instid1(VALU_DEP_1)
	v_fmac_f64_e32 v[84:85], v[84:85], v[86:87]
	v_mul_f64_e32 v[86:87], v[88:89], v[84:85]
	s_delay_alu instid0(VALU_DEP_1) | instskip(NEXT) | instid1(VALU_DEP_1)
	v_fma_f64 v[82:83], -v[82:83], v[86:87], v[88:89]
	v_div_fmas_f64 v[82:83], v[82:83], v[84:85], v[86:87]
	s_delay_alu instid0(VALU_DEP_1)
	v_div_fixup_f64 v[80:81], v[82:83], v[80:81], 1.0
	scratch_store_b64 v3, v[80:81], off
	scratch_load_b64 v[82:83], off, off offset:8
	s_wait_xcnt 0x1
	v_xor_b32_e32 v81, 0x80000000, v81
	s_wait_loadcnt 0x0
	ds_store_2addr_b64 v2, v[80:81], v[82:83] offset1:38
	s_wait_storecnt_dscnt 0x0
	s_barrier_signal -1
	s_barrier_wait -1
	s_wait_xcnt 0x0
	s_and_saveexec_b32 s1, s0
	s_cbranch_execz .LBB101_15
; %bb.14:
	scratch_load_b64 v[80:81], v3, off
	ds_load_b64 v[82:83], v1
	s_wait_loadcnt_dscnt 0x0
	v_fma_f64 v[80:81], v[80:81], v[82:83], 0
	v_mov_b32_e32 v9, 0
	ds_load_b64 v[84:85], v9 offset:8
	s_wait_dscnt 0x0
	v_mul_f64_e32 v[80:81], v[80:81], v[84:85]
	scratch_store_b64 off, v[80:81], off offset:8
.LBB101_15:
	s_wait_xcnt 0x0
	s_or_b32 exec_lo, exec_lo, s1
	s_wait_storecnt 0x0
	s_barrier_signal -1
	s_barrier_wait -1
	scratch_load_b64 v[80:81], off, off offset:16
	s_mov_b32 s1, exec_lo
	s_wait_loadcnt 0x0
	ds_store_b64 v1, v[80:81]
	s_wait_dscnt 0x0
	s_barrier_signal -1
	s_barrier_wait -1
	v_cmpx_gt_u32_e32 2, v0
	s_cbranch_execz .LBB101_19
; %bb.16:
	scratch_load_b64 v[80:81], v3, off
	ds_load_b64 v[82:83], v1
	s_wait_loadcnt_dscnt 0x0
	v_fma_f64 v[80:81], v[80:81], v[82:83], 0
	s_and_saveexec_b32 s4, s0
	s_cbranch_execz .LBB101_18
; %bb.17:
	scratch_load_b64 v[82:83], off, off offset:8
	v_mov_b32_e32 v3, 0
	ds_load_b64 v[84:85], v3 offset:312
	s_wait_loadcnt_dscnt 0x0
	v_fmac_f64_e32 v[80:81], v[82:83], v[84:85]
.LBB101_18:
	s_or_b32 exec_lo, exec_lo, s4
	v_mov_b32_e32 v3, 0
	ds_load_b64 v[82:83], v3 offset:16
	s_wait_dscnt 0x0
	v_mul_f64_e32 v[80:81], v[80:81], v[82:83]
	scratch_store_b64 off, v[80:81], off offset:16
.LBB101_19:
	s_wait_xcnt 0x0
	s_or_b32 exec_lo, exec_lo, s1
	s_wait_storecnt 0x0
	s_barrier_signal -1
	s_barrier_wait -1
	scratch_load_b64 v[80:81], off, off offset:24
	v_add_nc_u32_e32 v3, -1, v0
	s_mov_b32 s0, exec_lo
	s_wait_loadcnt 0x0
	ds_store_b64 v1, v[80:81]
	s_wait_dscnt 0x0
	s_barrier_signal -1
	s_barrier_wait -1
	v_cmpx_gt_u32_e32 3, v0
	s_cbranch_execz .LBB101_23
; %bb.20:
	v_mov_b64_e32 v[80:81], 0
	v_dual_add_nc_u32 v9, -1, v0 :: v_dual_mov_b32 v13, v2
	v_add_nc_u32_e32 v11, 0x130, v2
	s_mov_b32 s1, 0
.LBB101_21:                             ; =>This Inner Loop Header: Depth=1
	scratch_load_b64 v[82:83], v13, off
	ds_load_b64 v[84:85], v11
	v_dual_add_nc_u32 v9, 1, v9 :: v_dual_add_nc_u32 v11, 8, v11
	s_wait_xcnt 0x0
	v_add_nc_u32_e32 v13, 8, v13
	s_delay_alu instid0(VALU_DEP_2)
	v_cmp_lt_u32_e32 vcc_lo, 1, v9
	s_or_b32 s1, vcc_lo, s1
	s_wait_loadcnt_dscnt 0x0
	v_fmac_f64_e32 v[80:81], v[82:83], v[84:85]
	s_and_not1_b32 exec_lo, exec_lo, s1
	s_cbranch_execnz .LBB101_21
; %bb.22:
	s_or_b32 exec_lo, exec_lo, s1
	v_mov_b32_e32 v9, 0
	ds_load_b64 v[82:83], v9 offset:24
	s_wait_dscnt 0x0
	v_mul_f64_e32 v[80:81], v[80:81], v[82:83]
	scratch_store_b64 off, v[80:81], off offset:24
.LBB101_23:
	s_wait_xcnt 0x0
	s_or_b32 exec_lo, exec_lo, s0
	s_wait_storecnt 0x0
	s_barrier_signal -1
	s_barrier_wait -1
	scratch_load_b64 v[80:81], off, off offset:32
	s_mov_b32 s0, exec_lo
	s_wait_loadcnt 0x0
	ds_store_b64 v1, v[80:81]
	s_wait_dscnt 0x0
	s_barrier_signal -1
	s_barrier_wait -1
	v_cmpx_gt_u32_e32 4, v0
	s_cbranch_execz .LBB101_27
; %bb.24:
	v_mov_b64_e32 v[80:81], 0
	v_dual_add_nc_u32 v9, -1, v0 :: v_dual_mov_b32 v13, v2
	v_add_nc_u32_e32 v11, 0x130, v2
	s_mov_b32 s1, 0
.LBB101_25:                             ; =>This Inner Loop Header: Depth=1
	scratch_load_b64 v[82:83], v13, off
	ds_load_b64 v[84:85], v11
	v_dual_add_nc_u32 v9, 1, v9 :: v_dual_add_nc_u32 v11, 8, v11
	s_wait_xcnt 0x0
	v_add_nc_u32_e32 v13, 8, v13
	s_delay_alu instid0(VALU_DEP_2)
	v_cmp_lt_u32_e32 vcc_lo, 2, v9
	s_or_b32 s1, vcc_lo, s1
	s_wait_loadcnt_dscnt 0x0
	v_fmac_f64_e32 v[80:81], v[82:83], v[84:85]
	s_and_not1_b32 exec_lo, exec_lo, s1
	s_cbranch_execnz .LBB101_25
; %bb.26:
	s_or_b32 exec_lo, exec_lo, s1
	v_mov_b32_e32 v9, 0
	ds_load_b64 v[82:83], v9 offset:32
	s_wait_dscnt 0x0
	v_mul_f64_e32 v[80:81], v[80:81], v[82:83]
	scratch_store_b64 off, v[80:81], off offset:32
.LBB101_27:
	s_wait_xcnt 0x0
	s_or_b32 exec_lo, exec_lo, s0
	s_wait_storecnt 0x0
	s_barrier_signal -1
	s_barrier_wait -1
	scratch_load_b64 v[80:81], off, off offset:40
	s_mov_b32 s0, exec_lo
	s_wait_loadcnt 0x0
	ds_store_b64 v1, v[80:81]
	s_wait_dscnt 0x0
	s_barrier_signal -1
	s_barrier_wait -1
	v_cmpx_gt_u32_e32 5, v0
	s_cbranch_execz .LBB101_31
; %bb.28:
	v_mov_b64_e32 v[80:81], 0
	v_dual_add_nc_u32 v9, -1, v0 :: v_dual_mov_b32 v13, v2
	v_add_nc_u32_e32 v11, 0x130, v2
	s_mov_b32 s1, 0
.LBB101_29:                             ; =>This Inner Loop Header: Depth=1
	scratch_load_b64 v[82:83], v13, off
	ds_load_b64 v[84:85], v11
	v_dual_add_nc_u32 v9, 1, v9 :: v_dual_add_nc_u32 v11, 8, v11
	s_wait_xcnt 0x0
	v_add_nc_u32_e32 v13, 8, v13
	s_delay_alu instid0(VALU_DEP_2)
	v_cmp_lt_u32_e32 vcc_lo, 3, v9
	s_or_b32 s1, vcc_lo, s1
	s_wait_loadcnt_dscnt 0x0
	v_fmac_f64_e32 v[80:81], v[82:83], v[84:85]
	s_and_not1_b32 exec_lo, exec_lo, s1
	s_cbranch_execnz .LBB101_29
; %bb.30:
	s_or_b32 exec_lo, exec_lo, s1
	v_mov_b32_e32 v9, 0
	ds_load_b64 v[82:83], v9 offset:40
	s_wait_dscnt 0x0
	v_mul_f64_e32 v[80:81], v[80:81], v[82:83]
	scratch_store_b64 off, v[80:81], off offset:40
.LBB101_31:
	s_wait_xcnt 0x0
	s_or_b32 exec_lo, exec_lo, s0
	s_wait_storecnt 0x0
	s_barrier_signal -1
	s_barrier_wait -1
	scratch_load_b64 v[80:81], off, off offset:48
	s_mov_b32 s0, exec_lo
	s_wait_loadcnt 0x0
	ds_store_b64 v1, v[80:81]
	s_wait_dscnt 0x0
	s_barrier_signal -1
	s_barrier_wait -1
	v_cmpx_gt_u32_e32 6, v0
	s_cbranch_execz .LBB101_35
; %bb.32:
	v_mov_b64_e32 v[80:81], 0
	v_dual_add_nc_u32 v9, -1, v0 :: v_dual_mov_b32 v13, v2
	v_add_nc_u32_e32 v11, 0x130, v2
	s_mov_b32 s1, 0
.LBB101_33:                             ; =>This Inner Loop Header: Depth=1
	scratch_load_b64 v[82:83], v13, off
	ds_load_b64 v[84:85], v11
	v_dual_add_nc_u32 v9, 1, v9 :: v_dual_add_nc_u32 v11, 8, v11
	s_wait_xcnt 0x0
	v_add_nc_u32_e32 v13, 8, v13
	s_delay_alu instid0(VALU_DEP_2)
	v_cmp_lt_u32_e32 vcc_lo, 4, v9
	s_or_b32 s1, vcc_lo, s1
	s_wait_loadcnt_dscnt 0x0
	v_fmac_f64_e32 v[80:81], v[82:83], v[84:85]
	s_and_not1_b32 exec_lo, exec_lo, s1
	s_cbranch_execnz .LBB101_33
; %bb.34:
	s_or_b32 exec_lo, exec_lo, s1
	v_mov_b32_e32 v9, 0
	ds_load_b64 v[82:83], v9 offset:48
	s_wait_dscnt 0x0
	v_mul_f64_e32 v[80:81], v[80:81], v[82:83]
	scratch_store_b64 off, v[80:81], off offset:48
.LBB101_35:
	s_wait_xcnt 0x0
	s_or_b32 exec_lo, exec_lo, s0
	s_wait_storecnt 0x0
	s_barrier_signal -1
	s_barrier_wait -1
	scratch_load_b64 v[80:81], off, off offset:56
	s_mov_b32 s0, exec_lo
	s_wait_loadcnt 0x0
	ds_store_b64 v1, v[80:81]
	s_wait_dscnt 0x0
	s_barrier_signal -1
	s_barrier_wait -1
	v_cmpx_gt_u32_e32 7, v0
	s_cbranch_execz .LBB101_39
; %bb.36:
	v_mov_b64_e32 v[80:81], 0
	v_dual_add_nc_u32 v9, -1, v0 :: v_dual_mov_b32 v13, v2
	v_add_nc_u32_e32 v11, 0x130, v2
	s_mov_b32 s1, 0
.LBB101_37:                             ; =>This Inner Loop Header: Depth=1
	scratch_load_b64 v[82:83], v13, off
	ds_load_b64 v[84:85], v11
	v_dual_add_nc_u32 v9, 1, v9 :: v_dual_add_nc_u32 v11, 8, v11
	s_wait_xcnt 0x0
	v_add_nc_u32_e32 v13, 8, v13
	s_delay_alu instid0(VALU_DEP_2)
	v_cmp_lt_u32_e32 vcc_lo, 5, v9
	s_or_b32 s1, vcc_lo, s1
	s_wait_loadcnt_dscnt 0x0
	v_fmac_f64_e32 v[80:81], v[82:83], v[84:85]
	s_and_not1_b32 exec_lo, exec_lo, s1
	s_cbranch_execnz .LBB101_37
; %bb.38:
	s_or_b32 exec_lo, exec_lo, s1
	v_mov_b32_e32 v9, 0
	ds_load_b64 v[82:83], v9 offset:56
	s_wait_dscnt 0x0
	v_mul_f64_e32 v[80:81], v[80:81], v[82:83]
	scratch_store_b64 off, v[80:81], off offset:56
.LBB101_39:
	s_wait_xcnt 0x0
	s_or_b32 exec_lo, exec_lo, s0
	s_wait_storecnt 0x0
	s_barrier_signal -1
	s_barrier_wait -1
	scratch_load_b64 v[80:81], off, off offset:64
	s_mov_b32 s0, exec_lo
	s_wait_loadcnt 0x0
	ds_store_b64 v1, v[80:81]
	s_wait_dscnt 0x0
	s_barrier_signal -1
	s_barrier_wait -1
	v_cmpx_gt_u32_e32 8, v0
	s_cbranch_execz .LBB101_43
; %bb.40:
	v_mov_b64_e32 v[80:81], 0
	v_dual_add_nc_u32 v9, -1, v0 :: v_dual_mov_b32 v13, v2
	v_add_nc_u32_e32 v11, 0x130, v2
	s_mov_b32 s1, 0
.LBB101_41:                             ; =>This Inner Loop Header: Depth=1
	scratch_load_b64 v[82:83], v13, off
	ds_load_b64 v[84:85], v11
	v_dual_add_nc_u32 v9, 1, v9 :: v_dual_add_nc_u32 v11, 8, v11
	s_wait_xcnt 0x0
	v_add_nc_u32_e32 v13, 8, v13
	s_delay_alu instid0(VALU_DEP_2)
	v_cmp_lt_u32_e32 vcc_lo, 6, v9
	s_or_b32 s1, vcc_lo, s1
	s_wait_loadcnt_dscnt 0x0
	v_fmac_f64_e32 v[80:81], v[82:83], v[84:85]
	s_and_not1_b32 exec_lo, exec_lo, s1
	s_cbranch_execnz .LBB101_41
; %bb.42:
	s_or_b32 exec_lo, exec_lo, s1
	v_mov_b32_e32 v9, 0
	ds_load_b64 v[82:83], v9 offset:64
	s_wait_dscnt 0x0
	v_mul_f64_e32 v[80:81], v[80:81], v[82:83]
	scratch_store_b64 off, v[80:81], off offset:64
.LBB101_43:
	s_wait_xcnt 0x0
	s_or_b32 exec_lo, exec_lo, s0
	s_wait_storecnt 0x0
	s_barrier_signal -1
	s_barrier_wait -1
	scratch_load_b64 v[80:81], off, off offset:72
	s_mov_b32 s0, exec_lo
	s_wait_loadcnt 0x0
	ds_store_b64 v1, v[80:81]
	s_wait_dscnt 0x0
	s_barrier_signal -1
	s_barrier_wait -1
	v_cmpx_gt_u32_e32 9, v0
	s_cbranch_execz .LBB101_47
; %bb.44:
	v_mov_b64_e32 v[80:81], 0
	v_dual_add_nc_u32 v9, -1, v0 :: v_dual_mov_b32 v13, v2
	v_add_nc_u32_e32 v11, 0x130, v2
	s_mov_b32 s1, 0
.LBB101_45:                             ; =>This Inner Loop Header: Depth=1
	scratch_load_b64 v[82:83], v13, off
	ds_load_b64 v[84:85], v11
	v_dual_add_nc_u32 v9, 1, v9 :: v_dual_add_nc_u32 v11, 8, v11
	s_wait_xcnt 0x0
	v_add_nc_u32_e32 v13, 8, v13
	s_delay_alu instid0(VALU_DEP_2)
	v_cmp_lt_u32_e32 vcc_lo, 7, v9
	s_or_b32 s1, vcc_lo, s1
	s_wait_loadcnt_dscnt 0x0
	v_fmac_f64_e32 v[80:81], v[82:83], v[84:85]
	s_and_not1_b32 exec_lo, exec_lo, s1
	s_cbranch_execnz .LBB101_45
; %bb.46:
	s_or_b32 exec_lo, exec_lo, s1
	v_mov_b32_e32 v9, 0
	ds_load_b64 v[82:83], v9 offset:72
	s_wait_dscnt 0x0
	v_mul_f64_e32 v[80:81], v[80:81], v[82:83]
	scratch_store_b64 off, v[80:81], off offset:72
.LBB101_47:
	s_wait_xcnt 0x0
	s_or_b32 exec_lo, exec_lo, s0
	s_wait_storecnt 0x0
	s_barrier_signal -1
	s_barrier_wait -1
	scratch_load_b64 v[80:81], off, off offset:80
	s_mov_b32 s0, exec_lo
	s_wait_loadcnt 0x0
	ds_store_b64 v1, v[80:81]
	s_wait_dscnt 0x0
	s_barrier_signal -1
	s_barrier_wait -1
	v_cmpx_gt_u32_e32 10, v0
	s_cbranch_execz .LBB101_51
; %bb.48:
	v_mov_b64_e32 v[80:81], 0
	v_dual_add_nc_u32 v9, -1, v0 :: v_dual_mov_b32 v13, v2
	v_add_nc_u32_e32 v11, 0x130, v2
	s_mov_b32 s1, 0
.LBB101_49:                             ; =>This Inner Loop Header: Depth=1
	scratch_load_b64 v[82:83], v13, off
	ds_load_b64 v[84:85], v11
	v_dual_add_nc_u32 v9, 1, v9 :: v_dual_add_nc_u32 v11, 8, v11
	s_wait_xcnt 0x0
	v_add_nc_u32_e32 v13, 8, v13
	s_delay_alu instid0(VALU_DEP_2)
	v_cmp_lt_u32_e32 vcc_lo, 8, v9
	s_or_b32 s1, vcc_lo, s1
	s_wait_loadcnt_dscnt 0x0
	v_fmac_f64_e32 v[80:81], v[82:83], v[84:85]
	s_and_not1_b32 exec_lo, exec_lo, s1
	s_cbranch_execnz .LBB101_49
; %bb.50:
	s_or_b32 exec_lo, exec_lo, s1
	v_mov_b32_e32 v9, 0
	ds_load_b64 v[82:83], v9 offset:80
	s_wait_dscnt 0x0
	v_mul_f64_e32 v[80:81], v[80:81], v[82:83]
	scratch_store_b64 off, v[80:81], off offset:80
.LBB101_51:
	s_wait_xcnt 0x0
	s_or_b32 exec_lo, exec_lo, s0
	s_wait_storecnt 0x0
	s_barrier_signal -1
	s_barrier_wait -1
	scratch_load_b64 v[80:81], off, off offset:88
	s_mov_b32 s0, exec_lo
	s_wait_loadcnt 0x0
	ds_store_b64 v1, v[80:81]
	s_wait_dscnt 0x0
	s_barrier_signal -1
	s_barrier_wait -1
	v_cmpx_gt_u32_e32 11, v0
	s_cbranch_execz .LBB101_55
; %bb.52:
	v_mov_b64_e32 v[80:81], 0
	v_dual_add_nc_u32 v9, -1, v0 :: v_dual_mov_b32 v13, v2
	v_add_nc_u32_e32 v11, 0x130, v2
	s_mov_b32 s1, 0
.LBB101_53:                             ; =>This Inner Loop Header: Depth=1
	scratch_load_b64 v[82:83], v13, off
	ds_load_b64 v[84:85], v11
	v_dual_add_nc_u32 v9, 1, v9 :: v_dual_add_nc_u32 v11, 8, v11
	s_wait_xcnt 0x0
	v_add_nc_u32_e32 v13, 8, v13
	s_delay_alu instid0(VALU_DEP_2)
	v_cmp_lt_u32_e32 vcc_lo, 9, v9
	s_or_b32 s1, vcc_lo, s1
	s_wait_loadcnt_dscnt 0x0
	v_fmac_f64_e32 v[80:81], v[82:83], v[84:85]
	s_and_not1_b32 exec_lo, exec_lo, s1
	s_cbranch_execnz .LBB101_53
; %bb.54:
	s_or_b32 exec_lo, exec_lo, s1
	v_mov_b32_e32 v9, 0
	ds_load_b64 v[82:83], v9 offset:88
	s_wait_dscnt 0x0
	v_mul_f64_e32 v[80:81], v[80:81], v[82:83]
	scratch_store_b64 off, v[80:81], off offset:88
.LBB101_55:
	s_wait_xcnt 0x0
	s_or_b32 exec_lo, exec_lo, s0
	s_wait_storecnt 0x0
	s_barrier_signal -1
	s_barrier_wait -1
	scratch_load_b64 v[80:81], off, off offset:96
	s_mov_b32 s0, exec_lo
	s_wait_loadcnt 0x0
	ds_store_b64 v1, v[80:81]
	s_wait_dscnt 0x0
	s_barrier_signal -1
	s_barrier_wait -1
	v_cmpx_gt_u32_e32 12, v0
	s_cbranch_execz .LBB101_59
; %bb.56:
	v_mov_b64_e32 v[80:81], 0
	v_dual_add_nc_u32 v9, -1, v0 :: v_dual_mov_b32 v13, v2
	v_add_nc_u32_e32 v11, 0x130, v2
	s_mov_b32 s1, 0
.LBB101_57:                             ; =>This Inner Loop Header: Depth=1
	scratch_load_b64 v[82:83], v13, off
	ds_load_b64 v[84:85], v11
	v_dual_add_nc_u32 v9, 1, v9 :: v_dual_add_nc_u32 v11, 8, v11
	s_wait_xcnt 0x0
	v_add_nc_u32_e32 v13, 8, v13
	s_delay_alu instid0(VALU_DEP_2)
	v_cmp_lt_u32_e32 vcc_lo, 10, v9
	s_or_b32 s1, vcc_lo, s1
	s_wait_loadcnt_dscnt 0x0
	v_fmac_f64_e32 v[80:81], v[82:83], v[84:85]
	s_and_not1_b32 exec_lo, exec_lo, s1
	s_cbranch_execnz .LBB101_57
; %bb.58:
	s_or_b32 exec_lo, exec_lo, s1
	v_mov_b32_e32 v9, 0
	ds_load_b64 v[82:83], v9 offset:96
	s_wait_dscnt 0x0
	v_mul_f64_e32 v[80:81], v[80:81], v[82:83]
	scratch_store_b64 off, v[80:81], off offset:96
.LBB101_59:
	s_wait_xcnt 0x0
	s_or_b32 exec_lo, exec_lo, s0
	s_wait_storecnt 0x0
	s_barrier_signal -1
	s_barrier_wait -1
	scratch_load_b64 v[80:81], off, off offset:104
	s_mov_b32 s0, exec_lo
	s_wait_loadcnt 0x0
	ds_store_b64 v1, v[80:81]
	s_wait_dscnt 0x0
	s_barrier_signal -1
	s_barrier_wait -1
	v_cmpx_gt_u32_e32 13, v0
	s_cbranch_execz .LBB101_63
; %bb.60:
	v_mov_b64_e32 v[80:81], 0
	v_dual_add_nc_u32 v9, -1, v0 :: v_dual_mov_b32 v13, v2
	v_add_nc_u32_e32 v11, 0x130, v2
	s_mov_b32 s1, 0
.LBB101_61:                             ; =>This Inner Loop Header: Depth=1
	scratch_load_b64 v[82:83], v13, off
	ds_load_b64 v[84:85], v11
	v_dual_add_nc_u32 v9, 1, v9 :: v_dual_add_nc_u32 v11, 8, v11
	s_wait_xcnt 0x0
	v_add_nc_u32_e32 v13, 8, v13
	s_delay_alu instid0(VALU_DEP_2)
	v_cmp_lt_u32_e32 vcc_lo, 11, v9
	s_or_b32 s1, vcc_lo, s1
	s_wait_loadcnt_dscnt 0x0
	v_fmac_f64_e32 v[80:81], v[82:83], v[84:85]
	s_and_not1_b32 exec_lo, exec_lo, s1
	s_cbranch_execnz .LBB101_61
; %bb.62:
	s_or_b32 exec_lo, exec_lo, s1
	v_mov_b32_e32 v9, 0
	ds_load_b64 v[82:83], v9 offset:104
	s_wait_dscnt 0x0
	v_mul_f64_e32 v[80:81], v[80:81], v[82:83]
	scratch_store_b64 off, v[80:81], off offset:104
.LBB101_63:
	s_wait_xcnt 0x0
	s_or_b32 exec_lo, exec_lo, s0
	s_wait_storecnt 0x0
	s_barrier_signal -1
	s_barrier_wait -1
	scratch_load_b64 v[80:81], off, off offset:112
	s_mov_b32 s0, exec_lo
	s_wait_loadcnt 0x0
	ds_store_b64 v1, v[80:81]
	s_wait_dscnt 0x0
	s_barrier_signal -1
	s_barrier_wait -1
	v_cmpx_gt_u32_e32 14, v0
	s_cbranch_execz .LBB101_67
; %bb.64:
	v_mov_b64_e32 v[80:81], 0
	v_dual_add_nc_u32 v9, -1, v0 :: v_dual_mov_b32 v13, v2
	v_add_nc_u32_e32 v11, 0x130, v2
	s_mov_b32 s1, 0
.LBB101_65:                             ; =>This Inner Loop Header: Depth=1
	scratch_load_b64 v[82:83], v13, off
	ds_load_b64 v[84:85], v11
	v_dual_add_nc_u32 v9, 1, v9 :: v_dual_add_nc_u32 v11, 8, v11
	s_wait_xcnt 0x0
	v_add_nc_u32_e32 v13, 8, v13
	s_delay_alu instid0(VALU_DEP_2)
	v_cmp_lt_u32_e32 vcc_lo, 12, v9
	s_or_b32 s1, vcc_lo, s1
	s_wait_loadcnt_dscnt 0x0
	v_fmac_f64_e32 v[80:81], v[82:83], v[84:85]
	s_and_not1_b32 exec_lo, exec_lo, s1
	s_cbranch_execnz .LBB101_65
; %bb.66:
	s_or_b32 exec_lo, exec_lo, s1
	v_mov_b32_e32 v9, 0
	ds_load_b64 v[82:83], v9 offset:112
	s_wait_dscnt 0x0
	v_mul_f64_e32 v[80:81], v[80:81], v[82:83]
	scratch_store_b64 off, v[80:81], off offset:112
.LBB101_67:
	s_wait_xcnt 0x0
	s_or_b32 exec_lo, exec_lo, s0
	s_wait_storecnt 0x0
	s_barrier_signal -1
	s_barrier_wait -1
	scratch_load_b64 v[80:81], off, off offset:120
	s_mov_b32 s0, exec_lo
	s_wait_loadcnt 0x0
	ds_store_b64 v1, v[80:81]
	s_wait_dscnt 0x0
	s_barrier_signal -1
	s_barrier_wait -1
	v_cmpx_gt_u32_e32 15, v0
	s_cbranch_execz .LBB101_71
; %bb.68:
	v_mov_b64_e32 v[80:81], 0
	v_dual_add_nc_u32 v9, -1, v0 :: v_dual_mov_b32 v13, v2
	v_add_nc_u32_e32 v11, 0x130, v2
	s_mov_b32 s1, 0
.LBB101_69:                             ; =>This Inner Loop Header: Depth=1
	scratch_load_b64 v[82:83], v13, off
	ds_load_b64 v[84:85], v11
	v_dual_add_nc_u32 v9, 1, v9 :: v_dual_add_nc_u32 v11, 8, v11
	s_wait_xcnt 0x0
	v_add_nc_u32_e32 v13, 8, v13
	s_delay_alu instid0(VALU_DEP_2)
	v_cmp_lt_u32_e32 vcc_lo, 13, v9
	s_or_b32 s1, vcc_lo, s1
	s_wait_loadcnt_dscnt 0x0
	v_fmac_f64_e32 v[80:81], v[82:83], v[84:85]
	s_and_not1_b32 exec_lo, exec_lo, s1
	s_cbranch_execnz .LBB101_69
; %bb.70:
	s_or_b32 exec_lo, exec_lo, s1
	v_mov_b32_e32 v9, 0
	ds_load_b64 v[82:83], v9 offset:120
	s_wait_dscnt 0x0
	v_mul_f64_e32 v[80:81], v[80:81], v[82:83]
	scratch_store_b64 off, v[80:81], off offset:120
.LBB101_71:
	s_wait_xcnt 0x0
	s_or_b32 exec_lo, exec_lo, s0
	s_wait_storecnt 0x0
	s_barrier_signal -1
	s_barrier_wait -1
	scratch_load_b64 v[80:81], off, off offset:128
	s_mov_b32 s0, exec_lo
	s_wait_loadcnt 0x0
	ds_store_b64 v1, v[80:81]
	s_wait_dscnt 0x0
	s_barrier_signal -1
	s_barrier_wait -1
	v_cmpx_gt_u32_e32 16, v0
	s_cbranch_execz .LBB101_75
; %bb.72:
	v_mov_b64_e32 v[80:81], 0
	v_dual_add_nc_u32 v9, -1, v0 :: v_dual_mov_b32 v13, v2
	v_add_nc_u32_e32 v11, 0x130, v2
	s_mov_b32 s1, 0
.LBB101_73:                             ; =>This Inner Loop Header: Depth=1
	scratch_load_b64 v[82:83], v13, off
	ds_load_b64 v[84:85], v11
	v_dual_add_nc_u32 v9, 1, v9 :: v_dual_add_nc_u32 v11, 8, v11
	s_wait_xcnt 0x0
	v_add_nc_u32_e32 v13, 8, v13
	s_delay_alu instid0(VALU_DEP_2)
	v_cmp_lt_u32_e32 vcc_lo, 14, v9
	s_or_b32 s1, vcc_lo, s1
	s_wait_loadcnt_dscnt 0x0
	v_fmac_f64_e32 v[80:81], v[82:83], v[84:85]
	s_and_not1_b32 exec_lo, exec_lo, s1
	s_cbranch_execnz .LBB101_73
; %bb.74:
	s_or_b32 exec_lo, exec_lo, s1
	v_mov_b32_e32 v9, 0
	ds_load_b64 v[82:83], v9 offset:128
	s_wait_dscnt 0x0
	v_mul_f64_e32 v[80:81], v[80:81], v[82:83]
	scratch_store_b64 off, v[80:81], off offset:128
.LBB101_75:
	s_wait_xcnt 0x0
	s_or_b32 exec_lo, exec_lo, s0
	s_wait_storecnt 0x0
	s_barrier_signal -1
	s_barrier_wait -1
	scratch_load_b64 v[80:81], off, off offset:136
	s_mov_b32 s0, exec_lo
	s_wait_loadcnt 0x0
	ds_store_b64 v1, v[80:81]
	s_wait_dscnt 0x0
	s_barrier_signal -1
	s_barrier_wait -1
	v_cmpx_gt_u32_e32 17, v0
	s_cbranch_execz .LBB101_79
; %bb.76:
	v_mov_b64_e32 v[80:81], 0
	v_dual_add_nc_u32 v9, -1, v0 :: v_dual_mov_b32 v13, v2
	v_add_nc_u32_e32 v11, 0x130, v2
	s_mov_b32 s1, 0
.LBB101_77:                             ; =>This Inner Loop Header: Depth=1
	scratch_load_b64 v[82:83], v13, off
	ds_load_b64 v[84:85], v11
	v_dual_add_nc_u32 v9, 1, v9 :: v_dual_add_nc_u32 v11, 8, v11
	s_wait_xcnt 0x0
	v_add_nc_u32_e32 v13, 8, v13
	s_delay_alu instid0(VALU_DEP_2)
	v_cmp_lt_u32_e32 vcc_lo, 15, v9
	s_or_b32 s1, vcc_lo, s1
	s_wait_loadcnt_dscnt 0x0
	v_fmac_f64_e32 v[80:81], v[82:83], v[84:85]
	s_and_not1_b32 exec_lo, exec_lo, s1
	s_cbranch_execnz .LBB101_77
; %bb.78:
	s_or_b32 exec_lo, exec_lo, s1
	v_mov_b32_e32 v9, 0
	ds_load_b64 v[82:83], v9 offset:136
	s_wait_dscnt 0x0
	v_mul_f64_e32 v[80:81], v[80:81], v[82:83]
	scratch_store_b64 off, v[80:81], off offset:136
.LBB101_79:
	s_wait_xcnt 0x0
	s_or_b32 exec_lo, exec_lo, s0
	s_wait_storecnt 0x0
	s_barrier_signal -1
	s_barrier_wait -1
	scratch_load_b64 v[80:81], off, off offset:144
	s_mov_b32 s0, exec_lo
	s_wait_loadcnt 0x0
	ds_store_b64 v1, v[80:81]
	s_wait_dscnt 0x0
	s_barrier_signal -1
	s_barrier_wait -1
	v_cmpx_gt_u32_e32 18, v0
	s_cbranch_execz .LBB101_83
; %bb.80:
	v_mov_b64_e32 v[80:81], 0
	v_dual_add_nc_u32 v9, -1, v0 :: v_dual_mov_b32 v13, v2
	v_add_nc_u32_e32 v11, 0x130, v2
	s_mov_b32 s1, 0
.LBB101_81:                             ; =>This Inner Loop Header: Depth=1
	scratch_load_b64 v[82:83], v13, off
	ds_load_b64 v[84:85], v11
	v_dual_add_nc_u32 v9, 1, v9 :: v_dual_add_nc_u32 v11, 8, v11
	s_wait_xcnt 0x0
	v_add_nc_u32_e32 v13, 8, v13
	s_delay_alu instid0(VALU_DEP_2)
	v_cmp_lt_u32_e32 vcc_lo, 16, v9
	s_or_b32 s1, vcc_lo, s1
	s_wait_loadcnt_dscnt 0x0
	v_fmac_f64_e32 v[80:81], v[82:83], v[84:85]
	s_and_not1_b32 exec_lo, exec_lo, s1
	s_cbranch_execnz .LBB101_81
; %bb.82:
	s_or_b32 exec_lo, exec_lo, s1
	v_mov_b32_e32 v9, 0
	ds_load_b64 v[82:83], v9 offset:144
	s_wait_dscnt 0x0
	v_mul_f64_e32 v[80:81], v[80:81], v[82:83]
	scratch_store_b64 off, v[80:81], off offset:144
.LBB101_83:
	s_wait_xcnt 0x0
	s_or_b32 exec_lo, exec_lo, s0
	s_wait_storecnt 0x0
	s_barrier_signal -1
	s_barrier_wait -1
	scratch_load_b64 v[80:81], off, off offset:152
	s_mov_b32 s0, exec_lo
	s_wait_loadcnt 0x0
	ds_store_b64 v1, v[80:81]
	s_wait_dscnt 0x0
	s_barrier_signal -1
	s_barrier_wait -1
	v_cmpx_gt_u32_e32 19, v0
	s_cbranch_execz .LBB101_87
; %bb.84:
	v_mov_b64_e32 v[80:81], 0
	v_dual_add_nc_u32 v9, -1, v0 :: v_dual_mov_b32 v13, v2
	v_add_nc_u32_e32 v11, 0x130, v2
	s_mov_b32 s1, 0
.LBB101_85:                             ; =>This Inner Loop Header: Depth=1
	scratch_load_b64 v[82:83], v13, off
	ds_load_b64 v[84:85], v11
	v_dual_add_nc_u32 v9, 1, v9 :: v_dual_add_nc_u32 v11, 8, v11
	s_wait_xcnt 0x0
	v_add_nc_u32_e32 v13, 8, v13
	s_delay_alu instid0(VALU_DEP_2)
	v_cmp_lt_u32_e32 vcc_lo, 17, v9
	s_or_b32 s1, vcc_lo, s1
	s_wait_loadcnt_dscnt 0x0
	v_fmac_f64_e32 v[80:81], v[82:83], v[84:85]
	s_and_not1_b32 exec_lo, exec_lo, s1
	s_cbranch_execnz .LBB101_85
; %bb.86:
	s_or_b32 exec_lo, exec_lo, s1
	v_mov_b32_e32 v9, 0
	ds_load_b64 v[82:83], v9 offset:152
	s_wait_dscnt 0x0
	v_mul_f64_e32 v[80:81], v[80:81], v[82:83]
	scratch_store_b64 off, v[80:81], off offset:152
.LBB101_87:
	s_wait_xcnt 0x0
	s_or_b32 exec_lo, exec_lo, s0
	s_wait_storecnt 0x0
	s_barrier_signal -1
	s_barrier_wait -1
	scratch_load_b64 v[80:81], off, off offset:160
	s_mov_b32 s0, exec_lo
	s_wait_loadcnt 0x0
	ds_store_b64 v1, v[80:81]
	s_wait_dscnt 0x0
	s_barrier_signal -1
	s_barrier_wait -1
	v_cmpx_gt_u32_e32 20, v0
	s_cbranch_execz .LBB101_91
; %bb.88:
	v_mov_b64_e32 v[80:81], 0
	v_dual_add_nc_u32 v9, -1, v0 :: v_dual_mov_b32 v13, v2
	v_add_nc_u32_e32 v11, 0x130, v2
	s_mov_b32 s1, 0
.LBB101_89:                             ; =>This Inner Loop Header: Depth=1
	scratch_load_b64 v[82:83], v13, off
	ds_load_b64 v[84:85], v11
	v_dual_add_nc_u32 v9, 1, v9 :: v_dual_add_nc_u32 v11, 8, v11
	s_wait_xcnt 0x0
	v_add_nc_u32_e32 v13, 8, v13
	s_delay_alu instid0(VALU_DEP_2)
	v_cmp_lt_u32_e32 vcc_lo, 18, v9
	s_or_b32 s1, vcc_lo, s1
	s_wait_loadcnt_dscnt 0x0
	v_fmac_f64_e32 v[80:81], v[82:83], v[84:85]
	s_and_not1_b32 exec_lo, exec_lo, s1
	s_cbranch_execnz .LBB101_89
; %bb.90:
	s_or_b32 exec_lo, exec_lo, s1
	v_mov_b32_e32 v9, 0
	ds_load_b64 v[82:83], v9 offset:160
	s_wait_dscnt 0x0
	v_mul_f64_e32 v[80:81], v[80:81], v[82:83]
	scratch_store_b64 off, v[80:81], off offset:160
.LBB101_91:
	s_wait_xcnt 0x0
	s_or_b32 exec_lo, exec_lo, s0
	s_wait_storecnt 0x0
	s_barrier_signal -1
	s_barrier_wait -1
	scratch_load_b64 v[80:81], off, off offset:168
	s_mov_b32 s0, exec_lo
	s_wait_loadcnt 0x0
	ds_store_b64 v1, v[80:81]
	s_wait_dscnt 0x0
	s_barrier_signal -1
	s_barrier_wait -1
	v_cmpx_gt_u32_e32 21, v0
	s_cbranch_execz .LBB101_95
; %bb.92:
	v_mov_b64_e32 v[80:81], 0
	v_dual_add_nc_u32 v9, -1, v0 :: v_dual_mov_b32 v13, v2
	v_add_nc_u32_e32 v11, 0x130, v2
	s_mov_b32 s1, 0
.LBB101_93:                             ; =>This Inner Loop Header: Depth=1
	scratch_load_b64 v[82:83], v13, off
	ds_load_b64 v[84:85], v11
	v_dual_add_nc_u32 v9, 1, v9 :: v_dual_add_nc_u32 v11, 8, v11
	s_wait_xcnt 0x0
	v_add_nc_u32_e32 v13, 8, v13
	s_delay_alu instid0(VALU_DEP_2)
	v_cmp_lt_u32_e32 vcc_lo, 19, v9
	s_or_b32 s1, vcc_lo, s1
	s_wait_loadcnt_dscnt 0x0
	v_fmac_f64_e32 v[80:81], v[82:83], v[84:85]
	s_and_not1_b32 exec_lo, exec_lo, s1
	s_cbranch_execnz .LBB101_93
; %bb.94:
	s_or_b32 exec_lo, exec_lo, s1
	v_mov_b32_e32 v9, 0
	ds_load_b64 v[82:83], v9 offset:168
	s_wait_dscnt 0x0
	v_mul_f64_e32 v[80:81], v[80:81], v[82:83]
	scratch_store_b64 off, v[80:81], off offset:168
.LBB101_95:
	s_wait_xcnt 0x0
	s_or_b32 exec_lo, exec_lo, s0
	s_wait_storecnt 0x0
	s_barrier_signal -1
	s_barrier_wait -1
	scratch_load_b64 v[80:81], off, off offset:176
	s_mov_b32 s0, exec_lo
	s_wait_loadcnt 0x0
	ds_store_b64 v1, v[80:81]
	s_wait_dscnt 0x0
	s_barrier_signal -1
	s_barrier_wait -1
	v_cmpx_gt_u32_e32 22, v0
	s_cbranch_execz .LBB101_99
; %bb.96:
	v_mov_b64_e32 v[80:81], 0
	v_dual_add_nc_u32 v9, -1, v0 :: v_dual_mov_b32 v13, v2
	v_add_nc_u32_e32 v11, 0x130, v2
	s_mov_b32 s1, 0
.LBB101_97:                             ; =>This Inner Loop Header: Depth=1
	scratch_load_b64 v[82:83], v13, off
	ds_load_b64 v[84:85], v11
	v_dual_add_nc_u32 v9, 1, v9 :: v_dual_add_nc_u32 v11, 8, v11
	s_wait_xcnt 0x0
	v_add_nc_u32_e32 v13, 8, v13
	s_delay_alu instid0(VALU_DEP_2)
	v_cmp_lt_u32_e32 vcc_lo, 20, v9
	s_or_b32 s1, vcc_lo, s1
	s_wait_loadcnt_dscnt 0x0
	v_fmac_f64_e32 v[80:81], v[82:83], v[84:85]
	s_and_not1_b32 exec_lo, exec_lo, s1
	s_cbranch_execnz .LBB101_97
; %bb.98:
	s_or_b32 exec_lo, exec_lo, s1
	v_mov_b32_e32 v9, 0
	ds_load_b64 v[82:83], v9 offset:176
	s_wait_dscnt 0x0
	v_mul_f64_e32 v[80:81], v[80:81], v[82:83]
	scratch_store_b64 off, v[80:81], off offset:176
.LBB101_99:
	s_wait_xcnt 0x0
	s_or_b32 exec_lo, exec_lo, s0
	s_wait_storecnt 0x0
	s_barrier_signal -1
	s_barrier_wait -1
	scratch_load_b64 v[80:81], off, off offset:184
	s_mov_b32 s0, exec_lo
	s_wait_loadcnt 0x0
	ds_store_b64 v1, v[80:81]
	s_wait_dscnt 0x0
	s_barrier_signal -1
	s_barrier_wait -1
	v_cmpx_gt_u32_e32 23, v0
	s_cbranch_execz .LBB101_103
; %bb.100:
	v_mov_b64_e32 v[80:81], 0
	v_dual_add_nc_u32 v9, -1, v0 :: v_dual_mov_b32 v13, v2
	v_add_nc_u32_e32 v11, 0x130, v2
	s_mov_b32 s1, 0
.LBB101_101:                            ; =>This Inner Loop Header: Depth=1
	scratch_load_b64 v[82:83], v13, off
	ds_load_b64 v[84:85], v11
	v_dual_add_nc_u32 v9, 1, v9 :: v_dual_add_nc_u32 v11, 8, v11
	s_wait_xcnt 0x0
	v_add_nc_u32_e32 v13, 8, v13
	s_delay_alu instid0(VALU_DEP_2)
	v_cmp_lt_u32_e32 vcc_lo, 21, v9
	s_or_b32 s1, vcc_lo, s1
	s_wait_loadcnt_dscnt 0x0
	v_fmac_f64_e32 v[80:81], v[82:83], v[84:85]
	s_and_not1_b32 exec_lo, exec_lo, s1
	s_cbranch_execnz .LBB101_101
; %bb.102:
	s_or_b32 exec_lo, exec_lo, s1
	v_mov_b32_e32 v9, 0
	ds_load_b64 v[82:83], v9 offset:184
	s_wait_dscnt 0x0
	v_mul_f64_e32 v[80:81], v[80:81], v[82:83]
	scratch_store_b64 off, v[80:81], off offset:184
.LBB101_103:
	s_wait_xcnt 0x0
	s_or_b32 exec_lo, exec_lo, s0
	s_wait_storecnt 0x0
	s_barrier_signal -1
	s_barrier_wait -1
	scratch_load_b64 v[80:81], off, off offset:192
	s_mov_b32 s0, exec_lo
	s_wait_loadcnt 0x0
	ds_store_b64 v1, v[80:81]
	s_wait_dscnt 0x0
	s_barrier_signal -1
	s_barrier_wait -1
	v_cmpx_gt_u32_e32 24, v0
	s_cbranch_execz .LBB101_107
; %bb.104:
	v_mov_b64_e32 v[80:81], 0
	v_dual_add_nc_u32 v9, -1, v0 :: v_dual_mov_b32 v13, v2
	v_add_nc_u32_e32 v11, 0x130, v2
	s_mov_b32 s1, 0
.LBB101_105:                            ; =>This Inner Loop Header: Depth=1
	scratch_load_b64 v[82:83], v13, off
	ds_load_b64 v[84:85], v11
	v_dual_add_nc_u32 v9, 1, v9 :: v_dual_add_nc_u32 v11, 8, v11
	s_wait_xcnt 0x0
	v_add_nc_u32_e32 v13, 8, v13
	s_delay_alu instid0(VALU_DEP_2)
	v_cmp_lt_u32_e32 vcc_lo, 22, v9
	s_or_b32 s1, vcc_lo, s1
	s_wait_loadcnt_dscnt 0x0
	v_fmac_f64_e32 v[80:81], v[82:83], v[84:85]
	s_and_not1_b32 exec_lo, exec_lo, s1
	s_cbranch_execnz .LBB101_105
; %bb.106:
	s_or_b32 exec_lo, exec_lo, s1
	v_mov_b32_e32 v9, 0
	ds_load_b64 v[82:83], v9 offset:192
	s_wait_dscnt 0x0
	v_mul_f64_e32 v[80:81], v[80:81], v[82:83]
	scratch_store_b64 off, v[80:81], off offset:192
.LBB101_107:
	s_wait_xcnt 0x0
	s_or_b32 exec_lo, exec_lo, s0
	s_wait_storecnt 0x0
	s_barrier_signal -1
	s_barrier_wait -1
	scratch_load_b64 v[80:81], off, off offset:200
	;; [unrolled: 40-line block ×14, first 2 shown]
	s_mov_b32 s0, exec_lo
	s_wait_loadcnt 0x0
	ds_store_b64 v1, v[80:81]
	s_wait_dscnt 0x0
	s_barrier_signal -1
	s_barrier_wait -1
	v_cmpx_ne_u32_e32 37, v0
	s_cbranch_execz .LBB101_159
; %bb.156:
	v_mov_b64_e32 v[80:81], 0
	s_mov_b32 s1, 0
.LBB101_157:                            ; =>This Inner Loop Header: Depth=1
	scratch_load_b64 v[82:83], v2, off
	ds_load_b64 v[84:85], v1
	v_dual_add_nc_u32 v3, 1, v3 :: v_dual_add_nc_u32 v1, 8, v1
	s_wait_xcnt 0x0
	v_add_nc_u32_e32 v2, 8, v2
	s_delay_alu instid0(VALU_DEP_2)
	v_cmp_lt_u32_e32 vcc_lo, 35, v3
	s_or_b32 s1, vcc_lo, s1
	s_wait_loadcnt_dscnt 0x0
	v_fmac_f64_e32 v[80:81], v[82:83], v[84:85]
	s_and_not1_b32 exec_lo, exec_lo, s1
	s_cbranch_execnz .LBB101_157
; %bb.158:
	s_or_b32 exec_lo, exec_lo, s1
	v_mov_b32_e32 v1, 0
	ds_load_b64 v[2:3], v1 offset:296
	s_wait_dscnt 0x0
	v_mul_f64_e32 v[2:3], v[80:81], v[2:3]
	scratch_store_b64 off, v[2:3], off offset:296
.LBB101_159:
	s_wait_xcnt 0x0
	s_or_b32 exec_lo, exec_lo, s0
	s_mov_b32 s1, -1
	s_wait_storecnt 0x0
	s_barrier_signal -1
	s_barrier_wait -1
.LBB101_160:
	s_and_b32 vcc_lo, exec_lo, s1
	s_cbranch_vccz .LBB101_162
; %bb.161:
	v_mov_b32_e32 v1, 0
	s_lshl_b64 s[0:1], s[10:11], 2
	s_delay_alu instid0(SALU_CYCLE_1)
	s_add_nc_u64 s[0:1], s[6:7], s[0:1]
	global_load_b32 v1, v1, s[0:1]
	s_wait_loadcnt 0x0
	v_cmp_ne_u32_e32 vcc_lo, 0, v1
	s_cbranch_vccz .LBB101_163
.LBB101_162:
	s_sendmsg sendmsg(MSG_DEALLOC_VGPRS)
	s_endpgm
.LBB101_163:
	s_wait_xcnt 0x0
	v_lshl_add_u32 v1, v0, 3, 0x130
	s_mov_b32 s0, exec_lo
	v_cmpx_eq_u32_e32 37, v0
	s_cbranch_execz .LBB101_165
; %bb.164:
	scratch_load_b64 v[2:3], off, off offset:288
	v_mov_b64_e32 v[80:81], 0
	scratch_store_b64 off, v[80:81], off offset:288
	s_wait_loadcnt 0x0
	ds_store_b64 v1, v[2:3]
.LBB101_165:
	s_wait_xcnt 0x0
	s_or_b32 exec_lo, exec_lo, s0
	s_wait_storecnt_dscnt 0x0
	s_barrier_signal -1
	s_barrier_wait -1
	scratch_load_b128 v[80:83], off, off offset:288
	v_mov_b32_e32 v2, 0
	s_mov_b32 s0, exec_lo
	ds_load_b64 v[84:85], v2 offset:600
	s_wait_loadcnt_dscnt 0x0
	v_fma_f64 v[82:83], v[82:83], v[84:85], 0
	s_delay_alu instid0(VALU_DEP_1)
	v_add_f64_e64 v[80:81], v[80:81], -v[82:83]
	scratch_store_b64 off, v[80:81], off offset:288
	s_wait_xcnt 0x0
	v_cmpx_lt_u32_e32 35, v0
	s_cbranch_execz .LBB101_167
; %bb.166:
	scratch_load_b64 v[80:81], off, off offset:280
	v_mov_b64_e32 v[82:83], 0
	scratch_store_b64 off, v[82:83], off offset:280
	s_wait_loadcnt 0x0
	ds_store_b64 v1, v[80:81]
.LBB101_167:
	s_wait_xcnt 0x0
	s_or_b32 exec_lo, exec_lo, s0
	s_wait_storecnt_dscnt 0x0
	s_barrier_signal -1
	s_barrier_wait -1
	s_clause 0x1
	scratch_load_b128 v[80:83], off, off offset:280
	scratch_load_b64 v[88:89], off, off offset:296
	ds_load_b128 v[84:87], v2 offset:592
	s_mov_b32 s0, exec_lo
	s_wait_loadcnt_dscnt 0x100
	v_fma_f64 v[2:3], v[82:83], v[84:85], 0
	s_wait_loadcnt 0x0
	s_delay_alu instid0(VALU_DEP_1) | instskip(NEXT) | instid1(VALU_DEP_1)
	v_fmac_f64_e32 v[2:3], v[88:89], v[86:87]
	v_add_f64_e64 v[2:3], v[80:81], -v[2:3]
	scratch_store_b64 off, v[2:3], off offset:280
	s_wait_xcnt 0x0
	v_cmpx_lt_u32_e32 34, v0
	s_cbranch_execz .LBB101_169
; %bb.168:
	scratch_load_b64 v[2:3], off, off offset:272
	v_mov_b64_e32 v[80:81], 0
	scratch_store_b64 off, v[80:81], off offset:272
	s_wait_loadcnt 0x0
	ds_store_b64 v1, v[2:3]
.LBB101_169:
	s_wait_xcnt 0x0
	s_or_b32 exec_lo, exec_lo, s0
	s_wait_storecnt_dscnt 0x0
	s_barrier_signal -1
	s_barrier_wait -1
	s_clause 0x1
	scratch_load_b128 v[80:83], off, off offset:272
	scratch_load_b128 v[84:87], off, off offset:288
	v_mov_b32_e32 v2, 0
	ds_load_2addr_b64 v[88:91], v2 offset0:73 offset1:74
	ds_load_b64 v[92:93], v2 offset:600
	s_mov_b32 s0, exec_lo
	s_wait_loadcnt_dscnt 0x101
	v_fma_f64 v[82:83], v[82:83], v[88:89], 0
	s_wait_loadcnt 0x0
	s_delay_alu instid0(VALU_DEP_1) | instskip(SKIP_1) | instid1(VALU_DEP_1)
	v_fmac_f64_e32 v[82:83], v[84:85], v[90:91]
	s_wait_dscnt 0x0
	v_fmac_f64_e32 v[82:83], v[86:87], v[92:93]
	s_delay_alu instid0(VALU_DEP_1)
	v_add_f64_e64 v[80:81], v[80:81], -v[82:83]
	scratch_store_b64 off, v[80:81], off offset:272
	s_wait_xcnt 0x0
	v_cmpx_lt_u32_e32 33, v0
	s_cbranch_execz .LBB101_171
; %bb.170:
	scratch_load_b64 v[80:81], off, off offset:264
	v_mov_b64_e32 v[82:83], 0
	scratch_store_b64 off, v[82:83], off offset:264
	s_wait_loadcnt 0x0
	ds_store_b64 v1, v[80:81]
.LBB101_171:
	s_wait_xcnt 0x0
	s_or_b32 exec_lo, exec_lo, s0
	s_wait_storecnt_dscnt 0x0
	s_barrier_signal -1
	s_barrier_wait -1
	s_clause 0x2
	scratch_load_b128 v[80:83], off, off offset:264
	scratch_load_b128 v[84:87], off, off offset:280
	scratch_load_b64 v[96:97], off, off offset:296
	ds_load_b128 v[88:91], v2 offset:576
	ds_load_b128 v[92:95], v2 offset:592
	s_mov_b32 s0, exec_lo
	s_wait_loadcnt_dscnt 0x201
	v_fma_f64 v[2:3], v[82:83], v[88:89], 0
	s_wait_loadcnt 0x1
	s_delay_alu instid0(VALU_DEP_1) | instskip(SKIP_1) | instid1(VALU_DEP_1)
	v_fmac_f64_e32 v[2:3], v[84:85], v[90:91]
	s_wait_dscnt 0x0
	v_fmac_f64_e32 v[2:3], v[86:87], v[92:93]
	s_wait_loadcnt 0x0
	s_delay_alu instid0(VALU_DEP_1) | instskip(NEXT) | instid1(VALU_DEP_1)
	v_fmac_f64_e32 v[2:3], v[96:97], v[94:95]
	v_add_f64_e64 v[2:3], v[80:81], -v[2:3]
	scratch_store_b64 off, v[2:3], off offset:264
	s_wait_xcnt 0x0
	v_cmpx_lt_u32_e32 32, v0
	s_cbranch_execz .LBB101_173
; %bb.172:
	scratch_load_b64 v[2:3], off, off offset:256
	v_mov_b64_e32 v[80:81], 0
	scratch_store_b64 off, v[80:81], off offset:256
	s_wait_loadcnt 0x0
	ds_store_b64 v1, v[2:3]
.LBB101_173:
	s_wait_xcnt 0x0
	s_or_b32 exec_lo, exec_lo, s0
	s_wait_storecnt_dscnt 0x0
	s_barrier_signal -1
	s_barrier_wait -1
	s_clause 0x2
	scratch_load_b128 v[80:83], off, off offset:256
	scratch_load_b128 v[84:87], off, off offset:272
	scratch_load_b128 v[88:91], off, off offset:288
	v_mov_b32_e32 v2, 0
	ds_load_2addr_b64 v[92:95], v2 offset0:71 offset1:72
	ds_load_2addr_b64 v[96:99], v2 offset0:73 offset1:74
	s_mov_b32 s0, exec_lo
	s_wait_loadcnt_dscnt 0x201
	v_fma_f64 v[82:83], v[82:83], v[92:93], 0
	s_wait_loadcnt 0x1
	s_delay_alu instid0(VALU_DEP_1) | instskip(SKIP_4) | instid1(VALU_DEP_1)
	v_fmac_f64_e32 v[82:83], v[84:85], v[94:95]
	ds_load_b64 v[84:85], v2 offset:600
	s_wait_dscnt 0x1
	v_fmac_f64_e32 v[82:83], v[86:87], v[96:97]
	s_wait_loadcnt 0x0
	v_fmac_f64_e32 v[82:83], v[88:89], v[98:99]
	s_wait_dscnt 0x0
	s_delay_alu instid0(VALU_DEP_1) | instskip(NEXT) | instid1(VALU_DEP_1)
	v_fmac_f64_e32 v[82:83], v[90:91], v[84:85]
	v_add_f64_e64 v[80:81], v[80:81], -v[82:83]
	scratch_store_b64 off, v[80:81], off offset:256
	s_wait_xcnt 0x0
	v_cmpx_lt_u32_e32 31, v0
	s_cbranch_execz .LBB101_175
; %bb.174:
	scratch_load_b64 v[80:81], off, off offset:248
	v_mov_b64_e32 v[82:83], 0
	scratch_store_b64 off, v[82:83], off offset:248
	s_wait_loadcnt 0x0
	ds_store_b64 v1, v[80:81]
.LBB101_175:
	s_wait_xcnt 0x0
	s_or_b32 exec_lo, exec_lo, s0
	s_wait_storecnt_dscnt 0x0
	s_barrier_signal -1
	s_barrier_wait -1
	s_clause 0x3
	scratch_load_b128 v[80:83], off, off offset:248
	scratch_load_b128 v[84:87], off, off offset:264
	;; [unrolled: 1-line block ×3, first 2 shown]
	scratch_load_b64 v[100:101], off, off offset:296
	ds_load_b128 v[92:95], v2 offset:560
	ds_load_b128 v[96:99], v2 offset:576
	s_mov_b32 s0, exec_lo
	s_wait_loadcnt_dscnt 0x301
	v_fma_f64 v[92:93], v[82:83], v[92:93], 0
	s_wait_loadcnt 0x2
	s_delay_alu instid0(VALU_DEP_1) | instskip(SKIP_4) | instid1(VALU_DEP_1)
	v_fmac_f64_e32 v[92:93], v[84:85], v[94:95]
	ds_load_b128 v[82:85], v2 offset:592
	s_wait_dscnt 0x1
	v_fmac_f64_e32 v[92:93], v[86:87], v[96:97]
	s_wait_loadcnt 0x1
	v_fmac_f64_e32 v[92:93], v[88:89], v[98:99]
	s_wait_dscnt 0x0
	s_delay_alu instid0(VALU_DEP_1) | instskip(SKIP_1) | instid1(VALU_DEP_1)
	v_fmac_f64_e32 v[92:93], v[90:91], v[82:83]
	s_wait_loadcnt 0x0
	v_fmac_f64_e32 v[92:93], v[100:101], v[84:85]
	s_delay_alu instid0(VALU_DEP_1)
	v_add_f64_e64 v[2:3], v[80:81], -v[92:93]
	scratch_store_b64 off, v[2:3], off offset:248
	s_wait_xcnt 0x0
	v_cmpx_lt_u32_e32 30, v0
	s_cbranch_execz .LBB101_177
; %bb.176:
	scratch_load_b64 v[2:3], off, off offset:240
	v_mov_b64_e32 v[80:81], 0
	scratch_store_b64 off, v[80:81], off offset:240
	s_wait_loadcnt 0x0
	ds_store_b64 v1, v[2:3]
.LBB101_177:
	s_wait_xcnt 0x0
	s_or_b32 exec_lo, exec_lo, s0
	s_wait_storecnt_dscnt 0x0
	s_barrier_signal -1
	s_barrier_wait -1
	s_clause 0x3
	scratch_load_b128 v[80:83], off, off offset:240
	scratch_load_b128 v[84:87], off, off offset:256
	;; [unrolled: 1-line block ×4, first 2 shown]
	v_mov_b32_e32 v2, 0
	ds_load_2addr_b64 v[96:99], v2 offset0:69 offset1:70
	ds_load_2addr_b64 v[100:103], v2 offset0:71 offset1:72
	s_mov_b32 s0, exec_lo
	s_wait_loadcnt_dscnt 0x301
	v_fma_f64 v[96:97], v[82:83], v[96:97], 0
	s_wait_loadcnt 0x2
	s_delay_alu instid0(VALU_DEP_1) | instskip(SKIP_1) | instid1(VALU_DEP_1)
	v_fmac_f64_e32 v[96:97], v[84:85], v[98:99]
	s_wait_dscnt 0x0
	v_fmac_f64_e32 v[96:97], v[86:87], v[100:101]
	ds_load_2addr_b64 v[82:85], v2 offset0:73 offset1:74
	ds_load_b64 v[86:87], v2 offset:600
	s_wait_loadcnt 0x1
	v_fmac_f64_e32 v[96:97], v[88:89], v[102:103]
	s_wait_dscnt 0x1
	s_delay_alu instid0(VALU_DEP_1) | instskip(SKIP_1) | instid1(VALU_DEP_1)
	v_fmac_f64_e32 v[96:97], v[90:91], v[82:83]
	s_wait_loadcnt 0x0
	v_fmac_f64_e32 v[96:97], v[92:93], v[84:85]
	s_wait_dscnt 0x0
	s_delay_alu instid0(VALU_DEP_1) | instskip(NEXT) | instid1(VALU_DEP_1)
	v_fmac_f64_e32 v[96:97], v[94:95], v[86:87]
	v_add_f64_e64 v[80:81], v[80:81], -v[96:97]
	scratch_store_b64 off, v[80:81], off offset:240
	s_wait_xcnt 0x0
	v_cmpx_lt_u32_e32 29, v0
	s_cbranch_execz .LBB101_179
; %bb.178:
	scratch_load_b64 v[80:81], off, off offset:232
	v_mov_b64_e32 v[82:83], 0
	scratch_store_b64 off, v[82:83], off offset:232
	s_wait_loadcnt 0x0
	ds_store_b64 v1, v[80:81]
.LBB101_179:
	s_wait_xcnt 0x0
	s_or_b32 exec_lo, exec_lo, s0
	s_wait_storecnt_dscnt 0x0
	s_barrier_signal -1
	s_barrier_wait -1
	s_clause 0x4
	scratch_load_b128 v[80:83], off, off offset:232
	scratch_load_b128 v[84:87], off, off offset:248
	;; [unrolled: 1-line block ×4, first 2 shown]
	scratch_load_b64 v[104:105], off, off offset:296
	ds_load_b128 v[96:99], v2 offset:544
	ds_load_b128 v[100:103], v2 offset:560
	s_mov_b32 s0, exec_lo
	s_wait_loadcnt_dscnt 0x401
	v_fma_f64 v[96:97], v[82:83], v[96:97], 0
	s_wait_loadcnt 0x3
	s_delay_alu instid0(VALU_DEP_1) | instskip(SKIP_1) | instid1(VALU_DEP_1)
	v_fmac_f64_e32 v[96:97], v[84:85], v[98:99]
	s_wait_dscnt 0x0
	v_fmac_f64_e32 v[96:97], v[86:87], v[100:101]
	s_wait_loadcnt 0x2
	s_delay_alu instid0(VALU_DEP_1)
	v_fmac_f64_e32 v[96:97], v[88:89], v[102:103]
	ds_load_b128 v[82:85], v2 offset:576
	ds_load_b128 v[86:89], v2 offset:592
	s_wait_dscnt 0x1
	v_fmac_f64_e32 v[96:97], v[90:91], v[82:83]
	s_wait_loadcnt 0x1
	s_delay_alu instid0(VALU_DEP_1) | instskip(SKIP_1) | instid1(VALU_DEP_1)
	v_fmac_f64_e32 v[96:97], v[92:93], v[84:85]
	s_wait_dscnt 0x0
	v_fmac_f64_e32 v[96:97], v[94:95], v[86:87]
	s_wait_loadcnt 0x0
	s_delay_alu instid0(VALU_DEP_1) | instskip(NEXT) | instid1(VALU_DEP_1)
	v_fmac_f64_e32 v[96:97], v[104:105], v[88:89]
	v_add_f64_e64 v[2:3], v[80:81], -v[96:97]
	scratch_store_b64 off, v[2:3], off offset:232
	s_wait_xcnt 0x0
	v_cmpx_lt_u32_e32 28, v0
	s_cbranch_execz .LBB101_181
; %bb.180:
	scratch_load_b64 v[2:3], off, off offset:224
	v_mov_b64_e32 v[80:81], 0
	scratch_store_b64 off, v[80:81], off offset:224
	s_wait_loadcnt 0x0
	ds_store_b64 v1, v[2:3]
.LBB101_181:
	s_wait_xcnt 0x0
	s_or_b32 exec_lo, exec_lo, s0
	s_wait_storecnt_dscnt 0x0
	s_barrier_signal -1
	s_barrier_wait -1
	s_clause 0x4
	scratch_load_b128 v[80:83], off, off offset:224
	scratch_load_b128 v[84:87], off, off offset:240
	;; [unrolled: 1-line block ×5, first 2 shown]
	v_mov_b32_e32 v2, 0
	ds_load_2addr_b64 v[100:103], v2 offset0:67 offset1:68
	ds_load_2addr_b64 v[104:107], v2 offset0:69 offset1:70
	s_mov_b32 s0, exec_lo
	s_wait_loadcnt_dscnt 0x401
	v_fma_f64 v[100:101], v[82:83], v[100:101], 0
	s_wait_loadcnt 0x3
	s_delay_alu instid0(VALU_DEP_1) | instskip(SKIP_1) | instid1(VALU_DEP_1)
	v_fmac_f64_e32 v[100:101], v[84:85], v[102:103]
	s_wait_dscnt 0x0
	v_fmac_f64_e32 v[100:101], v[86:87], v[104:105]
	s_wait_loadcnt 0x2
	s_delay_alu instid0(VALU_DEP_1)
	v_fmac_f64_e32 v[100:101], v[88:89], v[106:107]
	ds_load_2addr_b64 v[82:85], v2 offset0:71 offset1:72
	ds_load_2addr_b64 v[86:89], v2 offset0:73 offset1:74
	s_wait_dscnt 0x1
	v_fmac_f64_e32 v[100:101], v[90:91], v[82:83]
	ds_load_b64 v[82:83], v2 offset:600
	s_wait_loadcnt 0x1
	v_fmac_f64_e32 v[100:101], v[92:93], v[84:85]
	s_wait_dscnt 0x1
	s_delay_alu instid0(VALU_DEP_1) | instskip(SKIP_1) | instid1(VALU_DEP_1)
	v_fmac_f64_e32 v[100:101], v[94:95], v[86:87]
	s_wait_loadcnt 0x0
	v_fmac_f64_e32 v[100:101], v[96:97], v[88:89]
	s_wait_dscnt 0x0
	s_delay_alu instid0(VALU_DEP_1) | instskip(NEXT) | instid1(VALU_DEP_1)
	v_fmac_f64_e32 v[100:101], v[98:99], v[82:83]
	v_add_f64_e64 v[80:81], v[80:81], -v[100:101]
	scratch_store_b64 off, v[80:81], off offset:224
	s_wait_xcnt 0x0
	v_cmpx_lt_u32_e32 27, v0
	s_cbranch_execz .LBB101_183
; %bb.182:
	scratch_load_b64 v[80:81], off, off offset:216
	v_mov_b64_e32 v[82:83], 0
	scratch_store_b64 off, v[82:83], off offset:216
	s_wait_loadcnt 0x0
	ds_store_b64 v1, v[80:81]
.LBB101_183:
	s_wait_xcnt 0x0
	s_or_b32 exec_lo, exec_lo, s0
	s_wait_storecnt_dscnt 0x0
	s_barrier_signal -1
	s_barrier_wait -1
	s_clause 0x5
	scratch_load_b128 v[80:83], off, off offset:216
	scratch_load_b128 v[84:87], off, off offset:232
	;; [unrolled: 1-line block ×5, first 2 shown]
	scratch_load_b64 v[108:109], off, off offset:296
	ds_load_b128 v[100:103], v2 offset:528
	ds_load_b128 v[104:107], v2 offset:544
	s_mov_b32 s0, exec_lo
	s_wait_loadcnt_dscnt 0x501
	v_fma_f64 v[100:101], v[82:83], v[100:101], 0
	s_wait_loadcnt 0x4
	s_delay_alu instid0(VALU_DEP_1) | instskip(SKIP_1) | instid1(VALU_DEP_1)
	v_fmac_f64_e32 v[100:101], v[84:85], v[102:103]
	s_wait_dscnt 0x0
	v_fmac_f64_e32 v[100:101], v[86:87], v[104:105]
	s_wait_loadcnt 0x3
	s_delay_alu instid0(VALU_DEP_1)
	v_fmac_f64_e32 v[100:101], v[88:89], v[106:107]
	ds_load_b128 v[82:85], v2 offset:560
	ds_load_b128 v[86:89], v2 offset:576
	s_wait_dscnt 0x1
	v_fmac_f64_e32 v[100:101], v[90:91], v[82:83]
	s_wait_loadcnt 0x2
	s_delay_alu instid0(VALU_DEP_1) | instskip(SKIP_4) | instid1(VALU_DEP_1)
	v_fmac_f64_e32 v[100:101], v[92:93], v[84:85]
	ds_load_b128 v[82:85], v2 offset:592
	s_wait_dscnt 0x1
	v_fmac_f64_e32 v[100:101], v[94:95], v[86:87]
	s_wait_loadcnt 0x1
	v_fmac_f64_e32 v[100:101], v[96:97], v[88:89]
	s_wait_dscnt 0x0
	s_delay_alu instid0(VALU_DEP_1) | instskip(SKIP_1) | instid1(VALU_DEP_1)
	v_fmac_f64_e32 v[100:101], v[98:99], v[82:83]
	s_wait_loadcnt 0x0
	v_fmac_f64_e32 v[100:101], v[108:109], v[84:85]
	s_delay_alu instid0(VALU_DEP_1)
	v_add_f64_e64 v[2:3], v[80:81], -v[100:101]
	scratch_store_b64 off, v[2:3], off offset:216
	s_wait_xcnt 0x0
	v_cmpx_lt_u32_e32 26, v0
	s_cbranch_execz .LBB101_185
; %bb.184:
	scratch_load_b64 v[2:3], off, off offset:208
	v_mov_b64_e32 v[80:81], 0
	scratch_store_b64 off, v[80:81], off offset:208
	s_wait_loadcnt 0x0
	ds_store_b64 v1, v[2:3]
.LBB101_185:
	s_wait_xcnt 0x0
	s_or_b32 exec_lo, exec_lo, s0
	s_wait_storecnt_dscnt 0x0
	s_barrier_signal -1
	s_barrier_wait -1
	s_clause 0x5
	scratch_load_b128 v[80:83], off, off offset:208
	scratch_load_b128 v[84:87], off, off offset:224
	;; [unrolled: 1-line block ×6, first 2 shown]
	v_mov_b32_e32 v2, 0
	ds_load_2addr_b64 v[104:107], v2 offset0:65 offset1:66
	ds_load_2addr_b64 v[108:111], v2 offset0:67 offset1:68
	s_mov_b32 s0, exec_lo
	s_wait_loadcnt_dscnt 0x501
	v_fma_f64 v[104:105], v[82:83], v[104:105], 0
	s_wait_loadcnt 0x4
	s_delay_alu instid0(VALU_DEP_1) | instskip(SKIP_1) | instid1(VALU_DEP_1)
	v_fmac_f64_e32 v[104:105], v[84:85], v[106:107]
	s_wait_dscnt 0x0
	v_fmac_f64_e32 v[104:105], v[86:87], v[108:109]
	s_wait_loadcnt 0x3
	s_delay_alu instid0(VALU_DEP_1)
	v_fmac_f64_e32 v[104:105], v[88:89], v[110:111]
	ds_load_2addr_b64 v[82:85], v2 offset0:69 offset1:70
	ds_load_2addr_b64 v[86:89], v2 offset0:71 offset1:72
	s_wait_dscnt 0x1
	v_fmac_f64_e32 v[104:105], v[90:91], v[82:83]
	s_wait_loadcnt 0x2
	s_delay_alu instid0(VALU_DEP_1) | instskip(SKIP_1) | instid1(VALU_DEP_1)
	v_fmac_f64_e32 v[104:105], v[92:93], v[84:85]
	s_wait_dscnt 0x0
	v_fmac_f64_e32 v[104:105], v[94:95], v[86:87]
	ds_load_2addr_b64 v[82:85], v2 offset0:73 offset1:74
	ds_load_b64 v[86:87], v2 offset:600
	s_wait_loadcnt 0x1
	v_fmac_f64_e32 v[104:105], v[96:97], v[88:89]
	s_wait_dscnt 0x1
	s_delay_alu instid0(VALU_DEP_1) | instskip(SKIP_1) | instid1(VALU_DEP_1)
	v_fmac_f64_e32 v[104:105], v[98:99], v[82:83]
	s_wait_loadcnt 0x0
	v_fmac_f64_e32 v[104:105], v[100:101], v[84:85]
	s_wait_dscnt 0x0
	s_delay_alu instid0(VALU_DEP_1) | instskip(NEXT) | instid1(VALU_DEP_1)
	v_fmac_f64_e32 v[104:105], v[102:103], v[86:87]
	v_add_f64_e64 v[80:81], v[80:81], -v[104:105]
	scratch_store_b64 off, v[80:81], off offset:208
	s_wait_xcnt 0x0
	v_cmpx_lt_u32_e32 25, v0
	s_cbranch_execz .LBB101_187
; %bb.186:
	scratch_load_b64 v[80:81], off, off offset:200
	v_mov_b64_e32 v[82:83], 0
	scratch_store_b64 off, v[82:83], off offset:200
	s_wait_loadcnt 0x0
	ds_store_b64 v1, v[80:81]
.LBB101_187:
	s_wait_xcnt 0x0
	s_or_b32 exec_lo, exec_lo, s0
	s_wait_storecnt_dscnt 0x0
	s_barrier_signal -1
	s_barrier_wait -1
	s_clause 0x5
	scratch_load_b128 v[80:83], off, off offset:200
	scratch_load_b128 v[84:87], off, off offset:216
	scratch_load_b128 v[88:91], off, off offset:232
	scratch_load_b128 v[92:95], off, off offset:248
	scratch_load_b128 v[96:99], off, off offset:264
	scratch_load_b128 v[100:103], off, off offset:280
	ds_load_b128 v[104:107], v2 offset:512
	ds_load_b128 v[108:111], v2 offset:528
	s_mov_b32 s0, exec_lo
	s_wait_loadcnt_dscnt 0x501
	v_fma_f64 v[104:105], v[82:83], v[104:105], 0
	s_wait_loadcnt 0x4
	s_delay_alu instid0(VALU_DEP_1) | instskip(SKIP_4) | instid1(VALU_DEP_1)
	v_fmac_f64_e32 v[104:105], v[84:85], v[106:107]
	scratch_load_b64 v[106:107], off, off offset:296
	s_wait_dscnt 0x0
	v_fmac_f64_e32 v[104:105], v[86:87], v[108:109]
	s_wait_loadcnt 0x4
	v_fmac_f64_e32 v[104:105], v[88:89], v[110:111]
	ds_load_b128 v[82:85], v2 offset:544
	ds_load_b128 v[86:89], v2 offset:560
	s_wait_dscnt 0x1
	v_fmac_f64_e32 v[104:105], v[90:91], v[82:83]
	s_wait_loadcnt 0x3
	s_delay_alu instid0(VALU_DEP_1) | instskip(SKIP_1) | instid1(VALU_DEP_1)
	v_fmac_f64_e32 v[104:105], v[92:93], v[84:85]
	s_wait_dscnt 0x0
	v_fmac_f64_e32 v[104:105], v[94:95], v[86:87]
	s_wait_loadcnt 0x2
	s_delay_alu instid0(VALU_DEP_1)
	v_fmac_f64_e32 v[104:105], v[96:97], v[88:89]
	ds_load_b128 v[82:85], v2 offset:576
	ds_load_b128 v[86:89], v2 offset:592
	s_wait_dscnt 0x1
	v_fmac_f64_e32 v[104:105], v[98:99], v[82:83]
	s_wait_loadcnt 0x1
	s_delay_alu instid0(VALU_DEP_1) | instskip(SKIP_1) | instid1(VALU_DEP_1)
	v_fmac_f64_e32 v[104:105], v[100:101], v[84:85]
	s_wait_dscnt 0x0
	v_fmac_f64_e32 v[104:105], v[102:103], v[86:87]
	s_wait_loadcnt 0x0
	s_delay_alu instid0(VALU_DEP_1) | instskip(NEXT) | instid1(VALU_DEP_1)
	v_fmac_f64_e32 v[104:105], v[106:107], v[88:89]
	v_add_f64_e64 v[2:3], v[80:81], -v[104:105]
	scratch_store_b64 off, v[2:3], off offset:200
	s_wait_xcnt 0x0
	v_cmpx_lt_u32_e32 24, v0
	s_cbranch_execz .LBB101_189
; %bb.188:
	scratch_load_b64 v[2:3], off, off offset:192
	v_mov_b64_e32 v[80:81], 0
	scratch_store_b64 off, v[80:81], off offset:192
	s_wait_loadcnt 0x0
	ds_store_b64 v1, v[2:3]
.LBB101_189:
	s_wait_xcnt 0x0
	s_or_b32 exec_lo, exec_lo, s0
	s_wait_storecnt_dscnt 0x0
	s_barrier_signal -1
	s_barrier_wait -1
	s_clause 0x5
	scratch_load_b128 v[80:83], off, off offset:192
	scratch_load_b128 v[84:87], off, off offset:208
	;; [unrolled: 1-line block ×6, first 2 shown]
	v_mov_b32_e32 v2, 0
	ds_load_2addr_b64 v[104:107], v2 offset0:63 offset1:64
	ds_load_2addr_b64 v[108:111], v2 offset0:65 offset1:66
	s_mov_b32 s0, exec_lo
	s_wait_loadcnt_dscnt 0x501
	v_fma_f64 v[112:113], v[82:83], v[104:105], 0
	s_wait_loadcnt 0x4
	s_delay_alu instid0(VALU_DEP_1) | instskip(SKIP_4) | instid1(VALU_DEP_1)
	v_fmac_f64_e32 v[112:113], v[84:85], v[106:107]
	scratch_load_b128 v[82:85], off, off offset:288
	s_wait_dscnt 0x0
	v_fmac_f64_e32 v[112:113], v[86:87], v[108:109]
	s_wait_loadcnt 0x4
	v_fmac_f64_e32 v[112:113], v[88:89], v[110:111]
	ds_load_2addr_b64 v[86:89], v2 offset0:67 offset1:68
	ds_load_2addr_b64 v[104:107], v2 offset0:69 offset1:70
	s_wait_dscnt 0x1
	v_fmac_f64_e32 v[112:113], v[90:91], v[86:87]
	s_wait_loadcnt 0x3
	s_delay_alu instid0(VALU_DEP_1)
	v_fmac_f64_e32 v[112:113], v[92:93], v[88:89]
	ds_load_2addr_b64 v[86:89], v2 offset0:71 offset1:72
	ds_load_2addr_b64 v[90:93], v2 offset0:73 offset1:74
	s_wait_dscnt 0x2
	v_fmac_f64_e32 v[112:113], v[94:95], v[104:105]
	s_wait_loadcnt 0x2
	s_delay_alu instid0(VALU_DEP_1) | instskip(SKIP_1) | instid1(VALU_DEP_1)
	v_fmac_f64_e32 v[112:113], v[96:97], v[106:107]
	s_wait_dscnt 0x1
	v_fmac_f64_e32 v[112:113], v[98:99], v[86:87]
	s_wait_loadcnt 0x1
	s_delay_alu instid0(VALU_DEP_1) | instskip(SKIP_1) | instid1(VALU_DEP_1)
	v_fmac_f64_e32 v[112:113], v[100:101], v[88:89]
	s_wait_dscnt 0x0
	v_fmac_f64_e32 v[112:113], v[102:103], v[90:91]
	s_wait_loadcnt 0x0
	s_delay_alu instid0(VALU_DEP_1) | instskip(SKIP_3) | instid1(VALU_DEP_1)
	v_fmac_f64_e32 v[112:113], v[82:83], v[92:93]
	ds_load_b64 v[82:83], v2 offset:600
	s_wait_dscnt 0x0
	v_fmac_f64_e32 v[112:113], v[84:85], v[82:83]
	v_add_f64_e64 v[80:81], v[80:81], -v[112:113]
	scratch_store_b64 off, v[80:81], off offset:192
	s_wait_xcnt 0x0
	v_cmpx_lt_u32_e32 23, v0
	s_cbranch_execz .LBB101_191
; %bb.190:
	scratch_load_b64 v[80:81], off, off offset:184
	v_mov_b64_e32 v[82:83], 0
	scratch_store_b64 off, v[82:83], off offset:184
	s_wait_loadcnt 0x0
	ds_store_b64 v1, v[80:81]
.LBB101_191:
	s_wait_xcnt 0x0
	s_or_b32 exec_lo, exec_lo, s0
	s_wait_storecnt_dscnt 0x0
	s_barrier_signal -1
	s_barrier_wait -1
	s_clause 0x5
	scratch_load_b128 v[80:83], off, off offset:184
	scratch_load_b128 v[84:87], off, off offset:200
	;; [unrolled: 1-line block ×6, first 2 shown]
	ds_load_b128 v[104:107], v2 offset:496
	ds_load_b128 v[108:111], v2 offset:512
	s_mov_b32 s0, exec_lo
	s_wait_loadcnt_dscnt 0x501
	v_fma_f64 v[112:113], v[82:83], v[104:105], 0
	s_wait_loadcnt 0x4
	s_delay_alu instid0(VALU_DEP_1)
	v_fmac_f64_e32 v[112:113], v[84:85], v[106:107]
	scratch_load_b128 v[82:85], off, off offset:280
	s_wait_dscnt 0x0
	v_fmac_f64_e32 v[112:113], v[86:87], v[108:109]
	scratch_load_b64 v[108:109], off, off offset:296
	s_wait_loadcnt 0x5
	v_fmac_f64_e32 v[112:113], v[88:89], v[110:111]
	ds_load_b128 v[86:89], v2 offset:528
	ds_load_b128 v[104:107], v2 offset:544
	s_wait_dscnt 0x1
	v_fmac_f64_e32 v[112:113], v[90:91], v[86:87]
	s_wait_loadcnt 0x4
	s_delay_alu instid0(VALU_DEP_1)
	v_fmac_f64_e32 v[112:113], v[92:93], v[88:89]
	ds_load_b128 v[86:89], v2 offset:560
	ds_load_b128 v[90:93], v2 offset:576
	s_wait_dscnt 0x2
	v_fmac_f64_e32 v[112:113], v[94:95], v[104:105]
	s_wait_loadcnt 0x3
	s_delay_alu instid0(VALU_DEP_1) | instskip(SKIP_1) | instid1(VALU_DEP_1)
	v_fmac_f64_e32 v[112:113], v[96:97], v[106:107]
	s_wait_dscnt 0x1
	v_fmac_f64_e32 v[112:113], v[98:99], v[86:87]
	s_wait_loadcnt 0x2
	s_delay_alu instid0(VALU_DEP_1) | instskip(SKIP_4) | instid1(VALU_DEP_1)
	v_fmac_f64_e32 v[112:113], v[100:101], v[88:89]
	ds_load_b128 v[86:89], v2 offset:592
	s_wait_dscnt 0x1
	v_fmac_f64_e32 v[112:113], v[102:103], v[90:91]
	s_wait_loadcnt 0x1
	v_fmac_f64_e32 v[112:113], v[82:83], v[92:93]
	s_wait_dscnt 0x0
	s_delay_alu instid0(VALU_DEP_1) | instskip(SKIP_1) | instid1(VALU_DEP_1)
	v_fmac_f64_e32 v[112:113], v[84:85], v[86:87]
	s_wait_loadcnt 0x0
	v_fmac_f64_e32 v[112:113], v[108:109], v[88:89]
	s_delay_alu instid0(VALU_DEP_1)
	v_add_f64_e64 v[2:3], v[80:81], -v[112:113]
	scratch_store_b64 off, v[2:3], off offset:184
	s_wait_xcnt 0x0
	v_cmpx_lt_u32_e32 22, v0
	s_cbranch_execz .LBB101_193
; %bb.192:
	scratch_load_b64 v[2:3], off, off offset:176
	v_mov_b64_e32 v[80:81], 0
	scratch_store_b64 off, v[80:81], off offset:176
	s_wait_loadcnt 0x0
	ds_store_b64 v1, v[2:3]
.LBB101_193:
	s_wait_xcnt 0x0
	s_or_b32 exec_lo, exec_lo, s0
	s_wait_storecnt_dscnt 0x0
	s_barrier_signal -1
	s_barrier_wait -1
	s_clause 0x5
	scratch_load_b128 v[80:83], off, off offset:176
	scratch_load_b128 v[84:87], off, off offset:192
	;; [unrolled: 1-line block ×6, first 2 shown]
	v_mov_b32_e32 v2, 0
	ds_load_2addr_b64 v[104:107], v2 offset0:61 offset1:62
	ds_load_2addr_b64 v[108:111], v2 offset0:63 offset1:64
	s_mov_b32 s0, exec_lo
	s_wait_loadcnt_dscnt 0x501
	v_fma_f64 v[112:113], v[82:83], v[104:105], 0
	s_wait_loadcnt 0x4
	s_delay_alu instid0(VALU_DEP_1) | instskip(SKIP_4) | instid1(VALU_DEP_1)
	v_fmac_f64_e32 v[112:113], v[84:85], v[106:107]
	scratch_load_b128 v[82:85], off, off offset:272
	s_wait_dscnt 0x0
	v_fmac_f64_e32 v[112:113], v[86:87], v[108:109]
	s_wait_loadcnt 0x4
	v_fmac_f64_e32 v[112:113], v[88:89], v[110:111]
	scratch_load_b128 v[86:89], off, off offset:288
	ds_load_2addr_b64 v[104:107], v2 offset0:65 offset1:66
	ds_load_2addr_b64 v[108:111], v2 offset0:67 offset1:68
	s_wait_dscnt 0x1
	v_fmac_f64_e32 v[112:113], v[90:91], v[104:105]
	s_wait_loadcnt 0x4
	s_delay_alu instid0(VALU_DEP_1) | instskip(SKIP_1) | instid1(VALU_DEP_1)
	v_fmac_f64_e32 v[112:113], v[92:93], v[106:107]
	s_wait_dscnt 0x0
	v_fmac_f64_e32 v[112:113], v[94:95], v[108:109]
	s_wait_loadcnt 0x3
	s_delay_alu instid0(VALU_DEP_1)
	v_fmac_f64_e32 v[112:113], v[96:97], v[110:111]
	ds_load_2addr_b64 v[90:93], v2 offset0:69 offset1:70
	ds_load_2addr_b64 v[94:97], v2 offset0:71 offset1:72
	s_wait_dscnt 0x1
	v_fmac_f64_e32 v[112:113], v[98:99], v[90:91]
	s_wait_loadcnt 0x2
	s_delay_alu instid0(VALU_DEP_1) | instskip(SKIP_1) | instid1(VALU_DEP_1)
	v_fmac_f64_e32 v[112:113], v[100:101], v[92:93]
	s_wait_dscnt 0x0
	v_fmac_f64_e32 v[112:113], v[102:103], v[94:95]
	s_wait_loadcnt 0x1
	s_delay_alu instid0(VALU_DEP_1)
	v_fmac_f64_e32 v[112:113], v[82:83], v[96:97]
	ds_load_2addr_b64 v[90:93], v2 offset0:73 offset1:74
	ds_load_b64 v[82:83], v2 offset:600
	s_wait_dscnt 0x1
	v_fmac_f64_e32 v[112:113], v[84:85], v[90:91]
	s_wait_loadcnt 0x0
	s_delay_alu instid0(VALU_DEP_1) | instskip(SKIP_1) | instid1(VALU_DEP_1)
	v_fmac_f64_e32 v[112:113], v[86:87], v[92:93]
	s_wait_dscnt 0x0
	v_fmac_f64_e32 v[112:113], v[88:89], v[82:83]
	s_delay_alu instid0(VALU_DEP_1)
	v_add_f64_e64 v[80:81], v[80:81], -v[112:113]
	scratch_store_b64 off, v[80:81], off offset:176
	s_wait_xcnt 0x0
	v_cmpx_lt_u32_e32 21, v0
	s_cbranch_execz .LBB101_195
; %bb.194:
	scratch_load_b64 v[80:81], off, off offset:168
	v_mov_b64_e32 v[82:83], 0
	scratch_store_b64 off, v[82:83], off offset:168
	s_wait_loadcnt 0x0
	ds_store_b64 v1, v[80:81]
.LBB101_195:
	s_wait_xcnt 0x0
	s_or_b32 exec_lo, exec_lo, s0
	s_wait_storecnt_dscnt 0x0
	s_barrier_signal -1
	s_barrier_wait -1
	s_clause 0x5
	scratch_load_b128 v[80:83], off, off offset:168
	scratch_load_b128 v[84:87], off, off offset:184
	;; [unrolled: 1-line block ×6, first 2 shown]
	ds_load_b128 v[104:107], v2 offset:480
	ds_load_b128 v[108:111], v2 offset:496
	s_mov_b32 s0, exec_lo
	s_wait_loadcnt_dscnt 0x501
	v_fma_f64 v[112:113], v[82:83], v[104:105], 0
	s_wait_loadcnt 0x4
	s_delay_alu instid0(VALU_DEP_1) | instskip(SKIP_4) | instid1(VALU_DEP_1)
	v_fmac_f64_e32 v[112:113], v[84:85], v[106:107]
	scratch_load_b128 v[82:85], off, off offset:264
	s_wait_dscnt 0x0
	v_fmac_f64_e32 v[112:113], v[86:87], v[108:109]
	s_wait_loadcnt 0x4
	v_fmac_f64_e32 v[112:113], v[88:89], v[110:111]
	scratch_load_b128 v[86:89], off, off offset:280
	ds_load_b128 v[104:107], v2 offset:512
	ds_load_b128 v[108:111], v2 offset:528
	s_wait_dscnt 0x1
	v_fmac_f64_e32 v[112:113], v[90:91], v[104:105]
	scratch_load_b64 v[104:105], off, off offset:296
	s_wait_loadcnt 0x5
	v_fmac_f64_e32 v[112:113], v[92:93], v[106:107]
	s_wait_dscnt 0x0
	s_delay_alu instid0(VALU_DEP_1) | instskip(SKIP_1) | instid1(VALU_DEP_1)
	v_fmac_f64_e32 v[112:113], v[94:95], v[108:109]
	s_wait_loadcnt 0x4
	v_fmac_f64_e32 v[112:113], v[96:97], v[110:111]
	ds_load_b128 v[90:93], v2 offset:544
	ds_load_b128 v[94:97], v2 offset:560
	s_wait_dscnt 0x1
	v_fmac_f64_e32 v[112:113], v[98:99], v[90:91]
	s_wait_loadcnt 0x3
	s_delay_alu instid0(VALU_DEP_1) | instskip(SKIP_1) | instid1(VALU_DEP_1)
	v_fmac_f64_e32 v[112:113], v[100:101], v[92:93]
	s_wait_dscnt 0x0
	v_fmac_f64_e32 v[112:113], v[102:103], v[94:95]
	s_wait_loadcnt 0x2
	s_delay_alu instid0(VALU_DEP_1)
	v_fmac_f64_e32 v[112:113], v[82:83], v[96:97]
	ds_load_b128 v[90:93], v2 offset:576
	ds_load_b128 v[94:97], v2 offset:592
	s_wait_dscnt 0x1
	v_fmac_f64_e32 v[112:113], v[84:85], v[90:91]
	s_wait_loadcnt 0x1
	s_delay_alu instid0(VALU_DEP_1) | instskip(SKIP_1) | instid1(VALU_DEP_1)
	v_fmac_f64_e32 v[112:113], v[86:87], v[92:93]
	s_wait_dscnt 0x0
	v_fmac_f64_e32 v[112:113], v[88:89], v[94:95]
	s_wait_loadcnt 0x0
	s_delay_alu instid0(VALU_DEP_1) | instskip(NEXT) | instid1(VALU_DEP_1)
	v_fmac_f64_e32 v[112:113], v[104:105], v[96:97]
	v_add_f64_e64 v[2:3], v[80:81], -v[112:113]
	scratch_store_b64 off, v[2:3], off offset:168
	s_wait_xcnt 0x0
	v_cmpx_lt_u32_e32 20, v0
	s_cbranch_execz .LBB101_197
; %bb.196:
	scratch_load_b64 v[2:3], off, off offset:160
	v_mov_b64_e32 v[80:81], 0
	scratch_store_b64 off, v[80:81], off offset:160
	s_wait_loadcnt 0x0
	ds_store_b64 v1, v[2:3]
.LBB101_197:
	s_wait_xcnt 0x0
	s_or_b32 exec_lo, exec_lo, s0
	s_wait_storecnt_dscnt 0x0
	s_barrier_signal -1
	s_barrier_wait -1
	s_clause 0x5
	scratch_load_b128 v[80:83], off, off offset:160
	scratch_load_b128 v[84:87], off, off offset:176
	;; [unrolled: 1-line block ×6, first 2 shown]
	v_mov_b32_e32 v2, 0
	ds_load_2addr_b64 v[104:107], v2 offset0:59 offset1:60
	ds_load_2addr_b64 v[108:111], v2 offset0:61 offset1:62
	s_mov_b32 s0, exec_lo
	s_wait_loadcnt_dscnt 0x501
	v_fma_f64 v[112:113], v[82:83], v[104:105], 0
	s_wait_loadcnt 0x4
	s_delay_alu instid0(VALU_DEP_1) | instskip(SKIP_4) | instid1(VALU_DEP_1)
	v_fmac_f64_e32 v[112:113], v[84:85], v[106:107]
	scratch_load_b128 v[82:85], off, off offset:256
	s_wait_dscnt 0x0
	v_fmac_f64_e32 v[112:113], v[86:87], v[108:109]
	s_wait_loadcnt 0x4
	v_fmac_f64_e32 v[112:113], v[88:89], v[110:111]
	scratch_load_b128 v[86:89], off, off offset:272
	ds_load_2addr_b64 v[104:107], v2 offset0:63 offset1:64
	ds_load_2addr_b64 v[108:111], v2 offset0:65 offset1:66
	s_wait_dscnt 0x1
	v_fmac_f64_e32 v[112:113], v[90:91], v[104:105]
	s_wait_loadcnt 0x4
	s_delay_alu instid0(VALU_DEP_1) | instskip(SKIP_4) | instid1(VALU_DEP_1)
	v_fmac_f64_e32 v[112:113], v[92:93], v[106:107]
	scratch_load_b128 v[90:93], off, off offset:288
	s_wait_dscnt 0x0
	v_fmac_f64_e32 v[112:113], v[94:95], v[108:109]
	s_wait_loadcnt 0x4
	v_fmac_f64_e32 v[112:113], v[96:97], v[110:111]
	ds_load_2addr_b64 v[94:97], v2 offset0:67 offset1:68
	ds_load_2addr_b64 v[104:107], v2 offset0:69 offset1:70
	s_wait_dscnt 0x1
	v_fmac_f64_e32 v[112:113], v[98:99], v[94:95]
	s_wait_loadcnt 0x3
	s_delay_alu instid0(VALU_DEP_1)
	v_fmac_f64_e32 v[112:113], v[100:101], v[96:97]
	ds_load_2addr_b64 v[94:97], v2 offset0:71 offset1:72
	ds_load_2addr_b64 v[98:101], v2 offset0:73 offset1:74
	s_wait_dscnt 0x2
	v_fmac_f64_e32 v[112:113], v[102:103], v[104:105]
	s_wait_loadcnt 0x2
	s_delay_alu instid0(VALU_DEP_1) | instskip(SKIP_4) | instid1(VALU_DEP_1)
	v_fmac_f64_e32 v[112:113], v[82:83], v[106:107]
	ds_load_b64 v[82:83], v2 offset:600
	s_wait_dscnt 0x2
	v_fmac_f64_e32 v[112:113], v[84:85], v[94:95]
	s_wait_loadcnt 0x1
	v_fmac_f64_e32 v[112:113], v[86:87], v[96:97]
	s_wait_dscnt 0x1
	s_delay_alu instid0(VALU_DEP_1) | instskip(SKIP_1) | instid1(VALU_DEP_1)
	v_fmac_f64_e32 v[112:113], v[88:89], v[98:99]
	s_wait_loadcnt 0x0
	v_fmac_f64_e32 v[112:113], v[90:91], v[100:101]
	s_wait_dscnt 0x0
	s_delay_alu instid0(VALU_DEP_1) | instskip(NEXT) | instid1(VALU_DEP_1)
	v_fmac_f64_e32 v[112:113], v[92:93], v[82:83]
	v_add_f64_e64 v[80:81], v[80:81], -v[112:113]
	scratch_store_b64 off, v[80:81], off offset:160
	s_wait_xcnt 0x0
	v_cmpx_lt_u32_e32 19, v0
	s_cbranch_execz .LBB101_199
; %bb.198:
	scratch_load_b64 v[80:81], off, off offset:152
	v_mov_b64_e32 v[82:83], 0
	scratch_store_b64 off, v[82:83], off offset:152
	s_wait_loadcnt 0x0
	ds_store_b64 v1, v[80:81]
.LBB101_199:
	s_wait_xcnt 0x0
	s_or_b32 exec_lo, exec_lo, s0
	s_wait_storecnt_dscnt 0x0
	s_barrier_signal -1
	s_barrier_wait -1
	s_clause 0x5
	scratch_load_b128 v[80:83], off, off offset:152
	scratch_load_b128 v[84:87], off, off offset:168
	;; [unrolled: 1-line block ×6, first 2 shown]
	ds_load_b128 v[104:107], v2 offset:464
	ds_load_b128 v[108:111], v2 offset:480
	s_mov_b32 s0, exec_lo
	s_wait_loadcnt_dscnt 0x501
	v_fma_f64 v[112:113], v[82:83], v[104:105], 0
	s_wait_loadcnt 0x4
	s_delay_alu instid0(VALU_DEP_1) | instskip(SKIP_4) | instid1(VALU_DEP_1)
	v_fmac_f64_e32 v[112:113], v[84:85], v[106:107]
	scratch_load_b128 v[82:85], off, off offset:248
	s_wait_dscnt 0x0
	v_fmac_f64_e32 v[112:113], v[86:87], v[108:109]
	s_wait_loadcnt 0x4
	v_fmac_f64_e32 v[112:113], v[88:89], v[110:111]
	scratch_load_b128 v[86:89], off, off offset:264
	ds_load_b128 v[104:107], v2 offset:496
	ds_load_b128 v[108:111], v2 offset:512
	s_wait_dscnt 0x1
	v_fmac_f64_e32 v[112:113], v[90:91], v[104:105]
	s_wait_loadcnt 0x4
	s_delay_alu instid0(VALU_DEP_1)
	v_fmac_f64_e32 v[112:113], v[92:93], v[106:107]
	scratch_load_b128 v[90:93], off, off offset:280
	s_wait_dscnt 0x0
	v_fmac_f64_e32 v[112:113], v[94:95], v[108:109]
	scratch_load_b64 v[108:109], off, off offset:296
	s_wait_loadcnt 0x5
	v_fmac_f64_e32 v[112:113], v[96:97], v[110:111]
	ds_load_b128 v[94:97], v2 offset:528
	ds_load_b128 v[104:107], v2 offset:544
	s_wait_dscnt 0x1
	v_fmac_f64_e32 v[112:113], v[98:99], v[94:95]
	s_wait_loadcnt 0x4
	s_delay_alu instid0(VALU_DEP_1)
	v_fmac_f64_e32 v[112:113], v[100:101], v[96:97]
	ds_load_b128 v[94:97], v2 offset:560
	ds_load_b128 v[98:101], v2 offset:576
	s_wait_dscnt 0x2
	v_fmac_f64_e32 v[112:113], v[102:103], v[104:105]
	s_wait_loadcnt 0x3
	s_delay_alu instid0(VALU_DEP_1) | instskip(SKIP_1) | instid1(VALU_DEP_1)
	v_fmac_f64_e32 v[112:113], v[82:83], v[106:107]
	s_wait_dscnt 0x1
	v_fmac_f64_e32 v[112:113], v[84:85], v[94:95]
	ds_load_b128 v[82:85], v2 offset:592
	s_wait_loadcnt 0x2
	v_fmac_f64_e32 v[112:113], v[86:87], v[96:97]
	s_wait_dscnt 0x1
	s_delay_alu instid0(VALU_DEP_1) | instskip(SKIP_1) | instid1(VALU_DEP_1)
	v_fmac_f64_e32 v[112:113], v[88:89], v[98:99]
	s_wait_loadcnt 0x1
	v_fmac_f64_e32 v[112:113], v[90:91], v[100:101]
	s_wait_dscnt 0x0
	s_delay_alu instid0(VALU_DEP_1) | instskip(SKIP_1) | instid1(VALU_DEP_1)
	v_fmac_f64_e32 v[112:113], v[92:93], v[82:83]
	s_wait_loadcnt 0x0
	v_fmac_f64_e32 v[112:113], v[108:109], v[84:85]
	s_delay_alu instid0(VALU_DEP_1)
	v_add_f64_e64 v[2:3], v[80:81], -v[112:113]
	scratch_store_b64 off, v[2:3], off offset:152
	s_wait_xcnt 0x0
	v_cmpx_lt_u32_e32 18, v0
	s_cbranch_execz .LBB101_201
; %bb.200:
	scratch_load_b64 v[2:3], off, off offset:144
	v_mov_b64_e32 v[80:81], 0
	scratch_store_b64 off, v[80:81], off offset:144
	s_wait_loadcnt 0x0
	ds_store_b64 v1, v[2:3]
.LBB101_201:
	s_wait_xcnt 0x0
	s_or_b32 exec_lo, exec_lo, s0
	s_wait_storecnt_dscnt 0x0
	s_barrier_signal -1
	s_barrier_wait -1
	s_clause 0x5
	scratch_load_b128 v[80:83], off, off offset:144
	scratch_load_b128 v[84:87], off, off offset:160
	;; [unrolled: 1-line block ×6, first 2 shown]
	v_mov_b32_e32 v2, 0
	ds_load_2addr_b64 v[104:107], v2 offset0:57 offset1:58
	ds_load_2addr_b64 v[108:111], v2 offset0:59 offset1:60
	s_mov_b32 s0, exec_lo
	s_wait_loadcnt_dscnt 0x501
	v_fma_f64 v[112:113], v[82:83], v[104:105], 0
	s_wait_loadcnt 0x4
	s_delay_alu instid0(VALU_DEP_1) | instskip(SKIP_4) | instid1(VALU_DEP_1)
	v_fmac_f64_e32 v[112:113], v[84:85], v[106:107]
	scratch_load_b128 v[82:85], off, off offset:240
	s_wait_dscnt 0x0
	v_fmac_f64_e32 v[112:113], v[86:87], v[108:109]
	s_wait_loadcnt 0x4
	v_fmac_f64_e32 v[112:113], v[88:89], v[110:111]
	scratch_load_b128 v[86:89], off, off offset:256
	ds_load_2addr_b64 v[104:107], v2 offset0:61 offset1:62
	ds_load_2addr_b64 v[108:111], v2 offset0:63 offset1:64
	s_wait_dscnt 0x1
	v_fmac_f64_e32 v[112:113], v[90:91], v[104:105]
	s_wait_loadcnt 0x4
	s_delay_alu instid0(VALU_DEP_1) | instskip(SKIP_4) | instid1(VALU_DEP_1)
	v_fmac_f64_e32 v[112:113], v[92:93], v[106:107]
	scratch_load_b128 v[90:93], off, off offset:272
	s_wait_dscnt 0x0
	v_fmac_f64_e32 v[112:113], v[94:95], v[108:109]
	s_wait_loadcnt 0x4
	v_fmac_f64_e32 v[112:113], v[96:97], v[110:111]
	scratch_load_b128 v[94:97], off, off offset:288
	ds_load_2addr_b64 v[104:107], v2 offset0:65 offset1:66
	ds_load_2addr_b64 v[108:111], v2 offset0:67 offset1:68
	s_wait_dscnt 0x1
	v_fmac_f64_e32 v[112:113], v[98:99], v[104:105]
	s_wait_loadcnt 0x4
	s_delay_alu instid0(VALU_DEP_1) | instskip(SKIP_1) | instid1(VALU_DEP_1)
	v_fmac_f64_e32 v[112:113], v[100:101], v[106:107]
	s_wait_dscnt 0x0
	v_fmac_f64_e32 v[112:113], v[102:103], v[108:109]
	ds_load_2addr_b64 v[98:101], v2 offset0:69 offset1:70
	ds_load_2addr_b64 v[102:105], v2 offset0:71 offset1:72
	s_wait_loadcnt 0x3
	v_fmac_f64_e32 v[112:113], v[82:83], v[110:111]
	s_wait_dscnt 0x1
	s_delay_alu instid0(VALU_DEP_1) | instskip(SKIP_1) | instid1(VALU_DEP_1)
	v_fmac_f64_e32 v[112:113], v[84:85], v[98:99]
	s_wait_loadcnt 0x2
	v_fmac_f64_e32 v[112:113], v[86:87], v[100:101]
	ds_load_2addr_b64 v[82:85], v2 offset0:73 offset1:74
	ds_load_b64 v[86:87], v2 offset:600
	s_wait_dscnt 0x2
	v_fmac_f64_e32 v[112:113], v[88:89], v[102:103]
	s_wait_loadcnt 0x1
	s_delay_alu instid0(VALU_DEP_1) | instskip(SKIP_1) | instid1(VALU_DEP_1)
	v_fmac_f64_e32 v[112:113], v[90:91], v[104:105]
	s_wait_dscnt 0x1
	v_fmac_f64_e32 v[112:113], v[92:93], v[82:83]
	s_wait_loadcnt 0x0
	s_delay_alu instid0(VALU_DEP_1) | instskip(SKIP_1) | instid1(VALU_DEP_1)
	v_fmac_f64_e32 v[112:113], v[94:95], v[84:85]
	s_wait_dscnt 0x0
	v_fmac_f64_e32 v[112:113], v[96:97], v[86:87]
	s_delay_alu instid0(VALU_DEP_1)
	v_add_f64_e64 v[80:81], v[80:81], -v[112:113]
	scratch_store_b64 off, v[80:81], off offset:144
	s_wait_xcnt 0x0
	v_cmpx_lt_u32_e32 17, v0
	s_cbranch_execz .LBB101_203
; %bb.202:
	scratch_load_b64 v[80:81], off, off offset:136
	v_mov_b64_e32 v[82:83], 0
	scratch_store_b64 off, v[82:83], off offset:136
	s_wait_loadcnt 0x0
	ds_store_b64 v1, v[80:81]
.LBB101_203:
	s_wait_xcnt 0x0
	s_or_b32 exec_lo, exec_lo, s0
	s_wait_storecnt_dscnt 0x0
	s_barrier_signal -1
	s_barrier_wait -1
	s_clause 0x5
	scratch_load_b128 v[80:83], off, off offset:136
	scratch_load_b128 v[84:87], off, off offset:152
	scratch_load_b128 v[88:91], off, off offset:168
	scratch_load_b128 v[92:95], off, off offset:184
	scratch_load_b128 v[96:99], off, off offset:200
	scratch_load_b128 v[100:103], off, off offset:216
	ds_load_b128 v[104:107], v2 offset:448
	ds_load_b128 v[108:111], v2 offset:464
	s_mov_b32 s0, exec_lo
	s_wait_loadcnt_dscnt 0x501
	v_fma_f64 v[112:113], v[82:83], v[104:105], 0
	s_wait_loadcnt 0x4
	s_delay_alu instid0(VALU_DEP_1) | instskip(SKIP_4) | instid1(VALU_DEP_1)
	v_fmac_f64_e32 v[112:113], v[84:85], v[106:107]
	scratch_load_b128 v[82:85], off, off offset:232
	s_wait_dscnt 0x0
	v_fmac_f64_e32 v[112:113], v[86:87], v[108:109]
	s_wait_loadcnt 0x4
	v_fmac_f64_e32 v[112:113], v[88:89], v[110:111]
	scratch_load_b128 v[86:89], off, off offset:248
	ds_load_b128 v[104:107], v2 offset:480
	ds_load_b128 v[108:111], v2 offset:496
	s_wait_dscnt 0x1
	v_fmac_f64_e32 v[112:113], v[90:91], v[104:105]
	s_wait_loadcnt 0x4
	s_delay_alu instid0(VALU_DEP_1) | instskip(SKIP_4) | instid1(VALU_DEP_1)
	v_fmac_f64_e32 v[112:113], v[92:93], v[106:107]
	scratch_load_b128 v[90:93], off, off offset:264
	s_wait_dscnt 0x0
	v_fmac_f64_e32 v[112:113], v[94:95], v[108:109]
	s_wait_loadcnt 0x4
	v_fmac_f64_e32 v[112:113], v[96:97], v[110:111]
	scratch_load_b128 v[94:97], off, off offset:280
	ds_load_b128 v[104:107], v2 offset:512
	ds_load_b128 v[108:111], v2 offset:528
	s_wait_dscnt 0x1
	v_fmac_f64_e32 v[112:113], v[98:99], v[104:105]
	s_wait_loadcnt 0x4
	s_delay_alu instid0(VALU_DEP_1)
	v_fmac_f64_e32 v[112:113], v[100:101], v[106:107]
	scratch_load_b64 v[106:107], off, off offset:296
	s_wait_dscnt 0x0
	v_fmac_f64_e32 v[112:113], v[102:103], v[108:109]
	ds_load_b128 v[98:101], v2 offset:544
	ds_load_b128 v[102:105], v2 offset:560
	s_wait_loadcnt 0x4
	v_fmac_f64_e32 v[112:113], v[82:83], v[110:111]
	s_wait_dscnt 0x1
	s_delay_alu instid0(VALU_DEP_1) | instskip(SKIP_1) | instid1(VALU_DEP_1)
	v_fmac_f64_e32 v[112:113], v[84:85], v[98:99]
	s_wait_loadcnt 0x3
	v_fmac_f64_e32 v[112:113], v[86:87], v[100:101]
	s_wait_dscnt 0x0
	s_delay_alu instid0(VALU_DEP_1)
	v_fmac_f64_e32 v[112:113], v[88:89], v[102:103]
	ds_load_b128 v[82:85], v2 offset:576
	ds_load_b128 v[86:89], v2 offset:592
	s_wait_loadcnt 0x2
	v_fmac_f64_e32 v[112:113], v[90:91], v[104:105]
	s_wait_dscnt 0x1
	s_delay_alu instid0(VALU_DEP_1) | instskip(SKIP_1) | instid1(VALU_DEP_1)
	v_fmac_f64_e32 v[112:113], v[92:93], v[82:83]
	s_wait_loadcnt 0x1
	v_fmac_f64_e32 v[112:113], v[94:95], v[84:85]
	s_wait_dscnt 0x0
	s_delay_alu instid0(VALU_DEP_1) | instskip(SKIP_1) | instid1(VALU_DEP_1)
	v_fmac_f64_e32 v[112:113], v[96:97], v[86:87]
	s_wait_loadcnt 0x0
	v_fmac_f64_e32 v[112:113], v[106:107], v[88:89]
	s_delay_alu instid0(VALU_DEP_1)
	v_add_f64_e64 v[2:3], v[80:81], -v[112:113]
	scratch_store_b64 off, v[2:3], off offset:136
	s_wait_xcnt 0x0
	v_cmpx_lt_u32_e32 16, v0
	s_cbranch_execz .LBB101_205
; %bb.204:
	scratch_load_b64 v[2:3], off, off offset:128
	v_mov_b64_e32 v[80:81], 0
	scratch_store_b64 off, v[80:81], off offset:128
	s_wait_loadcnt 0x0
	ds_store_b64 v1, v[2:3]
.LBB101_205:
	s_wait_xcnt 0x0
	s_or_b32 exec_lo, exec_lo, s0
	s_wait_storecnt_dscnt 0x0
	s_barrier_signal -1
	s_barrier_wait -1
	s_clause 0x5
	scratch_load_b128 v[80:83], off, off offset:128
	scratch_load_b128 v[84:87], off, off offset:144
	;; [unrolled: 1-line block ×6, first 2 shown]
	v_mov_b32_e32 v2, 0
	ds_load_2addr_b64 v[104:107], v2 offset0:55 offset1:56
	ds_load_2addr_b64 v[108:111], v2 offset0:57 offset1:58
	s_mov_b32 s0, exec_lo
	s_wait_loadcnt_dscnt 0x501
	v_fma_f64 v[112:113], v[82:83], v[104:105], 0
	s_wait_loadcnt 0x4
	s_delay_alu instid0(VALU_DEP_1) | instskip(SKIP_4) | instid1(VALU_DEP_1)
	v_fmac_f64_e32 v[112:113], v[84:85], v[106:107]
	scratch_load_b128 v[82:85], off, off offset:224
	s_wait_dscnt 0x0
	v_fmac_f64_e32 v[112:113], v[86:87], v[108:109]
	s_wait_loadcnt 0x4
	v_fmac_f64_e32 v[112:113], v[88:89], v[110:111]
	scratch_load_b128 v[86:89], off, off offset:240
	ds_load_2addr_b64 v[104:107], v2 offset0:59 offset1:60
	ds_load_2addr_b64 v[108:111], v2 offset0:61 offset1:62
	s_wait_dscnt 0x1
	v_fmac_f64_e32 v[112:113], v[90:91], v[104:105]
	s_wait_loadcnt 0x4
	s_delay_alu instid0(VALU_DEP_1) | instskip(SKIP_4) | instid1(VALU_DEP_1)
	v_fmac_f64_e32 v[112:113], v[92:93], v[106:107]
	scratch_load_b128 v[90:93], off, off offset:256
	s_wait_dscnt 0x0
	v_fmac_f64_e32 v[112:113], v[94:95], v[108:109]
	s_wait_loadcnt 0x4
	v_fmac_f64_e32 v[112:113], v[96:97], v[110:111]
	scratch_load_b128 v[94:97], off, off offset:272
	ds_load_2addr_b64 v[104:107], v2 offset0:63 offset1:64
	ds_load_2addr_b64 v[108:111], v2 offset0:65 offset1:66
	s_wait_dscnt 0x1
	v_fmac_f64_e32 v[112:113], v[98:99], v[104:105]
	s_wait_loadcnt 0x4
	s_delay_alu instid0(VALU_DEP_1)
	v_fmac_f64_e32 v[112:113], v[100:101], v[106:107]
	scratch_load_b128 v[98:101], off, off offset:288
	s_wait_dscnt 0x0
	v_fmac_f64_e32 v[112:113], v[102:103], v[108:109]
	ds_load_2addr_b64 v[102:105], v2 offset0:67 offset1:68
	ds_load_2addr_b64 v[106:109], v2 offset0:69 offset1:70
	s_wait_loadcnt 0x4
	v_fmac_f64_e32 v[112:113], v[82:83], v[110:111]
	s_wait_dscnt 0x1
	s_delay_alu instid0(VALU_DEP_1) | instskip(SKIP_1) | instid1(VALU_DEP_1)
	v_fmac_f64_e32 v[112:113], v[84:85], v[102:103]
	s_wait_loadcnt 0x3
	v_fmac_f64_e32 v[112:113], v[86:87], v[104:105]
	s_wait_dscnt 0x0
	s_delay_alu instid0(VALU_DEP_1)
	v_fmac_f64_e32 v[112:113], v[88:89], v[106:107]
	ds_load_2addr_b64 v[82:85], v2 offset0:71 offset1:72
	ds_load_2addr_b64 v[86:89], v2 offset0:73 offset1:74
	s_wait_loadcnt 0x2
	v_fmac_f64_e32 v[112:113], v[90:91], v[108:109]
	s_wait_dscnt 0x1
	s_delay_alu instid0(VALU_DEP_1) | instskip(SKIP_4) | instid1(VALU_DEP_1)
	v_fmac_f64_e32 v[112:113], v[92:93], v[82:83]
	ds_load_b64 v[82:83], v2 offset:600
	s_wait_loadcnt 0x1
	v_fmac_f64_e32 v[112:113], v[94:95], v[84:85]
	s_wait_dscnt 0x1
	v_fmac_f64_e32 v[112:113], v[96:97], v[86:87]
	s_wait_loadcnt 0x0
	s_delay_alu instid0(VALU_DEP_1) | instskip(SKIP_1) | instid1(VALU_DEP_1)
	v_fmac_f64_e32 v[112:113], v[98:99], v[88:89]
	s_wait_dscnt 0x0
	v_fmac_f64_e32 v[112:113], v[100:101], v[82:83]
	s_delay_alu instid0(VALU_DEP_1)
	v_add_f64_e64 v[80:81], v[80:81], -v[112:113]
	scratch_store_b64 off, v[80:81], off offset:128
	s_wait_xcnt 0x0
	v_cmpx_lt_u32_e32 15, v0
	s_cbranch_execz .LBB101_207
; %bb.206:
	scratch_load_b64 v[80:81], off, off offset:120
	v_mov_b64_e32 v[82:83], 0
	scratch_store_b64 off, v[82:83], off offset:120
	s_wait_loadcnt 0x0
	ds_store_b64 v1, v[80:81]
.LBB101_207:
	s_wait_xcnt 0x0
	s_or_b32 exec_lo, exec_lo, s0
	s_wait_storecnt_dscnt 0x0
	s_barrier_signal -1
	s_barrier_wait -1
	s_clause 0x5
	scratch_load_b128 v[80:83], off, off offset:120
	scratch_load_b128 v[84:87], off, off offset:136
	;; [unrolled: 1-line block ×6, first 2 shown]
	ds_load_b128 v[104:107], v2 offset:432
	ds_load_b128 v[108:111], v2 offset:448
	scratch_load_b128 v[112:115], off, off offset:216
	s_mov_b32 s0, exec_lo
	s_wait_loadcnt_dscnt 0x601
	v_fma_f64 v[116:117], v[82:83], v[104:105], 0
	s_wait_loadcnt 0x5
	s_delay_alu instid0(VALU_DEP_1) | instskip(SKIP_4) | instid1(VALU_DEP_1)
	v_fmac_f64_e32 v[116:117], v[84:85], v[106:107]
	scratch_load_b128 v[82:85], off, off offset:232
	s_wait_dscnt 0x0
	v_fmac_f64_e32 v[116:117], v[86:87], v[108:109]
	s_wait_loadcnt 0x5
	v_fmac_f64_e32 v[116:117], v[88:89], v[110:111]
	ds_load_b128 v[86:89], v2 offset:464
	ds_load_b128 v[104:107], v2 offset:480
	s_wait_dscnt 0x1
	v_fmac_f64_e32 v[116:117], v[90:91], v[86:87]
	s_wait_loadcnt 0x4
	s_delay_alu instid0(VALU_DEP_1)
	v_fmac_f64_e32 v[116:117], v[92:93], v[88:89]
	s_clause 0x1
	scratch_load_b128 v[86:89], off, off offset:248
	scratch_load_b128 v[90:93], off, off offset:264
	s_wait_dscnt 0x0
	v_fmac_f64_e32 v[116:117], v[94:95], v[104:105]
	s_wait_loadcnt 0x5
	s_delay_alu instid0(VALU_DEP_1)
	v_fmac_f64_e32 v[116:117], v[96:97], v[106:107]
	ds_load_b128 v[94:97], v2 offset:496
	ds_load_b128 v[104:107], v2 offset:512
	s_wait_dscnt 0x1
	v_fmac_f64_e32 v[116:117], v[98:99], v[94:95]
	s_wait_loadcnt 0x4
	s_delay_alu instid0(VALU_DEP_1) | instskip(SKIP_4) | instid1(VALU_DEP_1)
	v_fmac_f64_e32 v[116:117], v[100:101], v[96:97]
	scratch_load_b128 v[94:97], off, off offset:280
	s_wait_dscnt 0x0
	v_fmac_f64_e32 v[116:117], v[102:103], v[104:105]
	s_wait_loadcnt 0x4
	v_fmac_f64_e32 v[116:117], v[112:113], v[106:107]
	scratch_load_b64 v[106:107], off, off offset:296
	ds_load_b128 v[98:101], v2 offset:528
	ds_load_b128 v[102:105], v2 offset:544
	s_wait_dscnt 0x1
	v_fmac_f64_e32 v[116:117], v[114:115], v[98:99]
	s_wait_loadcnt 0x4
	s_delay_alu instid0(VALU_DEP_1) | instskip(SKIP_1) | instid1(VALU_DEP_1)
	v_fmac_f64_e32 v[116:117], v[82:83], v[100:101]
	s_wait_dscnt 0x0
	v_fmac_f64_e32 v[116:117], v[84:85], v[102:103]
	ds_load_b128 v[82:85], v2 offset:560
	ds_load_b128 v[98:101], v2 offset:576
	s_wait_loadcnt 0x3
	v_fmac_f64_e32 v[116:117], v[86:87], v[104:105]
	s_wait_dscnt 0x1
	s_delay_alu instid0(VALU_DEP_1) | instskip(SKIP_1) | instid1(VALU_DEP_1)
	v_fmac_f64_e32 v[116:117], v[88:89], v[82:83]
	s_wait_loadcnt 0x2
	v_fmac_f64_e32 v[116:117], v[90:91], v[84:85]
	ds_load_b128 v[82:85], v2 offset:592
	s_wait_dscnt 0x1
	v_fmac_f64_e32 v[116:117], v[92:93], v[98:99]
	s_wait_loadcnt 0x1
	s_delay_alu instid0(VALU_DEP_1) | instskip(SKIP_1) | instid1(VALU_DEP_1)
	v_fmac_f64_e32 v[116:117], v[94:95], v[100:101]
	s_wait_dscnt 0x0
	v_fmac_f64_e32 v[116:117], v[96:97], v[82:83]
	s_wait_loadcnt 0x0
	s_delay_alu instid0(VALU_DEP_1) | instskip(NEXT) | instid1(VALU_DEP_1)
	v_fmac_f64_e32 v[116:117], v[106:107], v[84:85]
	v_add_f64_e64 v[2:3], v[80:81], -v[116:117]
	scratch_store_b64 off, v[2:3], off offset:120
	s_wait_xcnt 0x0
	v_cmpx_lt_u32_e32 14, v0
	s_cbranch_execz .LBB101_209
; %bb.208:
	scratch_load_b64 v[2:3], off, off offset:112
	v_mov_b64_e32 v[80:81], 0
	scratch_store_b64 off, v[80:81], off offset:112
	s_wait_loadcnt 0x0
	ds_store_b64 v1, v[2:3]
.LBB101_209:
	s_wait_xcnt 0x0
	s_or_b32 exec_lo, exec_lo, s0
	s_wait_storecnt_dscnt 0x0
	s_barrier_signal -1
	s_barrier_wait -1
	s_clause 0x5
	scratch_load_b128 v[80:83], off, off offset:112
	scratch_load_b128 v[84:87], off, off offset:128
	;; [unrolled: 1-line block ×6, first 2 shown]
	v_mov_b32_e32 v2, 0
	ds_load_2addr_b64 v[104:107], v2 offset0:53 offset1:54
	ds_load_2addr_b64 v[108:111], v2 offset0:55 offset1:56
	scratch_load_b128 v[112:115], off, off offset:208
	s_mov_b32 s0, exec_lo
	s_wait_loadcnt_dscnt 0x601
	v_fma_f64 v[116:117], v[82:83], v[104:105], 0
	s_wait_loadcnt 0x5
	s_delay_alu instid0(VALU_DEP_1) | instskip(SKIP_4) | instid1(VALU_DEP_1)
	v_fmac_f64_e32 v[116:117], v[84:85], v[106:107]
	scratch_load_b128 v[82:85], off, off offset:224
	s_wait_dscnt 0x0
	v_fmac_f64_e32 v[116:117], v[86:87], v[108:109]
	s_wait_loadcnt 0x5
	v_fmac_f64_e32 v[116:117], v[88:89], v[110:111]
	ds_load_2addr_b64 v[86:89], v2 offset0:57 offset1:58
	ds_load_2addr_b64 v[104:107], v2 offset0:59 offset1:60
	s_wait_dscnt 0x1
	v_fmac_f64_e32 v[116:117], v[90:91], v[86:87]
	s_wait_loadcnt 0x4
	s_delay_alu instid0(VALU_DEP_1)
	v_fmac_f64_e32 v[116:117], v[92:93], v[88:89]
	s_clause 0x1
	scratch_load_b128 v[86:89], off, off offset:240
	scratch_load_b128 v[90:93], off, off offset:256
	s_wait_dscnt 0x0
	v_fmac_f64_e32 v[116:117], v[94:95], v[104:105]
	s_wait_loadcnt 0x5
	s_delay_alu instid0(VALU_DEP_1)
	v_fmac_f64_e32 v[116:117], v[96:97], v[106:107]
	ds_load_2addr_b64 v[94:97], v2 offset0:61 offset1:62
	ds_load_2addr_b64 v[104:107], v2 offset0:63 offset1:64
	s_wait_dscnt 0x1
	v_fmac_f64_e32 v[116:117], v[98:99], v[94:95]
	s_wait_loadcnt 0x4
	s_delay_alu instid0(VALU_DEP_1)
	v_fmac_f64_e32 v[116:117], v[100:101], v[96:97]
	s_clause 0x1
	scratch_load_b128 v[94:97], off, off offset:272
	scratch_load_b128 v[98:101], off, off offset:288
	s_wait_dscnt 0x0
	v_fmac_f64_e32 v[116:117], v[102:103], v[104:105]
	s_wait_loadcnt 0x5
	s_delay_alu instid0(VALU_DEP_1)
	v_fmac_f64_e32 v[116:117], v[112:113], v[106:107]
	ds_load_2addr_b64 v[102:105], v2 offset0:65 offset1:66
	ds_load_2addr_b64 v[106:109], v2 offset0:67 offset1:68
	s_wait_dscnt 0x1
	v_fmac_f64_e32 v[116:117], v[114:115], v[102:103]
	s_wait_loadcnt 0x4
	s_delay_alu instid0(VALU_DEP_1) | instskip(SKIP_1) | instid1(VALU_DEP_1)
	v_fmac_f64_e32 v[116:117], v[82:83], v[104:105]
	s_wait_dscnt 0x0
	v_fmac_f64_e32 v[116:117], v[84:85], v[106:107]
	ds_load_2addr_b64 v[82:85], v2 offset0:69 offset1:70
	ds_load_2addr_b64 v[102:105], v2 offset0:71 offset1:72
	s_wait_loadcnt 0x3
	v_fmac_f64_e32 v[116:117], v[86:87], v[108:109]
	s_wait_dscnt 0x1
	s_delay_alu instid0(VALU_DEP_1) | instskip(SKIP_1) | instid1(VALU_DEP_1)
	v_fmac_f64_e32 v[116:117], v[88:89], v[82:83]
	s_wait_loadcnt 0x2
	v_fmac_f64_e32 v[116:117], v[90:91], v[84:85]
	ds_load_2addr_b64 v[82:85], v2 offset0:73 offset1:74
	ds_load_b64 v[86:87], v2 offset:600
	s_wait_dscnt 0x2
	v_fmac_f64_e32 v[116:117], v[92:93], v[102:103]
	s_wait_loadcnt 0x1
	s_delay_alu instid0(VALU_DEP_1) | instskip(SKIP_1) | instid1(VALU_DEP_1)
	v_fmac_f64_e32 v[116:117], v[94:95], v[104:105]
	s_wait_dscnt 0x1
	v_fmac_f64_e32 v[116:117], v[96:97], v[82:83]
	s_wait_loadcnt 0x0
	s_delay_alu instid0(VALU_DEP_1) | instskip(SKIP_1) | instid1(VALU_DEP_1)
	v_fmac_f64_e32 v[116:117], v[98:99], v[84:85]
	s_wait_dscnt 0x0
	v_fmac_f64_e32 v[116:117], v[100:101], v[86:87]
	s_delay_alu instid0(VALU_DEP_1)
	v_add_f64_e64 v[80:81], v[80:81], -v[116:117]
	scratch_store_b64 off, v[80:81], off offset:112
	s_wait_xcnt 0x0
	v_cmpx_lt_u32_e32 13, v0
	s_cbranch_execz .LBB101_211
; %bb.210:
	scratch_load_b64 v[80:81], off, off offset:104
	v_mov_b64_e32 v[82:83], 0
	scratch_store_b64 off, v[82:83], off offset:104
	s_wait_loadcnt 0x0
	ds_store_b64 v1, v[80:81]
.LBB101_211:
	s_wait_xcnt 0x0
	s_or_b32 exec_lo, exec_lo, s0
	s_wait_storecnt_dscnt 0x0
	s_barrier_signal -1
	s_barrier_wait -1
	s_clause 0x5
	scratch_load_b128 v[80:83], off, off offset:104
	scratch_load_b128 v[84:87], off, off offset:120
	scratch_load_b128 v[88:91], off, off offset:136
	scratch_load_b128 v[92:95], off, off offset:152
	scratch_load_b128 v[96:99], off, off offset:168
	scratch_load_b128 v[100:103], off, off offset:184
	ds_load_b128 v[104:107], v2 offset:416
	ds_load_b128 v[108:111], v2 offset:432
	scratch_load_b128 v[112:115], off, off offset:200
	s_mov_b32 s0, exec_lo
	s_wait_loadcnt_dscnt 0x601
	v_fma_f64 v[116:117], v[82:83], v[104:105], 0
	s_wait_loadcnt 0x5
	s_delay_alu instid0(VALU_DEP_1) | instskip(SKIP_4) | instid1(VALU_DEP_1)
	v_fmac_f64_e32 v[116:117], v[84:85], v[106:107]
	scratch_load_b128 v[82:85], off, off offset:216
	s_wait_dscnt 0x0
	v_fmac_f64_e32 v[116:117], v[86:87], v[108:109]
	s_wait_loadcnt 0x5
	v_fmac_f64_e32 v[116:117], v[88:89], v[110:111]
	ds_load_b128 v[86:89], v2 offset:448
	ds_load_b128 v[104:107], v2 offset:464
	s_wait_dscnt 0x1
	v_fmac_f64_e32 v[116:117], v[90:91], v[86:87]
	s_wait_loadcnt 0x4
	s_delay_alu instid0(VALU_DEP_1)
	v_fmac_f64_e32 v[116:117], v[92:93], v[88:89]
	s_clause 0x1
	scratch_load_b128 v[86:89], off, off offset:232
	scratch_load_b128 v[90:93], off, off offset:248
	s_wait_dscnt 0x0
	v_fmac_f64_e32 v[116:117], v[94:95], v[104:105]
	s_wait_loadcnt 0x5
	s_delay_alu instid0(VALU_DEP_1)
	v_fmac_f64_e32 v[116:117], v[96:97], v[106:107]
	ds_load_b128 v[94:97], v2 offset:480
	ds_load_b128 v[104:107], v2 offset:496
	s_wait_dscnt 0x1
	v_fmac_f64_e32 v[116:117], v[98:99], v[94:95]
	s_wait_loadcnt 0x4
	s_delay_alu instid0(VALU_DEP_1)
	v_fmac_f64_e32 v[116:117], v[100:101], v[96:97]
	s_clause 0x1
	scratch_load_b128 v[94:97], off, off offset:264
	scratch_load_b128 v[98:101], off, off offset:280
	s_wait_dscnt 0x0
	v_fmac_f64_e32 v[116:117], v[102:103], v[104:105]
	s_wait_loadcnt 0x5
	s_delay_alu instid0(VALU_DEP_1)
	v_fmac_f64_e32 v[116:117], v[112:113], v[106:107]
	ds_load_b128 v[102:105], v2 offset:512
	ds_load_b128 v[106:109], v2 offset:528
	scratch_load_b64 v[110:111], off, off offset:296
	s_wait_dscnt 0x1
	v_fmac_f64_e32 v[116:117], v[114:115], v[102:103]
	s_wait_loadcnt 0x5
	s_delay_alu instid0(VALU_DEP_1) | instskip(SKIP_1) | instid1(VALU_DEP_1)
	v_fmac_f64_e32 v[116:117], v[82:83], v[104:105]
	s_wait_dscnt 0x0
	v_fmac_f64_e32 v[116:117], v[84:85], v[106:107]
	ds_load_b128 v[82:85], v2 offset:544
	ds_load_b128 v[102:105], v2 offset:560
	s_wait_loadcnt 0x4
	v_fmac_f64_e32 v[116:117], v[86:87], v[108:109]
	s_wait_dscnt 0x1
	s_delay_alu instid0(VALU_DEP_1) | instskip(SKIP_1) | instid1(VALU_DEP_1)
	v_fmac_f64_e32 v[116:117], v[88:89], v[82:83]
	s_wait_loadcnt 0x3
	v_fmac_f64_e32 v[116:117], v[90:91], v[84:85]
	ds_load_b128 v[82:85], v2 offset:576
	ds_load_b128 v[86:89], v2 offset:592
	s_wait_dscnt 0x2
	v_fmac_f64_e32 v[116:117], v[92:93], v[102:103]
	s_wait_loadcnt 0x2
	s_delay_alu instid0(VALU_DEP_1) | instskip(SKIP_1) | instid1(VALU_DEP_1)
	v_fmac_f64_e32 v[116:117], v[94:95], v[104:105]
	s_wait_dscnt 0x1
	v_fmac_f64_e32 v[116:117], v[96:97], v[82:83]
	s_wait_loadcnt 0x1
	s_delay_alu instid0(VALU_DEP_1) | instskip(SKIP_1) | instid1(VALU_DEP_1)
	v_fmac_f64_e32 v[116:117], v[98:99], v[84:85]
	s_wait_dscnt 0x0
	v_fmac_f64_e32 v[116:117], v[100:101], v[86:87]
	s_wait_loadcnt 0x0
	s_delay_alu instid0(VALU_DEP_1) | instskip(NEXT) | instid1(VALU_DEP_1)
	v_fmac_f64_e32 v[116:117], v[110:111], v[88:89]
	v_add_f64_e64 v[2:3], v[80:81], -v[116:117]
	scratch_store_b64 off, v[2:3], off offset:104
	s_wait_xcnt 0x0
	v_cmpx_lt_u32_e32 12, v0
	s_cbranch_execz .LBB101_213
; %bb.212:
	scratch_load_b64 v[2:3], off, off offset:96
	v_mov_b64_e32 v[80:81], 0
	scratch_store_b64 off, v[80:81], off offset:96
	s_wait_loadcnt 0x0
	ds_store_b64 v1, v[2:3]
.LBB101_213:
	s_wait_xcnt 0x0
	s_or_b32 exec_lo, exec_lo, s0
	s_wait_storecnt_dscnt 0x0
	s_barrier_signal -1
	s_barrier_wait -1
	s_clause 0x5
	scratch_load_b128 v[80:83], off, off offset:96
	scratch_load_b128 v[84:87], off, off offset:112
	;; [unrolled: 1-line block ×6, first 2 shown]
	v_mov_b32_e32 v2, 0
	ds_load_2addr_b64 v[104:107], v2 offset0:51 offset1:52
	ds_load_2addr_b64 v[108:111], v2 offset0:53 offset1:54
	scratch_load_b128 v[112:115], off, off offset:192
	s_mov_b32 s0, exec_lo
	s_wait_loadcnt_dscnt 0x601
	v_fma_f64 v[116:117], v[82:83], v[104:105], 0
	s_wait_loadcnt 0x5
	s_delay_alu instid0(VALU_DEP_1) | instskip(SKIP_4) | instid1(VALU_DEP_1)
	v_fmac_f64_e32 v[116:117], v[84:85], v[106:107]
	scratch_load_b128 v[82:85], off, off offset:208
	s_wait_dscnt 0x0
	v_fmac_f64_e32 v[116:117], v[86:87], v[108:109]
	s_wait_loadcnt 0x5
	v_fmac_f64_e32 v[116:117], v[88:89], v[110:111]
	ds_load_2addr_b64 v[86:89], v2 offset0:55 offset1:56
	ds_load_2addr_b64 v[104:107], v2 offset0:57 offset1:58
	s_wait_dscnt 0x1
	v_fmac_f64_e32 v[116:117], v[90:91], v[86:87]
	s_wait_loadcnt 0x4
	s_delay_alu instid0(VALU_DEP_1)
	v_fmac_f64_e32 v[116:117], v[92:93], v[88:89]
	s_clause 0x1
	scratch_load_b128 v[86:89], off, off offset:224
	scratch_load_b128 v[90:93], off, off offset:240
	s_wait_dscnt 0x0
	v_fmac_f64_e32 v[116:117], v[94:95], v[104:105]
	s_wait_loadcnt 0x5
	s_delay_alu instid0(VALU_DEP_1)
	v_fmac_f64_e32 v[116:117], v[96:97], v[106:107]
	ds_load_2addr_b64 v[94:97], v2 offset0:59 offset1:60
	ds_load_2addr_b64 v[104:107], v2 offset0:61 offset1:62
	s_wait_dscnt 0x1
	v_fmac_f64_e32 v[116:117], v[98:99], v[94:95]
	s_wait_loadcnt 0x4
	s_delay_alu instid0(VALU_DEP_1)
	v_fmac_f64_e32 v[116:117], v[100:101], v[96:97]
	s_clause 0x1
	scratch_load_b128 v[94:97], off, off offset:256
	scratch_load_b128 v[98:101], off, off offset:272
	s_wait_dscnt 0x0
	v_fmac_f64_e32 v[116:117], v[102:103], v[104:105]
	s_wait_loadcnt 0x5
	s_delay_alu instid0(VALU_DEP_1)
	v_fmac_f64_e32 v[116:117], v[112:113], v[106:107]
	ds_load_2addr_b64 v[102:105], v2 offset0:63 offset1:64
	ds_load_2addr_b64 v[106:109], v2 offset0:65 offset1:66
	s_wait_dscnt 0x1
	v_fmac_f64_e32 v[116:117], v[114:115], v[102:103]
	s_wait_loadcnt 0x4
	s_delay_alu instid0(VALU_DEP_1) | instskip(SKIP_4) | instid1(VALU_DEP_1)
	v_fmac_f64_e32 v[116:117], v[82:83], v[104:105]
	scratch_load_b128 v[102:105], off, off offset:288
	s_wait_dscnt 0x0
	v_fmac_f64_e32 v[116:117], v[84:85], v[106:107]
	s_wait_loadcnt 0x4
	v_fmac_f64_e32 v[116:117], v[86:87], v[108:109]
	ds_load_2addr_b64 v[82:85], v2 offset0:67 offset1:68
	ds_load_2addr_b64 v[106:109], v2 offset0:69 offset1:70
	s_wait_dscnt 0x1
	v_fmac_f64_e32 v[116:117], v[88:89], v[82:83]
	s_wait_loadcnt 0x3
	s_delay_alu instid0(VALU_DEP_1)
	v_fmac_f64_e32 v[116:117], v[90:91], v[84:85]
	ds_load_2addr_b64 v[82:85], v2 offset0:71 offset1:72
	ds_load_2addr_b64 v[86:89], v2 offset0:73 offset1:74
	s_wait_dscnt 0x2
	v_fmac_f64_e32 v[116:117], v[92:93], v[106:107]
	s_wait_loadcnt 0x2
	s_delay_alu instid0(VALU_DEP_1) | instskip(SKIP_1) | instid1(VALU_DEP_1)
	v_fmac_f64_e32 v[116:117], v[94:95], v[108:109]
	s_wait_dscnt 0x1
	v_fmac_f64_e32 v[116:117], v[96:97], v[82:83]
	ds_load_b64 v[82:83], v2 offset:600
	s_wait_loadcnt 0x1
	v_fmac_f64_e32 v[116:117], v[98:99], v[84:85]
	s_wait_dscnt 0x1
	s_delay_alu instid0(VALU_DEP_1) | instskip(SKIP_1) | instid1(VALU_DEP_1)
	v_fmac_f64_e32 v[116:117], v[100:101], v[86:87]
	s_wait_loadcnt 0x0
	v_fmac_f64_e32 v[116:117], v[102:103], v[88:89]
	s_wait_dscnt 0x0
	s_delay_alu instid0(VALU_DEP_1) | instskip(NEXT) | instid1(VALU_DEP_1)
	v_fmac_f64_e32 v[116:117], v[104:105], v[82:83]
	v_add_f64_e64 v[80:81], v[80:81], -v[116:117]
	scratch_store_b64 off, v[80:81], off offset:96
	s_wait_xcnt 0x0
	v_cmpx_lt_u32_e32 11, v0
	s_cbranch_execz .LBB101_215
; %bb.214:
	scratch_load_b64 v[80:81], off, off offset:88
	v_mov_b64_e32 v[82:83], 0
	scratch_store_b64 off, v[82:83], off offset:88
	s_wait_loadcnt 0x0
	ds_store_b64 v1, v[80:81]
.LBB101_215:
	s_wait_xcnt 0x0
	s_or_b32 exec_lo, exec_lo, s0
	s_wait_storecnt_dscnt 0x0
	s_barrier_signal -1
	s_barrier_wait -1
	s_clause 0x5
	scratch_load_b128 v[80:83], off, off offset:88
	scratch_load_b128 v[84:87], off, off offset:104
	;; [unrolled: 1-line block ×6, first 2 shown]
	ds_load_b128 v[104:107], v2 offset:400
	ds_load_b128 v[108:111], v2 offset:416
	scratch_load_b128 v[112:115], off, off offset:184
	s_mov_b32 s0, exec_lo
	s_wait_loadcnt_dscnt 0x601
	v_fma_f64 v[116:117], v[82:83], v[104:105], 0
	s_wait_loadcnt 0x5
	s_delay_alu instid0(VALU_DEP_1) | instskip(SKIP_4) | instid1(VALU_DEP_1)
	v_fmac_f64_e32 v[116:117], v[84:85], v[106:107]
	scratch_load_b128 v[82:85], off, off offset:200
	s_wait_dscnt 0x0
	v_fmac_f64_e32 v[116:117], v[86:87], v[108:109]
	s_wait_loadcnt 0x5
	v_fmac_f64_e32 v[116:117], v[88:89], v[110:111]
	ds_load_b128 v[86:89], v2 offset:432
	ds_load_b128 v[104:107], v2 offset:448
	scratch_load_b128 v[108:111], off, off offset:216
	s_wait_dscnt 0x1
	v_fmac_f64_e32 v[116:117], v[90:91], v[86:87]
	s_wait_loadcnt 0x5
	s_delay_alu instid0(VALU_DEP_1) | instskip(SKIP_4) | instid1(VALU_DEP_1)
	v_fmac_f64_e32 v[116:117], v[92:93], v[88:89]
	scratch_load_b128 v[86:89], off, off offset:232
	s_wait_dscnt 0x0
	v_fmac_f64_e32 v[116:117], v[94:95], v[104:105]
	s_wait_loadcnt 0x5
	v_fmac_f64_e32 v[116:117], v[96:97], v[106:107]
	ds_load_b128 v[90:93], v2 offset:464
	ds_load_b128 v[94:97], v2 offset:480
	s_wait_dscnt 0x1
	v_fmac_f64_e32 v[116:117], v[98:99], v[90:91]
	s_wait_loadcnt 0x4
	s_delay_alu instid0(VALU_DEP_1) | instskip(SKIP_4) | instid1(VALU_DEP_1)
	v_fmac_f64_e32 v[116:117], v[100:101], v[92:93]
	scratch_load_b128 v[90:93], off, off offset:248
	s_wait_dscnt 0x0
	v_fmac_f64_e32 v[116:117], v[102:103], v[94:95]
	s_wait_loadcnt 0x4
	v_fmac_f64_e32 v[116:117], v[112:113], v[96:97]
	scratch_load_b128 v[94:97], off, off offset:264
	ds_load_b128 v[98:101], v2 offset:496
	ds_load_b128 v[102:105], v2 offset:512
	scratch_load_b64 v[106:107], off, off offset:296
	s_wait_dscnt 0x1
	v_fmac_f64_e32 v[116:117], v[114:115], v[98:99]
	s_wait_loadcnt 0x5
	s_delay_alu instid0(VALU_DEP_1) | instskip(SKIP_4) | instid1(VALU_DEP_1)
	v_fmac_f64_e32 v[116:117], v[82:83], v[100:101]
	scratch_load_b128 v[98:101], off, off offset:280
	s_wait_dscnt 0x0
	v_fmac_f64_e32 v[116:117], v[84:85], v[102:103]
	s_wait_loadcnt 0x5
	v_fmac_f64_e32 v[116:117], v[108:109], v[104:105]
	ds_load_b128 v[82:85], v2 offset:528
	ds_load_b128 v[102:105], v2 offset:544
	s_wait_dscnt 0x1
	v_fmac_f64_e32 v[116:117], v[110:111], v[82:83]
	s_wait_loadcnt 0x4
	s_delay_alu instid0(VALU_DEP_1) | instskip(SKIP_1) | instid1(VALU_DEP_1)
	v_fmac_f64_e32 v[116:117], v[86:87], v[84:85]
	s_wait_dscnt 0x0
	v_fmac_f64_e32 v[116:117], v[88:89], v[102:103]
	ds_load_b128 v[82:85], v2 offset:560
	ds_load_b128 v[86:89], v2 offset:576
	s_wait_loadcnt 0x3
	v_fmac_f64_e32 v[116:117], v[90:91], v[104:105]
	s_wait_dscnt 0x1
	s_delay_alu instid0(VALU_DEP_1) | instskip(SKIP_1) | instid1(VALU_DEP_1)
	v_fmac_f64_e32 v[116:117], v[92:93], v[82:83]
	s_wait_loadcnt 0x2
	v_fmac_f64_e32 v[116:117], v[94:95], v[84:85]
	ds_load_b128 v[82:85], v2 offset:592
	s_wait_dscnt 0x1
	v_fmac_f64_e32 v[116:117], v[96:97], v[86:87]
	s_wait_loadcnt 0x0
	s_delay_alu instid0(VALU_DEP_1) | instskip(SKIP_1) | instid1(VALU_DEP_1)
	v_fmac_f64_e32 v[116:117], v[98:99], v[88:89]
	s_wait_dscnt 0x0
	v_fmac_f64_e32 v[116:117], v[100:101], v[82:83]
	s_delay_alu instid0(VALU_DEP_1) | instskip(NEXT) | instid1(VALU_DEP_1)
	v_fmac_f64_e32 v[116:117], v[106:107], v[84:85]
	v_add_f64_e64 v[2:3], v[80:81], -v[116:117]
	scratch_store_b64 off, v[2:3], off offset:88
	s_wait_xcnt 0x0
	v_cmpx_lt_u32_e32 10, v0
	s_cbranch_execz .LBB101_217
; %bb.216:
	scratch_load_b64 v[2:3], off, off offset:80
	v_mov_b64_e32 v[80:81], 0
	scratch_store_b64 off, v[80:81], off offset:80
	s_wait_loadcnt 0x0
	ds_store_b64 v1, v[2:3]
.LBB101_217:
	s_wait_xcnt 0x0
	s_or_b32 exec_lo, exec_lo, s0
	s_wait_storecnt_dscnt 0x0
	s_barrier_signal -1
	s_barrier_wait -1
	s_clause 0x5
	scratch_load_b128 v[80:83], off, off offset:80
	scratch_load_b128 v[84:87], off, off offset:96
	;; [unrolled: 1-line block ×6, first 2 shown]
	v_mov_b32_e32 v2, 0
	ds_load_2addr_b64 v[104:107], v2 offset0:49 offset1:50
	ds_load_2addr_b64 v[108:111], v2 offset0:51 offset1:52
	scratch_load_b128 v[112:115], off, off offset:176
	s_mov_b32 s0, exec_lo
	s_wait_loadcnt_dscnt 0x601
	v_fma_f64 v[116:117], v[82:83], v[104:105], 0
	s_wait_loadcnt 0x5
	s_delay_alu instid0(VALU_DEP_1) | instskip(SKIP_4) | instid1(VALU_DEP_1)
	v_fmac_f64_e32 v[116:117], v[84:85], v[106:107]
	scratch_load_b128 v[82:85], off, off offset:192
	s_wait_dscnt 0x0
	v_fmac_f64_e32 v[116:117], v[86:87], v[108:109]
	s_wait_loadcnt 0x5
	v_fmac_f64_e32 v[116:117], v[88:89], v[110:111]
	ds_load_2addr_b64 v[86:89], v2 offset0:53 offset1:54
	ds_load_2addr_b64 v[104:107], v2 offset0:55 offset1:56
	scratch_load_b128 v[108:111], off, off offset:208
	s_wait_dscnt 0x1
	v_fmac_f64_e32 v[116:117], v[90:91], v[86:87]
	s_wait_loadcnt 0x5
	s_delay_alu instid0(VALU_DEP_1) | instskip(SKIP_4) | instid1(VALU_DEP_1)
	v_fmac_f64_e32 v[116:117], v[92:93], v[88:89]
	scratch_load_b128 v[86:89], off, off offset:224
	s_wait_dscnt 0x0
	v_fmac_f64_e32 v[116:117], v[94:95], v[104:105]
	s_wait_loadcnt 0x5
	v_fmac_f64_e32 v[116:117], v[96:97], v[106:107]
	ds_load_2addr_b64 v[90:93], v2 offset0:57 offset1:58
	ds_load_2addr_b64 v[94:97], v2 offset0:59 offset1:60
	s_wait_dscnt 0x1
	v_fmac_f64_e32 v[116:117], v[98:99], v[90:91]
	s_wait_loadcnt 0x4
	s_delay_alu instid0(VALU_DEP_1) | instskip(SKIP_4) | instid1(VALU_DEP_1)
	v_fmac_f64_e32 v[116:117], v[100:101], v[92:93]
	scratch_load_b128 v[90:93], off, off offset:240
	s_wait_dscnt 0x0
	v_fmac_f64_e32 v[116:117], v[102:103], v[94:95]
	s_wait_loadcnt 0x4
	v_fmac_f64_e32 v[116:117], v[112:113], v[96:97]
	scratch_load_b128 v[94:97], off, off offset:256
	ds_load_2addr_b64 v[98:101], v2 offset0:61 offset1:62
	ds_load_2addr_b64 v[102:105], v2 offset0:63 offset1:64
	s_wait_dscnt 0x1
	v_fmac_f64_e32 v[116:117], v[114:115], v[98:99]
	s_wait_loadcnt 0x4
	s_delay_alu instid0(VALU_DEP_1)
	v_fmac_f64_e32 v[116:117], v[82:83], v[100:101]
	scratch_load_b128 v[98:101], off, off offset:272
	s_wait_dscnt 0x0
	v_fmac_f64_e32 v[116:117], v[84:85], v[102:103]
	scratch_load_b128 v[82:85], off, off offset:288
	s_wait_loadcnt 0x5
	v_fmac_f64_e32 v[116:117], v[108:109], v[104:105]
	ds_load_2addr_b64 v[102:105], v2 offset0:65 offset1:66
	ds_load_2addr_b64 v[106:109], v2 offset0:67 offset1:68
	s_wait_dscnt 0x1
	v_fmac_f64_e32 v[116:117], v[110:111], v[102:103]
	s_wait_loadcnt 0x4
	s_delay_alu instid0(VALU_DEP_1) | instskip(SKIP_1) | instid1(VALU_DEP_1)
	v_fmac_f64_e32 v[116:117], v[86:87], v[104:105]
	s_wait_dscnt 0x0
	v_fmac_f64_e32 v[116:117], v[88:89], v[106:107]
	ds_load_2addr_b64 v[86:89], v2 offset0:69 offset1:70
	ds_load_2addr_b64 v[102:105], v2 offset0:71 offset1:72
	s_wait_loadcnt 0x3
	v_fmac_f64_e32 v[116:117], v[90:91], v[108:109]
	s_wait_dscnt 0x1
	s_delay_alu instid0(VALU_DEP_1) | instskip(SKIP_1) | instid1(VALU_DEP_1)
	v_fmac_f64_e32 v[116:117], v[92:93], v[86:87]
	s_wait_loadcnt 0x2
	v_fmac_f64_e32 v[116:117], v[94:95], v[88:89]
	ds_load_2addr_b64 v[86:89], v2 offset0:73 offset1:74
	ds_load_b64 v[90:91], v2 offset:600
	s_wait_dscnt 0x2
	v_fmac_f64_e32 v[116:117], v[96:97], v[102:103]
	s_wait_loadcnt 0x1
	s_delay_alu instid0(VALU_DEP_1) | instskip(SKIP_1) | instid1(VALU_DEP_1)
	v_fmac_f64_e32 v[116:117], v[98:99], v[104:105]
	s_wait_dscnt 0x1
	v_fmac_f64_e32 v[116:117], v[100:101], v[86:87]
	s_wait_loadcnt 0x0
	s_delay_alu instid0(VALU_DEP_1) | instskip(SKIP_1) | instid1(VALU_DEP_1)
	v_fmac_f64_e32 v[116:117], v[82:83], v[88:89]
	s_wait_dscnt 0x0
	v_fmac_f64_e32 v[116:117], v[84:85], v[90:91]
	s_delay_alu instid0(VALU_DEP_1)
	v_add_f64_e64 v[80:81], v[80:81], -v[116:117]
	scratch_store_b64 off, v[80:81], off offset:80
	s_wait_xcnt 0x0
	v_cmpx_lt_u32_e32 9, v0
	s_cbranch_execz .LBB101_219
; %bb.218:
	scratch_load_b64 v[80:81], off, off offset:72
	v_mov_b64_e32 v[82:83], 0
	scratch_store_b64 off, v[82:83], off offset:72
	s_wait_loadcnt 0x0
	ds_store_b64 v1, v[80:81]
.LBB101_219:
	s_wait_xcnt 0x0
	s_or_b32 exec_lo, exec_lo, s0
	s_wait_storecnt_dscnt 0x0
	s_barrier_signal -1
	s_barrier_wait -1
	s_clause 0x5
	scratch_load_b128 v[80:83], off, off offset:72
	scratch_load_b128 v[84:87], off, off offset:88
	;; [unrolled: 1-line block ×6, first 2 shown]
	ds_load_b128 v[104:107], v2 offset:384
	ds_load_b128 v[108:111], v2 offset:400
	scratch_load_b128 v[112:115], off, off offset:168
	s_mov_b32 s0, exec_lo
	s_wait_loadcnt_dscnt 0x601
	v_fma_f64 v[116:117], v[82:83], v[104:105], 0
	s_wait_loadcnt 0x5
	s_delay_alu instid0(VALU_DEP_1) | instskip(SKIP_4) | instid1(VALU_DEP_1)
	v_fmac_f64_e32 v[116:117], v[84:85], v[106:107]
	scratch_load_b128 v[82:85], off, off offset:184
	s_wait_dscnt 0x0
	v_fmac_f64_e32 v[116:117], v[86:87], v[108:109]
	s_wait_loadcnt 0x5
	v_fmac_f64_e32 v[116:117], v[88:89], v[110:111]
	ds_load_b128 v[86:89], v2 offset:416
	ds_load_b128 v[104:107], v2 offset:432
	scratch_load_b128 v[108:111], off, off offset:200
	s_wait_dscnt 0x1
	v_fmac_f64_e32 v[116:117], v[90:91], v[86:87]
	s_wait_loadcnt 0x5
	s_delay_alu instid0(VALU_DEP_1) | instskip(SKIP_4) | instid1(VALU_DEP_1)
	v_fmac_f64_e32 v[116:117], v[92:93], v[88:89]
	scratch_load_b128 v[86:89], off, off offset:216
	s_wait_dscnt 0x0
	v_fmac_f64_e32 v[116:117], v[94:95], v[104:105]
	s_wait_loadcnt 0x5
	v_fmac_f64_e32 v[116:117], v[96:97], v[106:107]
	ds_load_b128 v[90:93], v2 offset:448
	ds_load_b128 v[94:97], v2 offset:464
	s_wait_dscnt 0x1
	v_fmac_f64_e32 v[116:117], v[98:99], v[90:91]
	s_wait_loadcnt 0x4
	s_delay_alu instid0(VALU_DEP_1) | instskip(SKIP_4) | instid1(VALU_DEP_1)
	v_fmac_f64_e32 v[116:117], v[100:101], v[92:93]
	scratch_load_b128 v[90:93], off, off offset:232
	s_wait_dscnt 0x0
	v_fmac_f64_e32 v[116:117], v[102:103], v[94:95]
	s_wait_loadcnt 0x4
	v_fmac_f64_e32 v[116:117], v[112:113], v[96:97]
	scratch_load_b128 v[94:97], off, off offset:248
	ds_load_b128 v[98:101], v2 offset:480
	ds_load_b128 v[102:105], v2 offset:496
	s_wait_dscnt 0x1
	v_fmac_f64_e32 v[116:117], v[114:115], v[98:99]
	s_wait_loadcnt 0x4
	s_delay_alu instid0(VALU_DEP_1)
	v_fmac_f64_e32 v[116:117], v[82:83], v[100:101]
	scratch_load_b128 v[98:101], off, off offset:264
	s_wait_dscnt 0x0
	v_fmac_f64_e32 v[116:117], v[84:85], v[102:103]
	scratch_load_b128 v[82:85], off, off offset:280
	s_wait_loadcnt 0x5
	v_fmac_f64_e32 v[116:117], v[108:109], v[104:105]
	ds_load_b128 v[102:105], v2 offset:512
	ds_load_b128 v[106:109], v2 offset:528
	s_wait_dscnt 0x1
	v_fmac_f64_e32 v[116:117], v[110:111], v[102:103]
	scratch_load_b64 v[110:111], off, off offset:296
	s_wait_loadcnt 0x5
	v_fmac_f64_e32 v[116:117], v[86:87], v[104:105]
	s_wait_dscnt 0x0
	s_delay_alu instid0(VALU_DEP_1)
	v_fmac_f64_e32 v[116:117], v[88:89], v[106:107]
	ds_load_b128 v[86:89], v2 offset:544
	ds_load_b128 v[102:105], v2 offset:560
	s_wait_loadcnt 0x4
	v_fmac_f64_e32 v[116:117], v[90:91], v[108:109]
	s_wait_dscnt 0x1
	s_delay_alu instid0(VALU_DEP_1) | instskip(SKIP_1) | instid1(VALU_DEP_1)
	v_fmac_f64_e32 v[116:117], v[92:93], v[86:87]
	s_wait_loadcnt 0x3
	v_fmac_f64_e32 v[116:117], v[94:95], v[88:89]
	ds_load_b128 v[86:89], v2 offset:576
	ds_load_b128 v[90:93], v2 offset:592
	s_wait_dscnt 0x2
	v_fmac_f64_e32 v[116:117], v[96:97], v[102:103]
	s_wait_loadcnt 0x2
	s_delay_alu instid0(VALU_DEP_1) | instskip(SKIP_1) | instid1(VALU_DEP_1)
	v_fmac_f64_e32 v[116:117], v[98:99], v[104:105]
	s_wait_dscnt 0x1
	v_fmac_f64_e32 v[116:117], v[100:101], v[86:87]
	s_wait_loadcnt 0x1
	s_delay_alu instid0(VALU_DEP_1) | instskip(SKIP_1) | instid1(VALU_DEP_1)
	v_fmac_f64_e32 v[116:117], v[82:83], v[88:89]
	s_wait_dscnt 0x0
	v_fmac_f64_e32 v[116:117], v[84:85], v[90:91]
	s_wait_loadcnt 0x0
	s_delay_alu instid0(VALU_DEP_1) | instskip(NEXT) | instid1(VALU_DEP_1)
	v_fmac_f64_e32 v[116:117], v[110:111], v[92:93]
	v_add_f64_e64 v[2:3], v[80:81], -v[116:117]
	scratch_store_b64 off, v[2:3], off offset:72
	s_wait_xcnt 0x0
	v_cmpx_lt_u32_e32 8, v0
	s_cbranch_execz .LBB101_221
; %bb.220:
	scratch_load_b64 v[2:3], off, off offset:64
	v_mov_b64_e32 v[80:81], 0
	scratch_store_b64 off, v[80:81], off offset:64
	s_wait_loadcnt 0x0
	ds_store_b64 v1, v[2:3]
.LBB101_221:
	s_wait_xcnt 0x0
	s_or_b32 exec_lo, exec_lo, s0
	s_wait_storecnt_dscnt 0x0
	s_barrier_signal -1
	s_barrier_wait -1
	s_clause 0x5
	scratch_load_b128 v[80:83], off, off offset:64
	scratch_load_b128 v[84:87], off, off offset:80
	;; [unrolled: 1-line block ×6, first 2 shown]
	v_mov_b32_e32 v2, 0
	ds_load_2addr_b64 v[104:107], v2 offset0:47 offset1:48
	ds_load_2addr_b64 v[108:111], v2 offset0:49 offset1:50
	scratch_load_b128 v[112:115], off, off offset:160
	s_mov_b32 s0, exec_lo
	s_wait_loadcnt_dscnt 0x601
	v_fma_f64 v[116:117], v[82:83], v[104:105], 0
	s_wait_loadcnt 0x5
	s_delay_alu instid0(VALU_DEP_1) | instskip(SKIP_4) | instid1(VALU_DEP_1)
	v_fmac_f64_e32 v[116:117], v[84:85], v[106:107]
	scratch_load_b128 v[82:85], off, off offset:176
	s_wait_dscnt 0x0
	v_fmac_f64_e32 v[116:117], v[86:87], v[108:109]
	s_wait_loadcnt 0x5
	v_fmac_f64_e32 v[116:117], v[88:89], v[110:111]
	ds_load_2addr_b64 v[86:89], v2 offset0:51 offset1:52
	ds_load_2addr_b64 v[104:107], v2 offset0:53 offset1:54
	scratch_load_b128 v[108:111], off, off offset:192
	s_wait_dscnt 0x1
	v_fmac_f64_e32 v[116:117], v[90:91], v[86:87]
	s_wait_loadcnt 0x5
	s_delay_alu instid0(VALU_DEP_1) | instskip(SKIP_4) | instid1(VALU_DEP_1)
	v_fmac_f64_e32 v[116:117], v[92:93], v[88:89]
	scratch_load_b128 v[86:89], off, off offset:208
	s_wait_dscnt 0x0
	v_fmac_f64_e32 v[116:117], v[94:95], v[104:105]
	s_wait_loadcnt 0x5
	v_fmac_f64_e32 v[116:117], v[96:97], v[106:107]
	ds_load_2addr_b64 v[90:93], v2 offset0:55 offset1:56
	ds_load_2addr_b64 v[94:97], v2 offset0:57 offset1:58
	s_wait_dscnt 0x1
	v_fmac_f64_e32 v[116:117], v[98:99], v[90:91]
	s_wait_loadcnt 0x4
	s_delay_alu instid0(VALU_DEP_1) | instskip(SKIP_4) | instid1(VALU_DEP_1)
	v_fmac_f64_e32 v[116:117], v[100:101], v[92:93]
	scratch_load_b128 v[90:93], off, off offset:224
	s_wait_dscnt 0x0
	v_fmac_f64_e32 v[116:117], v[102:103], v[94:95]
	s_wait_loadcnt 0x4
	v_fmac_f64_e32 v[116:117], v[112:113], v[96:97]
	scratch_load_b128 v[94:97], off, off offset:240
	ds_load_2addr_b64 v[98:101], v2 offset0:59 offset1:60
	ds_load_2addr_b64 v[102:105], v2 offset0:61 offset1:62
	s_wait_dscnt 0x1
	v_fmac_f64_e32 v[116:117], v[114:115], v[98:99]
	s_wait_loadcnt 0x4
	s_delay_alu instid0(VALU_DEP_1)
	v_fmac_f64_e32 v[116:117], v[82:83], v[100:101]
	scratch_load_b128 v[98:101], off, off offset:256
	s_wait_dscnt 0x0
	v_fmac_f64_e32 v[116:117], v[84:85], v[102:103]
	scratch_load_b128 v[82:85], off, off offset:272
	s_wait_loadcnt 0x5
	v_fmac_f64_e32 v[116:117], v[108:109], v[104:105]
	ds_load_2addr_b64 v[102:105], v2 offset0:63 offset1:64
	ds_load_2addr_b64 v[106:109], v2 offset0:65 offset1:66
	s_wait_dscnt 0x1
	v_fmac_f64_e32 v[116:117], v[110:111], v[102:103]
	s_wait_loadcnt 0x4
	s_delay_alu instid0(VALU_DEP_1) | instskip(SKIP_4) | instid1(VALU_DEP_1)
	v_fmac_f64_e32 v[116:117], v[86:87], v[104:105]
	scratch_load_b128 v[102:105], off, off offset:288
	s_wait_dscnt 0x0
	v_fmac_f64_e32 v[116:117], v[88:89], v[106:107]
	s_wait_loadcnt 0x4
	v_fmac_f64_e32 v[116:117], v[90:91], v[108:109]
	ds_load_2addr_b64 v[86:89], v2 offset0:67 offset1:68
	ds_load_2addr_b64 v[106:109], v2 offset0:69 offset1:70
	s_wait_dscnt 0x1
	v_fmac_f64_e32 v[116:117], v[92:93], v[86:87]
	s_wait_loadcnt 0x3
	s_delay_alu instid0(VALU_DEP_1)
	v_fmac_f64_e32 v[116:117], v[94:95], v[88:89]
	ds_load_2addr_b64 v[86:89], v2 offset0:71 offset1:72
	ds_load_2addr_b64 v[90:93], v2 offset0:73 offset1:74
	s_wait_dscnt 0x2
	v_fmac_f64_e32 v[116:117], v[96:97], v[106:107]
	s_wait_loadcnt 0x2
	s_delay_alu instid0(VALU_DEP_1) | instskip(SKIP_1) | instid1(VALU_DEP_1)
	v_fmac_f64_e32 v[116:117], v[98:99], v[108:109]
	s_wait_dscnt 0x1
	v_fmac_f64_e32 v[116:117], v[100:101], v[86:87]
	s_wait_loadcnt 0x1
	s_delay_alu instid0(VALU_DEP_1) | instskip(SKIP_4) | instid1(VALU_DEP_1)
	v_fmac_f64_e32 v[116:117], v[82:83], v[88:89]
	ds_load_b64 v[82:83], v2 offset:600
	s_wait_dscnt 0x1
	v_fmac_f64_e32 v[116:117], v[84:85], v[90:91]
	s_wait_loadcnt 0x0
	v_fmac_f64_e32 v[116:117], v[102:103], v[92:93]
	s_wait_dscnt 0x0
	s_delay_alu instid0(VALU_DEP_1) | instskip(NEXT) | instid1(VALU_DEP_1)
	v_fmac_f64_e32 v[116:117], v[104:105], v[82:83]
	v_add_f64_e64 v[80:81], v[80:81], -v[116:117]
	scratch_store_b64 off, v[80:81], off offset:64
	s_wait_xcnt 0x0
	v_cmpx_lt_u32_e32 7, v0
	s_cbranch_execz .LBB101_223
; %bb.222:
	scratch_load_b64 v[80:81], off, off offset:56
	v_mov_b64_e32 v[82:83], 0
	scratch_store_b64 off, v[82:83], off offset:56
	s_wait_loadcnt 0x0
	ds_store_b64 v1, v[80:81]
.LBB101_223:
	s_wait_xcnt 0x0
	s_or_b32 exec_lo, exec_lo, s0
	s_wait_storecnt_dscnt 0x0
	s_barrier_signal -1
	s_barrier_wait -1
	s_clause 0x5
	scratch_load_b128 v[80:83], off, off offset:56
	scratch_load_b128 v[84:87], off, off offset:72
	;; [unrolled: 1-line block ×6, first 2 shown]
	ds_load_b128 v[104:107], v2 offset:368
	ds_load_b128 v[108:111], v2 offset:384
	scratch_load_b128 v[112:115], off, off offset:152
	s_mov_b32 s0, exec_lo
	s_wait_loadcnt_dscnt 0x601
	v_fma_f64 v[116:117], v[82:83], v[104:105], 0
	s_wait_loadcnt 0x5
	s_delay_alu instid0(VALU_DEP_1) | instskip(SKIP_4) | instid1(VALU_DEP_1)
	v_fmac_f64_e32 v[116:117], v[84:85], v[106:107]
	scratch_load_b128 v[82:85], off, off offset:168
	s_wait_dscnt 0x0
	v_fmac_f64_e32 v[116:117], v[86:87], v[108:109]
	s_wait_loadcnt 0x5
	v_fmac_f64_e32 v[116:117], v[88:89], v[110:111]
	ds_load_b128 v[86:89], v2 offset:400
	ds_load_b128 v[104:107], v2 offset:416
	scratch_load_b128 v[108:111], off, off offset:184
	s_wait_dscnt 0x1
	v_fmac_f64_e32 v[116:117], v[90:91], v[86:87]
	s_wait_loadcnt 0x5
	s_delay_alu instid0(VALU_DEP_1) | instskip(SKIP_4) | instid1(VALU_DEP_1)
	v_fmac_f64_e32 v[116:117], v[92:93], v[88:89]
	scratch_load_b128 v[86:89], off, off offset:200
	s_wait_dscnt 0x0
	v_fmac_f64_e32 v[116:117], v[94:95], v[104:105]
	s_wait_loadcnt 0x5
	v_fmac_f64_e32 v[116:117], v[96:97], v[106:107]
	ds_load_b128 v[90:93], v2 offset:432
	ds_load_b128 v[94:97], v2 offset:448
	scratch_load_b128 v[104:107], off, off offset:216
	s_wait_dscnt 0x1
	v_fmac_f64_e32 v[116:117], v[98:99], v[90:91]
	s_wait_loadcnt 0x5
	s_delay_alu instid0(VALU_DEP_1) | instskip(SKIP_4) | instid1(VALU_DEP_1)
	v_fmac_f64_e32 v[116:117], v[100:101], v[92:93]
	scratch_load_b128 v[90:93], off, off offset:232
	s_wait_dscnt 0x0
	v_fmac_f64_e32 v[116:117], v[102:103], v[94:95]
	s_wait_loadcnt 0x5
	v_fmac_f64_e32 v[116:117], v[112:113], v[96:97]
	ds_load_b128 v[94:97], v2 offset:464
	ds_load_b128 v[98:101], v2 offset:480
	s_wait_dscnt 0x1
	v_fmac_f64_e32 v[116:117], v[114:115], v[94:95]
	s_wait_loadcnt 0x4
	s_delay_alu instid0(VALU_DEP_1)
	v_fmac_f64_e32 v[116:117], v[82:83], v[96:97]
	scratch_load_b128 v[94:97], off, off offset:248
	s_wait_dscnt 0x0
	v_fmac_f64_e32 v[116:117], v[84:85], v[98:99]
	scratch_load_b128 v[82:85], off, off offset:264
	s_wait_loadcnt 0x5
	v_fmac_f64_e32 v[116:117], v[108:109], v[100:101]
	ds_load_b128 v[98:101], v2 offset:496
	ds_load_b128 v[112:115], v2 offset:512
	scratch_load_b64 v[108:109], off, off offset:296
	s_wait_dscnt 0x1
	v_fmac_f64_e32 v[116:117], v[110:111], v[98:99]
	s_wait_loadcnt 0x5
	s_delay_alu instid0(VALU_DEP_1) | instskip(SKIP_4) | instid1(VALU_DEP_1)
	v_fmac_f64_e32 v[116:117], v[86:87], v[100:101]
	scratch_load_b128 v[98:101], off, off offset:280
	s_wait_dscnt 0x0
	v_fmac_f64_e32 v[116:117], v[88:89], v[112:113]
	s_wait_loadcnt 0x5
	v_fmac_f64_e32 v[116:117], v[104:105], v[114:115]
	ds_load_b128 v[86:89], v2 offset:528
	ds_load_b128 v[102:105], v2 offset:544
	s_wait_dscnt 0x1
	v_fmac_f64_e32 v[116:117], v[106:107], v[86:87]
	s_wait_loadcnt 0x4
	s_delay_alu instid0(VALU_DEP_1) | instskip(SKIP_1) | instid1(VALU_DEP_1)
	v_fmac_f64_e32 v[116:117], v[90:91], v[88:89]
	s_wait_dscnt 0x0
	v_fmac_f64_e32 v[116:117], v[92:93], v[102:103]
	ds_load_b128 v[86:89], v2 offset:560
	ds_load_b128 v[90:93], v2 offset:576
	s_wait_loadcnt 0x3
	v_fmac_f64_e32 v[116:117], v[94:95], v[104:105]
	s_wait_dscnt 0x1
	s_delay_alu instid0(VALU_DEP_1) | instskip(SKIP_1) | instid1(VALU_DEP_1)
	v_fmac_f64_e32 v[116:117], v[96:97], v[86:87]
	s_wait_loadcnt 0x2
	v_fmac_f64_e32 v[116:117], v[82:83], v[88:89]
	s_wait_dscnt 0x0
	s_delay_alu instid0(VALU_DEP_1) | instskip(SKIP_4) | instid1(VALU_DEP_1)
	v_fmac_f64_e32 v[116:117], v[84:85], v[90:91]
	ds_load_b128 v[82:85], v2 offset:592
	s_wait_loadcnt 0x0
	v_fmac_f64_e32 v[116:117], v[98:99], v[92:93]
	s_wait_dscnt 0x0
	v_fmac_f64_e32 v[116:117], v[100:101], v[82:83]
	s_delay_alu instid0(VALU_DEP_1) | instskip(NEXT) | instid1(VALU_DEP_1)
	v_fmac_f64_e32 v[116:117], v[108:109], v[84:85]
	v_add_f64_e64 v[2:3], v[80:81], -v[116:117]
	scratch_store_b64 off, v[2:3], off offset:56
	s_wait_xcnt 0x0
	v_cmpx_lt_u32_e32 6, v0
	s_cbranch_execz .LBB101_225
; %bb.224:
	scratch_load_b64 v[2:3], off, off offset:48
	v_mov_b64_e32 v[80:81], 0
	scratch_store_b64 off, v[80:81], off offset:48
	s_wait_loadcnt 0x0
	ds_store_b64 v1, v[2:3]
.LBB101_225:
	s_wait_xcnt 0x0
	s_or_b32 exec_lo, exec_lo, s0
	s_wait_storecnt_dscnt 0x0
	s_barrier_signal -1
	s_barrier_wait -1
	s_clause 0x5
	scratch_load_b128 v[80:83], off, off offset:48
	scratch_load_b128 v[84:87], off, off offset:64
	;; [unrolled: 1-line block ×6, first 2 shown]
	v_mov_b32_e32 v2, 0
	ds_load_2addr_b64 v[104:107], v2 offset0:45 offset1:46
	ds_load_2addr_b64 v[108:111], v2 offset0:47 offset1:48
	scratch_load_b128 v[112:115], off, off offset:144
	s_mov_b32 s0, exec_lo
	s_wait_loadcnt_dscnt 0x601
	v_fma_f64 v[116:117], v[82:83], v[104:105], 0
	s_wait_loadcnt 0x5
	s_delay_alu instid0(VALU_DEP_1) | instskip(SKIP_4) | instid1(VALU_DEP_1)
	v_fmac_f64_e32 v[116:117], v[84:85], v[106:107]
	scratch_load_b128 v[82:85], off, off offset:160
	s_wait_dscnt 0x0
	v_fmac_f64_e32 v[116:117], v[86:87], v[108:109]
	s_wait_loadcnt 0x5
	v_fmac_f64_e32 v[116:117], v[88:89], v[110:111]
	ds_load_2addr_b64 v[86:89], v2 offset0:49 offset1:50
	ds_load_2addr_b64 v[104:107], v2 offset0:51 offset1:52
	scratch_load_b128 v[108:111], off, off offset:176
	s_wait_dscnt 0x1
	v_fmac_f64_e32 v[116:117], v[90:91], v[86:87]
	s_wait_loadcnt 0x5
	s_delay_alu instid0(VALU_DEP_1) | instskip(SKIP_4) | instid1(VALU_DEP_1)
	v_fmac_f64_e32 v[116:117], v[92:93], v[88:89]
	scratch_load_b128 v[86:89], off, off offset:192
	s_wait_dscnt 0x0
	v_fmac_f64_e32 v[116:117], v[94:95], v[104:105]
	s_wait_loadcnt 0x5
	v_fmac_f64_e32 v[116:117], v[96:97], v[106:107]
	ds_load_2addr_b64 v[90:93], v2 offset0:53 offset1:54
	ds_load_2addr_b64 v[94:97], v2 offset0:55 offset1:56
	scratch_load_b128 v[104:107], off, off offset:208
	s_wait_dscnt 0x1
	v_fmac_f64_e32 v[116:117], v[98:99], v[90:91]
	s_wait_loadcnt 0x5
	s_delay_alu instid0(VALU_DEP_1) | instskip(SKIP_4) | instid1(VALU_DEP_1)
	v_fmac_f64_e32 v[116:117], v[100:101], v[92:93]
	scratch_load_b128 v[90:93], off, off offset:224
	s_wait_dscnt 0x0
	v_fmac_f64_e32 v[116:117], v[102:103], v[94:95]
	s_wait_loadcnt 0x5
	v_fmac_f64_e32 v[116:117], v[112:113], v[96:97]
	ds_load_2addr_b64 v[94:97], v2 offset0:57 offset1:58
	ds_load_2addr_b64 v[98:101], v2 offset0:59 offset1:60
	s_wait_dscnt 0x1
	v_fmac_f64_e32 v[116:117], v[114:115], v[94:95]
	s_wait_loadcnt 0x4
	s_delay_alu instid0(VALU_DEP_1)
	v_fmac_f64_e32 v[116:117], v[82:83], v[96:97]
	scratch_load_b128 v[94:97], off, off offset:240
	s_wait_dscnt 0x0
	v_fmac_f64_e32 v[116:117], v[84:85], v[98:99]
	scratch_load_b128 v[82:85], off, off offset:256
	s_wait_loadcnt 0x5
	v_fmac_f64_e32 v[116:117], v[108:109], v[100:101]
	ds_load_2addr_b64 v[98:101], v2 offset0:61 offset1:62
	ds_load_2addr_b64 v[112:115], v2 offset0:63 offset1:64
	s_wait_dscnt 0x1
	v_fmac_f64_e32 v[116:117], v[110:111], v[98:99]
	s_wait_loadcnt 0x4
	s_delay_alu instid0(VALU_DEP_1)
	v_fmac_f64_e32 v[116:117], v[86:87], v[100:101]
	scratch_load_b128 v[98:101], off, off offset:272
	s_wait_dscnt 0x0
	v_fmac_f64_e32 v[116:117], v[88:89], v[112:113]
	scratch_load_b128 v[86:89], off, off offset:288
	s_wait_loadcnt 0x5
	v_fmac_f64_e32 v[116:117], v[104:105], v[114:115]
	ds_load_2addr_b64 v[102:105], v2 offset0:65 offset1:66
	ds_load_2addr_b64 v[108:111], v2 offset0:67 offset1:68
	s_wait_dscnt 0x1
	v_fmac_f64_e32 v[116:117], v[106:107], v[102:103]
	s_wait_loadcnt 0x4
	s_delay_alu instid0(VALU_DEP_1) | instskip(SKIP_1) | instid1(VALU_DEP_1)
	v_fmac_f64_e32 v[116:117], v[90:91], v[104:105]
	s_wait_dscnt 0x0
	v_fmac_f64_e32 v[116:117], v[92:93], v[108:109]
	ds_load_2addr_b64 v[90:93], v2 offset0:69 offset1:70
	ds_load_2addr_b64 v[102:105], v2 offset0:71 offset1:72
	s_wait_loadcnt 0x3
	v_fmac_f64_e32 v[116:117], v[94:95], v[110:111]
	s_wait_dscnt 0x1
	s_delay_alu instid0(VALU_DEP_1) | instskip(SKIP_1) | instid1(VALU_DEP_1)
	v_fmac_f64_e32 v[116:117], v[96:97], v[90:91]
	s_wait_loadcnt 0x2
	v_fmac_f64_e32 v[116:117], v[82:83], v[92:93]
	s_wait_dscnt 0x0
	s_delay_alu instid0(VALU_DEP_1)
	v_fmac_f64_e32 v[116:117], v[84:85], v[102:103]
	ds_load_2addr_b64 v[82:85], v2 offset0:73 offset1:74
	ds_load_b64 v[90:91], v2 offset:600
	s_wait_loadcnt 0x1
	v_fmac_f64_e32 v[116:117], v[98:99], v[104:105]
	s_wait_dscnt 0x1
	s_delay_alu instid0(VALU_DEP_1) | instskip(SKIP_1) | instid1(VALU_DEP_1)
	v_fmac_f64_e32 v[116:117], v[100:101], v[82:83]
	s_wait_loadcnt 0x0
	v_fmac_f64_e32 v[116:117], v[86:87], v[84:85]
	s_wait_dscnt 0x0
	s_delay_alu instid0(VALU_DEP_1) | instskip(NEXT) | instid1(VALU_DEP_1)
	v_fmac_f64_e32 v[116:117], v[88:89], v[90:91]
	v_add_f64_e64 v[80:81], v[80:81], -v[116:117]
	scratch_store_b64 off, v[80:81], off offset:48
	s_wait_xcnt 0x0
	v_cmpx_lt_u32_e32 5, v0
	s_cbranch_execz .LBB101_227
; %bb.226:
	scratch_load_b64 v[80:81], off, off offset:40
	v_mov_b64_e32 v[82:83], 0
	scratch_store_b64 off, v[82:83], off offset:40
	s_wait_loadcnt 0x0
	ds_store_b64 v1, v[80:81]
.LBB101_227:
	s_wait_xcnt 0x0
	s_or_b32 exec_lo, exec_lo, s0
	s_wait_storecnt_dscnt 0x0
	s_barrier_signal -1
	s_barrier_wait -1
	s_clause 0x5
	scratch_load_b128 v[80:83], off, off offset:40
	scratch_load_b128 v[84:87], off, off offset:56
	;; [unrolled: 1-line block ×6, first 2 shown]
	ds_load_b128 v[104:107], v2 offset:352
	ds_load_b128 v[108:111], v2 offset:368
	scratch_load_b128 v[112:115], off, off offset:136
	s_mov_b32 s0, exec_lo
	s_wait_loadcnt_dscnt 0x601
	v_fma_f64 v[116:117], v[82:83], v[104:105], 0
	s_wait_loadcnt 0x5
	s_delay_alu instid0(VALU_DEP_1) | instskip(SKIP_4) | instid1(VALU_DEP_1)
	v_fmac_f64_e32 v[116:117], v[84:85], v[106:107]
	scratch_load_b128 v[82:85], off, off offset:152
	s_wait_dscnt 0x0
	v_fmac_f64_e32 v[116:117], v[86:87], v[108:109]
	s_wait_loadcnt 0x5
	v_fmac_f64_e32 v[116:117], v[88:89], v[110:111]
	ds_load_b128 v[86:89], v2 offset:384
	ds_load_b128 v[104:107], v2 offset:400
	scratch_load_b128 v[108:111], off, off offset:168
	s_wait_dscnt 0x1
	v_fmac_f64_e32 v[116:117], v[90:91], v[86:87]
	s_wait_loadcnt 0x5
	s_delay_alu instid0(VALU_DEP_1) | instskip(SKIP_4) | instid1(VALU_DEP_1)
	v_fmac_f64_e32 v[116:117], v[92:93], v[88:89]
	scratch_load_b128 v[86:89], off, off offset:184
	s_wait_dscnt 0x0
	v_fmac_f64_e32 v[116:117], v[94:95], v[104:105]
	s_wait_loadcnt 0x5
	v_fmac_f64_e32 v[116:117], v[96:97], v[106:107]
	ds_load_b128 v[90:93], v2 offset:416
	ds_load_b128 v[94:97], v2 offset:432
	scratch_load_b128 v[104:107], off, off offset:200
	s_wait_dscnt 0x1
	v_fmac_f64_e32 v[116:117], v[98:99], v[90:91]
	s_wait_loadcnt 0x5
	s_delay_alu instid0(VALU_DEP_1) | instskip(SKIP_4) | instid1(VALU_DEP_1)
	v_fmac_f64_e32 v[116:117], v[100:101], v[92:93]
	scratch_load_b128 v[90:93], off, off offset:216
	s_wait_dscnt 0x0
	v_fmac_f64_e32 v[116:117], v[102:103], v[94:95]
	s_wait_loadcnt 0x5
	v_fmac_f64_e32 v[116:117], v[112:113], v[96:97]
	ds_load_b128 v[94:97], v2 offset:448
	ds_load_b128 v[98:101], v2 offset:464
	s_wait_dscnt 0x1
	v_fmac_f64_e32 v[116:117], v[114:115], v[94:95]
	s_wait_loadcnt 0x4
	s_delay_alu instid0(VALU_DEP_1)
	v_fmac_f64_e32 v[116:117], v[82:83], v[96:97]
	scratch_load_b128 v[94:97], off, off offset:232
	s_wait_dscnt 0x0
	v_fmac_f64_e32 v[116:117], v[84:85], v[98:99]
	scratch_load_b128 v[82:85], off, off offset:248
	s_wait_loadcnt 0x5
	v_fmac_f64_e32 v[116:117], v[108:109], v[100:101]
	ds_load_b128 v[98:101], v2 offset:480
	ds_load_b128 v[112:115], v2 offset:496
	s_wait_dscnt 0x1
	v_fmac_f64_e32 v[116:117], v[110:111], v[98:99]
	s_wait_loadcnt 0x4
	s_delay_alu instid0(VALU_DEP_1)
	v_fmac_f64_e32 v[116:117], v[86:87], v[100:101]
	scratch_load_b128 v[98:101], off, off offset:264
	s_wait_dscnt 0x0
	v_fmac_f64_e32 v[116:117], v[88:89], v[112:113]
	scratch_load_b128 v[86:89], off, off offset:280
	s_wait_loadcnt 0x5
	v_fmac_f64_e32 v[116:117], v[104:105], v[114:115]
	ds_load_b128 v[102:105], v2 offset:512
	ds_load_b128 v[108:111], v2 offset:528
	s_wait_dscnt 0x1
	v_fmac_f64_e32 v[116:117], v[106:107], v[102:103]
	scratch_load_b64 v[106:107], off, off offset:296
	s_wait_loadcnt 0x5
	v_fmac_f64_e32 v[116:117], v[90:91], v[104:105]
	s_wait_dscnt 0x0
	s_delay_alu instid0(VALU_DEP_1)
	v_fmac_f64_e32 v[116:117], v[92:93], v[108:109]
	ds_load_b128 v[90:93], v2 offset:544
	ds_load_b128 v[102:105], v2 offset:560
	s_wait_loadcnt 0x4
	v_fmac_f64_e32 v[116:117], v[94:95], v[110:111]
	s_wait_dscnt 0x1
	s_delay_alu instid0(VALU_DEP_1) | instskip(SKIP_1) | instid1(VALU_DEP_1)
	v_fmac_f64_e32 v[116:117], v[96:97], v[90:91]
	s_wait_loadcnt 0x3
	v_fmac_f64_e32 v[116:117], v[82:83], v[92:93]
	s_wait_dscnt 0x0
	s_delay_alu instid0(VALU_DEP_1)
	v_fmac_f64_e32 v[116:117], v[84:85], v[102:103]
	ds_load_b128 v[82:85], v2 offset:576
	ds_load_b128 v[90:93], v2 offset:592
	s_wait_loadcnt 0x2
	v_fmac_f64_e32 v[116:117], v[98:99], v[104:105]
	s_wait_dscnt 0x1
	s_delay_alu instid0(VALU_DEP_1) | instskip(SKIP_1) | instid1(VALU_DEP_1)
	v_fmac_f64_e32 v[116:117], v[100:101], v[82:83]
	s_wait_loadcnt 0x1
	v_fmac_f64_e32 v[116:117], v[86:87], v[84:85]
	s_wait_dscnt 0x0
	s_delay_alu instid0(VALU_DEP_1) | instskip(SKIP_1) | instid1(VALU_DEP_1)
	v_fmac_f64_e32 v[116:117], v[88:89], v[90:91]
	s_wait_loadcnt 0x0
	v_fmac_f64_e32 v[116:117], v[106:107], v[92:93]
	s_delay_alu instid0(VALU_DEP_1)
	v_add_f64_e64 v[2:3], v[80:81], -v[116:117]
	scratch_store_b64 off, v[2:3], off offset:40
	s_wait_xcnt 0x0
	v_cmpx_lt_u32_e32 4, v0
	s_cbranch_execz .LBB101_229
; %bb.228:
	scratch_load_b64 v[2:3], off, off offset:32
	v_mov_b64_e32 v[80:81], 0
	scratch_store_b64 off, v[80:81], off offset:32
	s_wait_loadcnt 0x0
	ds_store_b64 v1, v[2:3]
.LBB101_229:
	s_wait_xcnt 0x0
	s_or_b32 exec_lo, exec_lo, s0
	s_wait_storecnt_dscnt 0x0
	s_barrier_signal -1
	s_barrier_wait -1
	s_clause 0x5
	scratch_load_b128 v[80:83], off, off offset:32
	scratch_load_b128 v[84:87], off, off offset:48
	;; [unrolled: 1-line block ×6, first 2 shown]
	v_mov_b32_e32 v2, 0
	ds_load_2addr_b64 v[104:107], v2 offset0:43 offset1:44
	ds_load_2addr_b64 v[108:111], v2 offset0:45 offset1:46
	scratch_load_b128 v[112:115], off, off offset:128
	s_mov_b32 s0, exec_lo
	s_wait_loadcnt_dscnt 0x601
	v_fma_f64 v[116:117], v[82:83], v[104:105], 0
	s_wait_loadcnt 0x5
	s_delay_alu instid0(VALU_DEP_1) | instskip(SKIP_4) | instid1(VALU_DEP_1)
	v_fmac_f64_e32 v[116:117], v[84:85], v[106:107]
	scratch_load_b128 v[82:85], off, off offset:144
	s_wait_dscnt 0x0
	v_fmac_f64_e32 v[116:117], v[86:87], v[108:109]
	s_wait_loadcnt 0x5
	v_fmac_f64_e32 v[116:117], v[88:89], v[110:111]
	ds_load_2addr_b64 v[86:89], v2 offset0:47 offset1:48
	ds_load_2addr_b64 v[104:107], v2 offset0:49 offset1:50
	scratch_load_b128 v[108:111], off, off offset:160
	s_wait_dscnt 0x1
	v_fmac_f64_e32 v[116:117], v[90:91], v[86:87]
	s_wait_loadcnt 0x5
	s_delay_alu instid0(VALU_DEP_1) | instskip(SKIP_4) | instid1(VALU_DEP_1)
	v_fmac_f64_e32 v[116:117], v[92:93], v[88:89]
	scratch_load_b128 v[86:89], off, off offset:176
	s_wait_dscnt 0x0
	v_fmac_f64_e32 v[116:117], v[94:95], v[104:105]
	s_wait_loadcnt 0x5
	v_fmac_f64_e32 v[116:117], v[96:97], v[106:107]
	ds_load_2addr_b64 v[90:93], v2 offset0:51 offset1:52
	ds_load_2addr_b64 v[94:97], v2 offset0:53 offset1:54
	scratch_load_b128 v[104:107], off, off offset:192
	s_wait_dscnt 0x1
	v_fmac_f64_e32 v[116:117], v[98:99], v[90:91]
	s_wait_loadcnt 0x5
	s_delay_alu instid0(VALU_DEP_1) | instskip(SKIP_4) | instid1(VALU_DEP_1)
	v_fmac_f64_e32 v[116:117], v[100:101], v[92:93]
	scratch_load_b128 v[90:93], off, off offset:208
	s_wait_dscnt 0x0
	v_fmac_f64_e32 v[116:117], v[102:103], v[94:95]
	s_wait_loadcnt 0x5
	v_fmac_f64_e32 v[116:117], v[112:113], v[96:97]
	ds_load_2addr_b64 v[94:97], v2 offset0:55 offset1:56
	ds_load_2addr_b64 v[98:101], v2 offset0:57 offset1:58
	s_wait_dscnt 0x1
	v_fmac_f64_e32 v[116:117], v[114:115], v[94:95]
	s_wait_loadcnt 0x4
	s_delay_alu instid0(VALU_DEP_1)
	v_fmac_f64_e32 v[116:117], v[82:83], v[96:97]
	scratch_load_b128 v[94:97], off, off offset:224
	s_wait_dscnt 0x0
	v_fmac_f64_e32 v[116:117], v[84:85], v[98:99]
	scratch_load_b128 v[82:85], off, off offset:240
	s_wait_loadcnt 0x5
	v_fmac_f64_e32 v[116:117], v[108:109], v[100:101]
	ds_load_2addr_b64 v[98:101], v2 offset0:59 offset1:60
	ds_load_2addr_b64 v[112:115], v2 offset0:61 offset1:62
	s_wait_dscnt 0x1
	v_fmac_f64_e32 v[116:117], v[110:111], v[98:99]
	s_wait_loadcnt 0x4
	s_delay_alu instid0(VALU_DEP_1)
	v_fmac_f64_e32 v[116:117], v[86:87], v[100:101]
	scratch_load_b128 v[98:101], off, off offset:256
	s_wait_dscnt 0x0
	v_fmac_f64_e32 v[116:117], v[88:89], v[112:113]
	scratch_load_b128 v[86:89], off, off offset:272
	s_wait_loadcnt 0x5
	v_fmac_f64_e32 v[116:117], v[104:105], v[114:115]
	ds_load_2addr_b64 v[102:105], v2 offset0:63 offset1:64
	ds_load_2addr_b64 v[108:111], v2 offset0:65 offset1:66
	s_wait_dscnt 0x1
	v_fmac_f64_e32 v[116:117], v[106:107], v[102:103]
	s_wait_loadcnt 0x4
	s_delay_alu instid0(VALU_DEP_1)
	v_fmac_f64_e32 v[116:117], v[90:91], v[104:105]
	scratch_load_b128 v[102:105], off, off offset:288
	s_wait_dscnt 0x0
	v_fmac_f64_e32 v[116:117], v[92:93], v[108:109]
	ds_load_2addr_b64 v[90:93], v2 offset0:67 offset1:68
	ds_load_2addr_b64 v[106:109], v2 offset0:69 offset1:70
	s_wait_loadcnt 0x4
	v_fmac_f64_e32 v[116:117], v[94:95], v[110:111]
	s_wait_dscnt 0x1
	s_delay_alu instid0(VALU_DEP_1) | instskip(SKIP_1) | instid1(VALU_DEP_1)
	v_fmac_f64_e32 v[116:117], v[96:97], v[90:91]
	s_wait_loadcnt 0x3
	v_fmac_f64_e32 v[116:117], v[82:83], v[92:93]
	s_wait_dscnt 0x0
	s_delay_alu instid0(VALU_DEP_1)
	v_fmac_f64_e32 v[116:117], v[84:85], v[106:107]
	ds_load_2addr_b64 v[82:85], v2 offset0:71 offset1:72
	ds_load_2addr_b64 v[90:93], v2 offset0:73 offset1:74
	s_wait_loadcnt 0x2
	v_fmac_f64_e32 v[116:117], v[98:99], v[108:109]
	s_wait_dscnt 0x1
	s_delay_alu instid0(VALU_DEP_1) | instskip(SKIP_4) | instid1(VALU_DEP_1)
	v_fmac_f64_e32 v[116:117], v[100:101], v[82:83]
	ds_load_b64 v[82:83], v2 offset:600
	s_wait_loadcnt 0x1
	v_fmac_f64_e32 v[116:117], v[86:87], v[84:85]
	s_wait_dscnt 0x1
	v_fmac_f64_e32 v[116:117], v[88:89], v[90:91]
	s_wait_loadcnt 0x0
	s_delay_alu instid0(VALU_DEP_1) | instskip(SKIP_1) | instid1(VALU_DEP_1)
	v_fmac_f64_e32 v[116:117], v[102:103], v[92:93]
	s_wait_dscnt 0x0
	v_fmac_f64_e32 v[116:117], v[104:105], v[82:83]
	s_delay_alu instid0(VALU_DEP_1)
	v_add_f64_e64 v[80:81], v[80:81], -v[116:117]
	scratch_store_b64 off, v[80:81], off offset:32
	s_wait_xcnt 0x0
	v_cmpx_lt_u32_e32 3, v0
	s_cbranch_execz .LBB101_231
; %bb.230:
	scratch_load_b64 v[80:81], off, off offset:24
	v_mov_b64_e32 v[82:83], 0
	scratch_store_b64 off, v[82:83], off offset:24
	s_wait_loadcnt 0x0
	ds_store_b64 v1, v[80:81]
.LBB101_231:
	s_wait_xcnt 0x0
	s_or_b32 exec_lo, exec_lo, s0
	s_wait_storecnt_dscnt 0x0
	s_barrier_signal -1
	s_barrier_wait -1
	s_clause 0x5
	scratch_load_b128 v[80:83], off, off offset:24
	scratch_load_b128 v[84:87], off, off offset:40
	;; [unrolled: 1-line block ×6, first 2 shown]
	ds_load_b128 v[104:107], v2 offset:336
	ds_load_b128 v[108:111], v2 offset:352
	scratch_load_b128 v[112:115], off, off offset:120
	s_mov_b32 s0, exec_lo
	s_wait_loadcnt_dscnt 0x601
	v_fma_f64 v[116:117], v[82:83], v[104:105], 0
	s_wait_loadcnt 0x5
	s_delay_alu instid0(VALU_DEP_1) | instskip(SKIP_4) | instid1(VALU_DEP_1)
	v_fmac_f64_e32 v[116:117], v[84:85], v[106:107]
	scratch_load_b128 v[82:85], off, off offset:136
	s_wait_dscnt 0x0
	v_fmac_f64_e32 v[116:117], v[86:87], v[108:109]
	s_wait_loadcnt 0x5
	v_fmac_f64_e32 v[116:117], v[88:89], v[110:111]
	ds_load_b128 v[86:89], v2 offset:368
	ds_load_b128 v[104:107], v2 offset:384
	scratch_load_b128 v[108:111], off, off offset:152
	s_wait_dscnt 0x1
	v_fmac_f64_e32 v[116:117], v[90:91], v[86:87]
	s_wait_loadcnt 0x5
	s_delay_alu instid0(VALU_DEP_1) | instskip(SKIP_4) | instid1(VALU_DEP_1)
	v_fmac_f64_e32 v[116:117], v[92:93], v[88:89]
	scratch_load_b128 v[86:89], off, off offset:168
	s_wait_dscnt 0x0
	v_fmac_f64_e32 v[116:117], v[94:95], v[104:105]
	s_wait_loadcnt 0x5
	v_fmac_f64_e32 v[116:117], v[96:97], v[106:107]
	ds_load_b128 v[90:93], v2 offset:400
	ds_load_b128 v[94:97], v2 offset:416
	scratch_load_b128 v[104:107], off, off offset:184
	s_wait_dscnt 0x1
	v_fmac_f64_e32 v[116:117], v[98:99], v[90:91]
	s_wait_loadcnt 0x5
	s_delay_alu instid0(VALU_DEP_1) | instskip(SKIP_4) | instid1(VALU_DEP_1)
	v_fmac_f64_e32 v[116:117], v[100:101], v[92:93]
	scratch_load_b128 v[90:93], off, off offset:200
	s_wait_dscnt 0x0
	v_fmac_f64_e32 v[116:117], v[102:103], v[94:95]
	s_wait_loadcnt 0x5
	v_fmac_f64_e32 v[116:117], v[112:113], v[96:97]
	ds_load_b128 v[94:97], v2 offset:432
	ds_load_b128 v[98:101], v2 offset:448
	s_wait_dscnt 0x1
	v_fmac_f64_e32 v[116:117], v[114:115], v[94:95]
	scratch_load_b128 v[112:115], off, off offset:216
	s_wait_loadcnt 0x5
	v_fmac_f64_e32 v[116:117], v[82:83], v[96:97]
	s_wait_dscnt 0x0
	s_delay_alu instid0(VALU_DEP_1)
	v_fmac_f64_e32 v[116:117], v[84:85], v[98:99]
	scratch_load_b128 v[82:85], off, off offset:232
	s_wait_loadcnt 0x5
	v_fmac_f64_e32 v[116:117], v[108:109], v[100:101]
	ds_load_b128 v[94:97], v2 offset:464
	ds_load_b128 v[98:101], v2 offset:480
	s_wait_dscnt 0x1
	v_fmac_f64_e32 v[116:117], v[110:111], v[94:95]
	s_wait_loadcnt 0x4
	s_delay_alu instid0(VALU_DEP_1)
	v_fmac_f64_e32 v[116:117], v[86:87], v[96:97]
	scratch_load_b128 v[94:97], off, off offset:248
	s_wait_dscnt 0x0
	v_fmac_f64_e32 v[116:117], v[88:89], v[98:99]
	scratch_load_b128 v[86:89], off, off offset:264
	s_wait_loadcnt 0x5
	v_fmac_f64_e32 v[116:117], v[104:105], v[100:101]
	ds_load_b128 v[98:101], v2 offset:496
	ds_load_b128 v[102:105], v2 offset:512
	s_wait_dscnt 0x1
	v_fmac_f64_e32 v[116:117], v[106:107], v[98:99]
	scratch_load_b64 v[106:107], off, off offset:296
	s_wait_loadcnt 0x5
	v_fmac_f64_e32 v[116:117], v[90:91], v[100:101]
	scratch_load_b128 v[98:101], off, off offset:280
	s_wait_dscnt 0x0
	v_fmac_f64_e32 v[116:117], v[92:93], v[102:103]
	s_wait_loadcnt 0x5
	s_delay_alu instid0(VALU_DEP_1)
	v_fmac_f64_e32 v[116:117], v[112:113], v[104:105]
	ds_load_b128 v[90:93], v2 offset:528
	ds_load_b128 v[102:105], v2 offset:544
	s_wait_dscnt 0x1
	v_fmac_f64_e32 v[116:117], v[114:115], v[90:91]
	s_wait_loadcnt 0x4
	s_delay_alu instid0(VALU_DEP_1) | instskip(SKIP_1) | instid1(VALU_DEP_1)
	v_fmac_f64_e32 v[116:117], v[82:83], v[92:93]
	s_wait_dscnt 0x0
	v_fmac_f64_e32 v[116:117], v[84:85], v[102:103]
	ds_load_b128 v[82:85], v2 offset:560
	ds_load_b128 v[90:93], v2 offset:576
	s_wait_loadcnt 0x3
	v_fmac_f64_e32 v[116:117], v[94:95], v[104:105]
	s_wait_dscnt 0x1
	s_delay_alu instid0(VALU_DEP_1) | instskip(SKIP_1) | instid1(VALU_DEP_1)
	v_fmac_f64_e32 v[116:117], v[96:97], v[82:83]
	s_wait_loadcnt 0x2
	v_fmac_f64_e32 v[116:117], v[86:87], v[84:85]
	ds_load_b128 v[82:85], v2 offset:592
	s_wait_dscnt 0x1
	v_fmac_f64_e32 v[116:117], v[88:89], v[90:91]
	s_wait_loadcnt 0x0
	s_delay_alu instid0(VALU_DEP_1) | instskip(SKIP_1) | instid1(VALU_DEP_1)
	v_fmac_f64_e32 v[116:117], v[98:99], v[92:93]
	s_wait_dscnt 0x0
	v_fmac_f64_e32 v[116:117], v[100:101], v[82:83]
	s_delay_alu instid0(VALU_DEP_1) | instskip(NEXT) | instid1(VALU_DEP_1)
	v_fmac_f64_e32 v[116:117], v[106:107], v[84:85]
	v_add_f64_e64 v[2:3], v[80:81], -v[116:117]
	scratch_store_b64 off, v[2:3], off offset:24
	s_wait_xcnt 0x0
	v_cmpx_lt_u32_e32 2, v0
	s_cbranch_execz .LBB101_233
; %bb.232:
	scratch_load_b64 v[2:3], off, off offset:16
	v_mov_b64_e32 v[80:81], 0
	scratch_store_b64 off, v[80:81], off offset:16
	s_wait_loadcnt 0x0
	ds_store_b64 v1, v[2:3]
.LBB101_233:
	s_wait_xcnt 0x0
	s_or_b32 exec_lo, exec_lo, s0
	s_wait_storecnt_dscnt 0x0
	s_barrier_signal -1
	s_barrier_wait -1
	s_clause 0x5
	scratch_load_b128 v[80:83], off, off offset:16
	scratch_load_b128 v[84:87], off, off offset:32
	;; [unrolled: 1-line block ×6, first 2 shown]
	v_mov_b32_e32 v2, 0
	ds_load_2addr_b64 v[104:107], v2 offset0:41 offset1:42
	ds_load_2addr_b64 v[108:111], v2 offset0:43 offset1:44
	scratch_load_b128 v[112:115], off, off offset:112
	s_mov_b32 s0, exec_lo
	s_wait_loadcnt_dscnt 0x601
	v_fma_f64 v[116:117], v[82:83], v[104:105], 0
	s_wait_loadcnt 0x5
	s_delay_alu instid0(VALU_DEP_1) | instskip(SKIP_4) | instid1(VALU_DEP_1)
	v_fmac_f64_e32 v[116:117], v[84:85], v[106:107]
	scratch_load_b128 v[82:85], off, off offset:128
	s_wait_dscnt 0x0
	v_fmac_f64_e32 v[116:117], v[86:87], v[108:109]
	s_wait_loadcnt 0x5
	v_fmac_f64_e32 v[116:117], v[88:89], v[110:111]
	ds_load_2addr_b64 v[86:89], v2 offset0:45 offset1:46
	ds_load_2addr_b64 v[104:107], v2 offset0:47 offset1:48
	scratch_load_b128 v[108:111], off, off offset:144
	s_wait_dscnt 0x1
	v_fmac_f64_e32 v[116:117], v[90:91], v[86:87]
	s_wait_loadcnt 0x5
	s_delay_alu instid0(VALU_DEP_1) | instskip(SKIP_4) | instid1(VALU_DEP_1)
	v_fmac_f64_e32 v[116:117], v[92:93], v[88:89]
	scratch_load_b128 v[86:89], off, off offset:160
	s_wait_dscnt 0x0
	v_fmac_f64_e32 v[116:117], v[94:95], v[104:105]
	s_wait_loadcnt 0x5
	v_fmac_f64_e32 v[116:117], v[96:97], v[106:107]
	ds_load_2addr_b64 v[90:93], v2 offset0:49 offset1:50
	ds_load_2addr_b64 v[94:97], v2 offset0:51 offset1:52
	scratch_load_b128 v[104:107], off, off offset:176
	s_wait_dscnt 0x1
	v_fmac_f64_e32 v[116:117], v[98:99], v[90:91]
	s_wait_loadcnt 0x5
	s_delay_alu instid0(VALU_DEP_1) | instskip(SKIP_4) | instid1(VALU_DEP_1)
	v_fmac_f64_e32 v[116:117], v[100:101], v[92:93]
	scratch_load_b128 v[90:93], off, off offset:192
	s_wait_dscnt 0x0
	v_fmac_f64_e32 v[116:117], v[102:103], v[94:95]
	s_wait_loadcnt 0x5
	v_fmac_f64_e32 v[116:117], v[112:113], v[96:97]
	ds_load_2addr_b64 v[94:97], v2 offset0:53 offset1:54
	ds_load_2addr_b64 v[98:101], v2 offset0:55 offset1:56
	s_wait_dscnt 0x1
	v_fmac_f64_e32 v[116:117], v[114:115], v[94:95]
	scratch_load_b128 v[112:115], off, off offset:208
	s_wait_loadcnt 0x5
	v_fmac_f64_e32 v[116:117], v[82:83], v[96:97]
	s_wait_dscnt 0x0
	s_delay_alu instid0(VALU_DEP_1)
	v_fmac_f64_e32 v[116:117], v[84:85], v[98:99]
	scratch_load_b128 v[82:85], off, off offset:224
	s_wait_loadcnt 0x5
	v_fmac_f64_e32 v[116:117], v[108:109], v[100:101]
	ds_load_2addr_b64 v[94:97], v2 offset0:57 offset1:58
	ds_load_2addr_b64 v[98:101], v2 offset0:59 offset1:60
	s_wait_dscnt 0x1
	v_fmac_f64_e32 v[116:117], v[110:111], v[94:95]
	s_wait_loadcnt 0x4
	s_delay_alu instid0(VALU_DEP_1)
	v_fmac_f64_e32 v[116:117], v[86:87], v[96:97]
	scratch_load_b128 v[94:97], off, off offset:240
	s_wait_dscnt 0x0
	v_fmac_f64_e32 v[116:117], v[88:89], v[98:99]
	scratch_load_b128 v[86:89], off, off offset:256
	s_wait_loadcnt 0x5
	v_fmac_f64_e32 v[116:117], v[104:105], v[100:101]
	ds_load_2addr_b64 v[98:101], v2 offset0:61 offset1:62
	ds_load_2addr_b64 v[102:105], v2 offset0:63 offset1:64
	s_wait_dscnt 0x1
	v_fmac_f64_e32 v[116:117], v[106:107], v[98:99]
	s_wait_loadcnt 0x4
	s_delay_alu instid0(VALU_DEP_1)
	v_fmac_f64_e32 v[116:117], v[90:91], v[100:101]
	scratch_load_b128 v[98:101], off, off offset:272
	s_wait_dscnt 0x0
	v_fmac_f64_e32 v[116:117], v[92:93], v[102:103]
	scratch_load_b128 v[90:93], off, off offset:288
	s_wait_loadcnt 0x5
	v_fmac_f64_e32 v[116:117], v[112:113], v[104:105]
	ds_load_2addr_b64 v[102:105], v2 offset0:65 offset1:66
	ds_load_2addr_b64 v[106:109], v2 offset0:67 offset1:68
	s_wait_dscnt 0x1
	v_fmac_f64_e32 v[116:117], v[114:115], v[102:103]
	s_wait_loadcnt 0x4
	s_delay_alu instid0(VALU_DEP_1) | instskip(SKIP_1) | instid1(VALU_DEP_1)
	v_fmac_f64_e32 v[116:117], v[82:83], v[104:105]
	s_wait_dscnt 0x0
	v_fmac_f64_e32 v[116:117], v[84:85], v[106:107]
	ds_load_2addr_b64 v[82:85], v2 offset0:69 offset1:70
	ds_load_2addr_b64 v[102:105], v2 offset0:71 offset1:72
	s_wait_loadcnt 0x3
	v_fmac_f64_e32 v[116:117], v[94:95], v[108:109]
	s_wait_dscnt 0x1
	s_delay_alu instid0(VALU_DEP_1) | instskip(SKIP_1) | instid1(VALU_DEP_1)
	v_fmac_f64_e32 v[116:117], v[96:97], v[82:83]
	s_wait_loadcnt 0x2
	v_fmac_f64_e32 v[116:117], v[86:87], v[84:85]
	ds_load_2addr_b64 v[82:85], v2 offset0:73 offset1:74
	ds_load_b64 v[86:87], v2 offset:600
	s_wait_dscnt 0x2
	v_fmac_f64_e32 v[116:117], v[88:89], v[102:103]
	s_wait_loadcnt 0x1
	s_delay_alu instid0(VALU_DEP_1) | instskip(SKIP_1) | instid1(VALU_DEP_1)
	v_fmac_f64_e32 v[116:117], v[98:99], v[104:105]
	s_wait_dscnt 0x1
	v_fmac_f64_e32 v[116:117], v[100:101], v[82:83]
	s_wait_loadcnt 0x0
	s_delay_alu instid0(VALU_DEP_1) | instskip(SKIP_1) | instid1(VALU_DEP_1)
	v_fmac_f64_e32 v[116:117], v[90:91], v[84:85]
	s_wait_dscnt 0x0
	v_fmac_f64_e32 v[116:117], v[92:93], v[86:87]
	s_delay_alu instid0(VALU_DEP_1)
	v_add_f64_e64 v[80:81], v[80:81], -v[116:117]
	scratch_store_b64 off, v[80:81], off offset:16
	s_wait_xcnt 0x0
	v_cmpx_lt_u32_e32 1, v0
	s_cbranch_execz .LBB101_235
; %bb.234:
	scratch_load_b64 v[80:81], off, off offset:8
	v_mov_b64_e32 v[82:83], 0
	scratch_store_b64 off, v[82:83], off offset:8
	s_wait_loadcnt 0x0
	ds_store_b64 v1, v[80:81]
.LBB101_235:
	s_wait_xcnt 0x0
	s_or_b32 exec_lo, exec_lo, s0
	s_wait_storecnt_dscnt 0x0
	s_barrier_signal -1
	s_barrier_wait -1
	s_clause 0x5
	scratch_load_b128 v[80:83], off, off offset:8
	scratch_load_b128 v[84:87], off, off offset:24
	;; [unrolled: 1-line block ×6, first 2 shown]
	ds_load_b128 v[104:107], v2 offset:320
	ds_load_b128 v[108:111], v2 offset:336
	v_dual_ashrrev_i32 v9, 31, v8 :: v_dual_ashrrev_i32 v11, 31, v10
	v_dual_ashrrev_i32 v13, 31, v12 :: v_dual_ashrrev_i32 v15, 31, v14
	;; [unrolled: 1-line block ×17, first 2 shown]
	v_ashrrev_i32_e32 v77, 31, v76
	s_mov_b32 s0, exec_lo
	v_ashrrev_i32_e32 v27, 31, v26
	s_wait_loadcnt_dscnt 0x501
	v_fma_f64 v[112:113], v[82:83], v[104:105], 0
	s_wait_loadcnt 0x4
	s_delay_alu instid0(VALU_DEP_1) | instskip(SKIP_4) | instid1(VALU_DEP_1)
	v_fmac_f64_e32 v[112:113], v[84:85], v[106:107]
	scratch_load_b128 v[82:85], off, off offset:104
	s_wait_dscnt 0x0
	v_fmac_f64_e32 v[112:113], v[86:87], v[108:109]
	s_wait_loadcnt 0x4
	v_fmac_f64_e32 v[112:113], v[88:89], v[110:111]
	ds_load_b128 v[86:89], v2 offset:352
	ds_load_b128 v[104:107], v2 offset:368
	scratch_load_b128 v[108:111], off, off offset:120
	s_wait_dscnt 0x1
	v_fmac_f64_e32 v[112:113], v[90:91], v[86:87]
	s_wait_loadcnt 0x4
	s_delay_alu instid0(VALU_DEP_1) | instskip(SKIP_4) | instid1(VALU_DEP_1)
	v_fmac_f64_e32 v[112:113], v[92:93], v[88:89]
	scratch_load_b128 v[86:89], off, off offset:136
	s_wait_dscnt 0x0
	v_fmac_f64_e32 v[112:113], v[94:95], v[104:105]
	s_wait_loadcnt 0x4
	v_fmac_f64_e32 v[112:113], v[96:97], v[106:107]
	ds_load_b128 v[90:93], v2 offset:384
	ds_load_b128 v[94:97], v2 offset:400
	scratch_load_b128 v[104:107], off, off offset:152
	s_wait_dscnt 0x1
	v_fmac_f64_e32 v[112:113], v[98:99], v[90:91]
	s_wait_loadcnt 0x4
	s_delay_alu instid0(VALU_DEP_1) | instskip(SKIP_4) | instid1(VALU_DEP_1)
	v_fmac_f64_e32 v[112:113], v[100:101], v[92:93]
	scratch_load_b128 v[90:93], off, off offset:168
	s_wait_dscnt 0x0
	v_fmac_f64_e32 v[112:113], v[102:103], v[94:95]
	s_wait_loadcnt 0x4
	v_fmac_f64_e32 v[112:113], v[82:83], v[96:97]
	ds_load_b128 v[94:97], v2 offset:416
	ds_load_b128 v[98:101], v2 offset:432
	s_wait_dscnt 0x1
	v_fmac_f64_e32 v[112:113], v[84:85], v[94:95]
	scratch_load_b128 v[82:85], off, off offset:184
	s_wait_loadcnt 0x4
	v_fmac_f64_e32 v[112:113], v[108:109], v[96:97]
	scratch_load_b128 v[94:97], off, off offset:200
	s_wait_dscnt 0x0
	v_fmac_f64_e32 v[112:113], v[110:111], v[98:99]
	s_wait_loadcnt 0x4
	s_delay_alu instid0(VALU_DEP_1)
	v_fmac_f64_e32 v[112:113], v[86:87], v[100:101]
	ds_load_b128 v[98:101], v2 offset:448
	ds_load_b128 v[108:111], v2 offset:464
	s_wait_dscnt 0x1
	v_fmac_f64_e32 v[112:113], v[88:89], v[98:99]
	scratch_load_b128 v[86:89], off, off offset:216
	s_wait_loadcnt 0x4
	v_fmac_f64_e32 v[112:113], v[104:105], v[100:101]
	scratch_load_b128 v[98:101], off, off offset:232
	s_wait_dscnt 0x0
	v_fmac_f64_e32 v[112:113], v[106:107], v[108:109]
	ds_load_b128 v[102:105], v2 offset:480
	ds_load_b128 v[106:109], v2 offset:496
	s_wait_loadcnt 0x4
	v_fmac_f64_e32 v[112:113], v[90:91], v[110:111]
	s_wait_dscnt 0x1
	s_delay_alu instid0(VALU_DEP_1) | instskip(SKIP_4) | instid1(VALU_DEP_1)
	v_fmac_f64_e32 v[112:113], v[92:93], v[102:103]
	scratch_load_b128 v[90:93], off, off offset:248
	s_wait_loadcnt 0x4
	v_fmac_f64_e32 v[112:113], v[82:83], v[104:105]
	s_wait_dscnt 0x0
	v_fmac_f64_e32 v[112:113], v[84:85], v[106:107]
	scratch_load_b128 v[82:85], off, off offset:264
	s_wait_loadcnt 0x4
	v_fmac_f64_e32 v[112:113], v[94:95], v[108:109]
	ds_load_b128 v[102:105], v2 offset:512
	ds_load_b128 v[106:109], v2 offset:528
	scratch_load_b64 v[110:111], off, off offset:296
	s_wait_dscnt 0x1
	v_fmac_f64_e32 v[112:113], v[96:97], v[102:103]
	scratch_load_b128 v[94:97], off, off offset:280
	s_wait_loadcnt 0x5
	v_fmac_f64_e32 v[112:113], v[86:87], v[104:105]
	s_wait_dscnt 0x0
	s_delay_alu instid0(VALU_DEP_1)
	v_fmac_f64_e32 v[112:113], v[88:89], v[106:107]
	ds_load_b128 v[86:89], v2 offset:544
	ds_load_b128 v[102:105], v2 offset:560
	s_wait_loadcnt 0x4
	v_fmac_f64_e32 v[112:113], v[98:99], v[108:109]
	s_wait_dscnt 0x1
	s_delay_alu instid0(VALU_DEP_1) | instskip(SKIP_1) | instid1(VALU_DEP_1)
	v_fmac_f64_e32 v[112:113], v[100:101], v[86:87]
	s_wait_loadcnt 0x3
	v_fmac_f64_e32 v[112:113], v[90:91], v[88:89]
	s_wait_dscnt 0x0
	s_delay_alu instid0(VALU_DEP_1)
	v_fmac_f64_e32 v[112:113], v[92:93], v[102:103]
	ds_load_b128 v[86:89], v2 offset:576
	ds_load_b128 v[90:93], v2 offset:592
	s_wait_loadcnt 0x2
	v_fmac_f64_e32 v[112:113], v[82:83], v[104:105]
	s_wait_dscnt 0x1
	s_delay_alu instid0(VALU_DEP_1) | instskip(SKIP_1) | instid1(VALU_DEP_1)
	v_fmac_f64_e32 v[112:113], v[84:85], v[86:87]
	s_wait_loadcnt 0x0
	v_fmac_f64_e32 v[112:113], v[94:95], v[88:89]
	s_wait_dscnt 0x0
	s_delay_alu instid0(VALU_DEP_1) | instskip(NEXT) | instid1(VALU_DEP_1)
	v_fmac_f64_e32 v[112:113], v[96:97], v[90:91]
	v_fmac_f64_e32 v[112:113], v[110:111], v[92:93]
	s_delay_alu instid0(VALU_DEP_1)
	v_add_f64_e64 v[2:3], v[80:81], -v[112:113]
	scratch_store_b64 off, v[2:3], off offset:8
	s_wait_xcnt 0x0
	v_cmpx_ne_u32_e32 0, v0
	s_cbranch_execz .LBB101_237
; %bb.236:
	scratch_load_b64 v[2:3], off, off
	v_mov_b64_e32 v[80:81], 0
	scratch_store_b64 off, v[80:81], off
	s_wait_loadcnt 0x0
	ds_store_b64 v1, v[2:3]
.LBB101_237:
	s_wait_xcnt 0x0
	s_or_b32 exec_lo, exec_lo, s0
	s_wait_storecnt_dscnt 0x0
	s_barrier_signal -1
	s_barrier_wait -1
	s_clause 0x5
	scratch_load_b128 v[84:87], off, off
	scratch_load_b128 v[0:3], off, off offset:16
	scratch_load_b128 v[88:91], off, off offset:32
	;; [unrolled: 1-line block ×5, first 2 shown]
	v_mov_b32_e32 v82, 0
	scratch_load_b128 v[108:111], off, off offset:96
	s_and_b32 vcc_lo, exec_lo, s12
	scratch_load_b128 v[112:115], off, off offset:208
	ds_load_2addr_b64 v[104:107], v82 offset0:39 offset1:40
	s_wait_loadcnt_dscnt 0x700
	v_fma_f64 v[80:81], v[86:87], v[104:105], 0
	s_wait_loadcnt 0x6
	s_delay_alu instid0(VALU_DEP_1)
	v_fmac_f64_e32 v[80:81], v[0:1], v[106:107]
	ds_load_2addr_b64 v[104:107], v82 offset0:41 offset1:42
	s_wait_dscnt 0x0
	v_fmac_f64_e32 v[80:81], v[2:3], v[104:105]
	scratch_load_b128 v[0:3], off, off offset:112
	s_wait_loadcnt 0x6
	v_fmac_f64_e32 v[80:81], v[88:89], v[106:107]
	ds_load_2addr_b64 v[86:89], v82 offset0:43 offset1:44
	scratch_load_b128 v[104:107], off, off offset:128
	s_wait_dscnt 0x0
	v_fmac_f64_e32 v[80:81], v[90:91], v[86:87]
	s_wait_loadcnt 0x6
	s_delay_alu instid0(VALU_DEP_1)
	v_fmac_f64_e32 v[80:81], v[92:93], v[88:89]
	ds_load_2addr_b64 v[86:89], v82 offset0:45 offset1:46
	scratch_load_b128 v[90:93], off, off offset:144
	s_wait_dscnt 0x0
	v_fmac_f64_e32 v[80:81], v[94:95], v[86:87]
	s_wait_loadcnt 0x6
	s_delay_alu instid0(VALU_DEP_1)
	;; [unrolled: 7-line block ×4, first 2 shown]
	v_fmac_f64_e32 v[80:81], v[108:109], v[88:89]
	ds_load_2addr_b64 v[86:89], v82 offset0:51 offset1:52
	s_wait_dscnt 0x0
	v_fmac_f64_e32 v[80:81], v[110:111], v[86:87]
	scratch_load_b128 v[108:111], off, off offset:192
	s_wait_loadcnt 0x5
	v_fmac_f64_e32 v[80:81], v[0:1], v[88:89]
	ds_load_2addr_b64 v[86:89], v82 offset0:53 offset1:54
	s_wait_dscnt 0x0
	v_fmac_f64_e32 v[80:81], v[2:3], v[86:87]
	ds_load_2addr_b64 v[0:3], v82 offset0:55 offset1:56
	s_wait_loadcnt 0x4
	v_fmac_f64_e32 v[80:81], v[104:105], v[88:89]
	ds_load_2addr_b64 v[102:105], v82 offset0:63 offset1:64
	scratch_load_b128 v[86:89], off, off offset:224
	s_wait_dscnt 0x1
	v_fmac_f64_e32 v[80:81], v[106:107], v[0:1]
	s_wait_loadcnt 0x4
	s_delay_alu instid0(VALU_DEP_1)
	v_fmac_f64_e32 v[80:81], v[90:91], v[2:3]
	ds_load_2addr_b64 v[0:3], v82 offset0:57 offset1:58
	s_wait_dscnt 0x0
	v_fmac_f64_e32 v[80:81], v[92:93], v[0:1]
	scratch_load_b128 v[90:93], off, off offset:240
	s_wait_loadcnt 0x4
	v_fmac_f64_e32 v[80:81], v[94:95], v[2:3]
	ds_load_2addr_b64 v[0:3], v82 offset0:59 offset1:60
	s_wait_dscnt 0x0
	v_fmac_f64_e32 v[80:81], v[96:97], v[0:1]
	scratch_load_b128 v[94:97], off, off offset:256
	s_wait_loadcnt 0x4
	;; [unrolled: 6-line block ×3, first 2 shown]
	v_fmac_f64_e32 v[80:81], v[108:109], v[2:3]
	scratch_load_b128 v[0:3], off, off offset:288
	v_fmac_f64_e32 v[80:81], v[110:111], v[102:103]
	s_delay_alu instid0(VALU_DEP_1) | instskip(SKIP_4) | instid1(VALU_DEP_1)
	v_fmac_f64_e32 v[80:81], v[112:113], v[104:105]
	ds_load_2addr_b64 v[102:105], v82 offset0:65 offset1:66
	s_wait_dscnt 0x0
	v_fmac_f64_e32 v[80:81], v[114:115], v[102:103]
	s_wait_loadcnt 0x4
	v_fmac_f64_e32 v[80:81], v[86:87], v[104:105]
	ds_load_2addr_b64 v[102:105], v82 offset0:67 offset1:68
	s_wait_dscnt 0x0
	v_fmac_f64_e32 v[80:81], v[88:89], v[102:103]
	ds_load_2addr_b64 v[86:89], v82 offset0:69 offset1:70
	s_wait_loadcnt 0x3
	v_fmac_f64_e32 v[80:81], v[90:91], v[104:105]
	s_wait_dscnt 0x0
	s_delay_alu instid0(VALU_DEP_1) | instskip(SKIP_1) | instid1(VALU_DEP_1)
	v_fmac_f64_e32 v[80:81], v[92:93], v[86:87]
	s_wait_loadcnt 0x2
	v_fmac_f64_e32 v[80:81], v[94:95], v[88:89]
	ds_load_2addr_b64 v[86:89], v82 offset0:71 offset1:72
	s_wait_dscnt 0x0
	v_fmac_f64_e32 v[80:81], v[96:97], v[86:87]
	s_wait_loadcnt 0x1
	s_delay_alu instid0(VALU_DEP_1)
	v_fmac_f64_e32 v[80:81], v[98:99], v[88:89]
	ds_load_2addr_b64 v[86:89], v82 offset0:73 offset1:74
	s_wait_dscnt 0x0
	v_fmac_f64_e32 v[80:81], v[100:101], v[86:87]
	ds_load_b64 v[86:87], v82 offset:600
	s_wait_loadcnt 0x0
	v_fmac_f64_e32 v[80:81], v[0:1], v[88:89]
	s_wait_dscnt 0x0
	s_delay_alu instid0(VALU_DEP_1) | instskip(NEXT) | instid1(VALU_DEP_1)
	v_fmac_f64_e32 v[80:81], v[2:3], v[86:87]
	v_add_f64_e64 v[80:81], v[84:85], -v[80:81]
	scratch_store_b64 off, v[80:81], off
	s_cbranch_vccz .LBB101_312
; %bb.238:
	global_load_b32 v2, v82, s[8:9] offset:144
	s_wait_loadcnt 0x0
	v_cmp_ne_u32_e32 vcc_lo, 37, v2
	s_cbranch_vccz .LBB101_240
; %bb.239:
	v_lshlrev_b32_e32 v2, 3, v2
	s_wait_xcnt 0x1
	s_delay_alu instid0(VALU_DEP_1)
	v_mov_b32_e32 v80, v2
	scratch_load_b64 v[2:3], v80, off offset:-8
	s_wait_loadcnt 0x0
	scratch_store_b64 off, v[2:3], off offset:288
	scratch_store_b64 v80, v[0:1], off offset:-8
.LBB101_240:
	s_wait_xcnt 0x0
	v_mov_b32_e32 v0, 0
	global_load_b32 v1, v0, s[8:9] offset:140
	s_wait_loadcnt 0x0
	v_cmp_eq_u32_e32 vcc_lo, 36, v1
	s_cbranch_vccnz .LBB101_242
; %bb.241:
	v_lshlrev_b32_e32 v1, 3, v1
	scratch_load_b64 v[2:3], v1, off offset:-8
	scratch_load_b64 v[80:81], off, off offset:280
	s_wait_loadcnt 0x1
	scratch_store_b64 off, v[2:3], off offset:280
	s_wait_loadcnt 0x0
	scratch_store_b64 v1, v[80:81], off offset:-8
.LBB101_242:
	global_load_b32 v0, v0, s[8:9] offset:136
	s_wait_loadcnt 0x0
	v_cmp_eq_u32_e32 vcc_lo, 35, v0
	s_cbranch_vccnz .LBB101_244
; %bb.243:
	s_wait_xcnt 0x0
	v_lshlrev_b32_e32 v0, 3, v0
	s_delay_alu instid0(VALU_DEP_1)
	v_mov_b32_e32 v80, v0
	scratch_load_b64 v[0:1], v80, off offset:-8
	scratch_load_b64 v[2:3], off, off offset:272
	s_wait_loadcnt 0x1
	scratch_store_b64 off, v[0:1], off offset:272
	s_wait_loadcnt 0x0
	scratch_store_b64 v80, v[2:3], off offset:-8
.LBB101_244:
	s_wait_xcnt 0x0
	v_mov_b32_e32 v0, 0
	global_load_b32 v1, v0, s[8:9] offset:132
	s_wait_loadcnt 0x0
	v_cmp_eq_u32_e32 vcc_lo, 34, v1
	s_cbranch_vccnz .LBB101_246
; %bb.245:
	v_lshlrev_b32_e32 v1, 3, v1
	scratch_load_b64 v[2:3], v1, off offset:-8
	scratch_load_b64 v[80:81], off, off offset:264
	s_wait_loadcnt 0x1
	scratch_store_b64 off, v[2:3], off offset:264
	s_wait_loadcnt 0x0
	scratch_store_b64 v1, v[80:81], off offset:-8
.LBB101_246:
	global_load_b32 v0, v0, s[8:9] offset:128
	s_wait_loadcnt 0x0
	v_cmp_eq_u32_e32 vcc_lo, 33, v0
	s_cbranch_vccnz .LBB101_248
; %bb.247:
	s_wait_xcnt 0x0
	v_lshlrev_b32_e32 v0, 3, v0
	s_delay_alu instid0(VALU_DEP_1)
	v_mov_b32_e32 v80, v0
	scratch_load_b64 v[0:1], v80, off offset:-8
	scratch_load_b64 v[2:3], off, off offset:256
	s_wait_loadcnt 0x1
	scratch_store_b64 off, v[0:1], off offset:256
	s_wait_loadcnt 0x0
	scratch_store_b64 v80, v[2:3], off offset:-8
.LBB101_248:
	;; [unrolled: 31-line block ×17, first 2 shown]
	s_wait_xcnt 0x0
	v_mov_b32_e32 v0, 0
	global_load_b32 v1, v0, s[8:9] offset:4
	s_wait_loadcnt 0x0
	v_cmp_eq_u32_e32 vcc_lo, 2, v1
	s_cbranch_vccnz .LBB101_310
; %bb.309:
	v_lshlrev_b32_e32 v1, 3, v1
	scratch_load_b64 v[2:3], v1, off offset:-8
	scratch_load_b64 v[80:81], off, off offset:8
	s_wait_loadcnt 0x1
	scratch_store_b64 off, v[2:3], off offset:8
	s_wait_loadcnt 0x0
	scratch_store_b64 v1, v[80:81], off offset:-8
.LBB101_310:
	global_load_b32 v0, v0, s[8:9]
	scratch_load_b64 v[80:81], off, off
	s_wait_loadcnt 0x1
	v_cmp_eq_u32_e32 vcc_lo, 1, v0
	s_cbranch_vccnz .LBB101_312
; %bb.311:
	s_wait_xcnt 0x1
	v_lshlrev_b32_e32 v0, 3, v0
	s_delay_alu instid0(VALU_DEP_1)
	v_mov_b32_e32 v2, v0
	scratch_load_b64 v[0:1], v2, off offset:-8
	s_wait_loadcnt 0x0
	scratch_store_b64 off, v[0:1], off
	scratch_store_b64 v2, v[80:81], off offset:-8
	scratch_load_b64 v[80:81], off, off
.LBB101_312:
	s_wait_loadcnt 0x0
	flat_store_b64 v[4:5], v[80:81]
	scratch_load_b64 v[4:5], off, off offset:8
	v_lshl_add_u64 v[114:115], v[8:9], 3, s[2:3]
	v_lshl_add_u64 v[112:113], v[10:11], 3, s[2:3]
	;; [unrolled: 1-line block ×36, first 2 shown]
	s_wait_loadcnt 0x0
	flat_store_b64 v[6:7], v[4:5]
	scratch_load_b64 v[4:5], off, off offset:16
	s_wait_loadcnt 0x0
	flat_store_b64 v[114:115], v[4:5]
	scratch_load_b64 v[4:5], off, off offset:24
	;; [unrolled: 3-line block ×36, first 2 shown]
	s_wait_loadcnt 0x0
	flat_store_b64 v[0:1], v[2:3]
	s_sendmsg sendmsg(MSG_DEALLOC_VGPRS)
	s_endpgm
	.section	.rodata,"a",@progbits
	.p2align	6, 0x0
	.amdhsa_kernel _ZN9rocsolver6v33100L18getri_kernel_smallILi38EdPKPdEEvT1_iilPiilS6_bb
		.amdhsa_group_segment_fixed_size 616
		.amdhsa_private_segment_fixed_size 320
		.amdhsa_kernarg_size 60
		.amdhsa_user_sgpr_count 2
		.amdhsa_user_sgpr_dispatch_ptr 0
		.amdhsa_user_sgpr_queue_ptr 0
		.amdhsa_user_sgpr_kernarg_segment_ptr 1
		.amdhsa_user_sgpr_dispatch_id 0
		.amdhsa_user_sgpr_kernarg_preload_length 0
		.amdhsa_user_sgpr_kernarg_preload_offset 0
		.amdhsa_user_sgpr_private_segment_size 0
		.amdhsa_wavefront_size32 1
		.amdhsa_uses_dynamic_stack 0
		.amdhsa_enable_private_segment 1
		.amdhsa_system_sgpr_workgroup_id_x 1
		.amdhsa_system_sgpr_workgroup_id_y 0
		.amdhsa_system_sgpr_workgroup_id_z 0
		.amdhsa_system_sgpr_workgroup_info 0
		.amdhsa_system_vgpr_workitem_id 0
		.amdhsa_next_free_vgpr 118
		.amdhsa_next_free_sgpr 19
		.amdhsa_named_barrier_count 0
		.amdhsa_reserve_vcc 1
		.amdhsa_float_round_mode_32 0
		.amdhsa_float_round_mode_16_64 0
		.amdhsa_float_denorm_mode_32 3
		.amdhsa_float_denorm_mode_16_64 3
		.amdhsa_fp16_overflow 0
		.amdhsa_memory_ordered 1
		.amdhsa_forward_progress 1
		.amdhsa_inst_pref_size 254
		.amdhsa_round_robin_scheduling 0
		.amdhsa_exception_fp_ieee_invalid_op 0
		.amdhsa_exception_fp_denorm_src 0
		.amdhsa_exception_fp_ieee_div_zero 0
		.amdhsa_exception_fp_ieee_overflow 0
		.amdhsa_exception_fp_ieee_underflow 0
		.amdhsa_exception_fp_ieee_inexact 0
		.amdhsa_exception_int_div_zero 0
	.end_amdhsa_kernel
	.section	.text._ZN9rocsolver6v33100L18getri_kernel_smallILi38EdPKPdEEvT1_iilPiilS6_bb,"axG",@progbits,_ZN9rocsolver6v33100L18getri_kernel_smallILi38EdPKPdEEvT1_iilPiilS6_bb,comdat
.Lfunc_end101:
	.size	_ZN9rocsolver6v33100L18getri_kernel_smallILi38EdPKPdEEvT1_iilPiilS6_bb, .Lfunc_end101-_ZN9rocsolver6v33100L18getri_kernel_smallILi38EdPKPdEEvT1_iilPiilS6_bb
                                        ; -- End function
	.set _ZN9rocsolver6v33100L18getri_kernel_smallILi38EdPKPdEEvT1_iilPiilS6_bb.num_vgpr, 118
	.set _ZN9rocsolver6v33100L18getri_kernel_smallILi38EdPKPdEEvT1_iilPiilS6_bb.num_agpr, 0
	.set _ZN9rocsolver6v33100L18getri_kernel_smallILi38EdPKPdEEvT1_iilPiilS6_bb.numbered_sgpr, 19
	.set _ZN9rocsolver6v33100L18getri_kernel_smallILi38EdPKPdEEvT1_iilPiilS6_bb.num_named_barrier, 0
	.set _ZN9rocsolver6v33100L18getri_kernel_smallILi38EdPKPdEEvT1_iilPiilS6_bb.private_seg_size, 320
	.set _ZN9rocsolver6v33100L18getri_kernel_smallILi38EdPKPdEEvT1_iilPiilS6_bb.uses_vcc, 1
	.set _ZN9rocsolver6v33100L18getri_kernel_smallILi38EdPKPdEEvT1_iilPiilS6_bb.uses_flat_scratch, 1
	.set _ZN9rocsolver6v33100L18getri_kernel_smallILi38EdPKPdEEvT1_iilPiilS6_bb.has_dyn_sized_stack, 0
	.set _ZN9rocsolver6v33100L18getri_kernel_smallILi38EdPKPdEEvT1_iilPiilS6_bb.has_recursion, 0
	.set _ZN9rocsolver6v33100L18getri_kernel_smallILi38EdPKPdEEvT1_iilPiilS6_bb.has_indirect_call, 0
	.section	.AMDGPU.csdata,"",@progbits
; Kernel info:
; codeLenInByte = 32448
; TotalNumSgprs: 21
; NumVgprs: 118
; ScratchSize: 320
; MemoryBound: 0
; FloatMode: 240
; IeeeMode: 1
; LDSByteSize: 616 bytes/workgroup (compile time only)
; SGPRBlocks: 0
; VGPRBlocks: 7
; NumSGPRsForWavesPerEU: 21
; NumVGPRsForWavesPerEU: 118
; NamedBarCnt: 0
; Occupancy: 8
; WaveLimiterHint : 1
; COMPUTE_PGM_RSRC2:SCRATCH_EN: 1
; COMPUTE_PGM_RSRC2:USER_SGPR: 2
; COMPUTE_PGM_RSRC2:TRAP_HANDLER: 0
; COMPUTE_PGM_RSRC2:TGID_X_EN: 1
; COMPUTE_PGM_RSRC2:TGID_Y_EN: 0
; COMPUTE_PGM_RSRC2:TGID_Z_EN: 0
; COMPUTE_PGM_RSRC2:TIDIG_COMP_CNT: 0
	.section	.text._ZN9rocsolver6v33100L18getri_kernel_smallILi39EdPKPdEEvT1_iilPiilS6_bb,"axG",@progbits,_ZN9rocsolver6v33100L18getri_kernel_smallILi39EdPKPdEEvT1_iilPiilS6_bb,comdat
	.globl	_ZN9rocsolver6v33100L18getri_kernel_smallILi39EdPKPdEEvT1_iilPiilS6_bb ; -- Begin function _ZN9rocsolver6v33100L18getri_kernel_smallILi39EdPKPdEEvT1_iilPiilS6_bb
	.p2align	8
	.type	_ZN9rocsolver6v33100L18getri_kernel_smallILi39EdPKPdEEvT1_iilPiilS6_bb,@function
_ZN9rocsolver6v33100L18getri_kernel_smallILi39EdPKPdEEvT1_iilPiilS6_bb: ; @_ZN9rocsolver6v33100L18getri_kernel_smallILi39EdPKPdEEvT1_iilPiilS6_bb
; %bb.0:
	s_mov_b32 s2, exec_lo
	v_cmpx_gt_u32_e32 39, v0
	s_cbranch_execz .LBB102_166
; %bb.1:
	s_clause 0x1
	s_load_b32 s13, s[0:1], 0x38
	s_load_b64 s[2:3], s[0:1], 0x0
	s_getreg_b32 s6, hwreg(HW_REG_IB_STS2, 6, 4)
	s_wait_kmcnt 0x0
	s_bitcmp1_b32 s13, 8
	s_cselect_b32 s12, -1, 0
	s_bfe_u32 s4, ttmp6, 0x4000c
	s_and_b32 s5, ttmp6, 15
	s_add_co_i32 s4, s4, 1
	s_delay_alu instid0(SALU_CYCLE_1) | instskip(NEXT) | instid1(SALU_CYCLE_1)
	s_mul_i32 s4, ttmp9, s4
	s_add_co_i32 s5, s5, s4
	s_cmp_eq_u32 s6, 0
	s_cselect_b32 s10, ttmp9, s5
	s_load_b128 s[4:7], s[0:1], 0x28
	s_ashr_i32 s11, s10, 31
	s_delay_alu instid0(SALU_CYCLE_1) | instskip(NEXT) | instid1(SALU_CYCLE_1)
	s_lshl_b64 s[8:9], s[10:11], 3
	s_add_nc_u64 s[2:3], s[2:3], s[8:9]
	s_bfe_u32 s8, s13, 0x10008
	s_load_b64 s[2:3], s[2:3], 0x0
	s_cmp_eq_u32 s8, 0
                                        ; implicit-def: $sgpr8_sgpr9
	s_cbranch_scc1 .LBB102_3
; %bb.2:
	s_load_b96 s[16:18], s[0:1], 0x18
	s_wait_kmcnt 0x0
	s_mul_u64 s[4:5], s[4:5], s[10:11]
	s_delay_alu instid0(SALU_CYCLE_1) | instskip(SKIP_4) | instid1(SALU_CYCLE_1)
	s_lshl_b64 s[4:5], s[4:5], 2
	s_ashr_i32 s9, s18, 31
	s_mov_b32 s8, s18
	s_add_nc_u64 s[4:5], s[16:17], s[4:5]
	s_lshl_b64 s[8:9], s[8:9], 2
	s_add_nc_u64 s[8:9], s[4:5], s[8:9]
.LBB102_3:
	s_wait_kmcnt 0x0
	s_clause 0x1
	s_load_b64 s[4:5], s[0:1], 0x8
	s_load_b32 s13, s[0:1], 0x38
	v_dual_mov_b32 v3, 0 :: v_dual_lshlrev_b32 v2, 3, v0
	s_wait_kmcnt 0x0
	s_ashr_i32 s1, s4, 31
	s_mov_b32 s0, s4
	s_delay_alu instid0(SALU_CYCLE_1) | instskip(NEXT) | instid1(SALU_CYCLE_1)
	s_lshl_b64 s[0:1], s[0:1], 3
	s_add_nc_u64 s[2:3], s[2:3], s[0:1]
	s_ashr_i32 s1, s5, 31
	flat_load_b64 v[8:9], v0, s[2:3] scale_offset
	v_add_nc_u64_e32 v[4:5], s[2:3], v[2:3]
	s_mov_b32 s0, s5
	s_bitcmp0_b32 s13, 0
	s_delay_alu instid0(VALU_DEP_1)
	v_lshl_add_u64 v[6:7], s[0:1], 3, v[4:5]
	s_mov_b32 s1, -1
	s_wait_loadcnt_dscnt 0x0
	scratch_store_b64 off, v[8:9], off
	flat_load_b64 v[10:11], v[6:7]
	s_wait_xcnt 0x1
	v_add3_u32 v8, s5, s5, v0
	s_wait_loadcnt_dscnt 0x0
	scratch_store_b64 off, v[10:11], off offset:8
	flat_load_b64 v[12:13], v8, s[2:3] scale_offset
	s_wait_xcnt 0x1
	v_add_nc_u32_e32 v10, s5, v8
	s_wait_loadcnt_dscnt 0x0
	scratch_store_b64 off, v[12:13], off offset:16
	flat_load_b64 v[14:15], v10, s[2:3] scale_offset
	s_wait_xcnt 0x1
	v_add_nc_u32_e32 v12, s5, v10
	;; [unrolled: 5-line block ×36, first 2 shown]
	s_wait_loadcnt_dscnt 0x0
	scratch_store_b64 off, v[82:83], off offset:296
	flat_load_b64 v[82:83], v80, s[2:3] scale_offset
	s_wait_loadcnt_dscnt 0x0
	scratch_store_b64 off, v[82:83], off offset:304
	s_cbranch_scc1 .LBB102_164
; %bb.4:
	v_cmp_eq_u32_e64 s0, 0, v0
	s_wait_xcnt 0x0
	s_and_saveexec_b32 s1, s0
; %bb.5:
	v_mov_b32_e32 v1, 0
	ds_store_b32 v1, v1 offset:312
; %bb.6:
	s_or_b32 exec_lo, exec_lo, s1
	s_wait_storecnt_dscnt 0x0
	s_barrier_signal -1
	s_barrier_wait -1
	scratch_load_b64 v[82:83], v0, off scale_offset
	s_mov_b32 s4, exec_lo
	s_wait_loadcnt 0x0
	v_cmpx_eq_f64_e32 0, v[82:83]
	s_cbranch_execz .LBB102_10
; %bb.7:
	v_mov_b32_e32 v1, 0
	s_mov_b32 s5, 0
	ds_load_b32 v3, v1 offset:312
	s_wait_dscnt 0x0
	v_readfirstlane_b32 s1, v3
	v_add_nc_u32_e32 v3, 1, v0
	s_cmp_eq_u32 s1, 0
	s_delay_alu instid0(VALU_DEP_1) | instskip(SKIP_1) | instid1(SALU_CYCLE_1)
	v_cmp_gt_i32_e32 vcc_lo, s1, v3
	s_cselect_b32 s13, -1, 0
	s_or_b32 s13, s13, vcc_lo
	s_delay_alu instid0(SALU_CYCLE_1)
	s_and_b32 exec_lo, exec_lo, s13
	s_cbranch_execz .LBB102_10
; %bb.8:
	v_mov_b32_e32 v9, s1
.LBB102_9:                              ; =>This Inner Loop Header: Depth=1
	ds_cmpstore_rtn_b32 v9, v1, v3, v9 offset:312
	s_wait_dscnt 0x0
	v_cmp_ne_u32_e32 vcc_lo, 0, v9
	v_cmp_le_i32_e64 s1, v9, v3
	s_and_b32 s1, vcc_lo, s1
	s_delay_alu instid0(SALU_CYCLE_1) | instskip(NEXT) | instid1(SALU_CYCLE_1)
	s_and_b32 s1, exec_lo, s1
	s_or_b32 s5, s1, s5
	s_delay_alu instid0(SALU_CYCLE_1)
	s_and_not1_b32 exec_lo, exec_lo, s5
	s_cbranch_execnz .LBB102_9
.LBB102_10:
	s_or_b32 exec_lo, exec_lo, s4
	v_mov_b32_e32 v1, 0
	s_barrier_signal -1
	s_barrier_wait -1
	ds_load_b32 v3, v1 offset:312
	s_and_saveexec_b32 s1, s0
	s_cbranch_execz .LBB102_12
; %bb.11:
	s_lshl_b64 s[4:5], s[10:11], 2
	s_delay_alu instid0(SALU_CYCLE_1)
	s_add_nc_u64 s[4:5], s[6:7], s[4:5]
	s_wait_dscnt 0x0
	global_store_b32 v1, v3, s[4:5]
.LBB102_12:
	s_wait_xcnt 0x0
	s_or_b32 exec_lo, exec_lo, s1
	s_wait_dscnt 0x0
	v_cmp_ne_u32_e32 vcc_lo, 0, v3
	s_mov_b32 s1, 0
	s_cbranch_vccnz .LBB102_164
; %bb.13:
	v_lshl_add_u32 v3, v0, 3, 0
	v_add_nc_u32_e32 v1, 0x140, v2
	scratch_load_b64 v[82:83], v3, off
	s_wait_loadcnt 0x0
	v_div_scale_f64 v[84:85], null, v[82:83], v[82:83], 1.0
	v_div_scale_f64 v[90:91], vcc_lo, 1.0, v[82:83], 1.0
	s_delay_alu instid0(VALU_DEP_2) | instskip(SKIP_1) | instid1(TRANS32_DEP_1)
	v_rcp_f64_e32 v[86:87], v[84:85]
	v_nop
	v_fma_f64 v[88:89], -v[84:85], v[86:87], 1.0
	s_delay_alu instid0(VALU_DEP_1) | instskip(NEXT) | instid1(VALU_DEP_1)
	v_fmac_f64_e32 v[86:87], v[86:87], v[88:89]
	v_fma_f64 v[88:89], -v[84:85], v[86:87], 1.0
	s_delay_alu instid0(VALU_DEP_1) | instskip(NEXT) | instid1(VALU_DEP_1)
	v_fmac_f64_e32 v[86:87], v[86:87], v[88:89]
	v_mul_f64_e32 v[88:89], v[90:91], v[86:87]
	s_delay_alu instid0(VALU_DEP_1) | instskip(NEXT) | instid1(VALU_DEP_1)
	v_fma_f64 v[84:85], -v[84:85], v[88:89], v[90:91]
	v_div_fmas_f64 v[84:85], v[84:85], v[86:87], v[88:89]
	s_delay_alu instid0(VALU_DEP_1)
	v_div_fixup_f64 v[82:83], v[84:85], v[82:83], 1.0
	scratch_store_b64 v3, v[82:83], off
	scratch_load_b64 v[84:85], off, off offset:8
	s_wait_xcnt 0x1
	v_xor_b32_e32 v83, 0x80000000, v83
	s_wait_loadcnt 0x0
	ds_store_2addr_b64 v2, v[82:83], v[84:85] offset1:40
	s_wait_storecnt_dscnt 0x0
	s_barrier_signal -1
	s_barrier_wait -1
	s_wait_xcnt 0x0
	s_and_saveexec_b32 s1, s0
	s_cbranch_execz .LBB102_15
; %bb.14:
	scratch_load_b64 v[82:83], v3, off
	ds_load_b64 v[84:85], v1
	s_wait_loadcnt_dscnt 0x0
	v_fma_f64 v[82:83], v[82:83], v[84:85], 0
	v_mov_b32_e32 v9, 0
	ds_load_b64 v[86:87], v9 offset:8
	s_wait_dscnt 0x0
	v_mul_f64_e32 v[82:83], v[82:83], v[86:87]
	scratch_store_b64 off, v[82:83], off offset:8
.LBB102_15:
	s_wait_xcnt 0x0
	s_or_b32 exec_lo, exec_lo, s1
	s_wait_storecnt 0x0
	s_barrier_signal -1
	s_barrier_wait -1
	scratch_load_b64 v[82:83], off, off offset:16
	s_mov_b32 s1, exec_lo
	s_wait_loadcnt 0x0
	ds_store_b64 v1, v[82:83]
	s_wait_dscnt 0x0
	s_barrier_signal -1
	s_barrier_wait -1
	v_cmpx_gt_u32_e32 2, v0
	s_cbranch_execz .LBB102_19
; %bb.16:
	scratch_load_b64 v[82:83], v3, off
	ds_load_b64 v[84:85], v1
	s_wait_loadcnt_dscnt 0x0
	v_fma_f64 v[82:83], v[82:83], v[84:85], 0
	s_and_saveexec_b32 s4, s0
	s_cbranch_execz .LBB102_18
; %bb.17:
	scratch_load_b64 v[84:85], off, off offset:8
	v_mov_b32_e32 v3, 0
	ds_load_b64 v[86:87], v3 offset:328
	s_wait_loadcnt_dscnt 0x0
	v_fmac_f64_e32 v[82:83], v[84:85], v[86:87]
.LBB102_18:
	s_or_b32 exec_lo, exec_lo, s4
	v_mov_b32_e32 v3, 0
	ds_load_b64 v[84:85], v3 offset:16
	s_wait_dscnt 0x0
	v_mul_f64_e32 v[82:83], v[82:83], v[84:85]
	scratch_store_b64 off, v[82:83], off offset:16
.LBB102_19:
	s_wait_xcnt 0x0
	s_or_b32 exec_lo, exec_lo, s1
	s_wait_storecnt 0x0
	s_barrier_signal -1
	s_barrier_wait -1
	scratch_load_b64 v[82:83], off, off offset:24
	v_add_nc_u32_e32 v3, -1, v0
	s_mov_b32 s0, exec_lo
	s_wait_loadcnt 0x0
	ds_store_b64 v1, v[82:83]
	s_wait_dscnt 0x0
	s_barrier_signal -1
	s_barrier_wait -1
	v_cmpx_gt_u32_e32 3, v0
	s_cbranch_execz .LBB102_23
; %bb.20:
	v_mov_b64_e32 v[82:83], 0
	v_dual_add_nc_u32 v9, -1, v0 :: v_dual_mov_b32 v13, v2
	v_add_nc_u32_e32 v11, 0x140, v2
	s_mov_b32 s1, 0
.LBB102_21:                             ; =>This Inner Loop Header: Depth=1
	scratch_load_b64 v[84:85], v13, off
	ds_load_b64 v[86:87], v11
	v_dual_add_nc_u32 v9, 1, v9 :: v_dual_add_nc_u32 v11, 8, v11
	s_wait_xcnt 0x0
	v_add_nc_u32_e32 v13, 8, v13
	s_delay_alu instid0(VALU_DEP_2)
	v_cmp_lt_u32_e32 vcc_lo, 1, v9
	s_or_b32 s1, vcc_lo, s1
	s_wait_loadcnt_dscnt 0x0
	v_fmac_f64_e32 v[82:83], v[84:85], v[86:87]
	s_and_not1_b32 exec_lo, exec_lo, s1
	s_cbranch_execnz .LBB102_21
; %bb.22:
	s_or_b32 exec_lo, exec_lo, s1
	v_mov_b32_e32 v9, 0
	ds_load_b64 v[84:85], v9 offset:24
	s_wait_dscnt 0x0
	v_mul_f64_e32 v[82:83], v[82:83], v[84:85]
	scratch_store_b64 off, v[82:83], off offset:24
.LBB102_23:
	s_wait_xcnt 0x0
	s_or_b32 exec_lo, exec_lo, s0
	s_wait_storecnt 0x0
	s_barrier_signal -1
	s_barrier_wait -1
	scratch_load_b64 v[82:83], off, off offset:32
	s_mov_b32 s0, exec_lo
	s_wait_loadcnt 0x0
	ds_store_b64 v1, v[82:83]
	s_wait_dscnt 0x0
	s_barrier_signal -1
	s_barrier_wait -1
	v_cmpx_gt_u32_e32 4, v0
	s_cbranch_execz .LBB102_27
; %bb.24:
	v_mov_b64_e32 v[82:83], 0
	v_dual_add_nc_u32 v9, -1, v0 :: v_dual_mov_b32 v13, v2
	v_add_nc_u32_e32 v11, 0x140, v2
	s_mov_b32 s1, 0
.LBB102_25:                             ; =>This Inner Loop Header: Depth=1
	scratch_load_b64 v[84:85], v13, off
	ds_load_b64 v[86:87], v11
	v_dual_add_nc_u32 v9, 1, v9 :: v_dual_add_nc_u32 v11, 8, v11
	s_wait_xcnt 0x0
	v_add_nc_u32_e32 v13, 8, v13
	s_delay_alu instid0(VALU_DEP_2)
	v_cmp_lt_u32_e32 vcc_lo, 2, v9
	s_or_b32 s1, vcc_lo, s1
	s_wait_loadcnt_dscnt 0x0
	v_fmac_f64_e32 v[82:83], v[84:85], v[86:87]
	s_and_not1_b32 exec_lo, exec_lo, s1
	s_cbranch_execnz .LBB102_25
; %bb.26:
	s_or_b32 exec_lo, exec_lo, s1
	v_mov_b32_e32 v9, 0
	ds_load_b64 v[84:85], v9 offset:32
	s_wait_dscnt 0x0
	v_mul_f64_e32 v[82:83], v[82:83], v[84:85]
	scratch_store_b64 off, v[82:83], off offset:32
.LBB102_27:
	s_wait_xcnt 0x0
	s_or_b32 exec_lo, exec_lo, s0
	s_wait_storecnt 0x0
	s_barrier_signal -1
	s_barrier_wait -1
	scratch_load_b64 v[82:83], off, off offset:40
	;; [unrolled: 40-line block ×20, first 2 shown]
	s_mov_b32 s0, exec_lo
	s_wait_loadcnt 0x0
	ds_store_b64 v1, v[82:83]
	s_wait_dscnt 0x0
	s_barrier_signal -1
	s_barrier_wait -1
	v_cmpx_gt_u32_e32 23, v0
	s_cbranch_execz .LBB102_103
; %bb.100:
	v_mov_b64_e32 v[82:83], 0
	v_dual_add_nc_u32 v9, -1, v0 :: v_dual_mov_b32 v13, v2
	v_add_nc_u32_e32 v11, 0x140, v2
	s_mov_b32 s1, 0
.LBB102_101:                            ; =>This Inner Loop Header: Depth=1
	scratch_load_b64 v[84:85], v13, off
	ds_load_b64 v[86:87], v11
	v_dual_add_nc_u32 v9, 1, v9 :: v_dual_add_nc_u32 v11, 8, v11
	s_wait_xcnt 0x0
	v_add_nc_u32_e32 v13, 8, v13
	s_delay_alu instid0(VALU_DEP_2)
	v_cmp_lt_u32_e32 vcc_lo, 21, v9
	s_or_b32 s1, vcc_lo, s1
	s_wait_loadcnt_dscnt 0x0
	v_fmac_f64_e32 v[82:83], v[84:85], v[86:87]
	s_and_not1_b32 exec_lo, exec_lo, s1
	s_cbranch_execnz .LBB102_101
; %bb.102:
	s_or_b32 exec_lo, exec_lo, s1
	v_mov_b32_e32 v9, 0
	ds_load_b64 v[84:85], v9 offset:184
	s_wait_dscnt 0x0
	v_mul_f64_e32 v[82:83], v[82:83], v[84:85]
	scratch_store_b64 off, v[82:83], off offset:184
.LBB102_103:
	s_wait_xcnt 0x0
	s_or_b32 exec_lo, exec_lo, s0
	s_wait_storecnt 0x0
	s_barrier_signal -1
	s_barrier_wait -1
	scratch_load_b64 v[82:83], off, off offset:192
	s_mov_b32 s0, exec_lo
	s_wait_loadcnt 0x0
	ds_store_b64 v1, v[82:83]
	s_wait_dscnt 0x0
	s_barrier_signal -1
	s_barrier_wait -1
	v_cmpx_gt_u32_e32 24, v0
	s_cbranch_execz .LBB102_107
; %bb.104:
	v_mov_b64_e32 v[82:83], 0
	v_dual_add_nc_u32 v9, -1, v0 :: v_dual_mov_b32 v13, v2
	v_add_nc_u32_e32 v11, 0x140, v2
	s_mov_b32 s1, 0
.LBB102_105:                            ; =>This Inner Loop Header: Depth=1
	scratch_load_b64 v[84:85], v13, off
	ds_load_b64 v[86:87], v11
	v_dual_add_nc_u32 v9, 1, v9 :: v_dual_add_nc_u32 v11, 8, v11
	s_wait_xcnt 0x0
	v_add_nc_u32_e32 v13, 8, v13
	s_delay_alu instid0(VALU_DEP_2)
	v_cmp_lt_u32_e32 vcc_lo, 22, v9
	s_or_b32 s1, vcc_lo, s1
	s_wait_loadcnt_dscnt 0x0
	v_fmac_f64_e32 v[82:83], v[84:85], v[86:87]
	s_and_not1_b32 exec_lo, exec_lo, s1
	s_cbranch_execnz .LBB102_105
; %bb.106:
	s_or_b32 exec_lo, exec_lo, s1
	v_mov_b32_e32 v9, 0
	ds_load_b64 v[84:85], v9 offset:192
	s_wait_dscnt 0x0
	v_mul_f64_e32 v[82:83], v[82:83], v[84:85]
	scratch_store_b64 off, v[82:83], off offset:192
.LBB102_107:
	s_wait_xcnt 0x0
	s_or_b32 exec_lo, exec_lo, s0
	s_wait_storecnt 0x0
	s_barrier_signal -1
	s_barrier_wait -1
	scratch_load_b64 v[82:83], off, off offset:200
	;; [unrolled: 40-line block ×15, first 2 shown]
	s_mov_b32 s0, exec_lo
	s_wait_loadcnt 0x0
	ds_store_b64 v1, v[82:83]
	s_wait_dscnt 0x0
	s_barrier_signal -1
	s_barrier_wait -1
	v_cmpx_ne_u32_e32 38, v0
	s_cbranch_execz .LBB102_163
; %bb.160:
	v_mov_b64_e32 v[82:83], 0
	s_mov_b32 s1, 0
.LBB102_161:                            ; =>This Inner Loop Header: Depth=1
	scratch_load_b64 v[84:85], v2, off
	ds_load_b64 v[86:87], v1
	v_dual_add_nc_u32 v3, 1, v3 :: v_dual_add_nc_u32 v1, 8, v1
	s_wait_xcnt 0x0
	v_add_nc_u32_e32 v2, 8, v2
	s_delay_alu instid0(VALU_DEP_2)
	v_cmp_lt_u32_e32 vcc_lo, 36, v3
	s_or_b32 s1, vcc_lo, s1
	s_wait_loadcnt_dscnt 0x0
	v_fmac_f64_e32 v[82:83], v[84:85], v[86:87]
	s_and_not1_b32 exec_lo, exec_lo, s1
	s_cbranch_execnz .LBB102_161
; %bb.162:
	s_or_b32 exec_lo, exec_lo, s1
	v_mov_b32_e32 v1, 0
	ds_load_b64 v[2:3], v1 offset:304
	s_wait_dscnt 0x0
	v_mul_f64_e32 v[2:3], v[82:83], v[2:3]
	scratch_store_b64 off, v[2:3], off offset:304
.LBB102_163:
	s_wait_xcnt 0x0
	s_or_b32 exec_lo, exec_lo, s0
	s_mov_b32 s1, -1
	s_wait_storecnt 0x0
	s_barrier_signal -1
	s_barrier_wait -1
.LBB102_164:
	s_and_b32 vcc_lo, exec_lo, s1
	s_cbranch_vccz .LBB102_166
; %bb.165:
	v_mov_b32_e32 v1, 0
	s_lshl_b64 s[0:1], s[10:11], 2
	s_delay_alu instid0(SALU_CYCLE_1)
	s_add_nc_u64 s[0:1], s[6:7], s[0:1]
	global_load_b32 v1, v1, s[0:1]
	s_wait_loadcnt 0x0
	v_cmp_ne_u32_e32 vcc_lo, 0, v1
	s_cbranch_vccz .LBB102_167
.LBB102_166:
	s_sendmsg sendmsg(MSG_DEALLOC_VGPRS)
	s_endpgm
.LBB102_167:
	s_wait_xcnt 0x0
	v_lshl_add_u32 v1, v0, 3, 0x140
	s_mov_b32 s0, exec_lo
	v_cmpx_eq_u32_e32 38, v0
	s_cbranch_execz .LBB102_169
; %bb.168:
	scratch_load_b64 v[2:3], off, off offset:296
	v_mov_b64_e32 v[82:83], 0
	scratch_store_b64 off, v[82:83], off offset:296
	s_wait_loadcnt 0x0
	ds_store_b64 v1, v[2:3]
.LBB102_169:
	s_wait_xcnt 0x0
	s_or_b32 exec_lo, exec_lo, s0
	s_wait_storecnt_dscnt 0x0
	s_barrier_signal -1
	s_barrier_wait -1
	scratch_load_b128 v[82:85], off, off offset:296
	v_mov_b32_e32 v2, 0
	s_mov_b32 s0, exec_lo
	ds_load_b64 v[86:87], v2 offset:624
	s_wait_loadcnt_dscnt 0x0
	v_fma_f64 v[84:85], v[84:85], v[86:87], 0
	s_delay_alu instid0(VALU_DEP_1)
	v_add_f64_e64 v[82:83], v[82:83], -v[84:85]
	scratch_store_b64 off, v[82:83], off offset:296
	s_wait_xcnt 0x0
	v_cmpx_lt_u32_e32 36, v0
	s_cbranch_execz .LBB102_171
; %bb.170:
	scratch_load_b64 v[82:83], off, off offset:288
	v_mov_b64_e32 v[84:85], 0
	scratch_store_b64 off, v[84:85], off offset:288
	s_wait_loadcnt 0x0
	ds_store_b64 v1, v[82:83]
.LBB102_171:
	s_wait_xcnt 0x0
	s_or_b32 exec_lo, exec_lo, s0
	s_wait_storecnt_dscnt 0x0
	s_barrier_signal -1
	s_barrier_wait -1
	s_clause 0x1
	scratch_load_b128 v[82:85], off, off offset:288
	scratch_load_b64 v[90:91], off, off offset:304
	ds_load_2addr_b64 v[86:89], v2 offset0:77 offset1:78
	s_mov_b32 s0, exec_lo
	s_wait_loadcnt_dscnt 0x100
	v_fma_f64 v[2:3], v[84:85], v[86:87], 0
	s_wait_loadcnt 0x0
	s_delay_alu instid0(VALU_DEP_1) | instskip(NEXT) | instid1(VALU_DEP_1)
	v_fmac_f64_e32 v[2:3], v[90:91], v[88:89]
	v_add_f64_e64 v[2:3], v[82:83], -v[2:3]
	scratch_store_b64 off, v[2:3], off offset:288
	s_wait_xcnt 0x0
	v_cmpx_lt_u32_e32 35, v0
	s_cbranch_execz .LBB102_173
; %bb.172:
	scratch_load_b64 v[2:3], off, off offset:280
	v_mov_b64_e32 v[82:83], 0
	scratch_store_b64 off, v[82:83], off offset:280
	s_wait_loadcnt 0x0
	ds_store_b64 v1, v[2:3]
.LBB102_173:
	s_wait_xcnt 0x0
	s_or_b32 exec_lo, exec_lo, s0
	s_wait_storecnt_dscnt 0x0
	s_barrier_signal -1
	s_barrier_wait -1
	s_clause 0x1
	scratch_load_b128 v[82:85], off, off offset:280
	scratch_load_b128 v[86:89], off, off offset:296
	v_mov_b32_e32 v2, 0
	ds_load_b128 v[90:93], v2 offset:608
	ds_load_b64 v[94:95], v2 offset:624
	s_mov_b32 s0, exec_lo
	s_wait_loadcnt_dscnt 0x101
	v_fma_f64 v[84:85], v[84:85], v[90:91], 0
	s_wait_loadcnt 0x0
	s_delay_alu instid0(VALU_DEP_1) | instskip(SKIP_1) | instid1(VALU_DEP_1)
	v_fmac_f64_e32 v[84:85], v[86:87], v[92:93]
	s_wait_dscnt 0x0
	v_fmac_f64_e32 v[84:85], v[88:89], v[94:95]
	s_delay_alu instid0(VALU_DEP_1)
	v_add_f64_e64 v[82:83], v[82:83], -v[84:85]
	scratch_store_b64 off, v[82:83], off offset:280
	s_wait_xcnt 0x0
	v_cmpx_lt_u32_e32 34, v0
	s_cbranch_execz .LBB102_175
; %bb.174:
	scratch_load_b64 v[82:83], off, off offset:272
	v_mov_b64_e32 v[84:85], 0
	scratch_store_b64 off, v[84:85], off offset:272
	s_wait_loadcnt 0x0
	ds_store_b64 v1, v[82:83]
.LBB102_175:
	s_wait_xcnt 0x0
	s_or_b32 exec_lo, exec_lo, s0
	s_wait_storecnt_dscnt 0x0
	s_barrier_signal -1
	s_barrier_wait -1
	s_clause 0x2
	scratch_load_b128 v[82:85], off, off offset:272
	scratch_load_b128 v[86:89], off, off offset:288
	scratch_load_b64 v[98:99], off, off offset:304
	ds_load_2addr_b64 v[90:93], v2 offset0:75 offset1:76
	ds_load_2addr_b64 v[94:97], v2 offset0:77 offset1:78
	s_mov_b32 s0, exec_lo
	s_wait_loadcnt_dscnt 0x201
	v_fma_f64 v[2:3], v[84:85], v[90:91], 0
	s_wait_loadcnt 0x1
	s_delay_alu instid0(VALU_DEP_1) | instskip(SKIP_1) | instid1(VALU_DEP_1)
	v_fmac_f64_e32 v[2:3], v[86:87], v[92:93]
	s_wait_dscnt 0x0
	v_fmac_f64_e32 v[2:3], v[88:89], v[94:95]
	s_wait_loadcnt 0x0
	s_delay_alu instid0(VALU_DEP_1) | instskip(NEXT) | instid1(VALU_DEP_1)
	v_fmac_f64_e32 v[2:3], v[98:99], v[96:97]
	v_add_f64_e64 v[2:3], v[82:83], -v[2:3]
	scratch_store_b64 off, v[2:3], off offset:272
	s_wait_xcnt 0x0
	v_cmpx_lt_u32_e32 33, v0
	s_cbranch_execz .LBB102_177
; %bb.176:
	scratch_load_b64 v[2:3], off, off offset:264
	v_mov_b64_e32 v[82:83], 0
	scratch_store_b64 off, v[82:83], off offset:264
	s_wait_loadcnt 0x0
	ds_store_b64 v1, v[2:3]
.LBB102_177:
	s_wait_xcnt 0x0
	s_or_b32 exec_lo, exec_lo, s0
	s_wait_storecnt_dscnt 0x0
	s_barrier_signal -1
	s_barrier_wait -1
	s_clause 0x2
	scratch_load_b128 v[82:85], off, off offset:264
	scratch_load_b128 v[86:89], off, off offset:280
	scratch_load_b128 v[90:93], off, off offset:296
	v_mov_b32_e32 v2, 0
	ds_load_b128 v[94:97], v2 offset:592
	ds_load_b128 v[98:101], v2 offset:608
	s_mov_b32 s0, exec_lo
	s_wait_loadcnt_dscnt 0x201
	v_fma_f64 v[84:85], v[84:85], v[94:95], 0
	s_wait_loadcnt 0x1
	s_delay_alu instid0(VALU_DEP_1) | instskip(SKIP_4) | instid1(VALU_DEP_1)
	v_fmac_f64_e32 v[84:85], v[86:87], v[96:97]
	ds_load_b64 v[86:87], v2 offset:624
	s_wait_dscnt 0x1
	v_fmac_f64_e32 v[84:85], v[88:89], v[98:99]
	s_wait_loadcnt 0x0
	v_fmac_f64_e32 v[84:85], v[90:91], v[100:101]
	s_wait_dscnt 0x0
	s_delay_alu instid0(VALU_DEP_1) | instskip(NEXT) | instid1(VALU_DEP_1)
	v_fmac_f64_e32 v[84:85], v[92:93], v[86:87]
	v_add_f64_e64 v[82:83], v[82:83], -v[84:85]
	scratch_store_b64 off, v[82:83], off offset:264
	s_wait_xcnt 0x0
	v_cmpx_lt_u32_e32 32, v0
	s_cbranch_execz .LBB102_179
; %bb.178:
	scratch_load_b64 v[82:83], off, off offset:256
	v_mov_b64_e32 v[84:85], 0
	scratch_store_b64 off, v[84:85], off offset:256
	s_wait_loadcnt 0x0
	ds_store_b64 v1, v[82:83]
.LBB102_179:
	s_wait_xcnt 0x0
	s_or_b32 exec_lo, exec_lo, s0
	s_wait_storecnt_dscnt 0x0
	s_barrier_signal -1
	s_barrier_wait -1
	s_clause 0x3
	scratch_load_b128 v[82:85], off, off offset:256
	scratch_load_b128 v[86:89], off, off offset:272
	scratch_load_b128 v[90:93], off, off offset:288
	scratch_load_b64 v[102:103], off, off offset:304
	ds_load_2addr_b64 v[94:97], v2 offset0:73 offset1:74
	ds_load_2addr_b64 v[98:101], v2 offset0:75 offset1:76
	s_mov_b32 s0, exec_lo
	s_wait_loadcnt_dscnt 0x301
	v_fma_f64 v[94:95], v[84:85], v[94:95], 0
	s_wait_loadcnt 0x2
	s_delay_alu instid0(VALU_DEP_1) | instskip(SKIP_4) | instid1(VALU_DEP_1)
	v_fmac_f64_e32 v[94:95], v[86:87], v[96:97]
	ds_load_2addr_b64 v[84:87], v2 offset0:77 offset1:78
	s_wait_dscnt 0x1
	v_fmac_f64_e32 v[94:95], v[88:89], v[98:99]
	s_wait_loadcnt 0x1
	v_fmac_f64_e32 v[94:95], v[90:91], v[100:101]
	s_wait_dscnt 0x0
	s_delay_alu instid0(VALU_DEP_1) | instskip(SKIP_1) | instid1(VALU_DEP_1)
	v_fmac_f64_e32 v[94:95], v[92:93], v[84:85]
	s_wait_loadcnt 0x0
	v_fmac_f64_e32 v[94:95], v[102:103], v[86:87]
	s_delay_alu instid0(VALU_DEP_1)
	v_add_f64_e64 v[2:3], v[82:83], -v[94:95]
	scratch_store_b64 off, v[2:3], off offset:256
	s_wait_xcnt 0x0
	v_cmpx_lt_u32_e32 31, v0
	s_cbranch_execz .LBB102_181
; %bb.180:
	scratch_load_b64 v[2:3], off, off offset:248
	v_mov_b64_e32 v[82:83], 0
	scratch_store_b64 off, v[82:83], off offset:248
	s_wait_loadcnt 0x0
	ds_store_b64 v1, v[2:3]
.LBB102_181:
	s_wait_xcnt 0x0
	s_or_b32 exec_lo, exec_lo, s0
	s_wait_storecnt_dscnt 0x0
	s_barrier_signal -1
	s_barrier_wait -1
	s_clause 0x3
	scratch_load_b128 v[82:85], off, off offset:248
	scratch_load_b128 v[86:89], off, off offset:264
	;; [unrolled: 1-line block ×4, first 2 shown]
	v_mov_b32_e32 v2, 0
	ds_load_b128 v[98:101], v2 offset:576
	ds_load_b128 v[102:105], v2 offset:592
	s_mov_b32 s0, exec_lo
	s_wait_loadcnt_dscnt 0x301
	v_fma_f64 v[98:99], v[84:85], v[98:99], 0
	s_wait_loadcnt 0x2
	s_delay_alu instid0(VALU_DEP_1) | instskip(SKIP_1) | instid1(VALU_DEP_1)
	v_fmac_f64_e32 v[98:99], v[86:87], v[100:101]
	s_wait_dscnt 0x0
	v_fmac_f64_e32 v[98:99], v[88:89], v[102:103]
	ds_load_b128 v[84:87], v2 offset:608
	ds_load_b64 v[88:89], v2 offset:624
	s_wait_loadcnt 0x1
	v_fmac_f64_e32 v[98:99], v[90:91], v[104:105]
	s_wait_dscnt 0x1
	s_delay_alu instid0(VALU_DEP_1) | instskip(SKIP_1) | instid1(VALU_DEP_1)
	v_fmac_f64_e32 v[98:99], v[92:93], v[84:85]
	s_wait_loadcnt 0x0
	v_fmac_f64_e32 v[98:99], v[94:95], v[86:87]
	s_wait_dscnt 0x0
	s_delay_alu instid0(VALU_DEP_1) | instskip(NEXT) | instid1(VALU_DEP_1)
	v_fmac_f64_e32 v[98:99], v[96:97], v[88:89]
	v_add_f64_e64 v[82:83], v[82:83], -v[98:99]
	scratch_store_b64 off, v[82:83], off offset:248
	s_wait_xcnt 0x0
	v_cmpx_lt_u32_e32 30, v0
	s_cbranch_execz .LBB102_183
; %bb.182:
	scratch_load_b64 v[82:83], off, off offset:240
	v_mov_b64_e32 v[84:85], 0
	scratch_store_b64 off, v[84:85], off offset:240
	s_wait_loadcnt 0x0
	ds_store_b64 v1, v[82:83]
.LBB102_183:
	s_wait_xcnt 0x0
	s_or_b32 exec_lo, exec_lo, s0
	s_wait_storecnt_dscnt 0x0
	s_barrier_signal -1
	s_barrier_wait -1
	s_clause 0x4
	scratch_load_b128 v[82:85], off, off offset:240
	scratch_load_b128 v[86:89], off, off offset:256
	;; [unrolled: 1-line block ×4, first 2 shown]
	scratch_load_b64 v[106:107], off, off offset:304
	ds_load_2addr_b64 v[98:101], v2 offset0:71 offset1:72
	ds_load_2addr_b64 v[102:105], v2 offset0:73 offset1:74
	s_mov_b32 s0, exec_lo
	s_wait_loadcnt_dscnt 0x401
	v_fma_f64 v[98:99], v[84:85], v[98:99], 0
	s_wait_loadcnt 0x3
	s_delay_alu instid0(VALU_DEP_1) | instskip(SKIP_1) | instid1(VALU_DEP_1)
	v_fmac_f64_e32 v[98:99], v[86:87], v[100:101]
	s_wait_dscnt 0x0
	v_fmac_f64_e32 v[98:99], v[88:89], v[102:103]
	s_wait_loadcnt 0x2
	s_delay_alu instid0(VALU_DEP_1)
	v_fmac_f64_e32 v[98:99], v[90:91], v[104:105]
	ds_load_2addr_b64 v[84:87], v2 offset0:75 offset1:76
	ds_load_2addr_b64 v[88:91], v2 offset0:77 offset1:78
	s_wait_dscnt 0x1
	v_fmac_f64_e32 v[98:99], v[92:93], v[84:85]
	s_wait_loadcnt 0x1
	s_delay_alu instid0(VALU_DEP_1) | instskip(SKIP_1) | instid1(VALU_DEP_1)
	v_fmac_f64_e32 v[98:99], v[94:95], v[86:87]
	s_wait_dscnt 0x0
	v_fmac_f64_e32 v[98:99], v[96:97], v[88:89]
	s_wait_loadcnt 0x0
	s_delay_alu instid0(VALU_DEP_1) | instskip(NEXT) | instid1(VALU_DEP_1)
	v_fmac_f64_e32 v[98:99], v[106:107], v[90:91]
	v_add_f64_e64 v[2:3], v[82:83], -v[98:99]
	scratch_store_b64 off, v[2:3], off offset:240
	s_wait_xcnt 0x0
	v_cmpx_lt_u32_e32 29, v0
	s_cbranch_execz .LBB102_185
; %bb.184:
	scratch_load_b64 v[2:3], off, off offset:232
	v_mov_b64_e32 v[82:83], 0
	scratch_store_b64 off, v[82:83], off offset:232
	s_wait_loadcnt 0x0
	ds_store_b64 v1, v[2:3]
.LBB102_185:
	s_wait_xcnt 0x0
	s_or_b32 exec_lo, exec_lo, s0
	s_wait_storecnt_dscnt 0x0
	s_barrier_signal -1
	s_barrier_wait -1
	s_clause 0x4
	scratch_load_b128 v[82:85], off, off offset:232
	scratch_load_b128 v[86:89], off, off offset:248
	;; [unrolled: 1-line block ×5, first 2 shown]
	v_mov_b32_e32 v2, 0
	ds_load_b128 v[102:105], v2 offset:560
	ds_load_b128 v[106:109], v2 offset:576
	s_mov_b32 s0, exec_lo
	s_wait_loadcnt_dscnt 0x401
	v_fma_f64 v[102:103], v[84:85], v[102:103], 0
	s_wait_loadcnt 0x3
	s_delay_alu instid0(VALU_DEP_1) | instskip(SKIP_1) | instid1(VALU_DEP_1)
	v_fmac_f64_e32 v[102:103], v[86:87], v[104:105]
	s_wait_dscnt 0x0
	v_fmac_f64_e32 v[102:103], v[88:89], v[106:107]
	s_wait_loadcnt 0x2
	s_delay_alu instid0(VALU_DEP_1)
	v_fmac_f64_e32 v[102:103], v[90:91], v[108:109]
	ds_load_b128 v[84:87], v2 offset:592
	ds_load_b128 v[88:91], v2 offset:608
	s_wait_dscnt 0x1
	v_fmac_f64_e32 v[102:103], v[92:93], v[84:85]
	ds_load_b64 v[84:85], v2 offset:624
	s_wait_loadcnt 0x1
	v_fmac_f64_e32 v[102:103], v[94:95], v[86:87]
	s_wait_dscnt 0x1
	s_delay_alu instid0(VALU_DEP_1) | instskip(SKIP_1) | instid1(VALU_DEP_1)
	v_fmac_f64_e32 v[102:103], v[96:97], v[88:89]
	s_wait_loadcnt 0x0
	v_fmac_f64_e32 v[102:103], v[98:99], v[90:91]
	s_wait_dscnt 0x0
	s_delay_alu instid0(VALU_DEP_1) | instskip(NEXT) | instid1(VALU_DEP_1)
	v_fmac_f64_e32 v[102:103], v[100:101], v[84:85]
	v_add_f64_e64 v[82:83], v[82:83], -v[102:103]
	scratch_store_b64 off, v[82:83], off offset:232
	s_wait_xcnt 0x0
	v_cmpx_lt_u32_e32 28, v0
	s_cbranch_execz .LBB102_187
; %bb.186:
	scratch_load_b64 v[82:83], off, off offset:224
	v_mov_b64_e32 v[84:85], 0
	scratch_store_b64 off, v[84:85], off offset:224
	s_wait_loadcnt 0x0
	ds_store_b64 v1, v[82:83]
.LBB102_187:
	s_wait_xcnt 0x0
	s_or_b32 exec_lo, exec_lo, s0
	s_wait_storecnt_dscnt 0x0
	s_barrier_signal -1
	s_barrier_wait -1
	s_clause 0x5
	scratch_load_b128 v[82:85], off, off offset:224
	scratch_load_b128 v[86:89], off, off offset:240
	;; [unrolled: 1-line block ×5, first 2 shown]
	scratch_load_b64 v[110:111], off, off offset:304
	ds_load_2addr_b64 v[102:105], v2 offset0:69 offset1:70
	ds_load_2addr_b64 v[106:109], v2 offset0:71 offset1:72
	s_mov_b32 s0, exec_lo
	s_wait_loadcnt_dscnt 0x501
	v_fma_f64 v[102:103], v[84:85], v[102:103], 0
	s_wait_loadcnt 0x4
	s_delay_alu instid0(VALU_DEP_1) | instskip(SKIP_1) | instid1(VALU_DEP_1)
	v_fmac_f64_e32 v[102:103], v[86:87], v[104:105]
	s_wait_dscnt 0x0
	v_fmac_f64_e32 v[102:103], v[88:89], v[106:107]
	s_wait_loadcnt 0x3
	s_delay_alu instid0(VALU_DEP_1)
	v_fmac_f64_e32 v[102:103], v[90:91], v[108:109]
	ds_load_2addr_b64 v[84:87], v2 offset0:73 offset1:74
	ds_load_2addr_b64 v[88:91], v2 offset0:75 offset1:76
	s_wait_dscnt 0x1
	v_fmac_f64_e32 v[102:103], v[92:93], v[84:85]
	s_wait_loadcnt 0x2
	s_delay_alu instid0(VALU_DEP_1) | instskip(SKIP_4) | instid1(VALU_DEP_1)
	v_fmac_f64_e32 v[102:103], v[94:95], v[86:87]
	ds_load_2addr_b64 v[84:87], v2 offset0:77 offset1:78
	s_wait_dscnt 0x1
	v_fmac_f64_e32 v[102:103], v[96:97], v[88:89]
	s_wait_loadcnt 0x1
	v_fmac_f64_e32 v[102:103], v[98:99], v[90:91]
	s_wait_dscnt 0x0
	s_delay_alu instid0(VALU_DEP_1) | instskip(SKIP_1) | instid1(VALU_DEP_1)
	v_fmac_f64_e32 v[102:103], v[100:101], v[84:85]
	s_wait_loadcnt 0x0
	v_fmac_f64_e32 v[102:103], v[110:111], v[86:87]
	s_delay_alu instid0(VALU_DEP_1)
	v_add_f64_e64 v[2:3], v[82:83], -v[102:103]
	scratch_store_b64 off, v[2:3], off offset:224
	s_wait_xcnt 0x0
	v_cmpx_lt_u32_e32 27, v0
	s_cbranch_execz .LBB102_189
; %bb.188:
	scratch_load_b64 v[2:3], off, off offset:216
	v_mov_b64_e32 v[82:83], 0
	scratch_store_b64 off, v[82:83], off offset:216
	s_wait_loadcnt 0x0
	ds_store_b64 v1, v[2:3]
.LBB102_189:
	s_wait_xcnt 0x0
	s_or_b32 exec_lo, exec_lo, s0
	s_wait_storecnt_dscnt 0x0
	s_barrier_signal -1
	s_barrier_wait -1
	s_clause 0x5
	scratch_load_b128 v[82:85], off, off offset:216
	scratch_load_b128 v[86:89], off, off offset:232
	;; [unrolled: 1-line block ×6, first 2 shown]
	v_mov_b32_e32 v2, 0
	ds_load_b128 v[106:109], v2 offset:544
	ds_load_b128 v[110:113], v2 offset:560
	s_mov_b32 s0, exec_lo
	s_wait_loadcnt_dscnt 0x501
	v_fma_f64 v[106:107], v[84:85], v[106:107], 0
	s_wait_loadcnt 0x4
	s_delay_alu instid0(VALU_DEP_1) | instskip(SKIP_1) | instid1(VALU_DEP_1)
	v_fmac_f64_e32 v[106:107], v[86:87], v[108:109]
	s_wait_dscnt 0x0
	v_fmac_f64_e32 v[106:107], v[88:89], v[110:111]
	s_wait_loadcnt 0x3
	s_delay_alu instid0(VALU_DEP_1)
	v_fmac_f64_e32 v[106:107], v[90:91], v[112:113]
	ds_load_b128 v[84:87], v2 offset:576
	ds_load_b128 v[88:91], v2 offset:592
	s_wait_dscnt 0x1
	v_fmac_f64_e32 v[106:107], v[92:93], v[84:85]
	s_wait_loadcnt 0x2
	s_delay_alu instid0(VALU_DEP_1) | instskip(SKIP_1) | instid1(VALU_DEP_1)
	v_fmac_f64_e32 v[106:107], v[94:95], v[86:87]
	s_wait_dscnt 0x0
	v_fmac_f64_e32 v[106:107], v[96:97], v[88:89]
	ds_load_b128 v[84:87], v2 offset:608
	ds_load_b64 v[88:89], v2 offset:624
	s_wait_loadcnt 0x1
	v_fmac_f64_e32 v[106:107], v[98:99], v[90:91]
	s_wait_dscnt 0x1
	s_delay_alu instid0(VALU_DEP_1) | instskip(SKIP_1) | instid1(VALU_DEP_1)
	v_fmac_f64_e32 v[106:107], v[100:101], v[84:85]
	s_wait_loadcnt 0x0
	v_fmac_f64_e32 v[106:107], v[102:103], v[86:87]
	s_wait_dscnt 0x0
	s_delay_alu instid0(VALU_DEP_1) | instskip(NEXT) | instid1(VALU_DEP_1)
	v_fmac_f64_e32 v[106:107], v[104:105], v[88:89]
	v_add_f64_e64 v[82:83], v[82:83], -v[106:107]
	scratch_store_b64 off, v[82:83], off offset:216
	s_wait_xcnt 0x0
	v_cmpx_lt_u32_e32 26, v0
	s_cbranch_execz .LBB102_191
; %bb.190:
	scratch_load_b64 v[82:83], off, off offset:208
	v_mov_b64_e32 v[84:85], 0
	scratch_store_b64 off, v[84:85], off offset:208
	s_wait_loadcnt 0x0
	ds_store_b64 v1, v[82:83]
.LBB102_191:
	s_wait_xcnt 0x0
	s_or_b32 exec_lo, exec_lo, s0
	s_wait_storecnt_dscnt 0x0
	s_barrier_signal -1
	s_barrier_wait -1
	s_clause 0x5
	scratch_load_b128 v[82:85], off, off offset:208
	scratch_load_b128 v[86:89], off, off offset:224
	;; [unrolled: 1-line block ×6, first 2 shown]
	ds_load_2addr_b64 v[106:109], v2 offset0:67 offset1:68
	ds_load_2addr_b64 v[110:113], v2 offset0:69 offset1:70
	s_mov_b32 s0, exec_lo
	s_wait_loadcnt_dscnt 0x501
	v_fma_f64 v[106:107], v[84:85], v[106:107], 0
	s_wait_loadcnt 0x4
	s_delay_alu instid0(VALU_DEP_1) | instskip(SKIP_4) | instid1(VALU_DEP_1)
	v_fmac_f64_e32 v[106:107], v[86:87], v[108:109]
	scratch_load_b64 v[108:109], off, off offset:304
	s_wait_dscnt 0x0
	v_fmac_f64_e32 v[106:107], v[88:89], v[110:111]
	s_wait_loadcnt 0x4
	v_fmac_f64_e32 v[106:107], v[90:91], v[112:113]
	ds_load_2addr_b64 v[84:87], v2 offset0:71 offset1:72
	ds_load_2addr_b64 v[88:91], v2 offset0:73 offset1:74
	s_wait_dscnt 0x1
	v_fmac_f64_e32 v[106:107], v[92:93], v[84:85]
	s_wait_loadcnt 0x3
	s_delay_alu instid0(VALU_DEP_1) | instskip(SKIP_1) | instid1(VALU_DEP_1)
	v_fmac_f64_e32 v[106:107], v[94:95], v[86:87]
	s_wait_dscnt 0x0
	v_fmac_f64_e32 v[106:107], v[96:97], v[88:89]
	s_wait_loadcnt 0x2
	s_delay_alu instid0(VALU_DEP_1)
	v_fmac_f64_e32 v[106:107], v[98:99], v[90:91]
	ds_load_2addr_b64 v[84:87], v2 offset0:75 offset1:76
	ds_load_2addr_b64 v[88:91], v2 offset0:77 offset1:78
	s_wait_dscnt 0x1
	v_fmac_f64_e32 v[106:107], v[100:101], v[84:85]
	s_wait_loadcnt 0x1
	s_delay_alu instid0(VALU_DEP_1) | instskip(SKIP_1) | instid1(VALU_DEP_1)
	v_fmac_f64_e32 v[106:107], v[102:103], v[86:87]
	s_wait_dscnt 0x0
	v_fmac_f64_e32 v[106:107], v[104:105], v[88:89]
	s_wait_loadcnt 0x0
	s_delay_alu instid0(VALU_DEP_1) | instskip(NEXT) | instid1(VALU_DEP_1)
	v_fmac_f64_e32 v[106:107], v[108:109], v[90:91]
	v_add_f64_e64 v[2:3], v[82:83], -v[106:107]
	scratch_store_b64 off, v[2:3], off offset:208
	s_wait_xcnt 0x0
	v_cmpx_lt_u32_e32 25, v0
	s_cbranch_execz .LBB102_193
; %bb.192:
	scratch_load_b64 v[2:3], off, off offset:200
	v_mov_b64_e32 v[82:83], 0
	scratch_store_b64 off, v[82:83], off offset:200
	s_wait_loadcnt 0x0
	ds_store_b64 v1, v[2:3]
.LBB102_193:
	s_wait_xcnt 0x0
	s_or_b32 exec_lo, exec_lo, s0
	s_wait_storecnt_dscnt 0x0
	s_barrier_signal -1
	s_barrier_wait -1
	s_clause 0x5
	scratch_load_b128 v[82:85], off, off offset:200
	scratch_load_b128 v[86:89], off, off offset:216
	;; [unrolled: 1-line block ×6, first 2 shown]
	v_mov_b32_e32 v2, 0
	ds_load_b128 v[106:109], v2 offset:528
	ds_load_b128 v[110:113], v2 offset:544
	s_mov_b32 s0, exec_lo
	s_wait_loadcnt_dscnt 0x501
	v_fma_f64 v[114:115], v[84:85], v[106:107], 0
	s_wait_loadcnt 0x4
	s_delay_alu instid0(VALU_DEP_1) | instskip(SKIP_4) | instid1(VALU_DEP_1)
	v_fmac_f64_e32 v[114:115], v[86:87], v[108:109]
	scratch_load_b128 v[84:87], off, off offset:296
	s_wait_dscnt 0x0
	v_fmac_f64_e32 v[114:115], v[88:89], v[110:111]
	s_wait_loadcnt 0x4
	v_fmac_f64_e32 v[114:115], v[90:91], v[112:113]
	ds_load_b128 v[88:91], v2 offset:560
	ds_load_b128 v[106:109], v2 offset:576
	s_wait_dscnt 0x1
	v_fmac_f64_e32 v[114:115], v[92:93], v[88:89]
	s_wait_loadcnt 0x3
	s_delay_alu instid0(VALU_DEP_1)
	v_fmac_f64_e32 v[114:115], v[94:95], v[90:91]
	ds_load_b128 v[88:91], v2 offset:592
	ds_load_b128 v[92:95], v2 offset:608
	s_wait_dscnt 0x2
	v_fmac_f64_e32 v[114:115], v[96:97], v[106:107]
	s_wait_loadcnt 0x2
	s_delay_alu instid0(VALU_DEP_1) | instskip(SKIP_1) | instid1(VALU_DEP_1)
	v_fmac_f64_e32 v[114:115], v[98:99], v[108:109]
	s_wait_dscnt 0x1
	v_fmac_f64_e32 v[114:115], v[100:101], v[88:89]
	s_wait_loadcnt 0x1
	s_delay_alu instid0(VALU_DEP_1) | instskip(SKIP_1) | instid1(VALU_DEP_1)
	v_fmac_f64_e32 v[114:115], v[102:103], v[90:91]
	s_wait_dscnt 0x0
	v_fmac_f64_e32 v[114:115], v[104:105], v[92:93]
	s_wait_loadcnt 0x0
	s_delay_alu instid0(VALU_DEP_1) | instskip(SKIP_3) | instid1(VALU_DEP_1)
	v_fmac_f64_e32 v[114:115], v[84:85], v[94:95]
	ds_load_b64 v[84:85], v2 offset:624
	s_wait_dscnt 0x0
	v_fmac_f64_e32 v[114:115], v[86:87], v[84:85]
	v_add_f64_e64 v[82:83], v[82:83], -v[114:115]
	scratch_store_b64 off, v[82:83], off offset:200
	s_wait_xcnt 0x0
	v_cmpx_lt_u32_e32 24, v0
	s_cbranch_execz .LBB102_195
; %bb.194:
	scratch_load_b64 v[82:83], off, off offset:192
	v_mov_b64_e32 v[84:85], 0
	scratch_store_b64 off, v[84:85], off offset:192
	s_wait_loadcnt 0x0
	ds_store_b64 v1, v[82:83]
.LBB102_195:
	s_wait_xcnt 0x0
	s_or_b32 exec_lo, exec_lo, s0
	s_wait_storecnt_dscnt 0x0
	s_barrier_signal -1
	s_barrier_wait -1
	s_clause 0x5
	scratch_load_b128 v[82:85], off, off offset:192
	scratch_load_b128 v[86:89], off, off offset:208
	;; [unrolled: 1-line block ×6, first 2 shown]
	ds_load_2addr_b64 v[106:109], v2 offset0:65 offset1:66
	ds_load_2addr_b64 v[110:113], v2 offset0:67 offset1:68
	s_mov_b32 s0, exec_lo
	s_wait_loadcnt_dscnt 0x501
	v_fma_f64 v[114:115], v[84:85], v[106:107], 0
	s_wait_loadcnt 0x4
	s_delay_alu instid0(VALU_DEP_1)
	v_fmac_f64_e32 v[114:115], v[86:87], v[108:109]
	scratch_load_b128 v[84:87], off, off offset:288
	s_wait_dscnt 0x0
	v_fmac_f64_e32 v[114:115], v[88:89], v[110:111]
	scratch_load_b64 v[110:111], off, off offset:304
	s_wait_loadcnt 0x5
	v_fmac_f64_e32 v[114:115], v[90:91], v[112:113]
	ds_load_2addr_b64 v[88:91], v2 offset0:69 offset1:70
	ds_load_2addr_b64 v[106:109], v2 offset0:71 offset1:72
	s_wait_dscnt 0x1
	v_fmac_f64_e32 v[114:115], v[92:93], v[88:89]
	s_wait_loadcnt 0x4
	s_delay_alu instid0(VALU_DEP_1)
	v_fmac_f64_e32 v[114:115], v[94:95], v[90:91]
	ds_load_2addr_b64 v[88:91], v2 offset0:73 offset1:74
	ds_load_2addr_b64 v[92:95], v2 offset0:75 offset1:76
	s_wait_dscnt 0x2
	v_fmac_f64_e32 v[114:115], v[96:97], v[106:107]
	s_wait_loadcnt 0x3
	s_delay_alu instid0(VALU_DEP_1) | instskip(SKIP_1) | instid1(VALU_DEP_1)
	v_fmac_f64_e32 v[114:115], v[98:99], v[108:109]
	s_wait_dscnt 0x1
	v_fmac_f64_e32 v[114:115], v[100:101], v[88:89]
	s_wait_loadcnt 0x2
	s_delay_alu instid0(VALU_DEP_1) | instskip(SKIP_4) | instid1(VALU_DEP_1)
	v_fmac_f64_e32 v[114:115], v[102:103], v[90:91]
	ds_load_2addr_b64 v[88:91], v2 offset0:77 offset1:78
	s_wait_dscnt 0x1
	v_fmac_f64_e32 v[114:115], v[104:105], v[92:93]
	s_wait_loadcnt 0x1
	v_fmac_f64_e32 v[114:115], v[84:85], v[94:95]
	s_wait_dscnt 0x0
	s_delay_alu instid0(VALU_DEP_1) | instskip(SKIP_1) | instid1(VALU_DEP_1)
	v_fmac_f64_e32 v[114:115], v[86:87], v[88:89]
	s_wait_loadcnt 0x0
	v_fmac_f64_e32 v[114:115], v[110:111], v[90:91]
	s_delay_alu instid0(VALU_DEP_1)
	v_add_f64_e64 v[2:3], v[82:83], -v[114:115]
	scratch_store_b64 off, v[2:3], off offset:192
	s_wait_xcnt 0x0
	v_cmpx_lt_u32_e32 23, v0
	s_cbranch_execz .LBB102_197
; %bb.196:
	scratch_load_b64 v[2:3], off, off offset:184
	v_mov_b64_e32 v[82:83], 0
	scratch_store_b64 off, v[82:83], off offset:184
	s_wait_loadcnt 0x0
	ds_store_b64 v1, v[2:3]
.LBB102_197:
	s_wait_xcnt 0x0
	s_or_b32 exec_lo, exec_lo, s0
	s_wait_storecnt_dscnt 0x0
	s_barrier_signal -1
	s_barrier_wait -1
	s_clause 0x5
	scratch_load_b128 v[82:85], off, off offset:184
	scratch_load_b128 v[86:89], off, off offset:200
	;; [unrolled: 1-line block ×6, first 2 shown]
	v_mov_b32_e32 v2, 0
	ds_load_b128 v[106:109], v2 offset:512
	ds_load_b128 v[110:113], v2 offset:528
	s_mov_b32 s0, exec_lo
	s_wait_loadcnt_dscnt 0x501
	v_fma_f64 v[114:115], v[84:85], v[106:107], 0
	s_wait_loadcnt 0x4
	s_delay_alu instid0(VALU_DEP_1) | instskip(SKIP_4) | instid1(VALU_DEP_1)
	v_fmac_f64_e32 v[114:115], v[86:87], v[108:109]
	scratch_load_b128 v[84:87], off, off offset:280
	s_wait_dscnt 0x0
	v_fmac_f64_e32 v[114:115], v[88:89], v[110:111]
	s_wait_loadcnt 0x4
	v_fmac_f64_e32 v[114:115], v[90:91], v[112:113]
	scratch_load_b128 v[88:91], off, off offset:296
	ds_load_b128 v[106:109], v2 offset:544
	ds_load_b128 v[110:113], v2 offset:560
	s_wait_dscnt 0x1
	v_fmac_f64_e32 v[114:115], v[92:93], v[106:107]
	s_wait_loadcnt 0x4
	s_delay_alu instid0(VALU_DEP_1) | instskip(SKIP_1) | instid1(VALU_DEP_1)
	v_fmac_f64_e32 v[114:115], v[94:95], v[108:109]
	s_wait_dscnt 0x0
	v_fmac_f64_e32 v[114:115], v[96:97], v[110:111]
	s_wait_loadcnt 0x3
	s_delay_alu instid0(VALU_DEP_1)
	v_fmac_f64_e32 v[114:115], v[98:99], v[112:113]
	ds_load_b128 v[92:95], v2 offset:576
	ds_load_b128 v[96:99], v2 offset:592
	s_wait_dscnt 0x1
	v_fmac_f64_e32 v[114:115], v[100:101], v[92:93]
	s_wait_loadcnt 0x2
	s_delay_alu instid0(VALU_DEP_1) | instskip(SKIP_1) | instid1(VALU_DEP_1)
	v_fmac_f64_e32 v[114:115], v[102:103], v[94:95]
	s_wait_dscnt 0x0
	v_fmac_f64_e32 v[114:115], v[104:105], v[96:97]
	s_wait_loadcnt 0x1
	s_delay_alu instid0(VALU_DEP_1)
	v_fmac_f64_e32 v[114:115], v[84:85], v[98:99]
	ds_load_b128 v[92:95], v2 offset:608
	ds_load_b64 v[84:85], v2 offset:624
	s_wait_dscnt 0x1
	v_fmac_f64_e32 v[114:115], v[86:87], v[92:93]
	s_wait_loadcnt 0x0
	s_delay_alu instid0(VALU_DEP_1) | instskip(SKIP_1) | instid1(VALU_DEP_1)
	v_fmac_f64_e32 v[114:115], v[88:89], v[94:95]
	s_wait_dscnt 0x0
	v_fmac_f64_e32 v[114:115], v[90:91], v[84:85]
	s_delay_alu instid0(VALU_DEP_1)
	v_add_f64_e64 v[82:83], v[82:83], -v[114:115]
	scratch_store_b64 off, v[82:83], off offset:184
	s_wait_xcnt 0x0
	v_cmpx_lt_u32_e32 22, v0
	s_cbranch_execz .LBB102_199
; %bb.198:
	scratch_load_b64 v[82:83], off, off offset:176
	v_mov_b64_e32 v[84:85], 0
	scratch_store_b64 off, v[84:85], off offset:176
	s_wait_loadcnt 0x0
	ds_store_b64 v1, v[82:83]
.LBB102_199:
	s_wait_xcnt 0x0
	s_or_b32 exec_lo, exec_lo, s0
	s_wait_storecnt_dscnt 0x0
	s_barrier_signal -1
	s_barrier_wait -1
	s_clause 0x5
	scratch_load_b128 v[82:85], off, off offset:176
	scratch_load_b128 v[86:89], off, off offset:192
	;; [unrolled: 1-line block ×6, first 2 shown]
	ds_load_2addr_b64 v[106:109], v2 offset0:63 offset1:64
	ds_load_2addr_b64 v[110:113], v2 offset0:65 offset1:66
	s_mov_b32 s0, exec_lo
	s_wait_loadcnt_dscnt 0x501
	v_fma_f64 v[114:115], v[84:85], v[106:107], 0
	s_wait_loadcnt 0x4
	s_delay_alu instid0(VALU_DEP_1) | instskip(SKIP_4) | instid1(VALU_DEP_1)
	v_fmac_f64_e32 v[114:115], v[86:87], v[108:109]
	scratch_load_b128 v[84:87], off, off offset:272
	s_wait_dscnt 0x0
	v_fmac_f64_e32 v[114:115], v[88:89], v[110:111]
	s_wait_loadcnt 0x4
	v_fmac_f64_e32 v[114:115], v[90:91], v[112:113]
	scratch_load_b128 v[88:91], off, off offset:288
	ds_load_2addr_b64 v[106:109], v2 offset0:67 offset1:68
	ds_load_2addr_b64 v[110:113], v2 offset0:69 offset1:70
	s_wait_dscnt 0x1
	v_fmac_f64_e32 v[114:115], v[92:93], v[106:107]
	scratch_load_b64 v[106:107], off, off offset:304
	s_wait_loadcnt 0x5
	v_fmac_f64_e32 v[114:115], v[94:95], v[108:109]
	s_wait_dscnt 0x0
	s_delay_alu instid0(VALU_DEP_1) | instskip(SKIP_1) | instid1(VALU_DEP_1)
	v_fmac_f64_e32 v[114:115], v[96:97], v[110:111]
	s_wait_loadcnt 0x4
	v_fmac_f64_e32 v[114:115], v[98:99], v[112:113]
	ds_load_2addr_b64 v[92:95], v2 offset0:71 offset1:72
	ds_load_2addr_b64 v[96:99], v2 offset0:73 offset1:74
	s_wait_dscnt 0x1
	v_fmac_f64_e32 v[114:115], v[100:101], v[92:93]
	s_wait_loadcnt 0x3
	s_delay_alu instid0(VALU_DEP_1) | instskip(SKIP_1) | instid1(VALU_DEP_1)
	v_fmac_f64_e32 v[114:115], v[102:103], v[94:95]
	s_wait_dscnt 0x0
	v_fmac_f64_e32 v[114:115], v[104:105], v[96:97]
	s_wait_loadcnt 0x2
	s_delay_alu instid0(VALU_DEP_1)
	v_fmac_f64_e32 v[114:115], v[84:85], v[98:99]
	ds_load_2addr_b64 v[92:95], v2 offset0:75 offset1:76
	ds_load_2addr_b64 v[96:99], v2 offset0:77 offset1:78
	s_wait_dscnt 0x1
	v_fmac_f64_e32 v[114:115], v[86:87], v[92:93]
	s_wait_loadcnt 0x1
	s_delay_alu instid0(VALU_DEP_1) | instskip(SKIP_1) | instid1(VALU_DEP_1)
	v_fmac_f64_e32 v[114:115], v[88:89], v[94:95]
	s_wait_dscnt 0x0
	v_fmac_f64_e32 v[114:115], v[90:91], v[96:97]
	s_wait_loadcnt 0x0
	s_delay_alu instid0(VALU_DEP_1) | instskip(NEXT) | instid1(VALU_DEP_1)
	v_fmac_f64_e32 v[114:115], v[106:107], v[98:99]
	v_add_f64_e64 v[2:3], v[82:83], -v[114:115]
	scratch_store_b64 off, v[2:3], off offset:176
	s_wait_xcnt 0x0
	v_cmpx_lt_u32_e32 21, v0
	s_cbranch_execz .LBB102_201
; %bb.200:
	scratch_load_b64 v[2:3], off, off offset:168
	v_mov_b64_e32 v[82:83], 0
	scratch_store_b64 off, v[82:83], off offset:168
	s_wait_loadcnt 0x0
	ds_store_b64 v1, v[2:3]
.LBB102_201:
	s_wait_xcnt 0x0
	s_or_b32 exec_lo, exec_lo, s0
	s_wait_storecnt_dscnt 0x0
	s_barrier_signal -1
	s_barrier_wait -1
	s_clause 0x5
	scratch_load_b128 v[82:85], off, off offset:168
	scratch_load_b128 v[86:89], off, off offset:184
	scratch_load_b128 v[90:93], off, off offset:200
	scratch_load_b128 v[94:97], off, off offset:216
	scratch_load_b128 v[98:101], off, off offset:232
	scratch_load_b128 v[102:105], off, off offset:248
	v_mov_b32_e32 v2, 0
	ds_load_b128 v[106:109], v2 offset:496
	ds_load_b128 v[110:113], v2 offset:512
	s_mov_b32 s0, exec_lo
	s_wait_loadcnt_dscnt 0x501
	v_fma_f64 v[114:115], v[84:85], v[106:107], 0
	s_wait_loadcnt 0x4
	s_delay_alu instid0(VALU_DEP_1) | instskip(SKIP_4) | instid1(VALU_DEP_1)
	v_fmac_f64_e32 v[114:115], v[86:87], v[108:109]
	scratch_load_b128 v[84:87], off, off offset:264
	s_wait_dscnt 0x0
	v_fmac_f64_e32 v[114:115], v[88:89], v[110:111]
	s_wait_loadcnt 0x4
	v_fmac_f64_e32 v[114:115], v[90:91], v[112:113]
	scratch_load_b128 v[88:91], off, off offset:280
	ds_load_b128 v[106:109], v2 offset:528
	ds_load_b128 v[110:113], v2 offset:544
	s_wait_dscnt 0x1
	v_fmac_f64_e32 v[114:115], v[92:93], v[106:107]
	s_wait_loadcnt 0x4
	s_delay_alu instid0(VALU_DEP_1) | instskip(SKIP_4) | instid1(VALU_DEP_1)
	v_fmac_f64_e32 v[114:115], v[94:95], v[108:109]
	scratch_load_b128 v[92:95], off, off offset:296
	s_wait_dscnt 0x0
	v_fmac_f64_e32 v[114:115], v[96:97], v[110:111]
	s_wait_loadcnt 0x4
	v_fmac_f64_e32 v[114:115], v[98:99], v[112:113]
	ds_load_b128 v[96:99], v2 offset:560
	ds_load_b128 v[106:109], v2 offset:576
	s_wait_dscnt 0x1
	v_fmac_f64_e32 v[114:115], v[100:101], v[96:97]
	s_wait_loadcnt 0x3
	s_delay_alu instid0(VALU_DEP_1)
	v_fmac_f64_e32 v[114:115], v[102:103], v[98:99]
	ds_load_b128 v[96:99], v2 offset:592
	ds_load_b128 v[100:103], v2 offset:608
	s_wait_dscnt 0x2
	v_fmac_f64_e32 v[114:115], v[104:105], v[106:107]
	s_wait_loadcnt 0x2
	s_delay_alu instid0(VALU_DEP_1) | instskip(SKIP_4) | instid1(VALU_DEP_1)
	v_fmac_f64_e32 v[114:115], v[84:85], v[108:109]
	ds_load_b64 v[84:85], v2 offset:624
	s_wait_dscnt 0x2
	v_fmac_f64_e32 v[114:115], v[86:87], v[96:97]
	s_wait_loadcnt 0x1
	v_fmac_f64_e32 v[114:115], v[88:89], v[98:99]
	s_wait_dscnt 0x1
	s_delay_alu instid0(VALU_DEP_1) | instskip(SKIP_1) | instid1(VALU_DEP_1)
	v_fmac_f64_e32 v[114:115], v[90:91], v[100:101]
	s_wait_loadcnt 0x0
	v_fmac_f64_e32 v[114:115], v[92:93], v[102:103]
	s_wait_dscnt 0x0
	s_delay_alu instid0(VALU_DEP_1) | instskip(NEXT) | instid1(VALU_DEP_1)
	v_fmac_f64_e32 v[114:115], v[94:95], v[84:85]
	v_add_f64_e64 v[82:83], v[82:83], -v[114:115]
	scratch_store_b64 off, v[82:83], off offset:168
	s_wait_xcnt 0x0
	v_cmpx_lt_u32_e32 20, v0
	s_cbranch_execz .LBB102_203
; %bb.202:
	scratch_load_b64 v[82:83], off, off offset:160
	v_mov_b64_e32 v[84:85], 0
	scratch_store_b64 off, v[84:85], off offset:160
	s_wait_loadcnt 0x0
	ds_store_b64 v1, v[82:83]
.LBB102_203:
	s_wait_xcnt 0x0
	s_or_b32 exec_lo, exec_lo, s0
	s_wait_storecnt_dscnt 0x0
	s_barrier_signal -1
	s_barrier_wait -1
	s_clause 0x5
	scratch_load_b128 v[82:85], off, off offset:160
	scratch_load_b128 v[86:89], off, off offset:176
	;; [unrolled: 1-line block ×6, first 2 shown]
	ds_load_2addr_b64 v[106:109], v2 offset0:61 offset1:62
	ds_load_2addr_b64 v[110:113], v2 offset0:63 offset1:64
	s_mov_b32 s0, exec_lo
	s_wait_loadcnt_dscnt 0x501
	v_fma_f64 v[114:115], v[84:85], v[106:107], 0
	s_wait_loadcnt 0x4
	s_delay_alu instid0(VALU_DEP_1) | instskip(SKIP_4) | instid1(VALU_DEP_1)
	v_fmac_f64_e32 v[114:115], v[86:87], v[108:109]
	scratch_load_b128 v[84:87], off, off offset:256
	s_wait_dscnt 0x0
	v_fmac_f64_e32 v[114:115], v[88:89], v[110:111]
	s_wait_loadcnt 0x4
	v_fmac_f64_e32 v[114:115], v[90:91], v[112:113]
	scratch_load_b128 v[88:91], off, off offset:272
	ds_load_2addr_b64 v[106:109], v2 offset0:65 offset1:66
	ds_load_2addr_b64 v[110:113], v2 offset0:67 offset1:68
	s_wait_dscnt 0x1
	v_fmac_f64_e32 v[114:115], v[92:93], v[106:107]
	s_wait_loadcnt 0x4
	s_delay_alu instid0(VALU_DEP_1)
	v_fmac_f64_e32 v[114:115], v[94:95], v[108:109]
	scratch_load_b128 v[92:95], off, off offset:288
	s_wait_dscnt 0x0
	v_fmac_f64_e32 v[114:115], v[96:97], v[110:111]
	scratch_load_b64 v[110:111], off, off offset:304
	s_wait_loadcnt 0x5
	v_fmac_f64_e32 v[114:115], v[98:99], v[112:113]
	ds_load_2addr_b64 v[96:99], v2 offset0:69 offset1:70
	ds_load_2addr_b64 v[106:109], v2 offset0:71 offset1:72
	s_wait_dscnt 0x1
	v_fmac_f64_e32 v[114:115], v[100:101], v[96:97]
	s_wait_loadcnt 0x4
	s_delay_alu instid0(VALU_DEP_1)
	v_fmac_f64_e32 v[114:115], v[102:103], v[98:99]
	ds_load_2addr_b64 v[96:99], v2 offset0:73 offset1:74
	ds_load_2addr_b64 v[100:103], v2 offset0:75 offset1:76
	s_wait_dscnt 0x2
	v_fmac_f64_e32 v[114:115], v[104:105], v[106:107]
	s_wait_loadcnt 0x3
	s_delay_alu instid0(VALU_DEP_1) | instskip(SKIP_1) | instid1(VALU_DEP_1)
	v_fmac_f64_e32 v[114:115], v[84:85], v[108:109]
	s_wait_dscnt 0x1
	v_fmac_f64_e32 v[114:115], v[86:87], v[96:97]
	ds_load_2addr_b64 v[84:87], v2 offset0:77 offset1:78
	s_wait_loadcnt 0x2
	v_fmac_f64_e32 v[114:115], v[88:89], v[98:99]
	s_wait_dscnt 0x1
	s_delay_alu instid0(VALU_DEP_1) | instskip(SKIP_1) | instid1(VALU_DEP_1)
	v_fmac_f64_e32 v[114:115], v[90:91], v[100:101]
	s_wait_loadcnt 0x1
	v_fmac_f64_e32 v[114:115], v[92:93], v[102:103]
	s_wait_dscnt 0x0
	s_delay_alu instid0(VALU_DEP_1) | instskip(SKIP_1) | instid1(VALU_DEP_1)
	v_fmac_f64_e32 v[114:115], v[94:95], v[84:85]
	s_wait_loadcnt 0x0
	v_fmac_f64_e32 v[114:115], v[110:111], v[86:87]
	s_delay_alu instid0(VALU_DEP_1)
	v_add_f64_e64 v[2:3], v[82:83], -v[114:115]
	scratch_store_b64 off, v[2:3], off offset:160
	s_wait_xcnt 0x0
	v_cmpx_lt_u32_e32 19, v0
	s_cbranch_execz .LBB102_205
; %bb.204:
	scratch_load_b64 v[2:3], off, off offset:152
	v_mov_b64_e32 v[82:83], 0
	scratch_store_b64 off, v[82:83], off offset:152
	s_wait_loadcnt 0x0
	ds_store_b64 v1, v[2:3]
.LBB102_205:
	s_wait_xcnt 0x0
	s_or_b32 exec_lo, exec_lo, s0
	s_wait_storecnt_dscnt 0x0
	s_barrier_signal -1
	s_barrier_wait -1
	s_clause 0x5
	scratch_load_b128 v[82:85], off, off offset:152
	scratch_load_b128 v[86:89], off, off offset:168
	;; [unrolled: 1-line block ×6, first 2 shown]
	v_mov_b32_e32 v2, 0
	ds_load_b128 v[106:109], v2 offset:480
	ds_load_b128 v[110:113], v2 offset:496
	s_mov_b32 s0, exec_lo
	s_wait_loadcnt_dscnt 0x501
	v_fma_f64 v[114:115], v[84:85], v[106:107], 0
	s_wait_loadcnt 0x4
	s_delay_alu instid0(VALU_DEP_1) | instskip(SKIP_4) | instid1(VALU_DEP_1)
	v_fmac_f64_e32 v[114:115], v[86:87], v[108:109]
	scratch_load_b128 v[84:87], off, off offset:248
	s_wait_dscnt 0x0
	v_fmac_f64_e32 v[114:115], v[88:89], v[110:111]
	s_wait_loadcnt 0x4
	v_fmac_f64_e32 v[114:115], v[90:91], v[112:113]
	scratch_load_b128 v[88:91], off, off offset:264
	ds_load_b128 v[106:109], v2 offset:512
	ds_load_b128 v[110:113], v2 offset:528
	s_wait_dscnt 0x1
	v_fmac_f64_e32 v[114:115], v[92:93], v[106:107]
	s_wait_loadcnt 0x4
	s_delay_alu instid0(VALU_DEP_1) | instskip(SKIP_4) | instid1(VALU_DEP_1)
	v_fmac_f64_e32 v[114:115], v[94:95], v[108:109]
	scratch_load_b128 v[92:95], off, off offset:280
	s_wait_dscnt 0x0
	v_fmac_f64_e32 v[114:115], v[96:97], v[110:111]
	s_wait_loadcnt 0x4
	v_fmac_f64_e32 v[114:115], v[98:99], v[112:113]
	scratch_load_b128 v[96:99], off, off offset:296
	ds_load_b128 v[106:109], v2 offset:544
	ds_load_b128 v[110:113], v2 offset:560
	s_wait_dscnt 0x1
	v_fmac_f64_e32 v[114:115], v[100:101], v[106:107]
	s_wait_loadcnt 0x4
	s_delay_alu instid0(VALU_DEP_1) | instskip(SKIP_1) | instid1(VALU_DEP_1)
	v_fmac_f64_e32 v[114:115], v[102:103], v[108:109]
	s_wait_dscnt 0x0
	v_fmac_f64_e32 v[114:115], v[104:105], v[110:111]
	ds_load_b128 v[100:103], v2 offset:576
	ds_load_b128 v[104:107], v2 offset:592
	s_wait_loadcnt 0x3
	v_fmac_f64_e32 v[114:115], v[84:85], v[112:113]
	s_wait_dscnt 0x1
	s_delay_alu instid0(VALU_DEP_1) | instskip(SKIP_1) | instid1(VALU_DEP_1)
	v_fmac_f64_e32 v[114:115], v[86:87], v[100:101]
	s_wait_loadcnt 0x2
	v_fmac_f64_e32 v[114:115], v[88:89], v[102:103]
	ds_load_b128 v[84:87], v2 offset:608
	ds_load_b64 v[88:89], v2 offset:624
	s_wait_dscnt 0x2
	v_fmac_f64_e32 v[114:115], v[90:91], v[104:105]
	s_wait_loadcnt 0x1
	s_delay_alu instid0(VALU_DEP_1) | instskip(SKIP_1) | instid1(VALU_DEP_1)
	v_fmac_f64_e32 v[114:115], v[92:93], v[106:107]
	s_wait_dscnt 0x1
	v_fmac_f64_e32 v[114:115], v[94:95], v[84:85]
	s_wait_loadcnt 0x0
	s_delay_alu instid0(VALU_DEP_1) | instskip(SKIP_1) | instid1(VALU_DEP_1)
	v_fmac_f64_e32 v[114:115], v[96:97], v[86:87]
	s_wait_dscnt 0x0
	v_fmac_f64_e32 v[114:115], v[98:99], v[88:89]
	s_delay_alu instid0(VALU_DEP_1)
	v_add_f64_e64 v[82:83], v[82:83], -v[114:115]
	scratch_store_b64 off, v[82:83], off offset:152
	s_wait_xcnt 0x0
	v_cmpx_lt_u32_e32 18, v0
	s_cbranch_execz .LBB102_207
; %bb.206:
	scratch_load_b64 v[82:83], off, off offset:144
	v_mov_b64_e32 v[84:85], 0
	scratch_store_b64 off, v[84:85], off offset:144
	s_wait_loadcnt 0x0
	ds_store_b64 v1, v[82:83]
.LBB102_207:
	s_wait_xcnt 0x0
	s_or_b32 exec_lo, exec_lo, s0
	s_wait_storecnt_dscnt 0x0
	s_barrier_signal -1
	s_barrier_wait -1
	s_clause 0x5
	scratch_load_b128 v[82:85], off, off offset:144
	scratch_load_b128 v[86:89], off, off offset:160
	;; [unrolled: 1-line block ×6, first 2 shown]
	ds_load_2addr_b64 v[106:109], v2 offset0:59 offset1:60
	ds_load_2addr_b64 v[110:113], v2 offset0:61 offset1:62
	s_mov_b32 s0, exec_lo
	s_wait_loadcnt_dscnt 0x501
	v_fma_f64 v[114:115], v[84:85], v[106:107], 0
	s_wait_loadcnt 0x4
	s_delay_alu instid0(VALU_DEP_1) | instskip(SKIP_4) | instid1(VALU_DEP_1)
	v_fmac_f64_e32 v[114:115], v[86:87], v[108:109]
	scratch_load_b128 v[84:87], off, off offset:240
	s_wait_dscnt 0x0
	v_fmac_f64_e32 v[114:115], v[88:89], v[110:111]
	s_wait_loadcnt 0x4
	v_fmac_f64_e32 v[114:115], v[90:91], v[112:113]
	scratch_load_b128 v[88:91], off, off offset:256
	ds_load_2addr_b64 v[106:109], v2 offset0:63 offset1:64
	ds_load_2addr_b64 v[110:113], v2 offset0:65 offset1:66
	s_wait_dscnt 0x1
	v_fmac_f64_e32 v[114:115], v[92:93], v[106:107]
	s_wait_loadcnt 0x4
	s_delay_alu instid0(VALU_DEP_1) | instskip(SKIP_4) | instid1(VALU_DEP_1)
	v_fmac_f64_e32 v[114:115], v[94:95], v[108:109]
	scratch_load_b128 v[92:95], off, off offset:272
	s_wait_dscnt 0x0
	v_fmac_f64_e32 v[114:115], v[96:97], v[110:111]
	s_wait_loadcnt 0x4
	v_fmac_f64_e32 v[114:115], v[98:99], v[112:113]
	scratch_load_b128 v[96:99], off, off offset:288
	ds_load_2addr_b64 v[106:109], v2 offset0:67 offset1:68
	ds_load_2addr_b64 v[110:113], v2 offset0:69 offset1:70
	s_wait_dscnt 0x1
	v_fmac_f64_e32 v[114:115], v[100:101], v[106:107]
	s_wait_loadcnt 0x4
	s_delay_alu instid0(VALU_DEP_1)
	v_fmac_f64_e32 v[114:115], v[102:103], v[108:109]
	scratch_load_b64 v[108:109], off, off offset:304
	s_wait_dscnt 0x0
	v_fmac_f64_e32 v[114:115], v[104:105], v[110:111]
	ds_load_2addr_b64 v[100:103], v2 offset0:71 offset1:72
	ds_load_2addr_b64 v[104:107], v2 offset0:73 offset1:74
	s_wait_loadcnt 0x4
	v_fmac_f64_e32 v[114:115], v[84:85], v[112:113]
	s_wait_dscnt 0x1
	s_delay_alu instid0(VALU_DEP_1) | instskip(SKIP_1) | instid1(VALU_DEP_1)
	v_fmac_f64_e32 v[114:115], v[86:87], v[100:101]
	s_wait_loadcnt 0x3
	v_fmac_f64_e32 v[114:115], v[88:89], v[102:103]
	s_wait_dscnt 0x0
	s_delay_alu instid0(VALU_DEP_1)
	v_fmac_f64_e32 v[114:115], v[90:91], v[104:105]
	ds_load_2addr_b64 v[84:87], v2 offset0:75 offset1:76
	ds_load_2addr_b64 v[88:91], v2 offset0:77 offset1:78
	s_wait_loadcnt 0x2
	v_fmac_f64_e32 v[114:115], v[92:93], v[106:107]
	s_wait_dscnt 0x1
	s_delay_alu instid0(VALU_DEP_1) | instskip(SKIP_1) | instid1(VALU_DEP_1)
	v_fmac_f64_e32 v[114:115], v[94:95], v[84:85]
	s_wait_loadcnt 0x1
	v_fmac_f64_e32 v[114:115], v[96:97], v[86:87]
	s_wait_dscnt 0x0
	s_delay_alu instid0(VALU_DEP_1) | instskip(SKIP_1) | instid1(VALU_DEP_1)
	v_fmac_f64_e32 v[114:115], v[98:99], v[88:89]
	s_wait_loadcnt 0x0
	v_fmac_f64_e32 v[114:115], v[108:109], v[90:91]
	s_delay_alu instid0(VALU_DEP_1)
	v_add_f64_e64 v[2:3], v[82:83], -v[114:115]
	scratch_store_b64 off, v[2:3], off offset:144
	s_wait_xcnt 0x0
	v_cmpx_lt_u32_e32 17, v0
	s_cbranch_execz .LBB102_209
; %bb.208:
	scratch_load_b64 v[2:3], off, off offset:136
	v_mov_b64_e32 v[82:83], 0
	scratch_store_b64 off, v[82:83], off offset:136
	s_wait_loadcnt 0x0
	ds_store_b64 v1, v[2:3]
.LBB102_209:
	s_wait_xcnt 0x0
	s_or_b32 exec_lo, exec_lo, s0
	s_wait_storecnt_dscnt 0x0
	s_barrier_signal -1
	s_barrier_wait -1
	s_clause 0x5
	scratch_load_b128 v[82:85], off, off offset:136
	scratch_load_b128 v[86:89], off, off offset:152
	;; [unrolled: 1-line block ×6, first 2 shown]
	v_mov_b32_e32 v2, 0
	ds_load_b128 v[106:109], v2 offset:464
	ds_load_b128 v[110:113], v2 offset:480
	s_mov_b32 s0, exec_lo
	s_wait_loadcnt_dscnt 0x501
	v_fma_f64 v[114:115], v[84:85], v[106:107], 0
	s_wait_loadcnt 0x4
	s_delay_alu instid0(VALU_DEP_1) | instskip(SKIP_4) | instid1(VALU_DEP_1)
	v_fmac_f64_e32 v[114:115], v[86:87], v[108:109]
	scratch_load_b128 v[84:87], off, off offset:232
	s_wait_dscnt 0x0
	v_fmac_f64_e32 v[114:115], v[88:89], v[110:111]
	s_wait_loadcnt 0x4
	v_fmac_f64_e32 v[114:115], v[90:91], v[112:113]
	scratch_load_b128 v[88:91], off, off offset:248
	ds_load_b128 v[106:109], v2 offset:496
	ds_load_b128 v[110:113], v2 offset:512
	s_wait_dscnt 0x1
	v_fmac_f64_e32 v[114:115], v[92:93], v[106:107]
	s_wait_loadcnt 0x4
	s_delay_alu instid0(VALU_DEP_1) | instskip(SKIP_4) | instid1(VALU_DEP_1)
	v_fmac_f64_e32 v[114:115], v[94:95], v[108:109]
	scratch_load_b128 v[92:95], off, off offset:264
	s_wait_dscnt 0x0
	v_fmac_f64_e32 v[114:115], v[96:97], v[110:111]
	s_wait_loadcnt 0x4
	v_fmac_f64_e32 v[114:115], v[98:99], v[112:113]
	scratch_load_b128 v[96:99], off, off offset:280
	ds_load_b128 v[106:109], v2 offset:528
	ds_load_b128 v[110:113], v2 offset:544
	s_wait_dscnt 0x1
	v_fmac_f64_e32 v[114:115], v[100:101], v[106:107]
	s_wait_loadcnt 0x4
	s_delay_alu instid0(VALU_DEP_1)
	v_fmac_f64_e32 v[114:115], v[102:103], v[108:109]
	scratch_load_b128 v[100:103], off, off offset:296
	s_wait_dscnt 0x0
	v_fmac_f64_e32 v[114:115], v[104:105], v[110:111]
	ds_load_b128 v[104:107], v2 offset:560
	ds_load_b128 v[108:111], v2 offset:576
	s_wait_loadcnt 0x4
	v_fmac_f64_e32 v[114:115], v[84:85], v[112:113]
	s_wait_dscnt 0x1
	s_delay_alu instid0(VALU_DEP_1) | instskip(SKIP_1) | instid1(VALU_DEP_1)
	v_fmac_f64_e32 v[114:115], v[86:87], v[104:105]
	s_wait_loadcnt 0x3
	v_fmac_f64_e32 v[114:115], v[88:89], v[106:107]
	s_wait_dscnt 0x0
	s_delay_alu instid0(VALU_DEP_1)
	v_fmac_f64_e32 v[114:115], v[90:91], v[108:109]
	ds_load_b128 v[84:87], v2 offset:592
	ds_load_b128 v[88:91], v2 offset:608
	s_wait_loadcnt 0x2
	v_fmac_f64_e32 v[114:115], v[92:93], v[110:111]
	s_wait_dscnt 0x1
	s_delay_alu instid0(VALU_DEP_1) | instskip(SKIP_4) | instid1(VALU_DEP_1)
	v_fmac_f64_e32 v[114:115], v[94:95], v[84:85]
	ds_load_b64 v[84:85], v2 offset:624
	s_wait_loadcnt 0x1
	v_fmac_f64_e32 v[114:115], v[96:97], v[86:87]
	s_wait_dscnt 0x1
	v_fmac_f64_e32 v[114:115], v[98:99], v[88:89]
	s_wait_loadcnt 0x0
	s_delay_alu instid0(VALU_DEP_1) | instskip(SKIP_1) | instid1(VALU_DEP_1)
	v_fmac_f64_e32 v[114:115], v[100:101], v[90:91]
	s_wait_dscnt 0x0
	v_fmac_f64_e32 v[114:115], v[102:103], v[84:85]
	s_delay_alu instid0(VALU_DEP_1)
	v_add_f64_e64 v[82:83], v[82:83], -v[114:115]
	scratch_store_b64 off, v[82:83], off offset:136
	s_wait_xcnt 0x0
	v_cmpx_lt_u32_e32 16, v0
	s_cbranch_execz .LBB102_211
; %bb.210:
	scratch_load_b64 v[82:83], off, off offset:128
	v_mov_b64_e32 v[84:85], 0
	scratch_store_b64 off, v[84:85], off offset:128
	s_wait_loadcnt 0x0
	ds_store_b64 v1, v[82:83]
.LBB102_211:
	s_wait_xcnt 0x0
	s_or_b32 exec_lo, exec_lo, s0
	s_wait_storecnt_dscnt 0x0
	s_barrier_signal -1
	s_barrier_wait -1
	s_clause 0x5
	scratch_load_b128 v[82:85], off, off offset:128
	scratch_load_b128 v[86:89], off, off offset:144
	;; [unrolled: 1-line block ×6, first 2 shown]
	ds_load_2addr_b64 v[106:109], v2 offset0:57 offset1:58
	ds_load_2addr_b64 v[110:113], v2 offset0:59 offset1:60
	scratch_load_b128 v[114:117], off, off offset:224
	s_mov_b32 s0, exec_lo
	s_wait_loadcnt_dscnt 0x601
	v_fma_f64 v[118:119], v[84:85], v[106:107], 0
	s_wait_loadcnt 0x5
	s_delay_alu instid0(VALU_DEP_1) | instskip(SKIP_4) | instid1(VALU_DEP_1)
	v_fmac_f64_e32 v[118:119], v[86:87], v[108:109]
	scratch_load_b128 v[84:87], off, off offset:240
	s_wait_dscnt 0x0
	v_fmac_f64_e32 v[118:119], v[88:89], v[110:111]
	s_wait_loadcnt 0x5
	v_fmac_f64_e32 v[118:119], v[90:91], v[112:113]
	ds_load_2addr_b64 v[88:91], v2 offset0:61 offset1:62
	ds_load_2addr_b64 v[106:109], v2 offset0:63 offset1:64
	s_wait_dscnt 0x1
	v_fmac_f64_e32 v[118:119], v[92:93], v[88:89]
	s_wait_loadcnt 0x4
	s_delay_alu instid0(VALU_DEP_1)
	v_fmac_f64_e32 v[118:119], v[94:95], v[90:91]
	s_clause 0x1
	scratch_load_b128 v[88:91], off, off offset:256
	scratch_load_b128 v[92:95], off, off offset:272
	s_wait_dscnt 0x0
	v_fmac_f64_e32 v[118:119], v[96:97], v[106:107]
	s_wait_loadcnt 0x5
	s_delay_alu instid0(VALU_DEP_1)
	v_fmac_f64_e32 v[118:119], v[98:99], v[108:109]
	ds_load_2addr_b64 v[96:99], v2 offset0:65 offset1:66
	ds_load_2addr_b64 v[106:109], v2 offset0:67 offset1:68
	s_wait_dscnt 0x1
	v_fmac_f64_e32 v[118:119], v[100:101], v[96:97]
	s_wait_loadcnt 0x4
	s_delay_alu instid0(VALU_DEP_1) | instskip(SKIP_4) | instid1(VALU_DEP_1)
	v_fmac_f64_e32 v[118:119], v[102:103], v[98:99]
	scratch_load_b128 v[96:99], off, off offset:288
	s_wait_dscnt 0x0
	v_fmac_f64_e32 v[118:119], v[104:105], v[106:107]
	s_wait_loadcnt 0x4
	v_fmac_f64_e32 v[118:119], v[114:115], v[108:109]
	scratch_load_b64 v[108:109], off, off offset:304
	ds_load_2addr_b64 v[100:103], v2 offset0:69 offset1:70
	ds_load_2addr_b64 v[104:107], v2 offset0:71 offset1:72
	s_wait_dscnt 0x1
	v_fmac_f64_e32 v[118:119], v[116:117], v[100:101]
	s_wait_loadcnt 0x4
	s_delay_alu instid0(VALU_DEP_1) | instskip(SKIP_1) | instid1(VALU_DEP_1)
	v_fmac_f64_e32 v[118:119], v[84:85], v[102:103]
	s_wait_dscnt 0x0
	v_fmac_f64_e32 v[118:119], v[86:87], v[104:105]
	ds_load_2addr_b64 v[84:87], v2 offset0:73 offset1:74
	ds_load_2addr_b64 v[100:103], v2 offset0:75 offset1:76
	s_wait_loadcnt 0x3
	v_fmac_f64_e32 v[118:119], v[88:89], v[106:107]
	s_wait_dscnt 0x1
	s_delay_alu instid0(VALU_DEP_1) | instskip(SKIP_1) | instid1(VALU_DEP_1)
	v_fmac_f64_e32 v[118:119], v[90:91], v[84:85]
	s_wait_loadcnt 0x2
	v_fmac_f64_e32 v[118:119], v[92:93], v[86:87]
	ds_load_2addr_b64 v[84:87], v2 offset0:77 offset1:78
	s_wait_dscnt 0x1
	v_fmac_f64_e32 v[118:119], v[94:95], v[100:101]
	s_wait_loadcnt 0x1
	s_delay_alu instid0(VALU_DEP_1) | instskip(SKIP_1) | instid1(VALU_DEP_1)
	v_fmac_f64_e32 v[118:119], v[96:97], v[102:103]
	s_wait_dscnt 0x0
	v_fmac_f64_e32 v[118:119], v[98:99], v[84:85]
	s_wait_loadcnt 0x0
	s_delay_alu instid0(VALU_DEP_1) | instskip(NEXT) | instid1(VALU_DEP_1)
	v_fmac_f64_e32 v[118:119], v[108:109], v[86:87]
	v_add_f64_e64 v[2:3], v[82:83], -v[118:119]
	scratch_store_b64 off, v[2:3], off offset:128
	s_wait_xcnt 0x0
	v_cmpx_lt_u32_e32 15, v0
	s_cbranch_execz .LBB102_213
; %bb.212:
	scratch_load_b64 v[2:3], off, off offset:120
	v_mov_b64_e32 v[82:83], 0
	scratch_store_b64 off, v[82:83], off offset:120
	s_wait_loadcnt 0x0
	ds_store_b64 v1, v[2:3]
.LBB102_213:
	s_wait_xcnt 0x0
	s_or_b32 exec_lo, exec_lo, s0
	s_wait_storecnt_dscnt 0x0
	s_barrier_signal -1
	s_barrier_wait -1
	s_clause 0x5
	scratch_load_b128 v[82:85], off, off offset:120
	scratch_load_b128 v[86:89], off, off offset:136
	scratch_load_b128 v[90:93], off, off offset:152
	scratch_load_b128 v[94:97], off, off offset:168
	scratch_load_b128 v[98:101], off, off offset:184
	scratch_load_b128 v[102:105], off, off offset:200
	v_mov_b32_e32 v2, 0
	ds_load_b128 v[106:109], v2 offset:448
	ds_load_b128 v[110:113], v2 offset:464
	scratch_load_b128 v[114:117], off, off offset:216
	s_mov_b32 s0, exec_lo
	s_wait_loadcnt_dscnt 0x601
	v_fma_f64 v[118:119], v[84:85], v[106:107], 0
	s_wait_loadcnt 0x5
	s_delay_alu instid0(VALU_DEP_1) | instskip(SKIP_4) | instid1(VALU_DEP_1)
	v_fmac_f64_e32 v[118:119], v[86:87], v[108:109]
	scratch_load_b128 v[84:87], off, off offset:232
	s_wait_dscnt 0x0
	v_fmac_f64_e32 v[118:119], v[88:89], v[110:111]
	s_wait_loadcnt 0x5
	v_fmac_f64_e32 v[118:119], v[90:91], v[112:113]
	ds_load_b128 v[88:91], v2 offset:480
	ds_load_b128 v[106:109], v2 offset:496
	s_wait_dscnt 0x1
	v_fmac_f64_e32 v[118:119], v[92:93], v[88:89]
	s_wait_loadcnt 0x4
	s_delay_alu instid0(VALU_DEP_1)
	v_fmac_f64_e32 v[118:119], v[94:95], v[90:91]
	s_clause 0x1
	scratch_load_b128 v[88:91], off, off offset:248
	scratch_load_b128 v[92:95], off, off offset:264
	s_wait_dscnt 0x0
	v_fmac_f64_e32 v[118:119], v[96:97], v[106:107]
	s_wait_loadcnt 0x5
	s_delay_alu instid0(VALU_DEP_1)
	v_fmac_f64_e32 v[118:119], v[98:99], v[108:109]
	ds_load_b128 v[96:99], v2 offset:512
	ds_load_b128 v[106:109], v2 offset:528
	s_wait_dscnt 0x1
	v_fmac_f64_e32 v[118:119], v[100:101], v[96:97]
	s_wait_loadcnt 0x4
	s_delay_alu instid0(VALU_DEP_1)
	v_fmac_f64_e32 v[118:119], v[102:103], v[98:99]
	s_clause 0x1
	scratch_load_b128 v[96:99], off, off offset:280
	scratch_load_b128 v[100:103], off, off offset:296
	s_wait_dscnt 0x0
	v_fmac_f64_e32 v[118:119], v[104:105], v[106:107]
	s_wait_loadcnt 0x5
	s_delay_alu instid0(VALU_DEP_1)
	v_fmac_f64_e32 v[118:119], v[114:115], v[108:109]
	ds_load_b128 v[104:107], v2 offset:544
	ds_load_b128 v[108:111], v2 offset:560
	s_wait_dscnt 0x1
	v_fmac_f64_e32 v[118:119], v[116:117], v[104:105]
	s_wait_loadcnt 0x4
	s_delay_alu instid0(VALU_DEP_1) | instskip(SKIP_1) | instid1(VALU_DEP_1)
	v_fmac_f64_e32 v[118:119], v[84:85], v[106:107]
	s_wait_dscnt 0x0
	v_fmac_f64_e32 v[118:119], v[86:87], v[108:109]
	ds_load_b128 v[84:87], v2 offset:576
	ds_load_b128 v[104:107], v2 offset:592
	s_wait_loadcnt 0x3
	v_fmac_f64_e32 v[118:119], v[88:89], v[110:111]
	s_wait_dscnt 0x1
	s_delay_alu instid0(VALU_DEP_1) | instskip(SKIP_1) | instid1(VALU_DEP_1)
	v_fmac_f64_e32 v[118:119], v[90:91], v[84:85]
	s_wait_loadcnt 0x2
	v_fmac_f64_e32 v[118:119], v[92:93], v[86:87]
	ds_load_b128 v[84:87], v2 offset:608
	ds_load_b64 v[88:89], v2 offset:624
	s_wait_dscnt 0x2
	v_fmac_f64_e32 v[118:119], v[94:95], v[104:105]
	s_wait_loadcnt 0x1
	s_delay_alu instid0(VALU_DEP_1) | instskip(SKIP_1) | instid1(VALU_DEP_1)
	v_fmac_f64_e32 v[118:119], v[96:97], v[106:107]
	s_wait_dscnt 0x1
	v_fmac_f64_e32 v[118:119], v[98:99], v[84:85]
	s_wait_loadcnt 0x0
	s_delay_alu instid0(VALU_DEP_1) | instskip(SKIP_1) | instid1(VALU_DEP_1)
	v_fmac_f64_e32 v[118:119], v[100:101], v[86:87]
	s_wait_dscnt 0x0
	v_fmac_f64_e32 v[118:119], v[102:103], v[88:89]
	s_delay_alu instid0(VALU_DEP_1)
	v_add_f64_e64 v[82:83], v[82:83], -v[118:119]
	scratch_store_b64 off, v[82:83], off offset:120
	s_wait_xcnt 0x0
	v_cmpx_lt_u32_e32 14, v0
	s_cbranch_execz .LBB102_215
; %bb.214:
	scratch_load_b64 v[82:83], off, off offset:112
	v_mov_b64_e32 v[84:85], 0
	scratch_store_b64 off, v[84:85], off offset:112
	s_wait_loadcnt 0x0
	ds_store_b64 v1, v[82:83]
.LBB102_215:
	s_wait_xcnt 0x0
	s_or_b32 exec_lo, exec_lo, s0
	s_wait_storecnt_dscnt 0x0
	s_barrier_signal -1
	s_barrier_wait -1
	s_clause 0x5
	scratch_load_b128 v[82:85], off, off offset:112
	scratch_load_b128 v[86:89], off, off offset:128
	;; [unrolled: 1-line block ×6, first 2 shown]
	ds_load_2addr_b64 v[106:109], v2 offset0:55 offset1:56
	ds_load_2addr_b64 v[110:113], v2 offset0:57 offset1:58
	scratch_load_b128 v[114:117], off, off offset:208
	s_mov_b32 s0, exec_lo
	s_wait_loadcnt_dscnt 0x601
	v_fma_f64 v[118:119], v[84:85], v[106:107], 0
	s_wait_loadcnt 0x5
	s_delay_alu instid0(VALU_DEP_1) | instskip(SKIP_4) | instid1(VALU_DEP_1)
	v_fmac_f64_e32 v[118:119], v[86:87], v[108:109]
	scratch_load_b128 v[84:87], off, off offset:224
	s_wait_dscnt 0x0
	v_fmac_f64_e32 v[118:119], v[88:89], v[110:111]
	s_wait_loadcnt 0x5
	v_fmac_f64_e32 v[118:119], v[90:91], v[112:113]
	ds_load_2addr_b64 v[88:91], v2 offset0:59 offset1:60
	ds_load_2addr_b64 v[106:109], v2 offset0:61 offset1:62
	s_wait_dscnt 0x1
	v_fmac_f64_e32 v[118:119], v[92:93], v[88:89]
	s_wait_loadcnt 0x4
	s_delay_alu instid0(VALU_DEP_1)
	v_fmac_f64_e32 v[118:119], v[94:95], v[90:91]
	s_clause 0x1
	scratch_load_b128 v[88:91], off, off offset:240
	scratch_load_b128 v[92:95], off, off offset:256
	s_wait_dscnt 0x0
	v_fmac_f64_e32 v[118:119], v[96:97], v[106:107]
	s_wait_loadcnt 0x5
	s_delay_alu instid0(VALU_DEP_1)
	v_fmac_f64_e32 v[118:119], v[98:99], v[108:109]
	ds_load_2addr_b64 v[96:99], v2 offset0:63 offset1:64
	ds_load_2addr_b64 v[106:109], v2 offset0:65 offset1:66
	s_wait_dscnt 0x1
	v_fmac_f64_e32 v[118:119], v[100:101], v[96:97]
	s_wait_loadcnt 0x4
	s_delay_alu instid0(VALU_DEP_1)
	v_fmac_f64_e32 v[118:119], v[102:103], v[98:99]
	s_clause 0x1
	scratch_load_b128 v[96:99], off, off offset:272
	scratch_load_b128 v[100:103], off, off offset:288
	s_wait_dscnt 0x0
	v_fmac_f64_e32 v[118:119], v[104:105], v[106:107]
	s_wait_loadcnt 0x5
	s_delay_alu instid0(VALU_DEP_1)
	v_fmac_f64_e32 v[118:119], v[114:115], v[108:109]
	ds_load_2addr_b64 v[104:107], v2 offset0:67 offset1:68
	ds_load_2addr_b64 v[108:111], v2 offset0:69 offset1:70
	scratch_load_b64 v[112:113], off, off offset:304
	s_wait_dscnt 0x1
	v_fmac_f64_e32 v[118:119], v[116:117], v[104:105]
	s_wait_loadcnt 0x5
	s_delay_alu instid0(VALU_DEP_1) | instskip(SKIP_1) | instid1(VALU_DEP_1)
	v_fmac_f64_e32 v[118:119], v[84:85], v[106:107]
	s_wait_dscnt 0x0
	v_fmac_f64_e32 v[118:119], v[86:87], v[108:109]
	ds_load_2addr_b64 v[84:87], v2 offset0:71 offset1:72
	ds_load_2addr_b64 v[104:107], v2 offset0:73 offset1:74
	s_wait_loadcnt 0x4
	v_fmac_f64_e32 v[118:119], v[88:89], v[110:111]
	s_wait_dscnt 0x1
	s_delay_alu instid0(VALU_DEP_1) | instskip(SKIP_1) | instid1(VALU_DEP_1)
	v_fmac_f64_e32 v[118:119], v[90:91], v[84:85]
	s_wait_loadcnt 0x3
	v_fmac_f64_e32 v[118:119], v[92:93], v[86:87]
	ds_load_2addr_b64 v[84:87], v2 offset0:75 offset1:76
	ds_load_2addr_b64 v[88:91], v2 offset0:77 offset1:78
	s_wait_dscnt 0x2
	v_fmac_f64_e32 v[118:119], v[94:95], v[104:105]
	s_wait_loadcnt 0x2
	s_delay_alu instid0(VALU_DEP_1) | instskip(SKIP_1) | instid1(VALU_DEP_1)
	v_fmac_f64_e32 v[118:119], v[96:97], v[106:107]
	s_wait_dscnt 0x1
	v_fmac_f64_e32 v[118:119], v[98:99], v[84:85]
	s_wait_loadcnt 0x1
	s_delay_alu instid0(VALU_DEP_1) | instskip(SKIP_1) | instid1(VALU_DEP_1)
	v_fmac_f64_e32 v[118:119], v[100:101], v[86:87]
	s_wait_dscnt 0x0
	v_fmac_f64_e32 v[118:119], v[102:103], v[88:89]
	s_wait_loadcnt 0x0
	s_delay_alu instid0(VALU_DEP_1) | instskip(NEXT) | instid1(VALU_DEP_1)
	v_fmac_f64_e32 v[118:119], v[112:113], v[90:91]
	v_add_f64_e64 v[2:3], v[82:83], -v[118:119]
	scratch_store_b64 off, v[2:3], off offset:112
	s_wait_xcnt 0x0
	v_cmpx_lt_u32_e32 13, v0
	s_cbranch_execz .LBB102_217
; %bb.216:
	scratch_load_b64 v[2:3], off, off offset:104
	v_mov_b64_e32 v[82:83], 0
	scratch_store_b64 off, v[82:83], off offset:104
	s_wait_loadcnt 0x0
	ds_store_b64 v1, v[2:3]
.LBB102_217:
	s_wait_xcnt 0x0
	s_or_b32 exec_lo, exec_lo, s0
	s_wait_storecnt_dscnt 0x0
	s_barrier_signal -1
	s_barrier_wait -1
	s_clause 0x5
	scratch_load_b128 v[82:85], off, off offset:104
	scratch_load_b128 v[86:89], off, off offset:120
	;; [unrolled: 1-line block ×6, first 2 shown]
	v_mov_b32_e32 v2, 0
	ds_load_b128 v[106:109], v2 offset:432
	ds_load_b128 v[110:113], v2 offset:448
	scratch_load_b128 v[114:117], off, off offset:200
	s_mov_b32 s0, exec_lo
	s_wait_loadcnt_dscnt 0x601
	v_fma_f64 v[118:119], v[84:85], v[106:107], 0
	s_wait_loadcnt 0x5
	s_delay_alu instid0(VALU_DEP_1) | instskip(SKIP_4) | instid1(VALU_DEP_1)
	v_fmac_f64_e32 v[118:119], v[86:87], v[108:109]
	scratch_load_b128 v[84:87], off, off offset:216
	s_wait_dscnt 0x0
	v_fmac_f64_e32 v[118:119], v[88:89], v[110:111]
	s_wait_loadcnt 0x5
	v_fmac_f64_e32 v[118:119], v[90:91], v[112:113]
	ds_load_b128 v[88:91], v2 offset:464
	ds_load_b128 v[106:109], v2 offset:480
	s_wait_dscnt 0x1
	v_fmac_f64_e32 v[118:119], v[92:93], v[88:89]
	s_wait_loadcnt 0x4
	s_delay_alu instid0(VALU_DEP_1)
	v_fmac_f64_e32 v[118:119], v[94:95], v[90:91]
	s_clause 0x1
	scratch_load_b128 v[88:91], off, off offset:232
	scratch_load_b128 v[92:95], off, off offset:248
	s_wait_dscnt 0x0
	v_fmac_f64_e32 v[118:119], v[96:97], v[106:107]
	s_wait_loadcnt 0x5
	s_delay_alu instid0(VALU_DEP_1)
	v_fmac_f64_e32 v[118:119], v[98:99], v[108:109]
	ds_load_b128 v[96:99], v2 offset:496
	ds_load_b128 v[106:109], v2 offset:512
	s_wait_dscnt 0x1
	v_fmac_f64_e32 v[118:119], v[100:101], v[96:97]
	s_wait_loadcnt 0x4
	s_delay_alu instid0(VALU_DEP_1)
	v_fmac_f64_e32 v[118:119], v[102:103], v[98:99]
	s_clause 0x1
	scratch_load_b128 v[96:99], off, off offset:264
	scratch_load_b128 v[100:103], off, off offset:280
	s_wait_dscnt 0x0
	v_fmac_f64_e32 v[118:119], v[104:105], v[106:107]
	s_wait_loadcnt 0x5
	s_delay_alu instid0(VALU_DEP_1)
	v_fmac_f64_e32 v[118:119], v[114:115], v[108:109]
	ds_load_b128 v[104:107], v2 offset:528
	ds_load_b128 v[108:111], v2 offset:544
	s_wait_dscnt 0x1
	v_fmac_f64_e32 v[118:119], v[116:117], v[104:105]
	s_wait_loadcnt 0x4
	s_delay_alu instid0(VALU_DEP_1) | instskip(SKIP_4) | instid1(VALU_DEP_1)
	v_fmac_f64_e32 v[118:119], v[84:85], v[106:107]
	scratch_load_b128 v[104:107], off, off offset:296
	s_wait_dscnt 0x0
	v_fmac_f64_e32 v[118:119], v[86:87], v[108:109]
	s_wait_loadcnt 0x4
	v_fmac_f64_e32 v[118:119], v[88:89], v[110:111]
	ds_load_b128 v[84:87], v2 offset:560
	ds_load_b128 v[108:111], v2 offset:576
	s_wait_dscnt 0x1
	v_fmac_f64_e32 v[118:119], v[90:91], v[84:85]
	s_wait_loadcnt 0x3
	s_delay_alu instid0(VALU_DEP_1)
	v_fmac_f64_e32 v[118:119], v[92:93], v[86:87]
	ds_load_b128 v[84:87], v2 offset:592
	ds_load_b128 v[88:91], v2 offset:608
	s_wait_dscnt 0x2
	v_fmac_f64_e32 v[118:119], v[94:95], v[108:109]
	s_wait_loadcnt 0x2
	s_delay_alu instid0(VALU_DEP_1) | instskip(SKIP_1) | instid1(VALU_DEP_1)
	v_fmac_f64_e32 v[118:119], v[96:97], v[110:111]
	s_wait_dscnt 0x1
	v_fmac_f64_e32 v[118:119], v[98:99], v[84:85]
	ds_load_b64 v[84:85], v2 offset:624
	s_wait_loadcnt 0x1
	v_fmac_f64_e32 v[118:119], v[100:101], v[86:87]
	s_wait_dscnt 0x1
	s_delay_alu instid0(VALU_DEP_1) | instskip(SKIP_1) | instid1(VALU_DEP_1)
	v_fmac_f64_e32 v[118:119], v[102:103], v[88:89]
	s_wait_loadcnt 0x0
	v_fmac_f64_e32 v[118:119], v[104:105], v[90:91]
	s_wait_dscnt 0x0
	s_delay_alu instid0(VALU_DEP_1) | instskip(NEXT) | instid1(VALU_DEP_1)
	v_fmac_f64_e32 v[118:119], v[106:107], v[84:85]
	v_add_f64_e64 v[82:83], v[82:83], -v[118:119]
	scratch_store_b64 off, v[82:83], off offset:104
	s_wait_xcnt 0x0
	v_cmpx_lt_u32_e32 12, v0
	s_cbranch_execz .LBB102_219
; %bb.218:
	scratch_load_b64 v[82:83], off, off offset:96
	v_mov_b64_e32 v[84:85], 0
	scratch_store_b64 off, v[84:85], off offset:96
	s_wait_loadcnt 0x0
	ds_store_b64 v1, v[82:83]
.LBB102_219:
	s_wait_xcnt 0x0
	s_or_b32 exec_lo, exec_lo, s0
	s_wait_storecnt_dscnt 0x0
	s_barrier_signal -1
	s_barrier_wait -1
	s_clause 0x5
	scratch_load_b128 v[82:85], off, off offset:96
	scratch_load_b128 v[86:89], off, off offset:112
	;; [unrolled: 1-line block ×6, first 2 shown]
	ds_load_2addr_b64 v[106:109], v2 offset0:53 offset1:54
	ds_load_2addr_b64 v[110:113], v2 offset0:55 offset1:56
	scratch_load_b128 v[114:117], off, off offset:192
	s_mov_b32 s0, exec_lo
	s_wait_loadcnt_dscnt 0x601
	v_fma_f64 v[118:119], v[84:85], v[106:107], 0
	s_wait_loadcnt 0x5
	s_delay_alu instid0(VALU_DEP_1) | instskip(SKIP_4) | instid1(VALU_DEP_1)
	v_fmac_f64_e32 v[118:119], v[86:87], v[108:109]
	scratch_load_b128 v[84:87], off, off offset:208
	s_wait_dscnt 0x0
	v_fmac_f64_e32 v[118:119], v[88:89], v[110:111]
	s_wait_loadcnt 0x5
	v_fmac_f64_e32 v[118:119], v[90:91], v[112:113]
	ds_load_2addr_b64 v[88:91], v2 offset0:57 offset1:58
	ds_load_2addr_b64 v[106:109], v2 offset0:59 offset1:60
	scratch_load_b128 v[110:113], off, off offset:224
	s_wait_dscnt 0x1
	v_fmac_f64_e32 v[118:119], v[92:93], v[88:89]
	s_wait_loadcnt 0x5
	s_delay_alu instid0(VALU_DEP_1) | instskip(SKIP_4) | instid1(VALU_DEP_1)
	v_fmac_f64_e32 v[118:119], v[94:95], v[90:91]
	scratch_load_b128 v[88:91], off, off offset:240
	s_wait_dscnt 0x0
	v_fmac_f64_e32 v[118:119], v[96:97], v[106:107]
	s_wait_loadcnt 0x5
	v_fmac_f64_e32 v[118:119], v[98:99], v[108:109]
	ds_load_2addr_b64 v[92:95], v2 offset0:61 offset1:62
	ds_load_2addr_b64 v[96:99], v2 offset0:63 offset1:64
	s_wait_dscnt 0x1
	v_fmac_f64_e32 v[118:119], v[100:101], v[92:93]
	s_wait_loadcnt 0x4
	s_delay_alu instid0(VALU_DEP_1) | instskip(SKIP_4) | instid1(VALU_DEP_1)
	v_fmac_f64_e32 v[118:119], v[102:103], v[94:95]
	scratch_load_b128 v[92:95], off, off offset:256
	s_wait_dscnt 0x0
	v_fmac_f64_e32 v[118:119], v[104:105], v[96:97]
	s_wait_loadcnt 0x4
	v_fmac_f64_e32 v[118:119], v[114:115], v[98:99]
	scratch_load_b128 v[96:99], off, off offset:272
	ds_load_2addr_b64 v[100:103], v2 offset0:65 offset1:66
	ds_load_2addr_b64 v[104:107], v2 offset0:67 offset1:68
	scratch_load_b64 v[108:109], off, off offset:304
	s_wait_dscnt 0x1
	v_fmac_f64_e32 v[118:119], v[116:117], v[100:101]
	s_wait_loadcnt 0x5
	s_delay_alu instid0(VALU_DEP_1) | instskip(SKIP_4) | instid1(VALU_DEP_1)
	v_fmac_f64_e32 v[118:119], v[84:85], v[102:103]
	scratch_load_b128 v[100:103], off, off offset:288
	s_wait_dscnt 0x0
	v_fmac_f64_e32 v[118:119], v[86:87], v[104:105]
	s_wait_loadcnt 0x5
	v_fmac_f64_e32 v[118:119], v[110:111], v[106:107]
	ds_load_2addr_b64 v[84:87], v2 offset0:69 offset1:70
	ds_load_2addr_b64 v[104:107], v2 offset0:71 offset1:72
	s_wait_dscnt 0x1
	v_fmac_f64_e32 v[118:119], v[112:113], v[84:85]
	s_wait_loadcnt 0x4
	s_delay_alu instid0(VALU_DEP_1) | instskip(SKIP_1) | instid1(VALU_DEP_1)
	v_fmac_f64_e32 v[118:119], v[88:89], v[86:87]
	s_wait_dscnt 0x0
	v_fmac_f64_e32 v[118:119], v[90:91], v[104:105]
	ds_load_2addr_b64 v[84:87], v2 offset0:73 offset1:74
	ds_load_2addr_b64 v[88:91], v2 offset0:75 offset1:76
	s_wait_loadcnt 0x3
	v_fmac_f64_e32 v[118:119], v[92:93], v[106:107]
	s_wait_dscnt 0x1
	s_delay_alu instid0(VALU_DEP_1) | instskip(SKIP_1) | instid1(VALU_DEP_1)
	v_fmac_f64_e32 v[118:119], v[94:95], v[84:85]
	s_wait_loadcnt 0x2
	v_fmac_f64_e32 v[118:119], v[96:97], v[86:87]
	ds_load_2addr_b64 v[84:87], v2 offset0:77 offset1:78
	s_wait_dscnt 0x1
	v_fmac_f64_e32 v[118:119], v[98:99], v[88:89]
	s_wait_loadcnt 0x0
	s_delay_alu instid0(VALU_DEP_1) | instskip(SKIP_1) | instid1(VALU_DEP_1)
	v_fmac_f64_e32 v[118:119], v[100:101], v[90:91]
	s_wait_dscnt 0x0
	v_fmac_f64_e32 v[118:119], v[102:103], v[84:85]
	s_delay_alu instid0(VALU_DEP_1) | instskip(NEXT) | instid1(VALU_DEP_1)
	v_fmac_f64_e32 v[118:119], v[108:109], v[86:87]
	v_add_f64_e64 v[2:3], v[82:83], -v[118:119]
	scratch_store_b64 off, v[2:3], off offset:96
	s_wait_xcnt 0x0
	v_cmpx_lt_u32_e32 11, v0
	s_cbranch_execz .LBB102_221
; %bb.220:
	scratch_load_b64 v[2:3], off, off offset:88
	v_mov_b64_e32 v[82:83], 0
	scratch_store_b64 off, v[82:83], off offset:88
	s_wait_loadcnt 0x0
	ds_store_b64 v1, v[2:3]
.LBB102_221:
	s_wait_xcnt 0x0
	s_or_b32 exec_lo, exec_lo, s0
	s_wait_storecnt_dscnt 0x0
	s_barrier_signal -1
	s_barrier_wait -1
	s_clause 0x5
	scratch_load_b128 v[82:85], off, off offset:88
	scratch_load_b128 v[86:89], off, off offset:104
	;; [unrolled: 1-line block ×6, first 2 shown]
	v_mov_b32_e32 v2, 0
	ds_load_b128 v[106:109], v2 offset:416
	ds_load_b128 v[110:113], v2 offset:432
	scratch_load_b128 v[114:117], off, off offset:184
	s_mov_b32 s0, exec_lo
	s_wait_loadcnt_dscnt 0x601
	v_fma_f64 v[118:119], v[84:85], v[106:107], 0
	s_wait_loadcnt 0x5
	s_delay_alu instid0(VALU_DEP_1) | instskip(SKIP_4) | instid1(VALU_DEP_1)
	v_fmac_f64_e32 v[118:119], v[86:87], v[108:109]
	scratch_load_b128 v[84:87], off, off offset:200
	s_wait_dscnt 0x0
	v_fmac_f64_e32 v[118:119], v[88:89], v[110:111]
	s_wait_loadcnt 0x5
	v_fmac_f64_e32 v[118:119], v[90:91], v[112:113]
	ds_load_b128 v[88:91], v2 offset:448
	ds_load_b128 v[106:109], v2 offset:464
	scratch_load_b128 v[110:113], off, off offset:216
	s_wait_dscnt 0x1
	v_fmac_f64_e32 v[118:119], v[92:93], v[88:89]
	s_wait_loadcnt 0x5
	s_delay_alu instid0(VALU_DEP_1) | instskip(SKIP_4) | instid1(VALU_DEP_1)
	v_fmac_f64_e32 v[118:119], v[94:95], v[90:91]
	scratch_load_b128 v[88:91], off, off offset:232
	s_wait_dscnt 0x0
	v_fmac_f64_e32 v[118:119], v[96:97], v[106:107]
	s_wait_loadcnt 0x5
	v_fmac_f64_e32 v[118:119], v[98:99], v[108:109]
	ds_load_b128 v[92:95], v2 offset:480
	ds_load_b128 v[96:99], v2 offset:496
	s_wait_dscnt 0x1
	v_fmac_f64_e32 v[118:119], v[100:101], v[92:93]
	s_wait_loadcnt 0x4
	s_delay_alu instid0(VALU_DEP_1) | instskip(SKIP_4) | instid1(VALU_DEP_1)
	v_fmac_f64_e32 v[118:119], v[102:103], v[94:95]
	scratch_load_b128 v[92:95], off, off offset:248
	s_wait_dscnt 0x0
	v_fmac_f64_e32 v[118:119], v[104:105], v[96:97]
	s_wait_loadcnt 0x4
	v_fmac_f64_e32 v[118:119], v[114:115], v[98:99]
	scratch_load_b128 v[96:99], off, off offset:264
	ds_load_b128 v[100:103], v2 offset:512
	ds_load_b128 v[104:107], v2 offset:528
	s_wait_dscnt 0x1
	v_fmac_f64_e32 v[118:119], v[116:117], v[100:101]
	s_wait_loadcnt 0x4
	s_delay_alu instid0(VALU_DEP_1)
	v_fmac_f64_e32 v[118:119], v[84:85], v[102:103]
	scratch_load_b128 v[100:103], off, off offset:280
	s_wait_dscnt 0x0
	v_fmac_f64_e32 v[118:119], v[86:87], v[104:105]
	scratch_load_b128 v[84:87], off, off offset:296
	s_wait_loadcnt 0x5
	v_fmac_f64_e32 v[118:119], v[110:111], v[106:107]
	ds_load_b128 v[104:107], v2 offset:544
	ds_load_b128 v[108:111], v2 offset:560
	s_wait_dscnt 0x1
	v_fmac_f64_e32 v[118:119], v[112:113], v[104:105]
	s_wait_loadcnt 0x4
	s_delay_alu instid0(VALU_DEP_1) | instskip(SKIP_1) | instid1(VALU_DEP_1)
	v_fmac_f64_e32 v[118:119], v[88:89], v[106:107]
	s_wait_dscnt 0x0
	v_fmac_f64_e32 v[118:119], v[90:91], v[108:109]
	ds_load_b128 v[88:91], v2 offset:576
	ds_load_b128 v[104:107], v2 offset:592
	s_wait_loadcnt 0x3
	v_fmac_f64_e32 v[118:119], v[92:93], v[110:111]
	s_wait_dscnt 0x1
	s_delay_alu instid0(VALU_DEP_1) | instskip(SKIP_1) | instid1(VALU_DEP_1)
	v_fmac_f64_e32 v[118:119], v[94:95], v[88:89]
	s_wait_loadcnt 0x2
	v_fmac_f64_e32 v[118:119], v[96:97], v[90:91]
	ds_load_b128 v[88:91], v2 offset:608
	ds_load_b64 v[92:93], v2 offset:624
	s_wait_dscnt 0x2
	v_fmac_f64_e32 v[118:119], v[98:99], v[104:105]
	s_wait_loadcnt 0x1
	s_delay_alu instid0(VALU_DEP_1) | instskip(SKIP_1) | instid1(VALU_DEP_1)
	v_fmac_f64_e32 v[118:119], v[100:101], v[106:107]
	s_wait_dscnt 0x1
	v_fmac_f64_e32 v[118:119], v[102:103], v[88:89]
	s_wait_loadcnt 0x0
	s_delay_alu instid0(VALU_DEP_1) | instskip(SKIP_1) | instid1(VALU_DEP_1)
	v_fmac_f64_e32 v[118:119], v[84:85], v[90:91]
	s_wait_dscnt 0x0
	v_fmac_f64_e32 v[118:119], v[86:87], v[92:93]
	s_delay_alu instid0(VALU_DEP_1)
	v_add_f64_e64 v[82:83], v[82:83], -v[118:119]
	scratch_store_b64 off, v[82:83], off offset:88
	s_wait_xcnt 0x0
	v_cmpx_lt_u32_e32 10, v0
	s_cbranch_execz .LBB102_223
; %bb.222:
	scratch_load_b64 v[82:83], off, off offset:80
	v_mov_b64_e32 v[84:85], 0
	scratch_store_b64 off, v[84:85], off offset:80
	s_wait_loadcnt 0x0
	ds_store_b64 v1, v[82:83]
.LBB102_223:
	s_wait_xcnt 0x0
	s_or_b32 exec_lo, exec_lo, s0
	s_wait_storecnt_dscnt 0x0
	s_barrier_signal -1
	s_barrier_wait -1
	s_clause 0x5
	scratch_load_b128 v[82:85], off, off offset:80
	scratch_load_b128 v[86:89], off, off offset:96
	;; [unrolled: 1-line block ×6, first 2 shown]
	ds_load_2addr_b64 v[106:109], v2 offset0:51 offset1:52
	ds_load_2addr_b64 v[110:113], v2 offset0:53 offset1:54
	scratch_load_b128 v[114:117], off, off offset:176
	s_mov_b32 s0, exec_lo
	s_wait_loadcnt_dscnt 0x601
	v_fma_f64 v[118:119], v[84:85], v[106:107], 0
	s_wait_loadcnt 0x5
	s_delay_alu instid0(VALU_DEP_1) | instskip(SKIP_4) | instid1(VALU_DEP_1)
	v_fmac_f64_e32 v[118:119], v[86:87], v[108:109]
	scratch_load_b128 v[84:87], off, off offset:192
	s_wait_dscnt 0x0
	v_fmac_f64_e32 v[118:119], v[88:89], v[110:111]
	s_wait_loadcnt 0x5
	v_fmac_f64_e32 v[118:119], v[90:91], v[112:113]
	ds_load_2addr_b64 v[88:91], v2 offset0:55 offset1:56
	ds_load_2addr_b64 v[106:109], v2 offset0:57 offset1:58
	scratch_load_b128 v[110:113], off, off offset:208
	s_wait_dscnt 0x1
	v_fmac_f64_e32 v[118:119], v[92:93], v[88:89]
	s_wait_loadcnt 0x5
	s_delay_alu instid0(VALU_DEP_1) | instskip(SKIP_4) | instid1(VALU_DEP_1)
	v_fmac_f64_e32 v[118:119], v[94:95], v[90:91]
	scratch_load_b128 v[88:91], off, off offset:224
	s_wait_dscnt 0x0
	v_fmac_f64_e32 v[118:119], v[96:97], v[106:107]
	s_wait_loadcnt 0x5
	v_fmac_f64_e32 v[118:119], v[98:99], v[108:109]
	ds_load_2addr_b64 v[92:95], v2 offset0:59 offset1:60
	ds_load_2addr_b64 v[96:99], v2 offset0:61 offset1:62
	s_wait_dscnt 0x1
	v_fmac_f64_e32 v[118:119], v[100:101], v[92:93]
	s_wait_loadcnt 0x4
	s_delay_alu instid0(VALU_DEP_1) | instskip(SKIP_4) | instid1(VALU_DEP_1)
	v_fmac_f64_e32 v[118:119], v[102:103], v[94:95]
	scratch_load_b128 v[92:95], off, off offset:240
	s_wait_dscnt 0x0
	v_fmac_f64_e32 v[118:119], v[104:105], v[96:97]
	s_wait_loadcnt 0x4
	v_fmac_f64_e32 v[118:119], v[114:115], v[98:99]
	scratch_load_b128 v[96:99], off, off offset:256
	ds_load_2addr_b64 v[100:103], v2 offset0:63 offset1:64
	ds_load_2addr_b64 v[104:107], v2 offset0:65 offset1:66
	s_wait_dscnt 0x1
	v_fmac_f64_e32 v[118:119], v[116:117], v[100:101]
	s_wait_loadcnt 0x4
	s_delay_alu instid0(VALU_DEP_1)
	v_fmac_f64_e32 v[118:119], v[84:85], v[102:103]
	scratch_load_b128 v[100:103], off, off offset:272
	s_wait_dscnt 0x0
	v_fmac_f64_e32 v[118:119], v[86:87], v[104:105]
	scratch_load_b128 v[84:87], off, off offset:288
	s_wait_loadcnt 0x5
	v_fmac_f64_e32 v[118:119], v[110:111], v[106:107]
	ds_load_2addr_b64 v[104:107], v2 offset0:67 offset1:68
	ds_load_2addr_b64 v[108:111], v2 offset0:69 offset1:70
	s_wait_dscnt 0x1
	v_fmac_f64_e32 v[118:119], v[112:113], v[104:105]
	scratch_load_b64 v[112:113], off, off offset:304
	s_wait_loadcnt 0x5
	v_fmac_f64_e32 v[118:119], v[88:89], v[106:107]
	s_wait_dscnt 0x0
	s_delay_alu instid0(VALU_DEP_1)
	v_fmac_f64_e32 v[118:119], v[90:91], v[108:109]
	ds_load_2addr_b64 v[88:91], v2 offset0:71 offset1:72
	ds_load_2addr_b64 v[104:107], v2 offset0:73 offset1:74
	s_wait_loadcnt 0x4
	v_fmac_f64_e32 v[118:119], v[92:93], v[110:111]
	s_wait_dscnt 0x1
	s_delay_alu instid0(VALU_DEP_1) | instskip(SKIP_1) | instid1(VALU_DEP_1)
	v_fmac_f64_e32 v[118:119], v[94:95], v[88:89]
	s_wait_loadcnt 0x3
	v_fmac_f64_e32 v[118:119], v[96:97], v[90:91]
	ds_load_2addr_b64 v[88:91], v2 offset0:75 offset1:76
	ds_load_2addr_b64 v[92:95], v2 offset0:77 offset1:78
	s_wait_dscnt 0x2
	v_fmac_f64_e32 v[118:119], v[98:99], v[104:105]
	s_wait_loadcnt 0x2
	s_delay_alu instid0(VALU_DEP_1) | instskip(SKIP_1) | instid1(VALU_DEP_1)
	v_fmac_f64_e32 v[118:119], v[100:101], v[106:107]
	s_wait_dscnt 0x1
	v_fmac_f64_e32 v[118:119], v[102:103], v[88:89]
	s_wait_loadcnt 0x1
	s_delay_alu instid0(VALU_DEP_1) | instskip(SKIP_1) | instid1(VALU_DEP_1)
	v_fmac_f64_e32 v[118:119], v[84:85], v[90:91]
	s_wait_dscnt 0x0
	v_fmac_f64_e32 v[118:119], v[86:87], v[92:93]
	s_wait_loadcnt 0x0
	s_delay_alu instid0(VALU_DEP_1) | instskip(NEXT) | instid1(VALU_DEP_1)
	v_fmac_f64_e32 v[118:119], v[112:113], v[94:95]
	v_add_f64_e64 v[2:3], v[82:83], -v[118:119]
	scratch_store_b64 off, v[2:3], off offset:80
	s_wait_xcnt 0x0
	v_cmpx_lt_u32_e32 9, v0
	s_cbranch_execz .LBB102_225
; %bb.224:
	scratch_load_b64 v[2:3], off, off offset:72
	v_mov_b64_e32 v[82:83], 0
	scratch_store_b64 off, v[82:83], off offset:72
	s_wait_loadcnt 0x0
	ds_store_b64 v1, v[2:3]
.LBB102_225:
	s_wait_xcnt 0x0
	s_or_b32 exec_lo, exec_lo, s0
	s_wait_storecnt_dscnt 0x0
	s_barrier_signal -1
	s_barrier_wait -1
	s_clause 0x5
	scratch_load_b128 v[82:85], off, off offset:72
	scratch_load_b128 v[86:89], off, off offset:88
	;; [unrolled: 1-line block ×6, first 2 shown]
	v_mov_b32_e32 v2, 0
	ds_load_b128 v[106:109], v2 offset:400
	ds_load_b128 v[110:113], v2 offset:416
	scratch_load_b128 v[114:117], off, off offset:168
	s_mov_b32 s0, exec_lo
	s_wait_loadcnt_dscnt 0x601
	v_fma_f64 v[118:119], v[84:85], v[106:107], 0
	s_wait_loadcnt 0x5
	s_delay_alu instid0(VALU_DEP_1) | instskip(SKIP_4) | instid1(VALU_DEP_1)
	v_fmac_f64_e32 v[118:119], v[86:87], v[108:109]
	scratch_load_b128 v[84:87], off, off offset:184
	s_wait_dscnt 0x0
	v_fmac_f64_e32 v[118:119], v[88:89], v[110:111]
	s_wait_loadcnt 0x5
	v_fmac_f64_e32 v[118:119], v[90:91], v[112:113]
	ds_load_b128 v[88:91], v2 offset:432
	ds_load_b128 v[106:109], v2 offset:448
	scratch_load_b128 v[110:113], off, off offset:200
	s_wait_dscnt 0x1
	v_fmac_f64_e32 v[118:119], v[92:93], v[88:89]
	s_wait_loadcnt 0x5
	s_delay_alu instid0(VALU_DEP_1) | instskip(SKIP_4) | instid1(VALU_DEP_1)
	v_fmac_f64_e32 v[118:119], v[94:95], v[90:91]
	scratch_load_b128 v[88:91], off, off offset:216
	s_wait_dscnt 0x0
	v_fmac_f64_e32 v[118:119], v[96:97], v[106:107]
	s_wait_loadcnt 0x5
	v_fmac_f64_e32 v[118:119], v[98:99], v[108:109]
	ds_load_b128 v[92:95], v2 offset:464
	ds_load_b128 v[96:99], v2 offset:480
	s_wait_dscnt 0x1
	v_fmac_f64_e32 v[118:119], v[100:101], v[92:93]
	s_wait_loadcnt 0x4
	s_delay_alu instid0(VALU_DEP_1) | instskip(SKIP_4) | instid1(VALU_DEP_1)
	v_fmac_f64_e32 v[118:119], v[102:103], v[94:95]
	scratch_load_b128 v[92:95], off, off offset:232
	s_wait_dscnt 0x0
	v_fmac_f64_e32 v[118:119], v[104:105], v[96:97]
	s_wait_loadcnt 0x4
	v_fmac_f64_e32 v[118:119], v[114:115], v[98:99]
	scratch_load_b128 v[96:99], off, off offset:248
	ds_load_b128 v[100:103], v2 offset:496
	ds_load_b128 v[104:107], v2 offset:512
	s_wait_dscnt 0x1
	v_fmac_f64_e32 v[118:119], v[116:117], v[100:101]
	s_wait_loadcnt 0x4
	s_delay_alu instid0(VALU_DEP_1)
	v_fmac_f64_e32 v[118:119], v[84:85], v[102:103]
	scratch_load_b128 v[100:103], off, off offset:264
	s_wait_dscnt 0x0
	v_fmac_f64_e32 v[118:119], v[86:87], v[104:105]
	scratch_load_b128 v[84:87], off, off offset:280
	s_wait_loadcnt 0x5
	v_fmac_f64_e32 v[118:119], v[110:111], v[106:107]
	ds_load_b128 v[104:107], v2 offset:528
	ds_load_b128 v[108:111], v2 offset:544
	s_wait_dscnt 0x1
	v_fmac_f64_e32 v[118:119], v[112:113], v[104:105]
	s_wait_loadcnt 0x4
	s_delay_alu instid0(VALU_DEP_1) | instskip(SKIP_4) | instid1(VALU_DEP_1)
	v_fmac_f64_e32 v[118:119], v[88:89], v[106:107]
	scratch_load_b128 v[104:107], off, off offset:296
	s_wait_dscnt 0x0
	v_fmac_f64_e32 v[118:119], v[90:91], v[108:109]
	s_wait_loadcnt 0x4
	v_fmac_f64_e32 v[118:119], v[92:93], v[110:111]
	ds_load_b128 v[88:91], v2 offset:560
	ds_load_b128 v[108:111], v2 offset:576
	s_wait_dscnt 0x1
	v_fmac_f64_e32 v[118:119], v[94:95], v[88:89]
	s_wait_loadcnt 0x3
	s_delay_alu instid0(VALU_DEP_1)
	v_fmac_f64_e32 v[118:119], v[96:97], v[90:91]
	ds_load_b128 v[88:91], v2 offset:592
	ds_load_b128 v[92:95], v2 offset:608
	s_wait_dscnt 0x2
	v_fmac_f64_e32 v[118:119], v[98:99], v[108:109]
	s_wait_loadcnt 0x2
	s_delay_alu instid0(VALU_DEP_1) | instskip(SKIP_1) | instid1(VALU_DEP_1)
	v_fmac_f64_e32 v[118:119], v[100:101], v[110:111]
	s_wait_dscnt 0x1
	v_fmac_f64_e32 v[118:119], v[102:103], v[88:89]
	s_wait_loadcnt 0x1
	s_delay_alu instid0(VALU_DEP_1) | instskip(SKIP_4) | instid1(VALU_DEP_1)
	v_fmac_f64_e32 v[118:119], v[84:85], v[90:91]
	ds_load_b64 v[84:85], v2 offset:624
	s_wait_dscnt 0x1
	v_fmac_f64_e32 v[118:119], v[86:87], v[92:93]
	s_wait_loadcnt 0x0
	v_fmac_f64_e32 v[118:119], v[104:105], v[94:95]
	s_wait_dscnt 0x0
	s_delay_alu instid0(VALU_DEP_1) | instskip(NEXT) | instid1(VALU_DEP_1)
	v_fmac_f64_e32 v[118:119], v[106:107], v[84:85]
	v_add_f64_e64 v[82:83], v[82:83], -v[118:119]
	scratch_store_b64 off, v[82:83], off offset:72
	s_wait_xcnt 0x0
	v_cmpx_lt_u32_e32 8, v0
	s_cbranch_execz .LBB102_227
; %bb.226:
	scratch_load_b64 v[82:83], off, off offset:64
	v_mov_b64_e32 v[84:85], 0
	scratch_store_b64 off, v[84:85], off offset:64
	s_wait_loadcnt 0x0
	ds_store_b64 v1, v[82:83]
.LBB102_227:
	s_wait_xcnt 0x0
	s_or_b32 exec_lo, exec_lo, s0
	s_wait_storecnt_dscnt 0x0
	s_barrier_signal -1
	s_barrier_wait -1
	s_clause 0x5
	scratch_load_b128 v[82:85], off, off offset:64
	scratch_load_b128 v[86:89], off, off offset:80
	;; [unrolled: 1-line block ×6, first 2 shown]
	ds_load_2addr_b64 v[106:109], v2 offset0:49 offset1:50
	ds_load_2addr_b64 v[110:113], v2 offset0:51 offset1:52
	scratch_load_b128 v[114:117], off, off offset:160
	s_mov_b32 s0, exec_lo
	s_wait_loadcnt_dscnt 0x601
	v_fma_f64 v[118:119], v[84:85], v[106:107], 0
	s_wait_loadcnt 0x5
	s_delay_alu instid0(VALU_DEP_1) | instskip(SKIP_4) | instid1(VALU_DEP_1)
	v_fmac_f64_e32 v[118:119], v[86:87], v[108:109]
	scratch_load_b128 v[84:87], off, off offset:176
	s_wait_dscnt 0x0
	v_fmac_f64_e32 v[118:119], v[88:89], v[110:111]
	s_wait_loadcnt 0x5
	v_fmac_f64_e32 v[118:119], v[90:91], v[112:113]
	ds_load_2addr_b64 v[88:91], v2 offset0:53 offset1:54
	ds_load_2addr_b64 v[106:109], v2 offset0:55 offset1:56
	scratch_load_b128 v[110:113], off, off offset:192
	s_wait_dscnt 0x1
	v_fmac_f64_e32 v[118:119], v[92:93], v[88:89]
	s_wait_loadcnt 0x5
	s_delay_alu instid0(VALU_DEP_1) | instskip(SKIP_4) | instid1(VALU_DEP_1)
	v_fmac_f64_e32 v[118:119], v[94:95], v[90:91]
	scratch_load_b128 v[88:91], off, off offset:208
	s_wait_dscnt 0x0
	v_fmac_f64_e32 v[118:119], v[96:97], v[106:107]
	s_wait_loadcnt 0x5
	v_fmac_f64_e32 v[118:119], v[98:99], v[108:109]
	ds_load_2addr_b64 v[92:95], v2 offset0:57 offset1:58
	ds_load_2addr_b64 v[96:99], v2 offset0:59 offset1:60
	scratch_load_b128 v[106:109], off, off offset:224
	s_wait_dscnt 0x1
	v_fmac_f64_e32 v[118:119], v[100:101], v[92:93]
	s_wait_loadcnt 0x5
	s_delay_alu instid0(VALU_DEP_1) | instskip(SKIP_4) | instid1(VALU_DEP_1)
	v_fmac_f64_e32 v[118:119], v[102:103], v[94:95]
	scratch_load_b128 v[92:95], off, off offset:240
	s_wait_dscnt 0x0
	v_fmac_f64_e32 v[118:119], v[104:105], v[96:97]
	s_wait_loadcnt 0x5
	v_fmac_f64_e32 v[118:119], v[114:115], v[98:99]
	ds_load_2addr_b64 v[96:99], v2 offset0:61 offset1:62
	ds_load_2addr_b64 v[100:103], v2 offset0:63 offset1:64
	s_wait_dscnt 0x1
	v_fmac_f64_e32 v[118:119], v[116:117], v[96:97]
	s_wait_loadcnt 0x4
	s_delay_alu instid0(VALU_DEP_1)
	v_fmac_f64_e32 v[118:119], v[84:85], v[98:99]
	scratch_load_b128 v[96:99], off, off offset:256
	s_wait_dscnt 0x0
	v_fmac_f64_e32 v[118:119], v[86:87], v[100:101]
	scratch_load_b128 v[84:87], off, off offset:272
	s_wait_loadcnt 0x5
	v_fmac_f64_e32 v[118:119], v[110:111], v[102:103]
	ds_load_2addr_b64 v[100:103], v2 offset0:65 offset1:66
	ds_load_2addr_b64 v[114:117], v2 offset0:67 offset1:68
	scratch_load_b64 v[110:111], off, off offset:304
	s_wait_dscnt 0x1
	v_fmac_f64_e32 v[118:119], v[112:113], v[100:101]
	s_wait_loadcnt 0x5
	s_delay_alu instid0(VALU_DEP_1) | instskip(SKIP_4) | instid1(VALU_DEP_1)
	v_fmac_f64_e32 v[118:119], v[88:89], v[102:103]
	scratch_load_b128 v[100:103], off, off offset:288
	s_wait_dscnt 0x0
	v_fmac_f64_e32 v[118:119], v[90:91], v[114:115]
	s_wait_loadcnt 0x5
	v_fmac_f64_e32 v[118:119], v[106:107], v[116:117]
	ds_load_2addr_b64 v[88:91], v2 offset0:69 offset1:70
	ds_load_2addr_b64 v[104:107], v2 offset0:71 offset1:72
	s_wait_dscnt 0x1
	v_fmac_f64_e32 v[118:119], v[108:109], v[88:89]
	s_wait_loadcnt 0x4
	s_delay_alu instid0(VALU_DEP_1) | instskip(SKIP_1) | instid1(VALU_DEP_1)
	v_fmac_f64_e32 v[118:119], v[92:93], v[90:91]
	s_wait_dscnt 0x0
	v_fmac_f64_e32 v[118:119], v[94:95], v[104:105]
	ds_load_2addr_b64 v[88:91], v2 offset0:73 offset1:74
	ds_load_2addr_b64 v[92:95], v2 offset0:75 offset1:76
	s_wait_loadcnt 0x3
	v_fmac_f64_e32 v[118:119], v[96:97], v[106:107]
	s_wait_dscnt 0x1
	s_delay_alu instid0(VALU_DEP_1) | instskip(SKIP_1) | instid1(VALU_DEP_1)
	v_fmac_f64_e32 v[118:119], v[98:99], v[88:89]
	s_wait_loadcnt 0x2
	v_fmac_f64_e32 v[118:119], v[84:85], v[90:91]
	s_wait_dscnt 0x0
	s_delay_alu instid0(VALU_DEP_1) | instskip(SKIP_4) | instid1(VALU_DEP_1)
	v_fmac_f64_e32 v[118:119], v[86:87], v[92:93]
	ds_load_2addr_b64 v[84:87], v2 offset0:77 offset1:78
	s_wait_loadcnt 0x0
	v_fmac_f64_e32 v[118:119], v[100:101], v[94:95]
	s_wait_dscnt 0x0
	v_fmac_f64_e32 v[118:119], v[102:103], v[84:85]
	s_delay_alu instid0(VALU_DEP_1) | instskip(NEXT) | instid1(VALU_DEP_1)
	v_fmac_f64_e32 v[118:119], v[110:111], v[86:87]
	v_add_f64_e64 v[2:3], v[82:83], -v[118:119]
	scratch_store_b64 off, v[2:3], off offset:64
	s_wait_xcnt 0x0
	v_cmpx_lt_u32_e32 7, v0
	s_cbranch_execz .LBB102_229
; %bb.228:
	scratch_load_b64 v[2:3], off, off offset:56
	v_mov_b64_e32 v[82:83], 0
	scratch_store_b64 off, v[82:83], off offset:56
	s_wait_loadcnt 0x0
	ds_store_b64 v1, v[2:3]
.LBB102_229:
	s_wait_xcnt 0x0
	s_or_b32 exec_lo, exec_lo, s0
	s_wait_storecnt_dscnt 0x0
	s_barrier_signal -1
	s_barrier_wait -1
	s_clause 0x5
	scratch_load_b128 v[82:85], off, off offset:56
	scratch_load_b128 v[86:89], off, off offset:72
	;; [unrolled: 1-line block ×6, first 2 shown]
	v_mov_b32_e32 v2, 0
	ds_load_b128 v[106:109], v2 offset:384
	ds_load_b128 v[110:113], v2 offset:400
	scratch_load_b128 v[114:117], off, off offset:152
	s_mov_b32 s0, exec_lo
	s_wait_loadcnt_dscnt 0x601
	v_fma_f64 v[118:119], v[84:85], v[106:107], 0
	s_wait_loadcnt 0x5
	s_delay_alu instid0(VALU_DEP_1) | instskip(SKIP_4) | instid1(VALU_DEP_1)
	v_fmac_f64_e32 v[118:119], v[86:87], v[108:109]
	scratch_load_b128 v[84:87], off, off offset:168
	s_wait_dscnt 0x0
	v_fmac_f64_e32 v[118:119], v[88:89], v[110:111]
	s_wait_loadcnt 0x5
	v_fmac_f64_e32 v[118:119], v[90:91], v[112:113]
	ds_load_b128 v[88:91], v2 offset:416
	ds_load_b128 v[106:109], v2 offset:432
	scratch_load_b128 v[110:113], off, off offset:184
	s_wait_dscnt 0x1
	v_fmac_f64_e32 v[118:119], v[92:93], v[88:89]
	s_wait_loadcnt 0x5
	s_delay_alu instid0(VALU_DEP_1) | instskip(SKIP_4) | instid1(VALU_DEP_1)
	v_fmac_f64_e32 v[118:119], v[94:95], v[90:91]
	scratch_load_b128 v[88:91], off, off offset:200
	s_wait_dscnt 0x0
	v_fmac_f64_e32 v[118:119], v[96:97], v[106:107]
	s_wait_loadcnt 0x5
	v_fmac_f64_e32 v[118:119], v[98:99], v[108:109]
	ds_load_b128 v[92:95], v2 offset:448
	ds_load_b128 v[96:99], v2 offset:464
	scratch_load_b128 v[106:109], off, off offset:216
	s_wait_dscnt 0x1
	v_fmac_f64_e32 v[118:119], v[100:101], v[92:93]
	s_wait_loadcnt 0x5
	s_delay_alu instid0(VALU_DEP_1) | instskip(SKIP_4) | instid1(VALU_DEP_1)
	v_fmac_f64_e32 v[118:119], v[102:103], v[94:95]
	scratch_load_b128 v[92:95], off, off offset:232
	s_wait_dscnt 0x0
	v_fmac_f64_e32 v[118:119], v[104:105], v[96:97]
	s_wait_loadcnt 0x5
	v_fmac_f64_e32 v[118:119], v[114:115], v[98:99]
	ds_load_b128 v[96:99], v2 offset:480
	ds_load_b128 v[100:103], v2 offset:496
	s_wait_dscnt 0x1
	v_fmac_f64_e32 v[118:119], v[116:117], v[96:97]
	s_wait_loadcnt 0x4
	s_delay_alu instid0(VALU_DEP_1)
	v_fmac_f64_e32 v[118:119], v[84:85], v[98:99]
	scratch_load_b128 v[96:99], off, off offset:248
	s_wait_dscnt 0x0
	v_fmac_f64_e32 v[118:119], v[86:87], v[100:101]
	scratch_load_b128 v[84:87], off, off offset:264
	s_wait_loadcnt 0x5
	v_fmac_f64_e32 v[118:119], v[110:111], v[102:103]
	ds_load_b128 v[100:103], v2 offset:512
	ds_load_b128 v[114:117], v2 offset:528
	s_wait_dscnt 0x1
	v_fmac_f64_e32 v[118:119], v[112:113], v[100:101]
	s_wait_loadcnt 0x4
	s_delay_alu instid0(VALU_DEP_1)
	v_fmac_f64_e32 v[118:119], v[88:89], v[102:103]
	scratch_load_b128 v[100:103], off, off offset:280
	s_wait_dscnt 0x0
	v_fmac_f64_e32 v[118:119], v[90:91], v[114:115]
	scratch_load_b128 v[88:91], off, off offset:296
	s_wait_loadcnt 0x5
	v_fmac_f64_e32 v[118:119], v[106:107], v[116:117]
	ds_load_b128 v[104:107], v2 offset:544
	ds_load_b128 v[110:113], v2 offset:560
	s_wait_dscnt 0x1
	v_fmac_f64_e32 v[118:119], v[108:109], v[104:105]
	s_wait_loadcnt 0x4
	s_delay_alu instid0(VALU_DEP_1) | instskip(SKIP_1) | instid1(VALU_DEP_1)
	v_fmac_f64_e32 v[118:119], v[92:93], v[106:107]
	s_wait_dscnt 0x0
	v_fmac_f64_e32 v[118:119], v[94:95], v[110:111]
	ds_load_b128 v[92:95], v2 offset:576
	ds_load_b128 v[104:107], v2 offset:592
	s_wait_loadcnt 0x3
	v_fmac_f64_e32 v[118:119], v[96:97], v[112:113]
	s_wait_dscnt 0x1
	s_delay_alu instid0(VALU_DEP_1) | instskip(SKIP_1) | instid1(VALU_DEP_1)
	v_fmac_f64_e32 v[118:119], v[98:99], v[92:93]
	s_wait_loadcnt 0x2
	v_fmac_f64_e32 v[118:119], v[84:85], v[94:95]
	s_wait_dscnt 0x0
	s_delay_alu instid0(VALU_DEP_1)
	v_fmac_f64_e32 v[118:119], v[86:87], v[104:105]
	ds_load_b128 v[84:87], v2 offset:608
	ds_load_b64 v[92:93], v2 offset:624
	s_wait_loadcnt 0x1
	v_fmac_f64_e32 v[118:119], v[100:101], v[106:107]
	s_wait_dscnt 0x1
	s_delay_alu instid0(VALU_DEP_1) | instskip(SKIP_1) | instid1(VALU_DEP_1)
	v_fmac_f64_e32 v[118:119], v[102:103], v[84:85]
	s_wait_loadcnt 0x0
	v_fmac_f64_e32 v[118:119], v[88:89], v[86:87]
	s_wait_dscnt 0x0
	s_delay_alu instid0(VALU_DEP_1) | instskip(NEXT) | instid1(VALU_DEP_1)
	v_fmac_f64_e32 v[118:119], v[90:91], v[92:93]
	v_add_f64_e64 v[82:83], v[82:83], -v[118:119]
	scratch_store_b64 off, v[82:83], off offset:56
	s_wait_xcnt 0x0
	v_cmpx_lt_u32_e32 6, v0
	s_cbranch_execz .LBB102_231
; %bb.230:
	scratch_load_b64 v[82:83], off, off offset:48
	v_mov_b64_e32 v[84:85], 0
	scratch_store_b64 off, v[84:85], off offset:48
	s_wait_loadcnt 0x0
	ds_store_b64 v1, v[82:83]
.LBB102_231:
	s_wait_xcnt 0x0
	s_or_b32 exec_lo, exec_lo, s0
	s_wait_storecnt_dscnt 0x0
	s_barrier_signal -1
	s_barrier_wait -1
	s_clause 0x5
	scratch_load_b128 v[82:85], off, off offset:48
	scratch_load_b128 v[86:89], off, off offset:64
	scratch_load_b128 v[90:93], off, off offset:80
	scratch_load_b128 v[94:97], off, off offset:96
	scratch_load_b128 v[98:101], off, off offset:112
	scratch_load_b128 v[102:105], off, off offset:128
	ds_load_2addr_b64 v[106:109], v2 offset0:47 offset1:48
	ds_load_2addr_b64 v[110:113], v2 offset0:49 offset1:50
	scratch_load_b128 v[114:117], off, off offset:144
	s_mov_b32 s0, exec_lo
	s_wait_loadcnt_dscnt 0x601
	v_fma_f64 v[118:119], v[84:85], v[106:107], 0
	s_wait_loadcnt 0x5
	s_delay_alu instid0(VALU_DEP_1) | instskip(SKIP_4) | instid1(VALU_DEP_1)
	v_fmac_f64_e32 v[118:119], v[86:87], v[108:109]
	scratch_load_b128 v[84:87], off, off offset:160
	s_wait_dscnt 0x0
	v_fmac_f64_e32 v[118:119], v[88:89], v[110:111]
	s_wait_loadcnt 0x5
	v_fmac_f64_e32 v[118:119], v[90:91], v[112:113]
	ds_load_2addr_b64 v[88:91], v2 offset0:51 offset1:52
	ds_load_2addr_b64 v[106:109], v2 offset0:53 offset1:54
	scratch_load_b128 v[110:113], off, off offset:176
	s_wait_dscnt 0x1
	v_fmac_f64_e32 v[118:119], v[92:93], v[88:89]
	s_wait_loadcnt 0x5
	s_delay_alu instid0(VALU_DEP_1) | instskip(SKIP_4) | instid1(VALU_DEP_1)
	v_fmac_f64_e32 v[118:119], v[94:95], v[90:91]
	scratch_load_b128 v[88:91], off, off offset:192
	s_wait_dscnt 0x0
	v_fmac_f64_e32 v[118:119], v[96:97], v[106:107]
	s_wait_loadcnt 0x5
	v_fmac_f64_e32 v[118:119], v[98:99], v[108:109]
	ds_load_2addr_b64 v[92:95], v2 offset0:55 offset1:56
	ds_load_2addr_b64 v[96:99], v2 offset0:57 offset1:58
	scratch_load_b128 v[106:109], off, off offset:208
	s_wait_dscnt 0x1
	v_fmac_f64_e32 v[118:119], v[100:101], v[92:93]
	s_wait_loadcnt 0x5
	s_delay_alu instid0(VALU_DEP_1) | instskip(SKIP_4) | instid1(VALU_DEP_1)
	v_fmac_f64_e32 v[118:119], v[102:103], v[94:95]
	scratch_load_b128 v[92:95], off, off offset:224
	s_wait_dscnt 0x0
	v_fmac_f64_e32 v[118:119], v[104:105], v[96:97]
	s_wait_loadcnt 0x5
	v_fmac_f64_e32 v[118:119], v[114:115], v[98:99]
	ds_load_2addr_b64 v[96:99], v2 offset0:59 offset1:60
	ds_load_2addr_b64 v[100:103], v2 offset0:61 offset1:62
	s_wait_dscnt 0x1
	v_fmac_f64_e32 v[118:119], v[116:117], v[96:97]
	s_wait_loadcnt 0x4
	s_delay_alu instid0(VALU_DEP_1)
	v_fmac_f64_e32 v[118:119], v[84:85], v[98:99]
	scratch_load_b128 v[96:99], off, off offset:240
	s_wait_dscnt 0x0
	v_fmac_f64_e32 v[118:119], v[86:87], v[100:101]
	scratch_load_b128 v[84:87], off, off offset:256
	s_wait_loadcnt 0x5
	v_fmac_f64_e32 v[118:119], v[110:111], v[102:103]
	ds_load_2addr_b64 v[100:103], v2 offset0:63 offset1:64
	ds_load_2addr_b64 v[114:117], v2 offset0:65 offset1:66
	s_wait_dscnt 0x1
	v_fmac_f64_e32 v[118:119], v[112:113], v[100:101]
	s_wait_loadcnt 0x4
	s_delay_alu instid0(VALU_DEP_1)
	v_fmac_f64_e32 v[118:119], v[88:89], v[102:103]
	scratch_load_b128 v[100:103], off, off offset:272
	s_wait_dscnt 0x0
	v_fmac_f64_e32 v[118:119], v[90:91], v[114:115]
	scratch_load_b128 v[88:91], off, off offset:288
	s_wait_loadcnt 0x5
	v_fmac_f64_e32 v[118:119], v[106:107], v[116:117]
	ds_load_2addr_b64 v[104:107], v2 offset0:67 offset1:68
	ds_load_2addr_b64 v[110:113], v2 offset0:69 offset1:70
	s_wait_dscnt 0x1
	v_fmac_f64_e32 v[118:119], v[108:109], v[104:105]
	scratch_load_b64 v[108:109], off, off offset:304
	s_wait_loadcnt 0x5
	v_fmac_f64_e32 v[118:119], v[92:93], v[106:107]
	s_wait_dscnt 0x0
	s_delay_alu instid0(VALU_DEP_1)
	v_fmac_f64_e32 v[118:119], v[94:95], v[110:111]
	ds_load_2addr_b64 v[92:95], v2 offset0:71 offset1:72
	ds_load_2addr_b64 v[104:107], v2 offset0:73 offset1:74
	s_wait_loadcnt 0x4
	v_fmac_f64_e32 v[118:119], v[96:97], v[112:113]
	s_wait_dscnt 0x1
	s_delay_alu instid0(VALU_DEP_1) | instskip(SKIP_1) | instid1(VALU_DEP_1)
	v_fmac_f64_e32 v[118:119], v[98:99], v[92:93]
	s_wait_loadcnt 0x3
	v_fmac_f64_e32 v[118:119], v[84:85], v[94:95]
	s_wait_dscnt 0x0
	s_delay_alu instid0(VALU_DEP_1)
	v_fmac_f64_e32 v[118:119], v[86:87], v[104:105]
	ds_load_2addr_b64 v[84:87], v2 offset0:75 offset1:76
	ds_load_2addr_b64 v[92:95], v2 offset0:77 offset1:78
	s_wait_loadcnt 0x2
	v_fmac_f64_e32 v[118:119], v[100:101], v[106:107]
	s_wait_dscnt 0x1
	s_delay_alu instid0(VALU_DEP_1) | instskip(SKIP_1) | instid1(VALU_DEP_1)
	v_fmac_f64_e32 v[118:119], v[102:103], v[84:85]
	s_wait_loadcnt 0x1
	v_fmac_f64_e32 v[118:119], v[88:89], v[86:87]
	s_wait_dscnt 0x0
	s_delay_alu instid0(VALU_DEP_1) | instskip(SKIP_1) | instid1(VALU_DEP_1)
	v_fmac_f64_e32 v[118:119], v[90:91], v[92:93]
	s_wait_loadcnt 0x0
	v_fmac_f64_e32 v[118:119], v[108:109], v[94:95]
	s_delay_alu instid0(VALU_DEP_1)
	v_add_f64_e64 v[2:3], v[82:83], -v[118:119]
	scratch_store_b64 off, v[2:3], off offset:48
	s_wait_xcnt 0x0
	v_cmpx_lt_u32_e32 5, v0
	s_cbranch_execz .LBB102_233
; %bb.232:
	scratch_load_b64 v[2:3], off, off offset:40
	v_mov_b64_e32 v[82:83], 0
	scratch_store_b64 off, v[82:83], off offset:40
	s_wait_loadcnt 0x0
	ds_store_b64 v1, v[2:3]
.LBB102_233:
	s_wait_xcnt 0x0
	s_or_b32 exec_lo, exec_lo, s0
	s_wait_storecnt_dscnt 0x0
	s_barrier_signal -1
	s_barrier_wait -1
	s_clause 0x5
	scratch_load_b128 v[82:85], off, off offset:40
	scratch_load_b128 v[86:89], off, off offset:56
	;; [unrolled: 1-line block ×6, first 2 shown]
	v_mov_b32_e32 v2, 0
	ds_load_b128 v[106:109], v2 offset:368
	ds_load_b128 v[110:113], v2 offset:384
	scratch_load_b128 v[114:117], off, off offset:136
	s_mov_b32 s0, exec_lo
	s_wait_loadcnt_dscnt 0x601
	v_fma_f64 v[118:119], v[84:85], v[106:107], 0
	s_wait_loadcnt 0x5
	s_delay_alu instid0(VALU_DEP_1) | instskip(SKIP_4) | instid1(VALU_DEP_1)
	v_fmac_f64_e32 v[118:119], v[86:87], v[108:109]
	scratch_load_b128 v[84:87], off, off offset:152
	s_wait_dscnt 0x0
	v_fmac_f64_e32 v[118:119], v[88:89], v[110:111]
	s_wait_loadcnt 0x5
	v_fmac_f64_e32 v[118:119], v[90:91], v[112:113]
	ds_load_b128 v[88:91], v2 offset:400
	ds_load_b128 v[106:109], v2 offset:416
	scratch_load_b128 v[110:113], off, off offset:168
	s_wait_dscnt 0x1
	v_fmac_f64_e32 v[118:119], v[92:93], v[88:89]
	s_wait_loadcnt 0x5
	s_delay_alu instid0(VALU_DEP_1) | instskip(SKIP_4) | instid1(VALU_DEP_1)
	v_fmac_f64_e32 v[118:119], v[94:95], v[90:91]
	scratch_load_b128 v[88:91], off, off offset:184
	s_wait_dscnt 0x0
	v_fmac_f64_e32 v[118:119], v[96:97], v[106:107]
	s_wait_loadcnt 0x5
	v_fmac_f64_e32 v[118:119], v[98:99], v[108:109]
	ds_load_b128 v[92:95], v2 offset:432
	ds_load_b128 v[96:99], v2 offset:448
	scratch_load_b128 v[106:109], off, off offset:200
	s_wait_dscnt 0x1
	v_fmac_f64_e32 v[118:119], v[100:101], v[92:93]
	s_wait_loadcnt 0x5
	s_delay_alu instid0(VALU_DEP_1) | instskip(SKIP_4) | instid1(VALU_DEP_1)
	v_fmac_f64_e32 v[118:119], v[102:103], v[94:95]
	scratch_load_b128 v[92:95], off, off offset:216
	s_wait_dscnt 0x0
	v_fmac_f64_e32 v[118:119], v[104:105], v[96:97]
	s_wait_loadcnt 0x5
	v_fmac_f64_e32 v[118:119], v[114:115], v[98:99]
	ds_load_b128 v[96:99], v2 offset:464
	ds_load_b128 v[100:103], v2 offset:480
	s_wait_dscnt 0x1
	v_fmac_f64_e32 v[118:119], v[116:117], v[96:97]
	s_wait_loadcnt 0x4
	s_delay_alu instid0(VALU_DEP_1)
	v_fmac_f64_e32 v[118:119], v[84:85], v[98:99]
	scratch_load_b128 v[96:99], off, off offset:232
	s_wait_dscnt 0x0
	v_fmac_f64_e32 v[118:119], v[86:87], v[100:101]
	scratch_load_b128 v[84:87], off, off offset:248
	s_wait_loadcnt 0x5
	v_fmac_f64_e32 v[118:119], v[110:111], v[102:103]
	ds_load_b128 v[100:103], v2 offset:496
	ds_load_b128 v[114:117], v2 offset:512
	s_wait_dscnt 0x1
	v_fmac_f64_e32 v[118:119], v[112:113], v[100:101]
	s_wait_loadcnt 0x4
	s_delay_alu instid0(VALU_DEP_1)
	v_fmac_f64_e32 v[118:119], v[88:89], v[102:103]
	scratch_load_b128 v[100:103], off, off offset:264
	s_wait_dscnt 0x0
	v_fmac_f64_e32 v[118:119], v[90:91], v[114:115]
	scratch_load_b128 v[88:91], off, off offset:280
	s_wait_loadcnt 0x5
	v_fmac_f64_e32 v[118:119], v[106:107], v[116:117]
	ds_load_b128 v[104:107], v2 offset:528
	ds_load_b128 v[110:113], v2 offset:544
	s_wait_dscnt 0x1
	v_fmac_f64_e32 v[118:119], v[108:109], v[104:105]
	s_wait_loadcnt 0x4
	s_delay_alu instid0(VALU_DEP_1)
	v_fmac_f64_e32 v[118:119], v[92:93], v[106:107]
	scratch_load_b128 v[104:107], off, off offset:296
	s_wait_dscnt 0x0
	v_fmac_f64_e32 v[118:119], v[94:95], v[110:111]
	ds_load_b128 v[92:95], v2 offset:560
	ds_load_b128 v[108:111], v2 offset:576
	s_wait_loadcnt 0x4
	v_fmac_f64_e32 v[118:119], v[96:97], v[112:113]
	s_wait_dscnt 0x1
	s_delay_alu instid0(VALU_DEP_1) | instskip(SKIP_1) | instid1(VALU_DEP_1)
	v_fmac_f64_e32 v[118:119], v[98:99], v[92:93]
	s_wait_loadcnt 0x3
	v_fmac_f64_e32 v[118:119], v[84:85], v[94:95]
	s_wait_dscnt 0x0
	s_delay_alu instid0(VALU_DEP_1)
	v_fmac_f64_e32 v[118:119], v[86:87], v[108:109]
	ds_load_b128 v[84:87], v2 offset:592
	ds_load_b128 v[92:95], v2 offset:608
	s_wait_loadcnt 0x2
	v_fmac_f64_e32 v[118:119], v[100:101], v[110:111]
	s_wait_dscnt 0x1
	s_delay_alu instid0(VALU_DEP_1) | instskip(SKIP_4) | instid1(VALU_DEP_1)
	v_fmac_f64_e32 v[118:119], v[102:103], v[84:85]
	ds_load_b64 v[84:85], v2 offset:624
	s_wait_loadcnt 0x1
	v_fmac_f64_e32 v[118:119], v[88:89], v[86:87]
	s_wait_dscnt 0x1
	v_fmac_f64_e32 v[118:119], v[90:91], v[92:93]
	s_wait_loadcnt 0x0
	s_delay_alu instid0(VALU_DEP_1) | instskip(SKIP_1) | instid1(VALU_DEP_1)
	v_fmac_f64_e32 v[118:119], v[104:105], v[94:95]
	s_wait_dscnt 0x0
	v_fmac_f64_e32 v[118:119], v[106:107], v[84:85]
	s_delay_alu instid0(VALU_DEP_1)
	v_add_f64_e64 v[82:83], v[82:83], -v[118:119]
	scratch_store_b64 off, v[82:83], off offset:40
	s_wait_xcnt 0x0
	v_cmpx_lt_u32_e32 4, v0
	s_cbranch_execz .LBB102_235
; %bb.234:
	scratch_load_b64 v[82:83], off, off offset:32
	v_mov_b64_e32 v[84:85], 0
	scratch_store_b64 off, v[84:85], off offset:32
	s_wait_loadcnt 0x0
	ds_store_b64 v1, v[82:83]
.LBB102_235:
	s_wait_xcnt 0x0
	s_or_b32 exec_lo, exec_lo, s0
	s_wait_storecnt_dscnt 0x0
	s_barrier_signal -1
	s_barrier_wait -1
	s_clause 0x5
	scratch_load_b128 v[82:85], off, off offset:32
	scratch_load_b128 v[86:89], off, off offset:48
	;; [unrolled: 1-line block ×6, first 2 shown]
	ds_load_2addr_b64 v[106:109], v2 offset0:45 offset1:46
	ds_load_2addr_b64 v[110:113], v2 offset0:47 offset1:48
	scratch_load_b128 v[114:117], off, off offset:128
	s_mov_b32 s0, exec_lo
	s_wait_loadcnt_dscnt 0x601
	v_fma_f64 v[118:119], v[84:85], v[106:107], 0
	s_wait_loadcnt 0x5
	s_delay_alu instid0(VALU_DEP_1) | instskip(SKIP_4) | instid1(VALU_DEP_1)
	v_fmac_f64_e32 v[118:119], v[86:87], v[108:109]
	scratch_load_b128 v[84:87], off, off offset:144
	s_wait_dscnt 0x0
	v_fmac_f64_e32 v[118:119], v[88:89], v[110:111]
	s_wait_loadcnt 0x5
	v_fmac_f64_e32 v[118:119], v[90:91], v[112:113]
	ds_load_2addr_b64 v[88:91], v2 offset0:49 offset1:50
	ds_load_2addr_b64 v[106:109], v2 offset0:51 offset1:52
	scratch_load_b128 v[110:113], off, off offset:160
	s_wait_dscnt 0x1
	v_fmac_f64_e32 v[118:119], v[92:93], v[88:89]
	s_wait_loadcnt 0x5
	s_delay_alu instid0(VALU_DEP_1) | instskip(SKIP_4) | instid1(VALU_DEP_1)
	v_fmac_f64_e32 v[118:119], v[94:95], v[90:91]
	scratch_load_b128 v[88:91], off, off offset:176
	s_wait_dscnt 0x0
	v_fmac_f64_e32 v[118:119], v[96:97], v[106:107]
	s_wait_loadcnt 0x5
	v_fmac_f64_e32 v[118:119], v[98:99], v[108:109]
	ds_load_2addr_b64 v[92:95], v2 offset0:53 offset1:54
	ds_load_2addr_b64 v[96:99], v2 offset0:55 offset1:56
	scratch_load_b128 v[106:109], off, off offset:192
	s_wait_dscnt 0x1
	v_fmac_f64_e32 v[118:119], v[100:101], v[92:93]
	s_wait_loadcnt 0x5
	s_delay_alu instid0(VALU_DEP_1) | instskip(SKIP_4) | instid1(VALU_DEP_1)
	v_fmac_f64_e32 v[118:119], v[102:103], v[94:95]
	scratch_load_b128 v[92:95], off, off offset:208
	s_wait_dscnt 0x0
	v_fmac_f64_e32 v[118:119], v[104:105], v[96:97]
	s_wait_loadcnt 0x5
	v_fmac_f64_e32 v[118:119], v[114:115], v[98:99]
	ds_load_2addr_b64 v[96:99], v2 offset0:57 offset1:58
	ds_load_2addr_b64 v[100:103], v2 offset0:59 offset1:60
	s_wait_dscnt 0x1
	v_fmac_f64_e32 v[118:119], v[116:117], v[96:97]
	scratch_load_b128 v[114:117], off, off offset:224
	s_wait_loadcnt 0x5
	v_fmac_f64_e32 v[118:119], v[84:85], v[98:99]
	s_wait_dscnt 0x0
	s_delay_alu instid0(VALU_DEP_1)
	v_fmac_f64_e32 v[118:119], v[86:87], v[100:101]
	scratch_load_b128 v[84:87], off, off offset:240
	s_wait_loadcnt 0x5
	v_fmac_f64_e32 v[118:119], v[110:111], v[102:103]
	ds_load_2addr_b64 v[96:99], v2 offset0:61 offset1:62
	ds_load_2addr_b64 v[100:103], v2 offset0:63 offset1:64
	s_wait_dscnt 0x1
	v_fmac_f64_e32 v[118:119], v[112:113], v[96:97]
	s_wait_loadcnt 0x4
	s_delay_alu instid0(VALU_DEP_1)
	v_fmac_f64_e32 v[118:119], v[88:89], v[98:99]
	scratch_load_b128 v[96:99], off, off offset:256
	s_wait_dscnt 0x0
	v_fmac_f64_e32 v[118:119], v[90:91], v[100:101]
	scratch_load_b128 v[88:91], off, off offset:272
	s_wait_loadcnt 0x5
	v_fmac_f64_e32 v[118:119], v[106:107], v[102:103]
	ds_load_2addr_b64 v[100:103], v2 offset0:65 offset1:66
	ds_load_2addr_b64 v[104:107], v2 offset0:67 offset1:68
	s_wait_dscnt 0x1
	v_fmac_f64_e32 v[118:119], v[108:109], v[100:101]
	scratch_load_b64 v[108:109], off, off offset:304
	s_wait_loadcnt 0x5
	v_fmac_f64_e32 v[118:119], v[92:93], v[102:103]
	scratch_load_b128 v[100:103], off, off offset:288
	s_wait_dscnt 0x0
	v_fmac_f64_e32 v[118:119], v[94:95], v[104:105]
	s_wait_loadcnt 0x5
	s_delay_alu instid0(VALU_DEP_1)
	v_fmac_f64_e32 v[118:119], v[114:115], v[106:107]
	ds_load_2addr_b64 v[92:95], v2 offset0:69 offset1:70
	ds_load_2addr_b64 v[104:107], v2 offset0:71 offset1:72
	s_wait_dscnt 0x1
	v_fmac_f64_e32 v[118:119], v[116:117], v[92:93]
	s_wait_loadcnt 0x4
	s_delay_alu instid0(VALU_DEP_1) | instskip(SKIP_1) | instid1(VALU_DEP_1)
	v_fmac_f64_e32 v[118:119], v[84:85], v[94:95]
	s_wait_dscnt 0x0
	v_fmac_f64_e32 v[118:119], v[86:87], v[104:105]
	ds_load_2addr_b64 v[84:87], v2 offset0:73 offset1:74
	ds_load_2addr_b64 v[92:95], v2 offset0:75 offset1:76
	s_wait_loadcnt 0x3
	v_fmac_f64_e32 v[118:119], v[96:97], v[106:107]
	s_wait_dscnt 0x1
	s_delay_alu instid0(VALU_DEP_1) | instskip(SKIP_1) | instid1(VALU_DEP_1)
	v_fmac_f64_e32 v[118:119], v[98:99], v[84:85]
	s_wait_loadcnt 0x2
	v_fmac_f64_e32 v[118:119], v[88:89], v[86:87]
	ds_load_2addr_b64 v[84:87], v2 offset0:77 offset1:78
	s_wait_dscnt 0x1
	v_fmac_f64_e32 v[118:119], v[90:91], v[92:93]
	s_wait_loadcnt 0x0
	s_delay_alu instid0(VALU_DEP_1) | instskip(SKIP_1) | instid1(VALU_DEP_1)
	v_fmac_f64_e32 v[118:119], v[100:101], v[94:95]
	s_wait_dscnt 0x0
	v_fmac_f64_e32 v[118:119], v[102:103], v[84:85]
	s_delay_alu instid0(VALU_DEP_1) | instskip(NEXT) | instid1(VALU_DEP_1)
	v_fmac_f64_e32 v[118:119], v[108:109], v[86:87]
	v_add_f64_e64 v[2:3], v[82:83], -v[118:119]
	scratch_store_b64 off, v[2:3], off offset:32
	s_wait_xcnt 0x0
	v_cmpx_lt_u32_e32 3, v0
	s_cbranch_execz .LBB102_237
; %bb.236:
	scratch_load_b64 v[2:3], off, off offset:24
	v_mov_b64_e32 v[82:83], 0
	scratch_store_b64 off, v[82:83], off offset:24
	s_wait_loadcnt 0x0
	ds_store_b64 v1, v[2:3]
.LBB102_237:
	s_wait_xcnt 0x0
	s_or_b32 exec_lo, exec_lo, s0
	s_wait_storecnt_dscnt 0x0
	s_barrier_signal -1
	s_barrier_wait -1
	s_clause 0x5
	scratch_load_b128 v[82:85], off, off offset:24
	scratch_load_b128 v[86:89], off, off offset:40
	;; [unrolled: 1-line block ×6, first 2 shown]
	v_mov_b32_e32 v2, 0
	ds_load_b128 v[106:109], v2 offset:352
	ds_load_b128 v[110:113], v2 offset:368
	scratch_load_b128 v[114:117], off, off offset:120
	s_mov_b32 s0, exec_lo
	s_wait_loadcnt_dscnt 0x601
	v_fma_f64 v[118:119], v[84:85], v[106:107], 0
	s_wait_loadcnt 0x5
	s_delay_alu instid0(VALU_DEP_1) | instskip(SKIP_4) | instid1(VALU_DEP_1)
	v_fmac_f64_e32 v[118:119], v[86:87], v[108:109]
	scratch_load_b128 v[84:87], off, off offset:136
	s_wait_dscnt 0x0
	v_fmac_f64_e32 v[118:119], v[88:89], v[110:111]
	s_wait_loadcnt 0x5
	v_fmac_f64_e32 v[118:119], v[90:91], v[112:113]
	ds_load_b128 v[88:91], v2 offset:384
	ds_load_b128 v[106:109], v2 offset:400
	scratch_load_b128 v[110:113], off, off offset:152
	s_wait_dscnt 0x1
	v_fmac_f64_e32 v[118:119], v[92:93], v[88:89]
	s_wait_loadcnt 0x5
	s_delay_alu instid0(VALU_DEP_1) | instskip(SKIP_4) | instid1(VALU_DEP_1)
	v_fmac_f64_e32 v[118:119], v[94:95], v[90:91]
	scratch_load_b128 v[88:91], off, off offset:168
	s_wait_dscnt 0x0
	v_fmac_f64_e32 v[118:119], v[96:97], v[106:107]
	s_wait_loadcnt 0x5
	v_fmac_f64_e32 v[118:119], v[98:99], v[108:109]
	ds_load_b128 v[92:95], v2 offset:416
	ds_load_b128 v[96:99], v2 offset:432
	scratch_load_b128 v[106:109], off, off offset:184
	s_wait_dscnt 0x1
	v_fmac_f64_e32 v[118:119], v[100:101], v[92:93]
	s_wait_loadcnt 0x5
	s_delay_alu instid0(VALU_DEP_1) | instskip(SKIP_4) | instid1(VALU_DEP_1)
	v_fmac_f64_e32 v[118:119], v[102:103], v[94:95]
	scratch_load_b128 v[92:95], off, off offset:200
	s_wait_dscnt 0x0
	v_fmac_f64_e32 v[118:119], v[104:105], v[96:97]
	s_wait_loadcnt 0x5
	v_fmac_f64_e32 v[118:119], v[114:115], v[98:99]
	ds_load_b128 v[96:99], v2 offset:448
	ds_load_b128 v[100:103], v2 offset:464
	s_wait_dscnt 0x1
	v_fmac_f64_e32 v[118:119], v[116:117], v[96:97]
	scratch_load_b128 v[114:117], off, off offset:216
	s_wait_loadcnt 0x5
	v_fmac_f64_e32 v[118:119], v[84:85], v[98:99]
	s_wait_dscnt 0x0
	s_delay_alu instid0(VALU_DEP_1)
	v_fmac_f64_e32 v[118:119], v[86:87], v[100:101]
	scratch_load_b128 v[84:87], off, off offset:232
	s_wait_loadcnt 0x5
	v_fmac_f64_e32 v[118:119], v[110:111], v[102:103]
	ds_load_b128 v[96:99], v2 offset:480
	ds_load_b128 v[100:103], v2 offset:496
	s_wait_dscnt 0x1
	v_fmac_f64_e32 v[118:119], v[112:113], v[96:97]
	s_wait_loadcnt 0x4
	s_delay_alu instid0(VALU_DEP_1)
	v_fmac_f64_e32 v[118:119], v[88:89], v[98:99]
	scratch_load_b128 v[96:99], off, off offset:248
	s_wait_dscnt 0x0
	v_fmac_f64_e32 v[118:119], v[90:91], v[100:101]
	scratch_load_b128 v[88:91], off, off offset:264
	s_wait_loadcnt 0x5
	v_fmac_f64_e32 v[118:119], v[106:107], v[102:103]
	ds_load_b128 v[100:103], v2 offset:512
	ds_load_b128 v[104:107], v2 offset:528
	s_wait_dscnt 0x1
	v_fmac_f64_e32 v[118:119], v[108:109], v[100:101]
	s_wait_loadcnt 0x4
	s_delay_alu instid0(VALU_DEP_1)
	v_fmac_f64_e32 v[118:119], v[92:93], v[102:103]
	scratch_load_b128 v[100:103], off, off offset:280
	s_wait_dscnt 0x0
	v_fmac_f64_e32 v[118:119], v[94:95], v[104:105]
	scratch_load_b128 v[92:95], off, off offset:296
	s_wait_loadcnt 0x5
	v_fmac_f64_e32 v[118:119], v[114:115], v[106:107]
	ds_load_b128 v[104:107], v2 offset:544
	ds_load_b128 v[108:111], v2 offset:560
	s_wait_dscnt 0x1
	v_fmac_f64_e32 v[118:119], v[116:117], v[104:105]
	s_wait_loadcnt 0x4
	s_delay_alu instid0(VALU_DEP_1) | instskip(SKIP_1) | instid1(VALU_DEP_1)
	v_fmac_f64_e32 v[118:119], v[84:85], v[106:107]
	s_wait_dscnt 0x0
	v_fmac_f64_e32 v[118:119], v[86:87], v[108:109]
	ds_load_b128 v[84:87], v2 offset:576
	ds_load_b128 v[104:107], v2 offset:592
	s_wait_loadcnt 0x3
	v_fmac_f64_e32 v[118:119], v[96:97], v[110:111]
	s_wait_dscnt 0x1
	s_delay_alu instid0(VALU_DEP_1) | instskip(SKIP_1) | instid1(VALU_DEP_1)
	v_fmac_f64_e32 v[118:119], v[98:99], v[84:85]
	s_wait_loadcnt 0x2
	v_fmac_f64_e32 v[118:119], v[88:89], v[86:87]
	ds_load_b128 v[84:87], v2 offset:608
	ds_load_b64 v[88:89], v2 offset:624
	s_wait_dscnt 0x2
	v_fmac_f64_e32 v[118:119], v[90:91], v[104:105]
	s_wait_loadcnt 0x1
	s_delay_alu instid0(VALU_DEP_1) | instskip(SKIP_1) | instid1(VALU_DEP_1)
	v_fmac_f64_e32 v[118:119], v[100:101], v[106:107]
	s_wait_dscnt 0x1
	v_fmac_f64_e32 v[118:119], v[102:103], v[84:85]
	s_wait_loadcnt 0x0
	s_delay_alu instid0(VALU_DEP_1) | instskip(SKIP_1) | instid1(VALU_DEP_1)
	v_fmac_f64_e32 v[118:119], v[92:93], v[86:87]
	s_wait_dscnt 0x0
	v_fmac_f64_e32 v[118:119], v[94:95], v[88:89]
	s_delay_alu instid0(VALU_DEP_1)
	v_add_f64_e64 v[82:83], v[82:83], -v[118:119]
	scratch_store_b64 off, v[82:83], off offset:24
	s_wait_xcnt 0x0
	v_cmpx_lt_u32_e32 2, v0
	s_cbranch_execz .LBB102_239
; %bb.238:
	scratch_load_b64 v[82:83], off, off offset:16
	v_mov_b64_e32 v[84:85], 0
	scratch_store_b64 off, v[84:85], off offset:16
	s_wait_loadcnt 0x0
	ds_store_b64 v1, v[82:83]
.LBB102_239:
	s_wait_xcnt 0x0
	s_or_b32 exec_lo, exec_lo, s0
	s_wait_storecnt_dscnt 0x0
	s_barrier_signal -1
	s_barrier_wait -1
	s_clause 0x5
	scratch_load_b128 v[82:85], off, off offset:16
	scratch_load_b128 v[86:89], off, off offset:32
	;; [unrolled: 1-line block ×6, first 2 shown]
	ds_load_2addr_b64 v[106:109], v2 offset0:43 offset1:44
	ds_load_2addr_b64 v[110:113], v2 offset0:45 offset1:46
	scratch_load_b128 v[114:117], off, off offset:112
	s_mov_b32 s0, exec_lo
	s_wait_loadcnt_dscnt 0x601
	v_fma_f64 v[118:119], v[84:85], v[106:107], 0
	s_wait_loadcnt 0x5
	s_delay_alu instid0(VALU_DEP_1) | instskip(SKIP_4) | instid1(VALU_DEP_1)
	v_fmac_f64_e32 v[118:119], v[86:87], v[108:109]
	scratch_load_b128 v[84:87], off, off offset:128
	s_wait_dscnt 0x0
	v_fmac_f64_e32 v[118:119], v[88:89], v[110:111]
	s_wait_loadcnt 0x5
	v_fmac_f64_e32 v[118:119], v[90:91], v[112:113]
	ds_load_2addr_b64 v[88:91], v2 offset0:47 offset1:48
	ds_load_2addr_b64 v[106:109], v2 offset0:49 offset1:50
	scratch_load_b128 v[110:113], off, off offset:144
	s_wait_dscnt 0x1
	v_fmac_f64_e32 v[118:119], v[92:93], v[88:89]
	s_wait_loadcnt 0x5
	s_delay_alu instid0(VALU_DEP_1) | instskip(SKIP_4) | instid1(VALU_DEP_1)
	v_fmac_f64_e32 v[118:119], v[94:95], v[90:91]
	scratch_load_b128 v[88:91], off, off offset:160
	s_wait_dscnt 0x0
	v_fmac_f64_e32 v[118:119], v[96:97], v[106:107]
	s_wait_loadcnt 0x5
	v_fmac_f64_e32 v[118:119], v[98:99], v[108:109]
	ds_load_2addr_b64 v[92:95], v2 offset0:51 offset1:52
	ds_load_2addr_b64 v[96:99], v2 offset0:53 offset1:54
	scratch_load_b128 v[106:109], off, off offset:176
	s_wait_dscnt 0x1
	v_fmac_f64_e32 v[118:119], v[100:101], v[92:93]
	s_wait_loadcnt 0x5
	s_delay_alu instid0(VALU_DEP_1) | instskip(SKIP_4) | instid1(VALU_DEP_1)
	v_fmac_f64_e32 v[118:119], v[102:103], v[94:95]
	scratch_load_b128 v[92:95], off, off offset:192
	s_wait_dscnt 0x0
	v_fmac_f64_e32 v[118:119], v[104:105], v[96:97]
	s_wait_loadcnt 0x5
	v_fmac_f64_e32 v[118:119], v[114:115], v[98:99]
	ds_load_2addr_b64 v[96:99], v2 offset0:55 offset1:56
	ds_load_2addr_b64 v[100:103], v2 offset0:57 offset1:58
	s_wait_dscnt 0x1
	v_fmac_f64_e32 v[118:119], v[116:117], v[96:97]
	scratch_load_b128 v[114:117], off, off offset:208
	s_wait_loadcnt 0x5
	v_fmac_f64_e32 v[118:119], v[84:85], v[98:99]
	s_wait_dscnt 0x0
	s_delay_alu instid0(VALU_DEP_1)
	v_fmac_f64_e32 v[118:119], v[86:87], v[100:101]
	scratch_load_b128 v[84:87], off, off offset:224
	s_wait_loadcnt 0x5
	v_fmac_f64_e32 v[118:119], v[110:111], v[102:103]
	ds_load_2addr_b64 v[96:99], v2 offset0:59 offset1:60
	ds_load_2addr_b64 v[100:103], v2 offset0:61 offset1:62
	s_wait_dscnt 0x1
	v_fmac_f64_e32 v[118:119], v[112:113], v[96:97]
	s_wait_loadcnt 0x4
	s_delay_alu instid0(VALU_DEP_1)
	v_fmac_f64_e32 v[118:119], v[88:89], v[98:99]
	scratch_load_b128 v[96:99], off, off offset:240
	s_wait_dscnt 0x0
	v_fmac_f64_e32 v[118:119], v[90:91], v[100:101]
	scratch_load_b128 v[88:91], off, off offset:256
	s_wait_loadcnt 0x5
	v_fmac_f64_e32 v[118:119], v[106:107], v[102:103]
	ds_load_2addr_b64 v[100:103], v2 offset0:63 offset1:64
	ds_load_2addr_b64 v[104:107], v2 offset0:65 offset1:66
	s_wait_dscnt 0x1
	v_fmac_f64_e32 v[118:119], v[108:109], v[100:101]
	s_wait_loadcnt 0x4
	s_delay_alu instid0(VALU_DEP_1)
	v_fmac_f64_e32 v[118:119], v[92:93], v[102:103]
	scratch_load_b128 v[100:103], off, off offset:272
	s_wait_dscnt 0x0
	v_fmac_f64_e32 v[118:119], v[94:95], v[104:105]
	scratch_load_b128 v[92:95], off, off offset:288
	s_wait_loadcnt 0x5
	v_fmac_f64_e32 v[118:119], v[114:115], v[106:107]
	ds_load_2addr_b64 v[104:107], v2 offset0:67 offset1:68
	ds_load_2addr_b64 v[108:111], v2 offset0:69 offset1:70
	scratch_load_b64 v[112:113], off, off offset:304
	s_wait_dscnt 0x1
	v_fmac_f64_e32 v[118:119], v[116:117], v[104:105]
	s_wait_loadcnt 0x5
	s_delay_alu instid0(VALU_DEP_1) | instskip(SKIP_1) | instid1(VALU_DEP_1)
	v_fmac_f64_e32 v[118:119], v[84:85], v[106:107]
	s_wait_dscnt 0x0
	v_fmac_f64_e32 v[118:119], v[86:87], v[108:109]
	ds_load_2addr_b64 v[84:87], v2 offset0:71 offset1:72
	ds_load_2addr_b64 v[104:107], v2 offset0:73 offset1:74
	s_wait_loadcnt 0x4
	v_fmac_f64_e32 v[118:119], v[96:97], v[110:111]
	s_wait_dscnt 0x1
	s_delay_alu instid0(VALU_DEP_1) | instskip(SKIP_1) | instid1(VALU_DEP_1)
	v_fmac_f64_e32 v[118:119], v[98:99], v[84:85]
	s_wait_loadcnt 0x3
	v_fmac_f64_e32 v[118:119], v[88:89], v[86:87]
	s_wait_dscnt 0x0
	s_delay_alu instid0(VALU_DEP_1)
	v_fmac_f64_e32 v[118:119], v[90:91], v[104:105]
	ds_load_2addr_b64 v[84:87], v2 offset0:75 offset1:76
	ds_load_2addr_b64 v[88:91], v2 offset0:77 offset1:78
	s_wait_loadcnt 0x2
	v_fmac_f64_e32 v[118:119], v[100:101], v[106:107]
	s_wait_dscnt 0x1
	s_delay_alu instid0(VALU_DEP_1) | instskip(SKIP_1) | instid1(VALU_DEP_1)
	v_fmac_f64_e32 v[118:119], v[102:103], v[84:85]
	s_wait_loadcnt 0x1
	v_fmac_f64_e32 v[118:119], v[92:93], v[86:87]
	s_wait_dscnt 0x0
	s_delay_alu instid0(VALU_DEP_1) | instskip(SKIP_1) | instid1(VALU_DEP_1)
	v_fmac_f64_e32 v[118:119], v[94:95], v[88:89]
	s_wait_loadcnt 0x0
	v_fmac_f64_e32 v[118:119], v[112:113], v[90:91]
	s_delay_alu instid0(VALU_DEP_1)
	v_add_f64_e64 v[2:3], v[82:83], -v[118:119]
	scratch_store_b64 off, v[2:3], off offset:16
	s_wait_xcnt 0x0
	v_cmpx_lt_u32_e32 1, v0
	s_cbranch_execz .LBB102_241
; %bb.240:
	scratch_load_b64 v[2:3], off, off offset:8
	v_mov_b64_e32 v[82:83], 0
	scratch_store_b64 off, v[82:83], off offset:8
	s_wait_loadcnt 0x0
	ds_store_b64 v1, v[2:3]
.LBB102_241:
	s_wait_xcnt 0x0
	s_or_b32 exec_lo, exec_lo, s0
	s_wait_storecnt_dscnt 0x0
	s_barrier_signal -1
	s_barrier_wait -1
	s_clause 0x3
	scratch_load_b128 v[84:87], off, off offset:8
	scratch_load_b128 v[88:91], off, off offset:24
	;; [unrolled: 1-line block ×4, first 2 shown]
	v_dual_mov_b32 v82, 0 :: v_dual_ashrrev_i32 v9, 31, v8
	ds_load_b128 v[100:103], v82 offset:336
	ds_load_b128 v[104:107], v82 offset:352
	scratch_load_b128 v[108:111], off, off offset:72
	v_dual_ashrrev_i32 v11, 31, v10 :: v_dual_ashrrev_i32 v13, 31, v12
	v_dual_ashrrev_i32 v15, 31, v14 :: v_dual_ashrrev_i32 v17, 31, v16
	;; [unrolled: 1-line block ×17, first 2 shown]
	v_ashrrev_i32_e32 v79, 31, v78
	s_mov_b32 s0, exec_lo
	v_ashrrev_i32_e32 v33, 31, v32
	s_wait_loadcnt_dscnt 0x401
	v_fma_f64 v[2:3], v[86:87], v[100:101], 0
	s_wait_loadcnt 0x3
	s_delay_alu instid0(VALU_DEP_1) | instskip(SKIP_4) | instid1(VALU_DEP_1)
	v_fmac_f64_e32 v[2:3], v[88:89], v[102:103]
	scratch_load_b128 v[86:89], off, off offset:88
	s_wait_dscnt 0x0
	v_fmac_f64_e32 v[2:3], v[90:91], v[104:105]
	s_wait_loadcnt 0x3
	v_fmac_f64_e32 v[2:3], v[92:93], v[106:107]
	ds_load_b128 v[90:93], v82 offset:368
	ds_load_b128 v[100:103], v82 offset:384
	scratch_load_b128 v[104:107], off, off offset:104
	s_wait_dscnt 0x1
	v_fmac_f64_e32 v[2:3], v[94:95], v[90:91]
	s_wait_loadcnt 0x3
	s_delay_alu instid0(VALU_DEP_1)
	v_fmac_f64_e32 v[2:3], v[96:97], v[92:93]
	scratch_load_b128 v[90:93], off, off offset:120
	s_wait_dscnt 0x0
	v_fmac_f64_e32 v[2:3], v[98:99], v[100:101]
	ds_load_b128 v[94:97], v82 offset:400
	ds_load_b128 v[98:101], v82 offset:416
	s_wait_loadcnt 0x3
	v_fmac_f64_e32 v[2:3], v[108:109], v[102:103]
	s_wait_dscnt 0x1
	s_delay_alu instid0(VALU_DEP_1) | instskip(SKIP_4) | instid1(VALU_DEP_1)
	v_fmac_f64_e32 v[2:3], v[110:111], v[94:95]
	scratch_load_b128 v[108:111], off, off offset:136
	s_wait_loadcnt 0x3
	v_fmac_f64_e32 v[2:3], v[86:87], v[96:97]
	s_wait_dscnt 0x0
	v_fmac_f64_e32 v[2:3], v[88:89], v[98:99]
	scratch_load_b128 v[86:89], off, off offset:152
	s_wait_loadcnt 0x3
	v_fmac_f64_e32 v[2:3], v[104:105], v[100:101]
	ds_load_b128 v[94:97], v82 offset:432
	ds_load_b128 v[98:101], v82 offset:448
	scratch_load_b128 v[102:105], off, off offset:168
	s_wait_dscnt 0x1
	v_fmac_f64_e32 v[2:3], v[106:107], v[94:95]
	s_wait_loadcnt 0x3
	s_delay_alu instid0(VALU_DEP_1) | instskip(SKIP_1) | instid1(VALU_DEP_1)
	v_fmac_f64_e32 v[2:3], v[90:91], v[96:97]
	s_wait_dscnt 0x0
	v_fmac_f64_e32 v[2:3], v[92:93], v[98:99]
	scratch_load_b128 v[90:93], off, off offset:184
	s_wait_loadcnt 0x3
	v_fmac_f64_e32 v[2:3], v[108:109], v[100:101]
	ds_load_b128 v[94:97], v82 offset:464
	ds_load_b128 v[98:101], v82 offset:480
	scratch_load_b128 v[106:109], off, off offset:200
	s_wait_dscnt 0x1
	v_fmac_f64_e32 v[2:3], v[110:111], v[94:95]
	s_wait_loadcnt 0x3
	s_delay_alu instid0(VALU_DEP_1) | instskip(SKIP_1) | instid1(VALU_DEP_1)
	v_fmac_f64_e32 v[2:3], v[86:87], v[96:97]
	s_wait_dscnt 0x0
	v_fmac_f64_e32 v[2:3], v[88:89], v[98:99]
	scratch_load_b128 v[86:89], off, off offset:216
	s_wait_loadcnt 0x3
	v_fmac_f64_e32 v[2:3], v[102:103], v[100:101]
	ds_load_b128 v[94:97], v82 offset:496
	ds_load_b128 v[98:101], v82 offset:512
	s_wait_dscnt 0x1
	v_fmac_f64_e32 v[2:3], v[104:105], v[94:95]
	scratch_load_b128 v[102:105], off, off offset:232
	s_wait_loadcnt 0x3
	v_fmac_f64_e32 v[2:3], v[90:91], v[96:97]
	s_wait_dscnt 0x0
	s_delay_alu instid0(VALU_DEP_1)
	v_fmac_f64_e32 v[2:3], v[92:93], v[98:99]
	scratch_load_b128 v[90:93], off, off offset:248
	s_wait_loadcnt 0x3
	v_fmac_f64_e32 v[2:3], v[106:107], v[100:101]
	ds_load_b128 v[94:97], v82 offset:528
	ds_load_b128 v[98:101], v82 offset:544
	s_wait_dscnt 0x1
	v_fmac_f64_e32 v[2:3], v[108:109], v[94:95]
	scratch_load_b128 v[106:109], off, off offset:264
	s_wait_loadcnt 0x3
	v_fmac_f64_e32 v[2:3], v[86:87], v[96:97]
	s_wait_dscnt 0x0
	s_delay_alu instid0(VALU_DEP_1)
	;; [unrolled: 13-line block ×3, first 2 shown]
	v_fmac_f64_e32 v[2:3], v[92:93], v[98:99]
	ds_load_b128 v[90:93], v82 offset:592
	ds_load_b128 v[94:97], v82 offset:608
	s_wait_loadcnt 0x2
	v_fmac_f64_e32 v[2:3], v[106:107], v[100:101]
	s_wait_dscnt 0x1
	s_delay_alu instid0(VALU_DEP_1) | instskip(SKIP_1) | instid1(VALU_DEP_1)
	v_fmac_f64_e32 v[2:3], v[108:109], v[90:91]
	s_wait_loadcnt 0x1
	v_fmac_f64_e32 v[2:3], v[86:87], v[92:93]
	ds_load_b64 v[86:87], v82 offset:624
	s_wait_dscnt 0x1
	v_fmac_f64_e32 v[2:3], v[88:89], v[94:95]
	s_wait_loadcnt 0x0
	s_delay_alu instid0(VALU_DEP_1) | instskip(SKIP_1) | instid1(VALU_DEP_1)
	v_fmac_f64_e32 v[2:3], v[102:103], v[96:97]
	s_wait_dscnt 0x0
	v_fmac_f64_e32 v[2:3], v[104:105], v[86:87]
	s_delay_alu instid0(VALU_DEP_1)
	v_add_f64_e64 v[2:3], v[84:85], -v[2:3]
	scratch_store_b64 off, v[2:3], off offset:8
	s_wait_xcnt 0x0
	v_cmpx_ne_u32_e32 0, v0
	s_cbranch_execz .LBB102_243
; %bb.242:
	scratch_load_b64 v[2:3], off, off
	v_mov_b64_e32 v[84:85], 0
	scratch_store_b64 off, v[84:85], off
	s_wait_loadcnt 0x0
	ds_store_b64 v1, v[2:3]
.LBB102_243:
	s_wait_xcnt 0x0
	s_or_b32 exec_lo, exec_lo, s0
	s_wait_storecnt_dscnt 0x0
	s_barrier_signal -1
	s_barrier_wait -1
	s_clause 0x5
	scratch_load_b128 v[84:87], off, off
	scratch_load_b128 v[0:3], off, off offset:16
	scratch_load_b128 v[88:91], off, off offset:32
	;; [unrolled: 1-line block ×5, first 2 shown]
	ds_load_2addr_b64 v[104:107], v82 offset0:41 offset1:42
	scratch_load_b128 v[108:111], off, off offset:96
	s_and_b32 vcc_lo, exec_lo, s12
	scratch_load_b128 v[112:115], off, off offset:208
	s_wait_loadcnt_dscnt 0x700
	v_fma_f64 v[116:117], v[86:87], v[104:105], 0
	s_wait_loadcnt 0x6
	s_delay_alu instid0(VALU_DEP_1)
	v_fmac_f64_e32 v[116:117], v[0:1], v[106:107]
	ds_load_2addr_b64 v[104:107], v82 offset0:43 offset1:44
	s_wait_dscnt 0x0
	v_fmac_f64_e32 v[116:117], v[2:3], v[104:105]
	scratch_load_b128 v[0:3], off, off offset:112
	s_wait_loadcnt 0x6
	v_fmac_f64_e32 v[116:117], v[88:89], v[106:107]
	ds_load_2addr_b64 v[86:89], v82 offset0:45 offset1:46
	scratch_load_b128 v[104:107], off, off offset:128
	s_wait_dscnt 0x0
	v_fmac_f64_e32 v[116:117], v[90:91], v[86:87]
	s_wait_loadcnt 0x6
	s_delay_alu instid0(VALU_DEP_1)
	v_fmac_f64_e32 v[116:117], v[92:93], v[88:89]
	ds_load_2addr_b64 v[86:89], v82 offset0:47 offset1:48
	scratch_load_b128 v[90:93], off, off offset:144
	s_wait_dscnt 0x0
	v_fmac_f64_e32 v[116:117], v[94:95], v[86:87]
	s_wait_loadcnt 0x6
	s_delay_alu instid0(VALU_DEP_1)
	;; [unrolled: 7-line block ×4, first 2 shown]
	v_fmac_f64_e32 v[116:117], v[108:109], v[88:89]
	ds_load_2addr_b64 v[86:89], v82 offset0:53 offset1:54
	s_wait_dscnt 0x0
	v_fmac_f64_e32 v[116:117], v[110:111], v[86:87]
	scratch_load_b128 v[108:111], off, off offset:192
	s_wait_loadcnt 0x5
	v_fmac_f64_e32 v[116:117], v[0:1], v[88:89]
	ds_load_2addr_b64 v[86:89], v82 offset0:55 offset1:56
	s_wait_dscnt 0x0
	v_fmac_f64_e32 v[116:117], v[2:3], v[86:87]
	ds_load_2addr_b64 v[0:3], v82 offset0:57 offset1:58
	s_wait_loadcnt 0x4
	v_fmac_f64_e32 v[116:117], v[104:105], v[88:89]
	ds_load_2addr_b64 v[102:105], v82 offset0:65 offset1:66
	scratch_load_b128 v[86:89], off, off offset:224
	s_wait_dscnt 0x1
	v_fmac_f64_e32 v[116:117], v[106:107], v[0:1]
	scratch_load_b64 v[106:107], off, off offset:304
	s_wait_loadcnt 0x5
	v_fmac_f64_e32 v[116:117], v[90:91], v[2:3]
	ds_load_2addr_b64 v[0:3], v82 offset0:59 offset1:60
	s_wait_dscnt 0x0
	v_fmac_f64_e32 v[116:117], v[92:93], v[0:1]
	scratch_load_b128 v[90:93], off, off offset:240
	s_wait_loadcnt 0x5
	v_fmac_f64_e32 v[116:117], v[94:95], v[2:3]
	ds_load_2addr_b64 v[0:3], v82 offset0:61 offset1:62
	s_wait_dscnt 0x0
	v_fmac_f64_e32 v[116:117], v[96:97], v[0:1]
	scratch_load_b128 v[94:97], off, off offset:256
	;; [unrolled: 6-line block ×3, first 2 shown]
	s_wait_loadcnt 0x5
	v_fmac_f64_e32 v[116:117], v[108:109], v[2:3]
	scratch_load_b128 v[0:3], off, off offset:288
	v_fmac_f64_e32 v[116:117], v[110:111], v[102:103]
	s_delay_alu instid0(VALU_DEP_1) | instskip(SKIP_4) | instid1(VALU_DEP_1)
	v_fmac_f64_e32 v[116:117], v[112:113], v[104:105]
	ds_load_2addr_b64 v[102:105], v82 offset0:67 offset1:68
	s_wait_dscnt 0x0
	v_fmac_f64_e32 v[116:117], v[114:115], v[102:103]
	s_wait_loadcnt 0x5
	v_fmac_f64_e32 v[116:117], v[86:87], v[104:105]
	ds_load_2addr_b64 v[102:105], v82 offset0:69 offset1:70
	s_wait_dscnt 0x0
	v_fmac_f64_e32 v[116:117], v[88:89], v[102:103]
	ds_load_2addr_b64 v[86:89], v82 offset0:71 offset1:72
	s_wait_loadcnt 0x3
	v_fmac_f64_e32 v[116:117], v[90:91], v[104:105]
	s_wait_dscnt 0x0
	s_delay_alu instid0(VALU_DEP_1) | instskip(SKIP_1) | instid1(VALU_DEP_1)
	v_fmac_f64_e32 v[116:117], v[92:93], v[86:87]
	s_wait_loadcnt 0x2
	v_fmac_f64_e32 v[116:117], v[94:95], v[88:89]
	ds_load_2addr_b64 v[86:89], v82 offset0:73 offset1:74
	s_wait_dscnt 0x0
	v_fmac_f64_e32 v[116:117], v[96:97], v[86:87]
	s_wait_loadcnt 0x1
	s_delay_alu instid0(VALU_DEP_1) | instskip(SKIP_4) | instid1(VALU_DEP_1)
	v_fmac_f64_e32 v[116:117], v[98:99], v[88:89]
	ds_load_2addr_b64 v[86:89], v82 offset0:75 offset1:76
	s_wait_dscnt 0x0
	v_fmac_f64_e32 v[116:117], v[100:101], v[86:87]
	s_wait_loadcnt 0x0
	v_fmac_f64_e32 v[116:117], v[0:1], v[88:89]
	ds_load_2addr_b64 v[86:89], v82 offset0:77 offset1:78
	s_wait_dscnt 0x0
	v_fmac_f64_e32 v[116:117], v[2:3], v[86:87]
	s_delay_alu instid0(VALU_DEP_1) | instskip(NEXT) | instid1(VALU_DEP_1)
	v_fmac_f64_e32 v[116:117], v[106:107], v[88:89]
	v_add_f64_e64 v[82:83], v[84:85], -v[116:117]
	scratch_store_b64 off, v[82:83], off
	s_cbranch_vccz .LBB102_320
; %bb.244:
	v_mov_b32_e32 v0, 0
	global_load_b32 v1, v0, s[8:9] offset:148
	s_wait_loadcnt 0x0
	v_cmp_ne_u32_e32 vcc_lo, 38, v1
	s_cbranch_vccz .LBB102_246
; %bb.245:
	v_lshlrev_b32_e32 v1, 3, v1
	scratch_load_b64 v[82:83], v1, off offset:-8
	s_wait_loadcnt 0x0
	scratch_store_b64 off, v[82:83], off offset:296
	scratch_store_b64 v1, v[2:3], off offset:-8
.LBB102_246:
	global_load_b32 v0, v0, s[8:9] offset:144
	s_wait_loadcnt 0x0
	v_cmp_eq_u32_e32 vcc_lo, 37, v0
	s_cbranch_vccnz .LBB102_248
; %bb.247:
	s_wait_xcnt 0x0
	v_lshlrev_b32_e32 v0, 3, v0
	s_delay_alu instid0(VALU_DEP_1)
	v_mov_b32_e32 v82, v0
	scratch_load_b64 v[0:1], v82, off offset:-8
	scratch_load_b64 v[2:3], off, off offset:288
	s_wait_loadcnt 0x1
	scratch_store_b64 off, v[0:1], off offset:288
	s_wait_loadcnt 0x0
	scratch_store_b64 v82, v[2:3], off offset:-8
.LBB102_248:
	s_wait_xcnt 0x0
	v_mov_b32_e32 v0, 0
	global_load_b32 v1, v0, s[8:9] offset:140
	s_wait_loadcnt 0x0
	v_cmp_eq_u32_e32 vcc_lo, 36, v1
	s_cbranch_vccnz .LBB102_250
; %bb.249:
	v_lshlrev_b32_e32 v1, 3, v1
	scratch_load_b64 v[2:3], v1, off offset:-8
	scratch_load_b64 v[82:83], off, off offset:280
	s_wait_loadcnt 0x1
	scratch_store_b64 off, v[2:3], off offset:280
	s_wait_loadcnt 0x0
	scratch_store_b64 v1, v[82:83], off offset:-8
.LBB102_250:
	global_load_b32 v0, v0, s[8:9] offset:136
	s_wait_loadcnt 0x0
	v_cmp_eq_u32_e32 vcc_lo, 35, v0
	s_cbranch_vccnz .LBB102_252
; %bb.251:
	s_wait_xcnt 0x0
	v_lshlrev_b32_e32 v0, 3, v0
	s_delay_alu instid0(VALU_DEP_1)
	v_mov_b32_e32 v82, v0
	scratch_load_b64 v[0:1], v82, off offset:-8
	scratch_load_b64 v[2:3], off, off offset:272
	s_wait_loadcnt 0x1
	scratch_store_b64 off, v[0:1], off offset:272
	s_wait_loadcnt 0x0
	scratch_store_b64 v82, v[2:3], off offset:-8
.LBB102_252:
	s_wait_xcnt 0x0
	v_mov_b32_e32 v0, 0
	global_load_b32 v1, v0, s[8:9] offset:132
	s_wait_loadcnt 0x0
	v_cmp_eq_u32_e32 vcc_lo, 34, v1
	s_cbranch_vccnz .LBB102_254
; %bb.253:
	v_lshlrev_b32_e32 v1, 3, v1
	scratch_load_b64 v[2:3], v1, off offset:-8
	scratch_load_b64 v[82:83], off, off offset:264
	s_wait_loadcnt 0x1
	scratch_store_b64 off, v[2:3], off offset:264
	s_wait_loadcnt 0x0
	scratch_store_b64 v1, v[82:83], off offset:-8
.LBB102_254:
	;; [unrolled: 31-line block ×18, first 2 shown]
	global_load_b32 v0, v0, s[8:9]
	scratch_load_b64 v[82:83], off, off
	s_wait_loadcnt 0x1
	v_cmp_eq_u32_e32 vcc_lo, 1, v0
	s_cbranch_vccnz .LBB102_320
; %bb.319:
	s_wait_xcnt 0x1
	v_lshlrev_b32_e32 v0, 3, v0
	s_delay_alu instid0(VALU_DEP_1)
	v_mov_b32_e32 v2, v0
	scratch_load_b64 v[0:1], v2, off offset:-8
	s_wait_loadcnt 0x0
	scratch_store_b64 off, v[0:1], off
	scratch_store_b64 v2, v[82:83], off offset:-8
	scratch_load_b64 v[82:83], off, off
.LBB102_320:
	s_wait_loadcnt 0x0
	flat_store_b64 v[4:5], v[82:83]
	scratch_load_b64 v[4:5], off, off offset:8
	v_lshl_add_u64 v[116:117], v[8:9], 3, s[2:3]
	v_lshl_add_u64 v[114:115], v[10:11], 3, s[2:3]
	;; [unrolled: 1-line block ×37, first 2 shown]
	s_wait_loadcnt 0x0
	flat_store_b64 v[6:7], v[4:5]
	scratch_load_b64 v[4:5], off, off offset:16
	s_wait_loadcnt 0x0
	flat_store_b64 v[116:117], v[4:5]
	scratch_load_b64 v[4:5], off, off offset:24
	;; [unrolled: 3-line block ×37, first 2 shown]
	s_wait_loadcnt 0x0
	flat_store_b64 v[0:1], v[2:3]
	s_sendmsg sendmsg(MSG_DEALLOC_VGPRS)
	s_endpgm
	.section	.rodata,"a",@progbits
	.p2align	6, 0x0
	.amdhsa_kernel _ZN9rocsolver6v33100L18getri_kernel_smallILi39EdPKPdEEvT1_iilPiilS6_bb
		.amdhsa_group_segment_fixed_size 632
		.amdhsa_private_segment_fixed_size 320
		.amdhsa_kernarg_size 60
		.amdhsa_user_sgpr_count 2
		.amdhsa_user_sgpr_dispatch_ptr 0
		.amdhsa_user_sgpr_queue_ptr 0
		.amdhsa_user_sgpr_kernarg_segment_ptr 1
		.amdhsa_user_sgpr_dispatch_id 0
		.amdhsa_user_sgpr_kernarg_preload_length 0
		.amdhsa_user_sgpr_kernarg_preload_offset 0
		.amdhsa_user_sgpr_private_segment_size 0
		.amdhsa_wavefront_size32 1
		.amdhsa_uses_dynamic_stack 0
		.amdhsa_enable_private_segment 1
		.amdhsa_system_sgpr_workgroup_id_x 1
		.amdhsa_system_sgpr_workgroup_id_y 0
		.amdhsa_system_sgpr_workgroup_id_z 0
		.amdhsa_system_sgpr_workgroup_info 0
		.amdhsa_system_vgpr_workitem_id 0
		.amdhsa_next_free_vgpr 120
		.amdhsa_next_free_sgpr 19
		.amdhsa_named_barrier_count 0
		.amdhsa_reserve_vcc 1
		.amdhsa_float_round_mode_32 0
		.amdhsa_float_round_mode_16_64 0
		.amdhsa_float_denorm_mode_32 3
		.amdhsa_float_denorm_mode_16_64 3
		.amdhsa_fp16_overflow 0
		.amdhsa_memory_ordered 1
		.amdhsa_forward_progress 1
		.amdhsa_inst_pref_size 255
		.amdhsa_round_robin_scheduling 0
		.amdhsa_exception_fp_ieee_invalid_op 0
		.amdhsa_exception_fp_denorm_src 0
		.amdhsa_exception_fp_ieee_div_zero 0
		.amdhsa_exception_fp_ieee_overflow 0
		.amdhsa_exception_fp_ieee_underflow 0
		.amdhsa_exception_fp_ieee_inexact 0
		.amdhsa_exception_int_div_zero 0
	.end_amdhsa_kernel
	.section	.text._ZN9rocsolver6v33100L18getri_kernel_smallILi39EdPKPdEEvT1_iilPiilS6_bb,"axG",@progbits,_ZN9rocsolver6v33100L18getri_kernel_smallILi39EdPKPdEEvT1_iilPiilS6_bb,comdat
.Lfunc_end102:
	.size	_ZN9rocsolver6v33100L18getri_kernel_smallILi39EdPKPdEEvT1_iilPiilS6_bb, .Lfunc_end102-_ZN9rocsolver6v33100L18getri_kernel_smallILi39EdPKPdEEvT1_iilPiilS6_bb
                                        ; -- End function
	.set _ZN9rocsolver6v33100L18getri_kernel_smallILi39EdPKPdEEvT1_iilPiilS6_bb.num_vgpr, 120
	.set _ZN9rocsolver6v33100L18getri_kernel_smallILi39EdPKPdEEvT1_iilPiilS6_bb.num_agpr, 0
	.set _ZN9rocsolver6v33100L18getri_kernel_smallILi39EdPKPdEEvT1_iilPiilS6_bb.numbered_sgpr, 19
	.set _ZN9rocsolver6v33100L18getri_kernel_smallILi39EdPKPdEEvT1_iilPiilS6_bb.num_named_barrier, 0
	.set _ZN9rocsolver6v33100L18getri_kernel_smallILi39EdPKPdEEvT1_iilPiilS6_bb.private_seg_size, 320
	.set _ZN9rocsolver6v33100L18getri_kernel_smallILi39EdPKPdEEvT1_iilPiilS6_bb.uses_vcc, 1
	.set _ZN9rocsolver6v33100L18getri_kernel_smallILi39EdPKPdEEvT1_iilPiilS6_bb.uses_flat_scratch, 1
	.set _ZN9rocsolver6v33100L18getri_kernel_smallILi39EdPKPdEEvT1_iilPiilS6_bb.has_dyn_sized_stack, 0
	.set _ZN9rocsolver6v33100L18getri_kernel_smallILi39EdPKPdEEvT1_iilPiilS6_bb.has_recursion, 0
	.set _ZN9rocsolver6v33100L18getri_kernel_smallILi39EdPKPdEEvT1_iilPiilS6_bb.has_indirect_call, 0
	.section	.AMDGPU.csdata,"",@progbits
; Kernel info:
; codeLenInByte = 33656
; TotalNumSgprs: 21
; NumVgprs: 120
; ScratchSize: 320
; MemoryBound: 0
; FloatMode: 240
; IeeeMode: 1
; LDSByteSize: 632 bytes/workgroup (compile time only)
; SGPRBlocks: 0
; VGPRBlocks: 7
; NumSGPRsForWavesPerEU: 21
; NumVGPRsForWavesPerEU: 120
; NamedBarCnt: 0
; Occupancy: 8
; WaveLimiterHint : 1
; COMPUTE_PGM_RSRC2:SCRATCH_EN: 1
; COMPUTE_PGM_RSRC2:USER_SGPR: 2
; COMPUTE_PGM_RSRC2:TRAP_HANDLER: 0
; COMPUTE_PGM_RSRC2:TGID_X_EN: 1
; COMPUTE_PGM_RSRC2:TGID_Y_EN: 0
; COMPUTE_PGM_RSRC2:TGID_Z_EN: 0
; COMPUTE_PGM_RSRC2:TIDIG_COMP_CNT: 0
	.section	.text._ZN9rocsolver6v33100L18getri_kernel_smallILi40EdPKPdEEvT1_iilPiilS6_bb,"axG",@progbits,_ZN9rocsolver6v33100L18getri_kernel_smallILi40EdPKPdEEvT1_iilPiilS6_bb,comdat
	.globl	_ZN9rocsolver6v33100L18getri_kernel_smallILi40EdPKPdEEvT1_iilPiilS6_bb ; -- Begin function _ZN9rocsolver6v33100L18getri_kernel_smallILi40EdPKPdEEvT1_iilPiilS6_bb
	.p2align	8
	.type	_ZN9rocsolver6v33100L18getri_kernel_smallILi40EdPKPdEEvT1_iilPiilS6_bb,@function
_ZN9rocsolver6v33100L18getri_kernel_smallILi40EdPKPdEEvT1_iilPiilS6_bb: ; @_ZN9rocsolver6v33100L18getri_kernel_smallILi40EdPKPdEEvT1_iilPiilS6_bb
; %bb.0:
	s_mov_b32 s2, exec_lo
	v_cmpx_gt_u32_e32 40, v0
	s_cbranch_execz .LBB103_170
; %bb.1:
	s_clause 0x1
	s_load_b32 s13, s[0:1], 0x38
	s_load_b64 s[2:3], s[0:1], 0x0
	s_getreg_b32 s6, hwreg(HW_REG_IB_STS2, 6, 4)
	s_wait_kmcnt 0x0
	s_bitcmp1_b32 s13, 8
	s_cselect_b32 s12, -1, 0
	s_bfe_u32 s4, ttmp6, 0x4000c
	s_and_b32 s5, ttmp6, 15
	s_add_co_i32 s4, s4, 1
	s_delay_alu instid0(SALU_CYCLE_1) | instskip(NEXT) | instid1(SALU_CYCLE_1)
	s_mul_i32 s4, ttmp9, s4
	s_add_co_i32 s5, s5, s4
	s_cmp_eq_u32 s6, 0
	s_cselect_b32 s10, ttmp9, s5
	s_load_b128 s[4:7], s[0:1], 0x28
	s_ashr_i32 s11, s10, 31
	s_delay_alu instid0(SALU_CYCLE_1) | instskip(NEXT) | instid1(SALU_CYCLE_1)
	s_lshl_b64 s[8:9], s[10:11], 3
	s_add_nc_u64 s[2:3], s[2:3], s[8:9]
	s_bfe_u32 s8, s13, 0x10008
	s_load_b64 s[2:3], s[2:3], 0x0
	s_cmp_eq_u32 s8, 0
                                        ; implicit-def: $sgpr8_sgpr9
	s_cbranch_scc1 .LBB103_3
; %bb.2:
	s_load_b96 s[16:18], s[0:1], 0x18
	s_wait_kmcnt 0x0
	s_mul_u64 s[4:5], s[4:5], s[10:11]
	s_delay_alu instid0(SALU_CYCLE_1) | instskip(SKIP_4) | instid1(SALU_CYCLE_1)
	s_lshl_b64 s[4:5], s[4:5], 2
	s_ashr_i32 s9, s18, 31
	s_mov_b32 s8, s18
	s_add_nc_u64 s[4:5], s[16:17], s[4:5]
	s_lshl_b64 s[8:9], s[8:9], 2
	s_add_nc_u64 s[8:9], s[4:5], s[8:9]
.LBB103_3:
	s_wait_kmcnt 0x0
	s_clause 0x1
	s_load_b64 s[4:5], s[0:1], 0x8
	s_load_b32 s13, s[0:1], 0x38
	v_dual_mov_b32 v3, 0 :: v_dual_lshlrev_b32 v2, 3, v0
	s_wait_kmcnt 0x0
	s_ashr_i32 s1, s4, 31
	s_mov_b32 s0, s4
	s_delay_alu instid0(SALU_CYCLE_1) | instskip(NEXT) | instid1(SALU_CYCLE_1)
	s_lshl_b64 s[0:1], s[0:1], 3
	s_add_nc_u64 s[2:3], s[2:3], s[0:1]
	s_ashr_i32 s1, s5, 31
	flat_load_b64 v[8:9], v0, s[2:3] scale_offset
	v_add_nc_u64_e32 v[4:5], s[2:3], v[2:3]
	s_mov_b32 s0, s5
	s_bitcmp0_b32 s13, 0
	s_delay_alu instid0(VALU_DEP_1)
	v_lshl_add_u64 v[6:7], s[0:1], 3, v[4:5]
	s_mov_b32 s1, -1
	s_wait_loadcnt_dscnt 0x0
	scratch_store_b64 off, v[8:9], off
	flat_load_b64 v[10:11], v[6:7]
	s_wait_xcnt 0x1
	v_add3_u32 v8, s5, s5, v0
	s_wait_loadcnt_dscnt 0x0
	scratch_store_b64 off, v[10:11], off offset:8
	flat_load_b64 v[12:13], v8, s[2:3] scale_offset
	s_wait_xcnt 0x1
	v_add_nc_u32_e32 v10, s5, v8
	s_wait_loadcnt_dscnt 0x0
	scratch_store_b64 off, v[12:13], off offset:16
	flat_load_b64 v[14:15], v10, s[2:3] scale_offset
	s_wait_xcnt 0x1
	v_add_nc_u32_e32 v12, s5, v10
	;; [unrolled: 5-line block ×37, first 2 shown]
	s_wait_loadcnt_dscnt 0x0
	scratch_store_b64 off, v[84:85], off offset:304
	flat_load_b64 v[84:85], v82, s[2:3] scale_offset
	s_wait_loadcnt_dscnt 0x0
	scratch_store_b64 off, v[84:85], off offset:312
	s_cbranch_scc1 .LBB103_168
; %bb.4:
	v_cmp_eq_u32_e64 s0, 0, v0
	s_wait_xcnt 0x0
	s_and_saveexec_b32 s1, s0
; %bb.5:
	v_mov_b32_e32 v1, 0
	ds_store_b32 v1, v1 offset:640
; %bb.6:
	s_or_b32 exec_lo, exec_lo, s1
	s_wait_storecnt_dscnt 0x0
	s_barrier_signal -1
	s_barrier_wait -1
	scratch_load_b64 v[84:85], v0, off scale_offset
	s_mov_b32 s4, exec_lo
	s_wait_loadcnt 0x0
	v_cmpx_eq_f64_e32 0, v[84:85]
	s_cbranch_execz .LBB103_10
; %bb.7:
	v_mov_b32_e32 v1, 0
	s_mov_b32 s5, 0
	ds_load_b32 v3, v1 offset:640
	s_wait_dscnt 0x0
	v_readfirstlane_b32 s1, v3
	v_add_nc_u32_e32 v3, 1, v0
	s_cmp_eq_u32 s1, 0
	s_delay_alu instid0(VALU_DEP_1) | instskip(SKIP_1) | instid1(SALU_CYCLE_1)
	v_cmp_gt_i32_e32 vcc_lo, s1, v3
	s_cselect_b32 s13, -1, 0
	s_or_b32 s13, s13, vcc_lo
	s_delay_alu instid0(SALU_CYCLE_1)
	s_and_b32 exec_lo, exec_lo, s13
	s_cbranch_execz .LBB103_10
; %bb.8:
	v_mov_b32_e32 v9, s1
.LBB103_9:                              ; =>This Inner Loop Header: Depth=1
	ds_cmpstore_rtn_b32 v9, v1, v3, v9 offset:640
	s_wait_dscnt 0x0
	v_cmp_ne_u32_e32 vcc_lo, 0, v9
	v_cmp_le_i32_e64 s1, v9, v3
	s_and_b32 s1, vcc_lo, s1
	s_delay_alu instid0(SALU_CYCLE_1) | instskip(NEXT) | instid1(SALU_CYCLE_1)
	s_and_b32 s1, exec_lo, s1
	s_or_b32 s5, s1, s5
	s_delay_alu instid0(SALU_CYCLE_1)
	s_and_not1_b32 exec_lo, exec_lo, s5
	s_cbranch_execnz .LBB103_9
.LBB103_10:
	s_or_b32 exec_lo, exec_lo, s4
	v_mov_b32_e32 v1, 0
	s_barrier_signal -1
	s_barrier_wait -1
	ds_load_b32 v3, v1 offset:640
	s_and_saveexec_b32 s1, s0
	s_cbranch_execz .LBB103_12
; %bb.11:
	s_lshl_b64 s[4:5], s[10:11], 2
	s_delay_alu instid0(SALU_CYCLE_1)
	s_add_nc_u64 s[4:5], s[6:7], s[4:5]
	s_wait_dscnt 0x0
	global_store_b32 v1, v3, s[4:5]
.LBB103_12:
	s_wait_xcnt 0x0
	s_or_b32 exec_lo, exec_lo, s1
	s_wait_dscnt 0x0
	v_cmp_ne_u32_e32 vcc_lo, 0, v3
	s_mov_b32 s1, 0
	s_cbranch_vccnz .LBB103_168
; %bb.13:
	v_lshl_add_u32 v3, v0, 3, 0
	v_add_nc_u32_e32 v1, 0x140, v2
	scratch_load_b64 v[84:85], v3, off
	s_wait_loadcnt 0x0
	v_div_scale_f64 v[86:87], null, v[84:85], v[84:85], 1.0
	v_div_scale_f64 v[92:93], vcc_lo, 1.0, v[84:85], 1.0
	s_delay_alu instid0(VALU_DEP_2) | instskip(SKIP_1) | instid1(TRANS32_DEP_1)
	v_rcp_f64_e32 v[88:89], v[86:87]
	v_nop
	v_fma_f64 v[90:91], -v[86:87], v[88:89], 1.0
	s_delay_alu instid0(VALU_DEP_1) | instskip(NEXT) | instid1(VALU_DEP_1)
	v_fmac_f64_e32 v[88:89], v[88:89], v[90:91]
	v_fma_f64 v[90:91], -v[86:87], v[88:89], 1.0
	s_delay_alu instid0(VALU_DEP_1) | instskip(NEXT) | instid1(VALU_DEP_1)
	v_fmac_f64_e32 v[88:89], v[88:89], v[90:91]
	v_mul_f64_e32 v[90:91], v[92:93], v[88:89]
	s_delay_alu instid0(VALU_DEP_1) | instskip(NEXT) | instid1(VALU_DEP_1)
	v_fma_f64 v[86:87], -v[86:87], v[90:91], v[92:93]
	v_div_fmas_f64 v[86:87], v[86:87], v[88:89], v[90:91]
	s_delay_alu instid0(VALU_DEP_1)
	v_div_fixup_f64 v[84:85], v[86:87], v[84:85], 1.0
	scratch_store_b64 v3, v[84:85], off
	scratch_load_b64 v[86:87], off, off offset:8
	s_wait_xcnt 0x1
	v_xor_b32_e32 v85, 0x80000000, v85
	s_wait_loadcnt 0x0
	ds_store_2addr_b64 v2, v[84:85], v[86:87] offset1:40
	s_wait_storecnt_dscnt 0x0
	s_barrier_signal -1
	s_barrier_wait -1
	s_wait_xcnt 0x0
	s_and_saveexec_b32 s1, s0
	s_cbranch_execz .LBB103_15
; %bb.14:
	scratch_load_b64 v[84:85], v3, off
	ds_load_b64 v[86:87], v1
	s_wait_loadcnt_dscnt 0x0
	v_fma_f64 v[84:85], v[84:85], v[86:87], 0
	v_mov_b32_e32 v9, 0
	ds_load_b64 v[88:89], v9 offset:8
	s_wait_dscnt 0x0
	v_mul_f64_e32 v[84:85], v[84:85], v[88:89]
	scratch_store_b64 off, v[84:85], off offset:8
.LBB103_15:
	s_wait_xcnt 0x0
	s_or_b32 exec_lo, exec_lo, s1
	s_wait_storecnt 0x0
	s_barrier_signal -1
	s_barrier_wait -1
	scratch_load_b64 v[84:85], off, off offset:16
	s_mov_b32 s1, exec_lo
	s_wait_loadcnt 0x0
	ds_store_b64 v1, v[84:85]
	s_wait_dscnt 0x0
	s_barrier_signal -1
	s_barrier_wait -1
	v_cmpx_gt_u32_e32 2, v0
	s_cbranch_execz .LBB103_19
; %bb.16:
	scratch_load_b64 v[84:85], v3, off
	ds_load_b64 v[86:87], v1
	s_wait_loadcnt_dscnt 0x0
	v_fma_f64 v[84:85], v[84:85], v[86:87], 0
	s_and_saveexec_b32 s4, s0
	s_cbranch_execz .LBB103_18
; %bb.17:
	scratch_load_b64 v[86:87], off, off offset:8
	v_mov_b32_e32 v3, 0
	ds_load_b64 v[88:89], v3 offset:328
	s_wait_loadcnt_dscnt 0x0
	v_fmac_f64_e32 v[84:85], v[86:87], v[88:89]
.LBB103_18:
	s_or_b32 exec_lo, exec_lo, s4
	v_mov_b32_e32 v3, 0
	ds_load_b64 v[86:87], v3 offset:16
	s_wait_dscnt 0x0
	v_mul_f64_e32 v[84:85], v[84:85], v[86:87]
	scratch_store_b64 off, v[84:85], off offset:16
.LBB103_19:
	s_wait_xcnt 0x0
	s_or_b32 exec_lo, exec_lo, s1
	s_wait_storecnt 0x0
	s_barrier_signal -1
	s_barrier_wait -1
	scratch_load_b64 v[84:85], off, off offset:24
	v_add_nc_u32_e32 v3, -1, v0
	s_mov_b32 s0, exec_lo
	s_wait_loadcnt 0x0
	ds_store_b64 v1, v[84:85]
	s_wait_dscnt 0x0
	s_barrier_signal -1
	s_barrier_wait -1
	v_cmpx_gt_u32_e32 3, v0
	s_cbranch_execz .LBB103_23
; %bb.20:
	v_mov_b64_e32 v[84:85], 0
	v_dual_add_nc_u32 v9, -1, v0 :: v_dual_mov_b32 v13, v2
	v_add_nc_u32_e32 v11, 0x140, v2
	s_mov_b32 s1, 0
.LBB103_21:                             ; =>This Inner Loop Header: Depth=1
	scratch_load_b64 v[86:87], v13, off
	ds_load_b64 v[88:89], v11
	v_dual_add_nc_u32 v9, 1, v9 :: v_dual_add_nc_u32 v11, 8, v11
	s_wait_xcnt 0x0
	v_add_nc_u32_e32 v13, 8, v13
	s_delay_alu instid0(VALU_DEP_2)
	v_cmp_lt_u32_e32 vcc_lo, 1, v9
	s_or_b32 s1, vcc_lo, s1
	s_wait_loadcnt_dscnt 0x0
	v_fmac_f64_e32 v[84:85], v[86:87], v[88:89]
	s_and_not1_b32 exec_lo, exec_lo, s1
	s_cbranch_execnz .LBB103_21
; %bb.22:
	s_or_b32 exec_lo, exec_lo, s1
	v_mov_b32_e32 v9, 0
	ds_load_b64 v[86:87], v9 offset:24
	s_wait_dscnt 0x0
	v_mul_f64_e32 v[84:85], v[84:85], v[86:87]
	scratch_store_b64 off, v[84:85], off offset:24
.LBB103_23:
	s_wait_xcnt 0x0
	s_or_b32 exec_lo, exec_lo, s0
	s_wait_storecnt 0x0
	s_barrier_signal -1
	s_barrier_wait -1
	scratch_load_b64 v[84:85], off, off offset:32
	s_mov_b32 s0, exec_lo
	s_wait_loadcnt 0x0
	ds_store_b64 v1, v[84:85]
	s_wait_dscnt 0x0
	s_barrier_signal -1
	s_barrier_wait -1
	v_cmpx_gt_u32_e32 4, v0
	s_cbranch_execz .LBB103_27
; %bb.24:
	v_mov_b64_e32 v[84:85], 0
	v_dual_add_nc_u32 v9, -1, v0 :: v_dual_mov_b32 v13, v2
	v_add_nc_u32_e32 v11, 0x140, v2
	s_mov_b32 s1, 0
.LBB103_25:                             ; =>This Inner Loop Header: Depth=1
	scratch_load_b64 v[86:87], v13, off
	ds_load_b64 v[88:89], v11
	v_dual_add_nc_u32 v9, 1, v9 :: v_dual_add_nc_u32 v11, 8, v11
	s_wait_xcnt 0x0
	v_add_nc_u32_e32 v13, 8, v13
	s_delay_alu instid0(VALU_DEP_2)
	v_cmp_lt_u32_e32 vcc_lo, 2, v9
	s_or_b32 s1, vcc_lo, s1
	s_wait_loadcnt_dscnt 0x0
	v_fmac_f64_e32 v[84:85], v[86:87], v[88:89]
	s_and_not1_b32 exec_lo, exec_lo, s1
	s_cbranch_execnz .LBB103_25
; %bb.26:
	s_or_b32 exec_lo, exec_lo, s1
	v_mov_b32_e32 v9, 0
	ds_load_b64 v[86:87], v9 offset:32
	s_wait_dscnt 0x0
	v_mul_f64_e32 v[84:85], v[84:85], v[86:87]
	scratch_store_b64 off, v[84:85], off offset:32
.LBB103_27:
	s_wait_xcnt 0x0
	s_or_b32 exec_lo, exec_lo, s0
	s_wait_storecnt 0x0
	s_barrier_signal -1
	s_barrier_wait -1
	scratch_load_b64 v[84:85], off, off offset:40
	s_mov_b32 s0, exec_lo
	s_wait_loadcnt 0x0
	ds_store_b64 v1, v[84:85]
	s_wait_dscnt 0x0
	s_barrier_signal -1
	s_barrier_wait -1
	v_cmpx_gt_u32_e32 5, v0
	s_cbranch_execz .LBB103_31
; %bb.28:
	v_mov_b64_e32 v[84:85], 0
	v_dual_add_nc_u32 v9, -1, v0 :: v_dual_mov_b32 v13, v2
	v_add_nc_u32_e32 v11, 0x140, v2
	s_mov_b32 s1, 0
.LBB103_29:                             ; =>This Inner Loop Header: Depth=1
	scratch_load_b64 v[86:87], v13, off
	ds_load_b64 v[88:89], v11
	v_dual_add_nc_u32 v9, 1, v9 :: v_dual_add_nc_u32 v11, 8, v11
	s_wait_xcnt 0x0
	v_add_nc_u32_e32 v13, 8, v13
	s_delay_alu instid0(VALU_DEP_2)
	v_cmp_lt_u32_e32 vcc_lo, 3, v9
	s_or_b32 s1, vcc_lo, s1
	s_wait_loadcnt_dscnt 0x0
	v_fmac_f64_e32 v[84:85], v[86:87], v[88:89]
	s_and_not1_b32 exec_lo, exec_lo, s1
	s_cbranch_execnz .LBB103_29
; %bb.30:
	s_or_b32 exec_lo, exec_lo, s1
	v_mov_b32_e32 v9, 0
	ds_load_b64 v[86:87], v9 offset:40
	s_wait_dscnt 0x0
	v_mul_f64_e32 v[84:85], v[84:85], v[86:87]
	scratch_store_b64 off, v[84:85], off offset:40
.LBB103_31:
	s_wait_xcnt 0x0
	s_or_b32 exec_lo, exec_lo, s0
	s_wait_storecnt 0x0
	s_barrier_signal -1
	s_barrier_wait -1
	scratch_load_b64 v[84:85], off, off offset:48
	s_mov_b32 s0, exec_lo
	s_wait_loadcnt 0x0
	ds_store_b64 v1, v[84:85]
	s_wait_dscnt 0x0
	s_barrier_signal -1
	s_barrier_wait -1
	v_cmpx_gt_u32_e32 6, v0
	s_cbranch_execz .LBB103_35
; %bb.32:
	v_mov_b64_e32 v[84:85], 0
	v_dual_add_nc_u32 v9, -1, v0 :: v_dual_mov_b32 v13, v2
	v_add_nc_u32_e32 v11, 0x140, v2
	s_mov_b32 s1, 0
.LBB103_33:                             ; =>This Inner Loop Header: Depth=1
	scratch_load_b64 v[86:87], v13, off
	ds_load_b64 v[88:89], v11
	v_dual_add_nc_u32 v9, 1, v9 :: v_dual_add_nc_u32 v11, 8, v11
	s_wait_xcnt 0x0
	v_add_nc_u32_e32 v13, 8, v13
	s_delay_alu instid0(VALU_DEP_2)
	v_cmp_lt_u32_e32 vcc_lo, 4, v9
	s_or_b32 s1, vcc_lo, s1
	s_wait_loadcnt_dscnt 0x0
	v_fmac_f64_e32 v[84:85], v[86:87], v[88:89]
	s_and_not1_b32 exec_lo, exec_lo, s1
	s_cbranch_execnz .LBB103_33
; %bb.34:
	s_or_b32 exec_lo, exec_lo, s1
	v_mov_b32_e32 v9, 0
	ds_load_b64 v[86:87], v9 offset:48
	s_wait_dscnt 0x0
	v_mul_f64_e32 v[84:85], v[84:85], v[86:87]
	scratch_store_b64 off, v[84:85], off offset:48
.LBB103_35:
	s_wait_xcnt 0x0
	s_or_b32 exec_lo, exec_lo, s0
	s_wait_storecnt 0x0
	s_barrier_signal -1
	s_barrier_wait -1
	scratch_load_b64 v[84:85], off, off offset:56
	s_mov_b32 s0, exec_lo
	s_wait_loadcnt 0x0
	ds_store_b64 v1, v[84:85]
	s_wait_dscnt 0x0
	s_barrier_signal -1
	s_barrier_wait -1
	v_cmpx_gt_u32_e32 7, v0
	s_cbranch_execz .LBB103_39
; %bb.36:
	v_mov_b64_e32 v[84:85], 0
	v_dual_add_nc_u32 v9, -1, v0 :: v_dual_mov_b32 v13, v2
	v_add_nc_u32_e32 v11, 0x140, v2
	s_mov_b32 s1, 0
.LBB103_37:                             ; =>This Inner Loop Header: Depth=1
	scratch_load_b64 v[86:87], v13, off
	ds_load_b64 v[88:89], v11
	v_dual_add_nc_u32 v9, 1, v9 :: v_dual_add_nc_u32 v11, 8, v11
	s_wait_xcnt 0x0
	v_add_nc_u32_e32 v13, 8, v13
	s_delay_alu instid0(VALU_DEP_2)
	v_cmp_lt_u32_e32 vcc_lo, 5, v9
	s_or_b32 s1, vcc_lo, s1
	s_wait_loadcnt_dscnt 0x0
	v_fmac_f64_e32 v[84:85], v[86:87], v[88:89]
	s_and_not1_b32 exec_lo, exec_lo, s1
	s_cbranch_execnz .LBB103_37
; %bb.38:
	s_or_b32 exec_lo, exec_lo, s1
	v_mov_b32_e32 v9, 0
	ds_load_b64 v[86:87], v9 offset:56
	s_wait_dscnt 0x0
	v_mul_f64_e32 v[84:85], v[84:85], v[86:87]
	scratch_store_b64 off, v[84:85], off offset:56
.LBB103_39:
	s_wait_xcnt 0x0
	s_or_b32 exec_lo, exec_lo, s0
	s_wait_storecnt 0x0
	s_barrier_signal -1
	s_barrier_wait -1
	scratch_load_b64 v[84:85], off, off offset:64
	s_mov_b32 s0, exec_lo
	s_wait_loadcnt 0x0
	ds_store_b64 v1, v[84:85]
	s_wait_dscnt 0x0
	s_barrier_signal -1
	s_barrier_wait -1
	v_cmpx_gt_u32_e32 8, v0
	s_cbranch_execz .LBB103_43
; %bb.40:
	v_mov_b64_e32 v[84:85], 0
	v_dual_add_nc_u32 v9, -1, v0 :: v_dual_mov_b32 v13, v2
	v_add_nc_u32_e32 v11, 0x140, v2
	s_mov_b32 s1, 0
.LBB103_41:                             ; =>This Inner Loop Header: Depth=1
	scratch_load_b64 v[86:87], v13, off
	ds_load_b64 v[88:89], v11
	v_dual_add_nc_u32 v9, 1, v9 :: v_dual_add_nc_u32 v11, 8, v11
	s_wait_xcnt 0x0
	v_add_nc_u32_e32 v13, 8, v13
	s_delay_alu instid0(VALU_DEP_2)
	v_cmp_lt_u32_e32 vcc_lo, 6, v9
	s_or_b32 s1, vcc_lo, s1
	s_wait_loadcnt_dscnt 0x0
	v_fmac_f64_e32 v[84:85], v[86:87], v[88:89]
	s_and_not1_b32 exec_lo, exec_lo, s1
	s_cbranch_execnz .LBB103_41
; %bb.42:
	s_or_b32 exec_lo, exec_lo, s1
	v_mov_b32_e32 v9, 0
	ds_load_b64 v[86:87], v9 offset:64
	s_wait_dscnt 0x0
	v_mul_f64_e32 v[84:85], v[84:85], v[86:87]
	scratch_store_b64 off, v[84:85], off offset:64
.LBB103_43:
	s_wait_xcnt 0x0
	s_or_b32 exec_lo, exec_lo, s0
	s_wait_storecnt 0x0
	s_barrier_signal -1
	s_barrier_wait -1
	scratch_load_b64 v[84:85], off, off offset:72
	s_mov_b32 s0, exec_lo
	s_wait_loadcnt 0x0
	ds_store_b64 v1, v[84:85]
	s_wait_dscnt 0x0
	s_barrier_signal -1
	s_barrier_wait -1
	v_cmpx_gt_u32_e32 9, v0
	s_cbranch_execz .LBB103_47
; %bb.44:
	v_mov_b64_e32 v[84:85], 0
	v_dual_add_nc_u32 v9, -1, v0 :: v_dual_mov_b32 v13, v2
	v_add_nc_u32_e32 v11, 0x140, v2
	s_mov_b32 s1, 0
.LBB103_45:                             ; =>This Inner Loop Header: Depth=1
	scratch_load_b64 v[86:87], v13, off
	ds_load_b64 v[88:89], v11
	v_dual_add_nc_u32 v9, 1, v9 :: v_dual_add_nc_u32 v11, 8, v11
	s_wait_xcnt 0x0
	v_add_nc_u32_e32 v13, 8, v13
	s_delay_alu instid0(VALU_DEP_2)
	v_cmp_lt_u32_e32 vcc_lo, 7, v9
	s_or_b32 s1, vcc_lo, s1
	s_wait_loadcnt_dscnt 0x0
	v_fmac_f64_e32 v[84:85], v[86:87], v[88:89]
	s_and_not1_b32 exec_lo, exec_lo, s1
	s_cbranch_execnz .LBB103_45
; %bb.46:
	s_or_b32 exec_lo, exec_lo, s1
	v_mov_b32_e32 v9, 0
	ds_load_b64 v[86:87], v9 offset:72
	s_wait_dscnt 0x0
	v_mul_f64_e32 v[84:85], v[84:85], v[86:87]
	scratch_store_b64 off, v[84:85], off offset:72
.LBB103_47:
	s_wait_xcnt 0x0
	s_or_b32 exec_lo, exec_lo, s0
	s_wait_storecnt 0x0
	s_barrier_signal -1
	s_barrier_wait -1
	scratch_load_b64 v[84:85], off, off offset:80
	s_mov_b32 s0, exec_lo
	s_wait_loadcnt 0x0
	ds_store_b64 v1, v[84:85]
	s_wait_dscnt 0x0
	s_barrier_signal -1
	s_barrier_wait -1
	v_cmpx_gt_u32_e32 10, v0
	s_cbranch_execz .LBB103_51
; %bb.48:
	v_mov_b64_e32 v[84:85], 0
	v_dual_add_nc_u32 v9, -1, v0 :: v_dual_mov_b32 v13, v2
	v_add_nc_u32_e32 v11, 0x140, v2
	s_mov_b32 s1, 0
.LBB103_49:                             ; =>This Inner Loop Header: Depth=1
	scratch_load_b64 v[86:87], v13, off
	ds_load_b64 v[88:89], v11
	v_dual_add_nc_u32 v9, 1, v9 :: v_dual_add_nc_u32 v11, 8, v11
	s_wait_xcnt 0x0
	v_add_nc_u32_e32 v13, 8, v13
	s_delay_alu instid0(VALU_DEP_2)
	v_cmp_lt_u32_e32 vcc_lo, 8, v9
	s_or_b32 s1, vcc_lo, s1
	s_wait_loadcnt_dscnt 0x0
	v_fmac_f64_e32 v[84:85], v[86:87], v[88:89]
	s_and_not1_b32 exec_lo, exec_lo, s1
	s_cbranch_execnz .LBB103_49
; %bb.50:
	s_or_b32 exec_lo, exec_lo, s1
	v_mov_b32_e32 v9, 0
	ds_load_b64 v[86:87], v9 offset:80
	s_wait_dscnt 0x0
	v_mul_f64_e32 v[84:85], v[84:85], v[86:87]
	scratch_store_b64 off, v[84:85], off offset:80
.LBB103_51:
	s_wait_xcnt 0x0
	s_or_b32 exec_lo, exec_lo, s0
	s_wait_storecnt 0x0
	s_barrier_signal -1
	s_barrier_wait -1
	scratch_load_b64 v[84:85], off, off offset:88
	s_mov_b32 s0, exec_lo
	s_wait_loadcnt 0x0
	ds_store_b64 v1, v[84:85]
	s_wait_dscnt 0x0
	s_barrier_signal -1
	s_barrier_wait -1
	v_cmpx_gt_u32_e32 11, v0
	s_cbranch_execz .LBB103_55
; %bb.52:
	v_mov_b64_e32 v[84:85], 0
	v_dual_add_nc_u32 v9, -1, v0 :: v_dual_mov_b32 v13, v2
	v_add_nc_u32_e32 v11, 0x140, v2
	s_mov_b32 s1, 0
.LBB103_53:                             ; =>This Inner Loop Header: Depth=1
	scratch_load_b64 v[86:87], v13, off
	ds_load_b64 v[88:89], v11
	v_dual_add_nc_u32 v9, 1, v9 :: v_dual_add_nc_u32 v11, 8, v11
	s_wait_xcnt 0x0
	v_add_nc_u32_e32 v13, 8, v13
	s_delay_alu instid0(VALU_DEP_2)
	v_cmp_lt_u32_e32 vcc_lo, 9, v9
	s_or_b32 s1, vcc_lo, s1
	s_wait_loadcnt_dscnt 0x0
	v_fmac_f64_e32 v[84:85], v[86:87], v[88:89]
	s_and_not1_b32 exec_lo, exec_lo, s1
	s_cbranch_execnz .LBB103_53
; %bb.54:
	s_or_b32 exec_lo, exec_lo, s1
	v_mov_b32_e32 v9, 0
	ds_load_b64 v[86:87], v9 offset:88
	s_wait_dscnt 0x0
	v_mul_f64_e32 v[84:85], v[84:85], v[86:87]
	scratch_store_b64 off, v[84:85], off offset:88
.LBB103_55:
	s_wait_xcnt 0x0
	s_or_b32 exec_lo, exec_lo, s0
	s_wait_storecnt 0x0
	s_barrier_signal -1
	s_barrier_wait -1
	scratch_load_b64 v[84:85], off, off offset:96
	s_mov_b32 s0, exec_lo
	s_wait_loadcnt 0x0
	ds_store_b64 v1, v[84:85]
	s_wait_dscnt 0x0
	s_barrier_signal -1
	s_barrier_wait -1
	v_cmpx_gt_u32_e32 12, v0
	s_cbranch_execz .LBB103_59
; %bb.56:
	v_mov_b64_e32 v[84:85], 0
	v_dual_add_nc_u32 v9, -1, v0 :: v_dual_mov_b32 v13, v2
	v_add_nc_u32_e32 v11, 0x140, v2
	s_mov_b32 s1, 0
.LBB103_57:                             ; =>This Inner Loop Header: Depth=1
	scratch_load_b64 v[86:87], v13, off
	ds_load_b64 v[88:89], v11
	v_dual_add_nc_u32 v9, 1, v9 :: v_dual_add_nc_u32 v11, 8, v11
	s_wait_xcnt 0x0
	v_add_nc_u32_e32 v13, 8, v13
	s_delay_alu instid0(VALU_DEP_2)
	v_cmp_lt_u32_e32 vcc_lo, 10, v9
	s_or_b32 s1, vcc_lo, s1
	s_wait_loadcnt_dscnt 0x0
	v_fmac_f64_e32 v[84:85], v[86:87], v[88:89]
	s_and_not1_b32 exec_lo, exec_lo, s1
	s_cbranch_execnz .LBB103_57
; %bb.58:
	s_or_b32 exec_lo, exec_lo, s1
	v_mov_b32_e32 v9, 0
	ds_load_b64 v[86:87], v9 offset:96
	s_wait_dscnt 0x0
	v_mul_f64_e32 v[84:85], v[84:85], v[86:87]
	scratch_store_b64 off, v[84:85], off offset:96
.LBB103_59:
	s_wait_xcnt 0x0
	s_or_b32 exec_lo, exec_lo, s0
	s_wait_storecnt 0x0
	s_barrier_signal -1
	s_barrier_wait -1
	scratch_load_b64 v[84:85], off, off offset:104
	s_mov_b32 s0, exec_lo
	s_wait_loadcnt 0x0
	ds_store_b64 v1, v[84:85]
	s_wait_dscnt 0x0
	s_barrier_signal -1
	s_barrier_wait -1
	v_cmpx_gt_u32_e32 13, v0
	s_cbranch_execz .LBB103_63
; %bb.60:
	v_mov_b64_e32 v[84:85], 0
	v_dual_add_nc_u32 v9, -1, v0 :: v_dual_mov_b32 v13, v2
	v_add_nc_u32_e32 v11, 0x140, v2
	s_mov_b32 s1, 0
.LBB103_61:                             ; =>This Inner Loop Header: Depth=1
	scratch_load_b64 v[86:87], v13, off
	ds_load_b64 v[88:89], v11
	v_dual_add_nc_u32 v9, 1, v9 :: v_dual_add_nc_u32 v11, 8, v11
	s_wait_xcnt 0x0
	v_add_nc_u32_e32 v13, 8, v13
	s_delay_alu instid0(VALU_DEP_2)
	v_cmp_lt_u32_e32 vcc_lo, 11, v9
	s_or_b32 s1, vcc_lo, s1
	s_wait_loadcnt_dscnt 0x0
	v_fmac_f64_e32 v[84:85], v[86:87], v[88:89]
	s_and_not1_b32 exec_lo, exec_lo, s1
	s_cbranch_execnz .LBB103_61
; %bb.62:
	s_or_b32 exec_lo, exec_lo, s1
	v_mov_b32_e32 v9, 0
	ds_load_b64 v[86:87], v9 offset:104
	s_wait_dscnt 0x0
	v_mul_f64_e32 v[84:85], v[84:85], v[86:87]
	scratch_store_b64 off, v[84:85], off offset:104
.LBB103_63:
	s_wait_xcnt 0x0
	s_or_b32 exec_lo, exec_lo, s0
	s_wait_storecnt 0x0
	s_barrier_signal -1
	s_barrier_wait -1
	scratch_load_b64 v[84:85], off, off offset:112
	s_mov_b32 s0, exec_lo
	s_wait_loadcnt 0x0
	ds_store_b64 v1, v[84:85]
	s_wait_dscnt 0x0
	s_barrier_signal -1
	s_barrier_wait -1
	v_cmpx_gt_u32_e32 14, v0
	s_cbranch_execz .LBB103_67
; %bb.64:
	v_mov_b64_e32 v[84:85], 0
	v_dual_add_nc_u32 v9, -1, v0 :: v_dual_mov_b32 v13, v2
	v_add_nc_u32_e32 v11, 0x140, v2
	s_mov_b32 s1, 0
.LBB103_65:                             ; =>This Inner Loop Header: Depth=1
	scratch_load_b64 v[86:87], v13, off
	ds_load_b64 v[88:89], v11
	v_dual_add_nc_u32 v9, 1, v9 :: v_dual_add_nc_u32 v11, 8, v11
	s_wait_xcnt 0x0
	v_add_nc_u32_e32 v13, 8, v13
	s_delay_alu instid0(VALU_DEP_2)
	v_cmp_lt_u32_e32 vcc_lo, 12, v9
	s_or_b32 s1, vcc_lo, s1
	s_wait_loadcnt_dscnt 0x0
	v_fmac_f64_e32 v[84:85], v[86:87], v[88:89]
	s_and_not1_b32 exec_lo, exec_lo, s1
	s_cbranch_execnz .LBB103_65
; %bb.66:
	s_or_b32 exec_lo, exec_lo, s1
	v_mov_b32_e32 v9, 0
	ds_load_b64 v[86:87], v9 offset:112
	s_wait_dscnt 0x0
	v_mul_f64_e32 v[84:85], v[84:85], v[86:87]
	scratch_store_b64 off, v[84:85], off offset:112
.LBB103_67:
	s_wait_xcnt 0x0
	s_or_b32 exec_lo, exec_lo, s0
	s_wait_storecnt 0x0
	s_barrier_signal -1
	s_barrier_wait -1
	scratch_load_b64 v[84:85], off, off offset:120
	s_mov_b32 s0, exec_lo
	s_wait_loadcnt 0x0
	ds_store_b64 v1, v[84:85]
	s_wait_dscnt 0x0
	s_barrier_signal -1
	s_barrier_wait -1
	v_cmpx_gt_u32_e32 15, v0
	s_cbranch_execz .LBB103_71
; %bb.68:
	v_mov_b64_e32 v[84:85], 0
	v_dual_add_nc_u32 v9, -1, v0 :: v_dual_mov_b32 v13, v2
	v_add_nc_u32_e32 v11, 0x140, v2
	s_mov_b32 s1, 0
.LBB103_69:                             ; =>This Inner Loop Header: Depth=1
	scratch_load_b64 v[86:87], v13, off
	ds_load_b64 v[88:89], v11
	v_dual_add_nc_u32 v9, 1, v9 :: v_dual_add_nc_u32 v11, 8, v11
	s_wait_xcnt 0x0
	v_add_nc_u32_e32 v13, 8, v13
	s_delay_alu instid0(VALU_DEP_2)
	v_cmp_lt_u32_e32 vcc_lo, 13, v9
	s_or_b32 s1, vcc_lo, s1
	s_wait_loadcnt_dscnt 0x0
	v_fmac_f64_e32 v[84:85], v[86:87], v[88:89]
	s_and_not1_b32 exec_lo, exec_lo, s1
	s_cbranch_execnz .LBB103_69
; %bb.70:
	s_or_b32 exec_lo, exec_lo, s1
	v_mov_b32_e32 v9, 0
	ds_load_b64 v[86:87], v9 offset:120
	s_wait_dscnt 0x0
	v_mul_f64_e32 v[84:85], v[84:85], v[86:87]
	scratch_store_b64 off, v[84:85], off offset:120
.LBB103_71:
	s_wait_xcnt 0x0
	s_or_b32 exec_lo, exec_lo, s0
	s_wait_storecnt 0x0
	s_barrier_signal -1
	s_barrier_wait -1
	scratch_load_b64 v[84:85], off, off offset:128
	s_mov_b32 s0, exec_lo
	s_wait_loadcnt 0x0
	ds_store_b64 v1, v[84:85]
	s_wait_dscnt 0x0
	s_barrier_signal -1
	s_barrier_wait -1
	v_cmpx_gt_u32_e32 16, v0
	s_cbranch_execz .LBB103_75
; %bb.72:
	v_mov_b64_e32 v[84:85], 0
	v_dual_add_nc_u32 v9, -1, v0 :: v_dual_mov_b32 v13, v2
	v_add_nc_u32_e32 v11, 0x140, v2
	s_mov_b32 s1, 0
.LBB103_73:                             ; =>This Inner Loop Header: Depth=1
	scratch_load_b64 v[86:87], v13, off
	ds_load_b64 v[88:89], v11
	v_dual_add_nc_u32 v9, 1, v9 :: v_dual_add_nc_u32 v11, 8, v11
	s_wait_xcnt 0x0
	v_add_nc_u32_e32 v13, 8, v13
	s_delay_alu instid0(VALU_DEP_2)
	v_cmp_lt_u32_e32 vcc_lo, 14, v9
	s_or_b32 s1, vcc_lo, s1
	s_wait_loadcnt_dscnt 0x0
	v_fmac_f64_e32 v[84:85], v[86:87], v[88:89]
	s_and_not1_b32 exec_lo, exec_lo, s1
	s_cbranch_execnz .LBB103_73
; %bb.74:
	s_or_b32 exec_lo, exec_lo, s1
	v_mov_b32_e32 v9, 0
	ds_load_b64 v[86:87], v9 offset:128
	s_wait_dscnt 0x0
	v_mul_f64_e32 v[84:85], v[84:85], v[86:87]
	scratch_store_b64 off, v[84:85], off offset:128
.LBB103_75:
	s_wait_xcnt 0x0
	s_or_b32 exec_lo, exec_lo, s0
	s_wait_storecnt 0x0
	s_barrier_signal -1
	s_barrier_wait -1
	scratch_load_b64 v[84:85], off, off offset:136
	s_mov_b32 s0, exec_lo
	s_wait_loadcnt 0x0
	ds_store_b64 v1, v[84:85]
	s_wait_dscnt 0x0
	s_barrier_signal -1
	s_barrier_wait -1
	v_cmpx_gt_u32_e32 17, v0
	s_cbranch_execz .LBB103_79
; %bb.76:
	v_mov_b64_e32 v[84:85], 0
	v_dual_add_nc_u32 v9, -1, v0 :: v_dual_mov_b32 v13, v2
	v_add_nc_u32_e32 v11, 0x140, v2
	s_mov_b32 s1, 0
.LBB103_77:                             ; =>This Inner Loop Header: Depth=1
	scratch_load_b64 v[86:87], v13, off
	ds_load_b64 v[88:89], v11
	v_dual_add_nc_u32 v9, 1, v9 :: v_dual_add_nc_u32 v11, 8, v11
	s_wait_xcnt 0x0
	v_add_nc_u32_e32 v13, 8, v13
	s_delay_alu instid0(VALU_DEP_2)
	v_cmp_lt_u32_e32 vcc_lo, 15, v9
	s_or_b32 s1, vcc_lo, s1
	s_wait_loadcnt_dscnt 0x0
	v_fmac_f64_e32 v[84:85], v[86:87], v[88:89]
	s_and_not1_b32 exec_lo, exec_lo, s1
	s_cbranch_execnz .LBB103_77
; %bb.78:
	s_or_b32 exec_lo, exec_lo, s1
	v_mov_b32_e32 v9, 0
	ds_load_b64 v[86:87], v9 offset:136
	s_wait_dscnt 0x0
	v_mul_f64_e32 v[84:85], v[84:85], v[86:87]
	scratch_store_b64 off, v[84:85], off offset:136
.LBB103_79:
	s_wait_xcnt 0x0
	s_or_b32 exec_lo, exec_lo, s0
	s_wait_storecnt 0x0
	s_barrier_signal -1
	s_barrier_wait -1
	scratch_load_b64 v[84:85], off, off offset:144
	s_mov_b32 s0, exec_lo
	s_wait_loadcnt 0x0
	ds_store_b64 v1, v[84:85]
	s_wait_dscnt 0x0
	s_barrier_signal -1
	s_barrier_wait -1
	v_cmpx_gt_u32_e32 18, v0
	s_cbranch_execz .LBB103_83
; %bb.80:
	v_mov_b64_e32 v[84:85], 0
	v_dual_add_nc_u32 v9, -1, v0 :: v_dual_mov_b32 v13, v2
	v_add_nc_u32_e32 v11, 0x140, v2
	s_mov_b32 s1, 0
.LBB103_81:                             ; =>This Inner Loop Header: Depth=1
	scratch_load_b64 v[86:87], v13, off
	ds_load_b64 v[88:89], v11
	v_dual_add_nc_u32 v9, 1, v9 :: v_dual_add_nc_u32 v11, 8, v11
	s_wait_xcnt 0x0
	v_add_nc_u32_e32 v13, 8, v13
	s_delay_alu instid0(VALU_DEP_2)
	v_cmp_lt_u32_e32 vcc_lo, 16, v9
	s_or_b32 s1, vcc_lo, s1
	s_wait_loadcnt_dscnt 0x0
	v_fmac_f64_e32 v[84:85], v[86:87], v[88:89]
	s_and_not1_b32 exec_lo, exec_lo, s1
	s_cbranch_execnz .LBB103_81
; %bb.82:
	s_or_b32 exec_lo, exec_lo, s1
	v_mov_b32_e32 v9, 0
	ds_load_b64 v[86:87], v9 offset:144
	s_wait_dscnt 0x0
	v_mul_f64_e32 v[84:85], v[84:85], v[86:87]
	scratch_store_b64 off, v[84:85], off offset:144
.LBB103_83:
	s_wait_xcnt 0x0
	s_or_b32 exec_lo, exec_lo, s0
	s_wait_storecnt 0x0
	s_barrier_signal -1
	s_barrier_wait -1
	scratch_load_b64 v[84:85], off, off offset:152
	s_mov_b32 s0, exec_lo
	s_wait_loadcnt 0x0
	ds_store_b64 v1, v[84:85]
	s_wait_dscnt 0x0
	s_barrier_signal -1
	s_barrier_wait -1
	v_cmpx_gt_u32_e32 19, v0
	s_cbranch_execz .LBB103_87
; %bb.84:
	v_mov_b64_e32 v[84:85], 0
	v_dual_add_nc_u32 v9, -1, v0 :: v_dual_mov_b32 v13, v2
	v_add_nc_u32_e32 v11, 0x140, v2
	s_mov_b32 s1, 0
.LBB103_85:                             ; =>This Inner Loop Header: Depth=1
	scratch_load_b64 v[86:87], v13, off
	ds_load_b64 v[88:89], v11
	v_dual_add_nc_u32 v9, 1, v9 :: v_dual_add_nc_u32 v11, 8, v11
	s_wait_xcnt 0x0
	v_add_nc_u32_e32 v13, 8, v13
	s_delay_alu instid0(VALU_DEP_2)
	v_cmp_lt_u32_e32 vcc_lo, 17, v9
	s_or_b32 s1, vcc_lo, s1
	s_wait_loadcnt_dscnt 0x0
	v_fmac_f64_e32 v[84:85], v[86:87], v[88:89]
	s_and_not1_b32 exec_lo, exec_lo, s1
	s_cbranch_execnz .LBB103_85
; %bb.86:
	s_or_b32 exec_lo, exec_lo, s1
	v_mov_b32_e32 v9, 0
	ds_load_b64 v[86:87], v9 offset:152
	s_wait_dscnt 0x0
	v_mul_f64_e32 v[84:85], v[84:85], v[86:87]
	scratch_store_b64 off, v[84:85], off offset:152
.LBB103_87:
	s_wait_xcnt 0x0
	s_or_b32 exec_lo, exec_lo, s0
	s_wait_storecnt 0x0
	s_barrier_signal -1
	s_barrier_wait -1
	scratch_load_b64 v[84:85], off, off offset:160
	s_mov_b32 s0, exec_lo
	s_wait_loadcnt 0x0
	ds_store_b64 v1, v[84:85]
	s_wait_dscnt 0x0
	s_barrier_signal -1
	s_barrier_wait -1
	v_cmpx_gt_u32_e32 20, v0
	s_cbranch_execz .LBB103_91
; %bb.88:
	v_mov_b64_e32 v[84:85], 0
	v_dual_add_nc_u32 v9, -1, v0 :: v_dual_mov_b32 v13, v2
	v_add_nc_u32_e32 v11, 0x140, v2
	s_mov_b32 s1, 0
.LBB103_89:                             ; =>This Inner Loop Header: Depth=1
	scratch_load_b64 v[86:87], v13, off
	ds_load_b64 v[88:89], v11
	v_dual_add_nc_u32 v9, 1, v9 :: v_dual_add_nc_u32 v11, 8, v11
	s_wait_xcnt 0x0
	v_add_nc_u32_e32 v13, 8, v13
	s_delay_alu instid0(VALU_DEP_2)
	v_cmp_lt_u32_e32 vcc_lo, 18, v9
	s_or_b32 s1, vcc_lo, s1
	s_wait_loadcnt_dscnt 0x0
	v_fmac_f64_e32 v[84:85], v[86:87], v[88:89]
	s_and_not1_b32 exec_lo, exec_lo, s1
	s_cbranch_execnz .LBB103_89
; %bb.90:
	s_or_b32 exec_lo, exec_lo, s1
	v_mov_b32_e32 v9, 0
	ds_load_b64 v[86:87], v9 offset:160
	s_wait_dscnt 0x0
	v_mul_f64_e32 v[84:85], v[84:85], v[86:87]
	scratch_store_b64 off, v[84:85], off offset:160
.LBB103_91:
	s_wait_xcnt 0x0
	s_or_b32 exec_lo, exec_lo, s0
	s_wait_storecnt 0x0
	s_barrier_signal -1
	s_barrier_wait -1
	scratch_load_b64 v[84:85], off, off offset:168
	s_mov_b32 s0, exec_lo
	s_wait_loadcnt 0x0
	ds_store_b64 v1, v[84:85]
	s_wait_dscnt 0x0
	s_barrier_signal -1
	s_barrier_wait -1
	v_cmpx_gt_u32_e32 21, v0
	s_cbranch_execz .LBB103_95
; %bb.92:
	v_mov_b64_e32 v[84:85], 0
	v_dual_add_nc_u32 v9, -1, v0 :: v_dual_mov_b32 v13, v2
	v_add_nc_u32_e32 v11, 0x140, v2
	s_mov_b32 s1, 0
.LBB103_93:                             ; =>This Inner Loop Header: Depth=1
	scratch_load_b64 v[86:87], v13, off
	ds_load_b64 v[88:89], v11
	v_dual_add_nc_u32 v9, 1, v9 :: v_dual_add_nc_u32 v11, 8, v11
	s_wait_xcnt 0x0
	v_add_nc_u32_e32 v13, 8, v13
	s_delay_alu instid0(VALU_DEP_2)
	v_cmp_lt_u32_e32 vcc_lo, 19, v9
	s_or_b32 s1, vcc_lo, s1
	s_wait_loadcnt_dscnt 0x0
	v_fmac_f64_e32 v[84:85], v[86:87], v[88:89]
	s_and_not1_b32 exec_lo, exec_lo, s1
	s_cbranch_execnz .LBB103_93
; %bb.94:
	s_or_b32 exec_lo, exec_lo, s1
	v_mov_b32_e32 v9, 0
	ds_load_b64 v[86:87], v9 offset:168
	s_wait_dscnt 0x0
	v_mul_f64_e32 v[84:85], v[84:85], v[86:87]
	scratch_store_b64 off, v[84:85], off offset:168
.LBB103_95:
	s_wait_xcnt 0x0
	s_or_b32 exec_lo, exec_lo, s0
	s_wait_storecnt 0x0
	s_barrier_signal -1
	s_barrier_wait -1
	scratch_load_b64 v[84:85], off, off offset:176
	s_mov_b32 s0, exec_lo
	s_wait_loadcnt 0x0
	ds_store_b64 v1, v[84:85]
	s_wait_dscnt 0x0
	s_barrier_signal -1
	s_barrier_wait -1
	v_cmpx_gt_u32_e32 22, v0
	s_cbranch_execz .LBB103_99
; %bb.96:
	v_mov_b64_e32 v[84:85], 0
	v_dual_add_nc_u32 v9, -1, v0 :: v_dual_mov_b32 v13, v2
	v_add_nc_u32_e32 v11, 0x140, v2
	s_mov_b32 s1, 0
.LBB103_97:                             ; =>This Inner Loop Header: Depth=1
	scratch_load_b64 v[86:87], v13, off
	ds_load_b64 v[88:89], v11
	v_dual_add_nc_u32 v9, 1, v9 :: v_dual_add_nc_u32 v11, 8, v11
	s_wait_xcnt 0x0
	v_add_nc_u32_e32 v13, 8, v13
	s_delay_alu instid0(VALU_DEP_2)
	v_cmp_lt_u32_e32 vcc_lo, 20, v9
	s_or_b32 s1, vcc_lo, s1
	s_wait_loadcnt_dscnt 0x0
	v_fmac_f64_e32 v[84:85], v[86:87], v[88:89]
	s_and_not1_b32 exec_lo, exec_lo, s1
	s_cbranch_execnz .LBB103_97
; %bb.98:
	s_or_b32 exec_lo, exec_lo, s1
	v_mov_b32_e32 v9, 0
	ds_load_b64 v[86:87], v9 offset:176
	s_wait_dscnt 0x0
	v_mul_f64_e32 v[84:85], v[84:85], v[86:87]
	scratch_store_b64 off, v[84:85], off offset:176
.LBB103_99:
	s_wait_xcnt 0x0
	s_or_b32 exec_lo, exec_lo, s0
	s_wait_storecnt 0x0
	s_barrier_signal -1
	s_barrier_wait -1
	scratch_load_b64 v[84:85], off, off offset:184
	s_mov_b32 s0, exec_lo
	s_wait_loadcnt 0x0
	ds_store_b64 v1, v[84:85]
	s_wait_dscnt 0x0
	s_barrier_signal -1
	s_barrier_wait -1
	v_cmpx_gt_u32_e32 23, v0
	s_cbranch_execz .LBB103_103
; %bb.100:
	v_mov_b64_e32 v[84:85], 0
	v_dual_add_nc_u32 v9, -1, v0 :: v_dual_mov_b32 v13, v2
	v_add_nc_u32_e32 v11, 0x140, v2
	s_mov_b32 s1, 0
.LBB103_101:                            ; =>This Inner Loop Header: Depth=1
	scratch_load_b64 v[86:87], v13, off
	ds_load_b64 v[88:89], v11
	v_dual_add_nc_u32 v9, 1, v9 :: v_dual_add_nc_u32 v11, 8, v11
	s_wait_xcnt 0x0
	v_add_nc_u32_e32 v13, 8, v13
	s_delay_alu instid0(VALU_DEP_2)
	v_cmp_lt_u32_e32 vcc_lo, 21, v9
	s_or_b32 s1, vcc_lo, s1
	s_wait_loadcnt_dscnt 0x0
	v_fmac_f64_e32 v[84:85], v[86:87], v[88:89]
	s_and_not1_b32 exec_lo, exec_lo, s1
	s_cbranch_execnz .LBB103_101
; %bb.102:
	s_or_b32 exec_lo, exec_lo, s1
	v_mov_b32_e32 v9, 0
	ds_load_b64 v[86:87], v9 offset:184
	s_wait_dscnt 0x0
	v_mul_f64_e32 v[84:85], v[84:85], v[86:87]
	scratch_store_b64 off, v[84:85], off offset:184
.LBB103_103:
	s_wait_xcnt 0x0
	s_or_b32 exec_lo, exec_lo, s0
	s_wait_storecnt 0x0
	s_barrier_signal -1
	s_barrier_wait -1
	scratch_load_b64 v[84:85], off, off offset:192
	s_mov_b32 s0, exec_lo
	s_wait_loadcnt 0x0
	ds_store_b64 v1, v[84:85]
	s_wait_dscnt 0x0
	s_barrier_signal -1
	s_barrier_wait -1
	v_cmpx_gt_u32_e32 24, v0
	s_cbranch_execz .LBB103_107
; %bb.104:
	v_mov_b64_e32 v[84:85], 0
	v_dual_add_nc_u32 v9, -1, v0 :: v_dual_mov_b32 v13, v2
	v_add_nc_u32_e32 v11, 0x140, v2
	s_mov_b32 s1, 0
.LBB103_105:                            ; =>This Inner Loop Header: Depth=1
	scratch_load_b64 v[86:87], v13, off
	ds_load_b64 v[88:89], v11
	v_dual_add_nc_u32 v9, 1, v9 :: v_dual_add_nc_u32 v11, 8, v11
	s_wait_xcnt 0x0
	v_add_nc_u32_e32 v13, 8, v13
	s_delay_alu instid0(VALU_DEP_2)
	v_cmp_lt_u32_e32 vcc_lo, 22, v9
	s_or_b32 s1, vcc_lo, s1
	s_wait_loadcnt_dscnt 0x0
	v_fmac_f64_e32 v[84:85], v[86:87], v[88:89]
	s_and_not1_b32 exec_lo, exec_lo, s1
	s_cbranch_execnz .LBB103_105
; %bb.106:
	s_or_b32 exec_lo, exec_lo, s1
	v_mov_b32_e32 v9, 0
	ds_load_b64 v[86:87], v9 offset:192
	s_wait_dscnt 0x0
	v_mul_f64_e32 v[84:85], v[84:85], v[86:87]
	scratch_store_b64 off, v[84:85], off offset:192
.LBB103_107:
	s_wait_xcnt 0x0
	s_or_b32 exec_lo, exec_lo, s0
	s_wait_storecnt 0x0
	s_barrier_signal -1
	s_barrier_wait -1
	scratch_load_b64 v[84:85], off, off offset:200
	;; [unrolled: 40-line block ×16, first 2 shown]
	s_mov_b32 s0, exec_lo
	s_wait_loadcnt 0x0
	ds_store_b64 v1, v[84:85]
	s_wait_dscnt 0x0
	s_barrier_signal -1
	s_barrier_wait -1
	v_cmpx_ne_u32_e32 39, v0
	s_cbranch_execz .LBB103_167
; %bb.164:
	v_mov_b64_e32 v[84:85], 0
	s_mov_b32 s1, 0
.LBB103_165:                            ; =>This Inner Loop Header: Depth=1
	scratch_load_b64 v[86:87], v2, off
	ds_load_b64 v[88:89], v1
	v_dual_add_nc_u32 v3, 1, v3 :: v_dual_add_nc_u32 v1, 8, v1
	s_wait_xcnt 0x0
	v_add_nc_u32_e32 v2, 8, v2
	s_delay_alu instid0(VALU_DEP_2)
	v_cmp_lt_u32_e32 vcc_lo, 37, v3
	s_or_b32 s1, vcc_lo, s1
	s_wait_loadcnt_dscnt 0x0
	v_fmac_f64_e32 v[84:85], v[86:87], v[88:89]
	s_and_not1_b32 exec_lo, exec_lo, s1
	s_cbranch_execnz .LBB103_165
; %bb.166:
	s_or_b32 exec_lo, exec_lo, s1
	v_mov_b32_e32 v1, 0
	ds_load_b64 v[2:3], v1 offset:312
	s_wait_dscnt 0x0
	v_mul_f64_e32 v[2:3], v[84:85], v[2:3]
	scratch_store_b64 off, v[2:3], off offset:312
.LBB103_167:
	s_wait_xcnt 0x0
	s_or_b32 exec_lo, exec_lo, s0
	s_mov_b32 s1, -1
	s_wait_storecnt 0x0
	s_barrier_signal -1
	s_barrier_wait -1
.LBB103_168:
	s_and_b32 vcc_lo, exec_lo, s1
	s_cbranch_vccz .LBB103_170
; %bb.169:
	v_mov_b32_e32 v1, 0
	s_lshl_b64 s[0:1], s[10:11], 2
	s_delay_alu instid0(SALU_CYCLE_1)
	s_add_nc_u64 s[0:1], s[6:7], s[0:1]
	global_load_b32 v1, v1, s[0:1]
	s_wait_loadcnt 0x0
	v_cmp_ne_u32_e32 vcc_lo, 0, v1
	s_cbranch_vccz .LBB103_171
.LBB103_170:
	s_sendmsg sendmsg(MSG_DEALLOC_VGPRS)
	s_endpgm
.LBB103_171:
	s_wait_xcnt 0x0
	v_lshl_add_u32 v1, v0, 3, 0x140
	s_mov_b32 s0, exec_lo
	v_cmpx_eq_u32_e32 39, v0
	s_cbranch_execz .LBB103_173
; %bb.172:
	scratch_load_b64 v[2:3], off, off offset:304
	v_mov_b64_e32 v[84:85], 0
	scratch_store_b64 off, v[84:85], off offset:304
	s_wait_loadcnt 0x0
	ds_store_b64 v1, v[2:3]
.LBB103_173:
	s_wait_xcnt 0x0
	s_or_b32 exec_lo, exec_lo, s0
	s_wait_storecnt_dscnt 0x0
	s_barrier_signal -1
	s_barrier_wait -1
	scratch_load_b128 v[84:87], off, off offset:304
	v_mov_b32_e32 v2, 0
	s_mov_b32 s0, exec_lo
	ds_load_b64 v[88:89], v2 offset:632
	s_wait_loadcnt_dscnt 0x0
	v_fma_f64 v[86:87], v[86:87], v[88:89], 0
	s_delay_alu instid0(VALU_DEP_1)
	v_add_f64_e64 v[84:85], v[84:85], -v[86:87]
	scratch_store_b64 off, v[84:85], off offset:304
	s_wait_xcnt 0x0
	v_cmpx_lt_u32_e32 37, v0
	s_cbranch_execz .LBB103_175
; %bb.174:
	scratch_load_b64 v[84:85], off, off offset:296
	v_mov_b64_e32 v[86:87], 0
	scratch_store_b64 off, v[86:87], off offset:296
	s_wait_loadcnt 0x0
	ds_store_b64 v1, v[84:85]
.LBB103_175:
	s_wait_xcnt 0x0
	s_or_b32 exec_lo, exec_lo, s0
	s_wait_storecnt_dscnt 0x0
	s_barrier_signal -1
	s_barrier_wait -1
	s_clause 0x1
	scratch_load_b128 v[84:87], off, off offset:296
	scratch_load_b64 v[92:93], off, off offset:312
	ds_load_b128 v[88:91], v2 offset:624
	s_mov_b32 s0, exec_lo
	s_wait_loadcnt_dscnt 0x100
	v_fma_f64 v[2:3], v[86:87], v[88:89], 0
	s_wait_loadcnt 0x0
	s_delay_alu instid0(VALU_DEP_1) | instskip(NEXT) | instid1(VALU_DEP_1)
	v_fmac_f64_e32 v[2:3], v[92:93], v[90:91]
	v_add_f64_e64 v[2:3], v[84:85], -v[2:3]
	scratch_store_b64 off, v[2:3], off offset:296
	s_wait_xcnt 0x0
	v_cmpx_lt_u32_e32 36, v0
	s_cbranch_execz .LBB103_177
; %bb.176:
	scratch_load_b64 v[2:3], off, off offset:288
	v_mov_b64_e32 v[84:85], 0
	scratch_store_b64 off, v[84:85], off offset:288
	s_wait_loadcnt 0x0
	ds_store_b64 v1, v[2:3]
.LBB103_177:
	s_wait_xcnt 0x0
	s_or_b32 exec_lo, exec_lo, s0
	s_wait_storecnt_dscnt 0x0
	s_barrier_signal -1
	s_barrier_wait -1
	s_clause 0x1
	scratch_load_b128 v[84:87], off, off offset:288
	scratch_load_b128 v[88:91], off, off offset:304
	v_mov_b32_e32 v2, 0
	ds_load_2addr_b64 v[92:95], v2 offset0:77 offset1:78
	ds_load_b64 v[96:97], v2 offset:632
	s_mov_b32 s0, exec_lo
	s_wait_loadcnt_dscnt 0x101
	v_fma_f64 v[86:87], v[86:87], v[92:93], 0
	s_wait_loadcnt 0x0
	s_delay_alu instid0(VALU_DEP_1) | instskip(SKIP_1) | instid1(VALU_DEP_1)
	v_fmac_f64_e32 v[86:87], v[88:89], v[94:95]
	s_wait_dscnt 0x0
	v_fmac_f64_e32 v[86:87], v[90:91], v[96:97]
	s_delay_alu instid0(VALU_DEP_1)
	v_add_f64_e64 v[84:85], v[84:85], -v[86:87]
	scratch_store_b64 off, v[84:85], off offset:288
	s_wait_xcnt 0x0
	v_cmpx_lt_u32_e32 35, v0
	s_cbranch_execz .LBB103_179
; %bb.178:
	scratch_load_b64 v[84:85], off, off offset:280
	v_mov_b64_e32 v[86:87], 0
	scratch_store_b64 off, v[86:87], off offset:280
	s_wait_loadcnt 0x0
	ds_store_b64 v1, v[84:85]
.LBB103_179:
	s_wait_xcnt 0x0
	s_or_b32 exec_lo, exec_lo, s0
	s_wait_storecnt_dscnt 0x0
	s_barrier_signal -1
	s_barrier_wait -1
	s_clause 0x2
	scratch_load_b128 v[84:87], off, off offset:280
	scratch_load_b128 v[88:91], off, off offset:296
	scratch_load_b64 v[100:101], off, off offset:312
	ds_load_b128 v[92:95], v2 offset:608
	ds_load_b128 v[96:99], v2 offset:624
	s_mov_b32 s0, exec_lo
	s_wait_loadcnt_dscnt 0x201
	v_fma_f64 v[2:3], v[86:87], v[92:93], 0
	s_wait_loadcnt 0x1
	s_delay_alu instid0(VALU_DEP_1) | instskip(SKIP_1) | instid1(VALU_DEP_1)
	v_fmac_f64_e32 v[2:3], v[88:89], v[94:95]
	s_wait_dscnt 0x0
	v_fmac_f64_e32 v[2:3], v[90:91], v[96:97]
	s_wait_loadcnt 0x0
	s_delay_alu instid0(VALU_DEP_1) | instskip(NEXT) | instid1(VALU_DEP_1)
	v_fmac_f64_e32 v[2:3], v[100:101], v[98:99]
	v_add_f64_e64 v[2:3], v[84:85], -v[2:3]
	scratch_store_b64 off, v[2:3], off offset:280
	s_wait_xcnt 0x0
	v_cmpx_lt_u32_e32 34, v0
	s_cbranch_execz .LBB103_181
; %bb.180:
	scratch_load_b64 v[2:3], off, off offset:272
	v_mov_b64_e32 v[84:85], 0
	scratch_store_b64 off, v[84:85], off offset:272
	s_wait_loadcnt 0x0
	ds_store_b64 v1, v[2:3]
.LBB103_181:
	s_wait_xcnt 0x0
	s_or_b32 exec_lo, exec_lo, s0
	s_wait_storecnt_dscnt 0x0
	s_barrier_signal -1
	s_barrier_wait -1
	s_clause 0x2
	scratch_load_b128 v[84:87], off, off offset:272
	scratch_load_b128 v[88:91], off, off offset:288
	;; [unrolled: 1-line block ×3, first 2 shown]
	v_mov_b32_e32 v2, 0
	ds_load_2addr_b64 v[96:99], v2 offset0:75 offset1:76
	ds_load_2addr_b64 v[100:103], v2 offset0:77 offset1:78
	s_mov_b32 s0, exec_lo
	s_wait_loadcnt_dscnt 0x201
	v_fma_f64 v[86:87], v[86:87], v[96:97], 0
	s_wait_loadcnt 0x1
	s_delay_alu instid0(VALU_DEP_1) | instskip(SKIP_4) | instid1(VALU_DEP_1)
	v_fmac_f64_e32 v[86:87], v[88:89], v[98:99]
	ds_load_b64 v[88:89], v2 offset:632
	s_wait_dscnt 0x1
	v_fmac_f64_e32 v[86:87], v[90:91], v[100:101]
	s_wait_loadcnt 0x0
	v_fmac_f64_e32 v[86:87], v[92:93], v[102:103]
	s_wait_dscnt 0x0
	s_delay_alu instid0(VALU_DEP_1) | instskip(NEXT) | instid1(VALU_DEP_1)
	v_fmac_f64_e32 v[86:87], v[94:95], v[88:89]
	v_add_f64_e64 v[84:85], v[84:85], -v[86:87]
	scratch_store_b64 off, v[84:85], off offset:272
	s_wait_xcnt 0x0
	v_cmpx_lt_u32_e32 33, v0
	s_cbranch_execz .LBB103_183
; %bb.182:
	scratch_load_b64 v[84:85], off, off offset:264
	v_mov_b64_e32 v[86:87], 0
	scratch_store_b64 off, v[86:87], off offset:264
	s_wait_loadcnt 0x0
	ds_store_b64 v1, v[84:85]
.LBB103_183:
	s_wait_xcnt 0x0
	s_or_b32 exec_lo, exec_lo, s0
	s_wait_storecnt_dscnt 0x0
	s_barrier_signal -1
	s_barrier_wait -1
	s_clause 0x3
	scratch_load_b128 v[84:87], off, off offset:264
	scratch_load_b128 v[88:91], off, off offset:280
	;; [unrolled: 1-line block ×3, first 2 shown]
	scratch_load_b64 v[104:105], off, off offset:312
	ds_load_b128 v[96:99], v2 offset:592
	ds_load_b128 v[100:103], v2 offset:608
	s_mov_b32 s0, exec_lo
	s_wait_loadcnt_dscnt 0x301
	v_fma_f64 v[96:97], v[86:87], v[96:97], 0
	s_wait_loadcnt 0x2
	s_delay_alu instid0(VALU_DEP_1) | instskip(SKIP_4) | instid1(VALU_DEP_1)
	v_fmac_f64_e32 v[96:97], v[88:89], v[98:99]
	ds_load_b128 v[86:89], v2 offset:624
	s_wait_dscnt 0x1
	v_fmac_f64_e32 v[96:97], v[90:91], v[100:101]
	s_wait_loadcnt 0x1
	v_fmac_f64_e32 v[96:97], v[92:93], v[102:103]
	s_wait_dscnt 0x0
	s_delay_alu instid0(VALU_DEP_1) | instskip(SKIP_1) | instid1(VALU_DEP_1)
	v_fmac_f64_e32 v[96:97], v[94:95], v[86:87]
	s_wait_loadcnt 0x0
	v_fmac_f64_e32 v[96:97], v[104:105], v[88:89]
	s_delay_alu instid0(VALU_DEP_1)
	v_add_f64_e64 v[2:3], v[84:85], -v[96:97]
	scratch_store_b64 off, v[2:3], off offset:264
	s_wait_xcnt 0x0
	v_cmpx_lt_u32_e32 32, v0
	s_cbranch_execz .LBB103_185
; %bb.184:
	scratch_load_b64 v[2:3], off, off offset:256
	v_mov_b64_e32 v[84:85], 0
	scratch_store_b64 off, v[84:85], off offset:256
	s_wait_loadcnt 0x0
	ds_store_b64 v1, v[2:3]
.LBB103_185:
	s_wait_xcnt 0x0
	s_or_b32 exec_lo, exec_lo, s0
	s_wait_storecnt_dscnt 0x0
	s_barrier_signal -1
	s_barrier_wait -1
	s_clause 0x3
	scratch_load_b128 v[84:87], off, off offset:256
	scratch_load_b128 v[88:91], off, off offset:272
	;; [unrolled: 1-line block ×4, first 2 shown]
	v_mov_b32_e32 v2, 0
	ds_load_2addr_b64 v[100:103], v2 offset0:73 offset1:74
	ds_load_2addr_b64 v[104:107], v2 offset0:75 offset1:76
	s_mov_b32 s0, exec_lo
	s_wait_loadcnt_dscnt 0x301
	v_fma_f64 v[100:101], v[86:87], v[100:101], 0
	s_wait_loadcnt 0x2
	s_delay_alu instid0(VALU_DEP_1) | instskip(SKIP_1) | instid1(VALU_DEP_1)
	v_fmac_f64_e32 v[100:101], v[88:89], v[102:103]
	s_wait_dscnt 0x0
	v_fmac_f64_e32 v[100:101], v[90:91], v[104:105]
	ds_load_2addr_b64 v[86:89], v2 offset0:77 offset1:78
	ds_load_b64 v[90:91], v2 offset:632
	s_wait_loadcnt 0x1
	v_fmac_f64_e32 v[100:101], v[92:93], v[106:107]
	s_wait_dscnt 0x1
	s_delay_alu instid0(VALU_DEP_1) | instskip(SKIP_1) | instid1(VALU_DEP_1)
	v_fmac_f64_e32 v[100:101], v[94:95], v[86:87]
	s_wait_loadcnt 0x0
	v_fmac_f64_e32 v[100:101], v[96:97], v[88:89]
	s_wait_dscnt 0x0
	s_delay_alu instid0(VALU_DEP_1) | instskip(NEXT) | instid1(VALU_DEP_1)
	v_fmac_f64_e32 v[100:101], v[98:99], v[90:91]
	v_add_f64_e64 v[84:85], v[84:85], -v[100:101]
	scratch_store_b64 off, v[84:85], off offset:256
	s_wait_xcnt 0x0
	v_cmpx_lt_u32_e32 31, v0
	s_cbranch_execz .LBB103_187
; %bb.186:
	scratch_load_b64 v[84:85], off, off offset:248
	v_mov_b64_e32 v[86:87], 0
	scratch_store_b64 off, v[86:87], off offset:248
	s_wait_loadcnt 0x0
	ds_store_b64 v1, v[84:85]
.LBB103_187:
	s_wait_xcnt 0x0
	s_or_b32 exec_lo, exec_lo, s0
	s_wait_storecnt_dscnt 0x0
	s_barrier_signal -1
	s_barrier_wait -1
	s_clause 0x4
	scratch_load_b128 v[84:87], off, off offset:248
	scratch_load_b128 v[88:91], off, off offset:264
	;; [unrolled: 1-line block ×4, first 2 shown]
	scratch_load_b64 v[108:109], off, off offset:312
	ds_load_b128 v[100:103], v2 offset:576
	ds_load_b128 v[104:107], v2 offset:592
	s_mov_b32 s0, exec_lo
	s_wait_loadcnt_dscnt 0x401
	v_fma_f64 v[100:101], v[86:87], v[100:101], 0
	s_wait_loadcnt 0x3
	s_delay_alu instid0(VALU_DEP_1) | instskip(SKIP_1) | instid1(VALU_DEP_1)
	v_fmac_f64_e32 v[100:101], v[88:89], v[102:103]
	s_wait_dscnt 0x0
	v_fmac_f64_e32 v[100:101], v[90:91], v[104:105]
	s_wait_loadcnt 0x2
	s_delay_alu instid0(VALU_DEP_1)
	v_fmac_f64_e32 v[100:101], v[92:93], v[106:107]
	ds_load_b128 v[86:89], v2 offset:608
	ds_load_b128 v[90:93], v2 offset:624
	s_wait_dscnt 0x1
	v_fmac_f64_e32 v[100:101], v[94:95], v[86:87]
	s_wait_loadcnt 0x1
	s_delay_alu instid0(VALU_DEP_1) | instskip(SKIP_1) | instid1(VALU_DEP_1)
	v_fmac_f64_e32 v[100:101], v[96:97], v[88:89]
	s_wait_dscnt 0x0
	v_fmac_f64_e32 v[100:101], v[98:99], v[90:91]
	s_wait_loadcnt 0x0
	s_delay_alu instid0(VALU_DEP_1) | instskip(NEXT) | instid1(VALU_DEP_1)
	v_fmac_f64_e32 v[100:101], v[108:109], v[92:93]
	v_add_f64_e64 v[2:3], v[84:85], -v[100:101]
	scratch_store_b64 off, v[2:3], off offset:248
	s_wait_xcnt 0x0
	v_cmpx_lt_u32_e32 30, v0
	s_cbranch_execz .LBB103_189
; %bb.188:
	scratch_load_b64 v[2:3], off, off offset:240
	v_mov_b64_e32 v[84:85], 0
	scratch_store_b64 off, v[84:85], off offset:240
	s_wait_loadcnt 0x0
	ds_store_b64 v1, v[2:3]
.LBB103_189:
	s_wait_xcnt 0x0
	s_or_b32 exec_lo, exec_lo, s0
	s_wait_storecnt_dscnt 0x0
	s_barrier_signal -1
	s_barrier_wait -1
	s_clause 0x4
	scratch_load_b128 v[84:87], off, off offset:240
	scratch_load_b128 v[88:91], off, off offset:256
	;; [unrolled: 1-line block ×5, first 2 shown]
	v_mov_b32_e32 v2, 0
	ds_load_2addr_b64 v[104:107], v2 offset0:71 offset1:72
	ds_load_2addr_b64 v[108:111], v2 offset0:73 offset1:74
	s_mov_b32 s0, exec_lo
	s_wait_loadcnt_dscnt 0x401
	v_fma_f64 v[104:105], v[86:87], v[104:105], 0
	s_wait_loadcnt 0x3
	s_delay_alu instid0(VALU_DEP_1) | instskip(SKIP_1) | instid1(VALU_DEP_1)
	v_fmac_f64_e32 v[104:105], v[88:89], v[106:107]
	s_wait_dscnt 0x0
	v_fmac_f64_e32 v[104:105], v[90:91], v[108:109]
	s_wait_loadcnt 0x2
	s_delay_alu instid0(VALU_DEP_1)
	v_fmac_f64_e32 v[104:105], v[92:93], v[110:111]
	ds_load_2addr_b64 v[86:89], v2 offset0:75 offset1:76
	ds_load_2addr_b64 v[90:93], v2 offset0:77 offset1:78
	s_wait_dscnt 0x1
	v_fmac_f64_e32 v[104:105], v[94:95], v[86:87]
	ds_load_b64 v[86:87], v2 offset:632
	s_wait_loadcnt 0x1
	v_fmac_f64_e32 v[104:105], v[96:97], v[88:89]
	s_wait_dscnt 0x1
	s_delay_alu instid0(VALU_DEP_1) | instskip(SKIP_1) | instid1(VALU_DEP_1)
	v_fmac_f64_e32 v[104:105], v[98:99], v[90:91]
	s_wait_loadcnt 0x0
	v_fmac_f64_e32 v[104:105], v[100:101], v[92:93]
	s_wait_dscnt 0x0
	s_delay_alu instid0(VALU_DEP_1) | instskip(NEXT) | instid1(VALU_DEP_1)
	v_fmac_f64_e32 v[104:105], v[102:103], v[86:87]
	v_add_f64_e64 v[84:85], v[84:85], -v[104:105]
	scratch_store_b64 off, v[84:85], off offset:240
	s_wait_xcnt 0x0
	v_cmpx_lt_u32_e32 29, v0
	s_cbranch_execz .LBB103_191
; %bb.190:
	scratch_load_b64 v[84:85], off, off offset:232
	v_mov_b64_e32 v[86:87], 0
	scratch_store_b64 off, v[86:87], off offset:232
	s_wait_loadcnt 0x0
	ds_store_b64 v1, v[84:85]
.LBB103_191:
	s_wait_xcnt 0x0
	s_or_b32 exec_lo, exec_lo, s0
	s_wait_storecnt_dscnt 0x0
	s_barrier_signal -1
	s_barrier_wait -1
	s_clause 0x5
	scratch_load_b128 v[84:87], off, off offset:232
	scratch_load_b128 v[88:91], off, off offset:248
	;; [unrolled: 1-line block ×5, first 2 shown]
	scratch_load_b64 v[112:113], off, off offset:312
	ds_load_b128 v[104:107], v2 offset:560
	ds_load_b128 v[108:111], v2 offset:576
	s_mov_b32 s0, exec_lo
	s_wait_loadcnt_dscnt 0x501
	v_fma_f64 v[104:105], v[86:87], v[104:105], 0
	s_wait_loadcnt 0x4
	s_delay_alu instid0(VALU_DEP_1) | instskip(SKIP_1) | instid1(VALU_DEP_1)
	v_fmac_f64_e32 v[104:105], v[88:89], v[106:107]
	s_wait_dscnt 0x0
	v_fmac_f64_e32 v[104:105], v[90:91], v[108:109]
	s_wait_loadcnt 0x3
	s_delay_alu instid0(VALU_DEP_1)
	v_fmac_f64_e32 v[104:105], v[92:93], v[110:111]
	ds_load_b128 v[86:89], v2 offset:592
	ds_load_b128 v[90:93], v2 offset:608
	s_wait_dscnt 0x1
	v_fmac_f64_e32 v[104:105], v[94:95], v[86:87]
	s_wait_loadcnt 0x2
	s_delay_alu instid0(VALU_DEP_1) | instskip(SKIP_4) | instid1(VALU_DEP_1)
	v_fmac_f64_e32 v[104:105], v[96:97], v[88:89]
	ds_load_b128 v[86:89], v2 offset:624
	s_wait_dscnt 0x1
	v_fmac_f64_e32 v[104:105], v[98:99], v[90:91]
	s_wait_loadcnt 0x1
	v_fmac_f64_e32 v[104:105], v[100:101], v[92:93]
	s_wait_dscnt 0x0
	s_delay_alu instid0(VALU_DEP_1) | instskip(SKIP_1) | instid1(VALU_DEP_1)
	v_fmac_f64_e32 v[104:105], v[102:103], v[86:87]
	s_wait_loadcnt 0x0
	v_fmac_f64_e32 v[104:105], v[112:113], v[88:89]
	s_delay_alu instid0(VALU_DEP_1)
	v_add_f64_e64 v[2:3], v[84:85], -v[104:105]
	scratch_store_b64 off, v[2:3], off offset:232
	s_wait_xcnt 0x0
	v_cmpx_lt_u32_e32 28, v0
	s_cbranch_execz .LBB103_193
; %bb.192:
	scratch_load_b64 v[2:3], off, off offset:224
	v_mov_b64_e32 v[84:85], 0
	scratch_store_b64 off, v[84:85], off offset:224
	s_wait_loadcnt 0x0
	ds_store_b64 v1, v[2:3]
.LBB103_193:
	s_wait_xcnt 0x0
	s_or_b32 exec_lo, exec_lo, s0
	s_wait_storecnt_dscnt 0x0
	s_barrier_signal -1
	s_barrier_wait -1
	s_clause 0x5
	scratch_load_b128 v[84:87], off, off offset:224
	scratch_load_b128 v[88:91], off, off offset:240
	;; [unrolled: 1-line block ×6, first 2 shown]
	v_mov_b32_e32 v2, 0
	ds_load_2addr_b64 v[108:111], v2 offset0:69 offset1:70
	ds_load_2addr_b64 v[112:115], v2 offset0:71 offset1:72
	s_mov_b32 s0, exec_lo
	s_wait_loadcnt_dscnt 0x501
	v_fma_f64 v[108:109], v[86:87], v[108:109], 0
	s_wait_loadcnt 0x4
	s_delay_alu instid0(VALU_DEP_1) | instskip(SKIP_1) | instid1(VALU_DEP_1)
	v_fmac_f64_e32 v[108:109], v[88:89], v[110:111]
	s_wait_dscnt 0x0
	v_fmac_f64_e32 v[108:109], v[90:91], v[112:113]
	s_wait_loadcnt 0x3
	s_delay_alu instid0(VALU_DEP_1)
	v_fmac_f64_e32 v[108:109], v[92:93], v[114:115]
	ds_load_2addr_b64 v[86:89], v2 offset0:73 offset1:74
	ds_load_2addr_b64 v[90:93], v2 offset0:75 offset1:76
	s_wait_dscnt 0x1
	v_fmac_f64_e32 v[108:109], v[94:95], v[86:87]
	s_wait_loadcnt 0x2
	s_delay_alu instid0(VALU_DEP_1) | instskip(SKIP_1) | instid1(VALU_DEP_1)
	v_fmac_f64_e32 v[108:109], v[96:97], v[88:89]
	s_wait_dscnt 0x0
	v_fmac_f64_e32 v[108:109], v[98:99], v[90:91]
	ds_load_2addr_b64 v[86:89], v2 offset0:77 offset1:78
	ds_load_b64 v[90:91], v2 offset:632
	s_wait_loadcnt 0x1
	v_fmac_f64_e32 v[108:109], v[100:101], v[92:93]
	s_wait_dscnt 0x1
	s_delay_alu instid0(VALU_DEP_1) | instskip(SKIP_1) | instid1(VALU_DEP_1)
	v_fmac_f64_e32 v[108:109], v[102:103], v[86:87]
	s_wait_loadcnt 0x0
	v_fmac_f64_e32 v[108:109], v[104:105], v[88:89]
	s_wait_dscnt 0x0
	s_delay_alu instid0(VALU_DEP_1) | instskip(NEXT) | instid1(VALU_DEP_1)
	v_fmac_f64_e32 v[108:109], v[106:107], v[90:91]
	v_add_f64_e64 v[84:85], v[84:85], -v[108:109]
	scratch_store_b64 off, v[84:85], off offset:224
	s_wait_xcnt 0x0
	v_cmpx_lt_u32_e32 27, v0
	s_cbranch_execz .LBB103_195
; %bb.194:
	scratch_load_b64 v[84:85], off, off offset:216
	v_mov_b64_e32 v[86:87], 0
	scratch_store_b64 off, v[86:87], off offset:216
	s_wait_loadcnt 0x0
	ds_store_b64 v1, v[84:85]
.LBB103_195:
	s_wait_xcnt 0x0
	s_or_b32 exec_lo, exec_lo, s0
	s_wait_storecnt_dscnt 0x0
	s_barrier_signal -1
	s_barrier_wait -1
	s_clause 0x5
	scratch_load_b128 v[84:87], off, off offset:216
	scratch_load_b128 v[88:91], off, off offset:232
	;; [unrolled: 1-line block ×6, first 2 shown]
	ds_load_b128 v[108:111], v2 offset:544
	ds_load_b128 v[112:115], v2 offset:560
	s_mov_b32 s0, exec_lo
	s_wait_loadcnt_dscnt 0x501
	v_fma_f64 v[108:109], v[86:87], v[108:109], 0
	s_wait_loadcnt 0x4
	s_delay_alu instid0(VALU_DEP_1) | instskip(SKIP_4) | instid1(VALU_DEP_1)
	v_fmac_f64_e32 v[108:109], v[88:89], v[110:111]
	scratch_load_b64 v[110:111], off, off offset:312
	s_wait_dscnt 0x0
	v_fmac_f64_e32 v[108:109], v[90:91], v[112:113]
	s_wait_loadcnt 0x4
	v_fmac_f64_e32 v[108:109], v[92:93], v[114:115]
	ds_load_b128 v[86:89], v2 offset:576
	ds_load_b128 v[90:93], v2 offset:592
	s_wait_dscnt 0x1
	v_fmac_f64_e32 v[108:109], v[94:95], v[86:87]
	s_wait_loadcnt 0x3
	s_delay_alu instid0(VALU_DEP_1) | instskip(SKIP_1) | instid1(VALU_DEP_1)
	v_fmac_f64_e32 v[108:109], v[96:97], v[88:89]
	s_wait_dscnt 0x0
	v_fmac_f64_e32 v[108:109], v[98:99], v[90:91]
	s_wait_loadcnt 0x2
	s_delay_alu instid0(VALU_DEP_1)
	v_fmac_f64_e32 v[108:109], v[100:101], v[92:93]
	ds_load_b128 v[86:89], v2 offset:608
	ds_load_b128 v[90:93], v2 offset:624
	s_wait_dscnt 0x1
	v_fmac_f64_e32 v[108:109], v[102:103], v[86:87]
	s_wait_loadcnt 0x1
	s_delay_alu instid0(VALU_DEP_1) | instskip(SKIP_1) | instid1(VALU_DEP_1)
	v_fmac_f64_e32 v[108:109], v[104:105], v[88:89]
	s_wait_dscnt 0x0
	v_fmac_f64_e32 v[108:109], v[106:107], v[90:91]
	s_wait_loadcnt 0x0
	s_delay_alu instid0(VALU_DEP_1) | instskip(NEXT) | instid1(VALU_DEP_1)
	v_fmac_f64_e32 v[108:109], v[110:111], v[92:93]
	v_add_f64_e64 v[2:3], v[84:85], -v[108:109]
	scratch_store_b64 off, v[2:3], off offset:216
	s_wait_xcnt 0x0
	v_cmpx_lt_u32_e32 26, v0
	s_cbranch_execz .LBB103_197
; %bb.196:
	scratch_load_b64 v[2:3], off, off offset:208
	v_mov_b64_e32 v[84:85], 0
	scratch_store_b64 off, v[84:85], off offset:208
	s_wait_loadcnt 0x0
	ds_store_b64 v1, v[2:3]
.LBB103_197:
	s_wait_xcnt 0x0
	s_or_b32 exec_lo, exec_lo, s0
	s_wait_storecnt_dscnt 0x0
	s_barrier_signal -1
	s_barrier_wait -1
	s_clause 0x5
	scratch_load_b128 v[84:87], off, off offset:208
	scratch_load_b128 v[88:91], off, off offset:224
	;; [unrolled: 1-line block ×6, first 2 shown]
	v_mov_b32_e32 v2, 0
	ds_load_2addr_b64 v[108:111], v2 offset0:67 offset1:68
	ds_load_2addr_b64 v[112:115], v2 offset0:69 offset1:70
	s_mov_b32 s0, exec_lo
	s_wait_loadcnt_dscnt 0x501
	v_fma_f64 v[116:117], v[86:87], v[108:109], 0
	s_wait_loadcnt 0x4
	s_delay_alu instid0(VALU_DEP_1) | instskip(SKIP_4) | instid1(VALU_DEP_1)
	v_fmac_f64_e32 v[116:117], v[88:89], v[110:111]
	scratch_load_b128 v[86:89], off, off offset:304
	s_wait_dscnt 0x0
	v_fmac_f64_e32 v[116:117], v[90:91], v[112:113]
	s_wait_loadcnt 0x4
	v_fmac_f64_e32 v[116:117], v[92:93], v[114:115]
	ds_load_2addr_b64 v[90:93], v2 offset0:71 offset1:72
	ds_load_2addr_b64 v[108:111], v2 offset0:73 offset1:74
	s_wait_dscnt 0x1
	v_fmac_f64_e32 v[116:117], v[94:95], v[90:91]
	s_wait_loadcnt 0x3
	s_delay_alu instid0(VALU_DEP_1)
	v_fmac_f64_e32 v[116:117], v[96:97], v[92:93]
	ds_load_2addr_b64 v[90:93], v2 offset0:75 offset1:76
	ds_load_2addr_b64 v[94:97], v2 offset0:77 offset1:78
	s_wait_dscnt 0x2
	v_fmac_f64_e32 v[116:117], v[98:99], v[108:109]
	s_wait_loadcnt 0x2
	s_delay_alu instid0(VALU_DEP_1) | instskip(SKIP_1) | instid1(VALU_DEP_1)
	v_fmac_f64_e32 v[116:117], v[100:101], v[110:111]
	s_wait_dscnt 0x1
	v_fmac_f64_e32 v[116:117], v[102:103], v[90:91]
	s_wait_loadcnt 0x1
	s_delay_alu instid0(VALU_DEP_1) | instskip(SKIP_1) | instid1(VALU_DEP_1)
	v_fmac_f64_e32 v[116:117], v[104:105], v[92:93]
	s_wait_dscnt 0x0
	v_fmac_f64_e32 v[116:117], v[106:107], v[94:95]
	s_wait_loadcnt 0x0
	s_delay_alu instid0(VALU_DEP_1) | instskip(SKIP_3) | instid1(VALU_DEP_1)
	v_fmac_f64_e32 v[116:117], v[86:87], v[96:97]
	ds_load_b64 v[86:87], v2 offset:632
	s_wait_dscnt 0x0
	v_fmac_f64_e32 v[116:117], v[88:89], v[86:87]
	v_add_f64_e64 v[84:85], v[84:85], -v[116:117]
	scratch_store_b64 off, v[84:85], off offset:208
	s_wait_xcnt 0x0
	v_cmpx_lt_u32_e32 25, v0
	s_cbranch_execz .LBB103_199
; %bb.198:
	scratch_load_b64 v[84:85], off, off offset:200
	v_mov_b64_e32 v[86:87], 0
	scratch_store_b64 off, v[86:87], off offset:200
	s_wait_loadcnt 0x0
	ds_store_b64 v1, v[84:85]
.LBB103_199:
	s_wait_xcnt 0x0
	s_or_b32 exec_lo, exec_lo, s0
	s_wait_storecnt_dscnt 0x0
	s_barrier_signal -1
	s_barrier_wait -1
	s_clause 0x5
	scratch_load_b128 v[84:87], off, off offset:200
	scratch_load_b128 v[88:91], off, off offset:216
	;; [unrolled: 1-line block ×6, first 2 shown]
	ds_load_b128 v[108:111], v2 offset:528
	ds_load_b128 v[112:115], v2 offset:544
	s_mov_b32 s0, exec_lo
	s_wait_loadcnt_dscnt 0x501
	v_fma_f64 v[116:117], v[86:87], v[108:109], 0
	s_wait_loadcnt 0x4
	s_delay_alu instid0(VALU_DEP_1)
	v_fmac_f64_e32 v[116:117], v[88:89], v[110:111]
	scratch_load_b128 v[86:89], off, off offset:296
	s_wait_dscnt 0x0
	v_fmac_f64_e32 v[116:117], v[90:91], v[112:113]
	scratch_load_b64 v[112:113], off, off offset:312
	s_wait_loadcnt 0x5
	v_fmac_f64_e32 v[116:117], v[92:93], v[114:115]
	ds_load_b128 v[90:93], v2 offset:560
	ds_load_b128 v[108:111], v2 offset:576
	s_wait_dscnt 0x1
	v_fmac_f64_e32 v[116:117], v[94:95], v[90:91]
	s_wait_loadcnt 0x4
	s_delay_alu instid0(VALU_DEP_1)
	v_fmac_f64_e32 v[116:117], v[96:97], v[92:93]
	ds_load_b128 v[90:93], v2 offset:592
	ds_load_b128 v[94:97], v2 offset:608
	s_wait_dscnt 0x2
	v_fmac_f64_e32 v[116:117], v[98:99], v[108:109]
	s_wait_loadcnt 0x3
	s_delay_alu instid0(VALU_DEP_1) | instskip(SKIP_1) | instid1(VALU_DEP_1)
	v_fmac_f64_e32 v[116:117], v[100:101], v[110:111]
	s_wait_dscnt 0x1
	v_fmac_f64_e32 v[116:117], v[102:103], v[90:91]
	s_wait_loadcnt 0x2
	s_delay_alu instid0(VALU_DEP_1) | instskip(SKIP_4) | instid1(VALU_DEP_1)
	v_fmac_f64_e32 v[116:117], v[104:105], v[92:93]
	ds_load_b128 v[90:93], v2 offset:624
	s_wait_dscnt 0x1
	v_fmac_f64_e32 v[116:117], v[106:107], v[94:95]
	s_wait_loadcnt 0x1
	v_fmac_f64_e32 v[116:117], v[86:87], v[96:97]
	s_wait_dscnt 0x0
	s_delay_alu instid0(VALU_DEP_1) | instskip(SKIP_1) | instid1(VALU_DEP_1)
	v_fmac_f64_e32 v[116:117], v[88:89], v[90:91]
	s_wait_loadcnt 0x0
	v_fmac_f64_e32 v[116:117], v[112:113], v[92:93]
	s_delay_alu instid0(VALU_DEP_1)
	v_add_f64_e64 v[2:3], v[84:85], -v[116:117]
	scratch_store_b64 off, v[2:3], off offset:200
	s_wait_xcnt 0x0
	v_cmpx_lt_u32_e32 24, v0
	s_cbranch_execz .LBB103_201
; %bb.200:
	scratch_load_b64 v[2:3], off, off offset:192
	v_mov_b64_e32 v[84:85], 0
	scratch_store_b64 off, v[84:85], off offset:192
	s_wait_loadcnt 0x0
	ds_store_b64 v1, v[2:3]
.LBB103_201:
	s_wait_xcnt 0x0
	s_or_b32 exec_lo, exec_lo, s0
	s_wait_storecnt_dscnt 0x0
	s_barrier_signal -1
	s_barrier_wait -1
	s_clause 0x5
	scratch_load_b128 v[84:87], off, off offset:192
	scratch_load_b128 v[88:91], off, off offset:208
	;; [unrolled: 1-line block ×6, first 2 shown]
	v_mov_b32_e32 v2, 0
	ds_load_2addr_b64 v[108:111], v2 offset0:65 offset1:66
	ds_load_2addr_b64 v[112:115], v2 offset0:67 offset1:68
	s_mov_b32 s0, exec_lo
	s_wait_loadcnt_dscnt 0x501
	v_fma_f64 v[116:117], v[86:87], v[108:109], 0
	s_wait_loadcnt 0x4
	s_delay_alu instid0(VALU_DEP_1) | instskip(SKIP_4) | instid1(VALU_DEP_1)
	v_fmac_f64_e32 v[116:117], v[88:89], v[110:111]
	scratch_load_b128 v[86:89], off, off offset:288
	s_wait_dscnt 0x0
	v_fmac_f64_e32 v[116:117], v[90:91], v[112:113]
	s_wait_loadcnt 0x4
	v_fmac_f64_e32 v[116:117], v[92:93], v[114:115]
	scratch_load_b128 v[90:93], off, off offset:304
	ds_load_2addr_b64 v[108:111], v2 offset0:69 offset1:70
	ds_load_2addr_b64 v[112:115], v2 offset0:71 offset1:72
	s_wait_dscnt 0x1
	v_fmac_f64_e32 v[116:117], v[94:95], v[108:109]
	s_wait_loadcnt 0x4
	s_delay_alu instid0(VALU_DEP_1) | instskip(SKIP_1) | instid1(VALU_DEP_1)
	v_fmac_f64_e32 v[116:117], v[96:97], v[110:111]
	s_wait_dscnt 0x0
	v_fmac_f64_e32 v[116:117], v[98:99], v[112:113]
	s_wait_loadcnt 0x3
	s_delay_alu instid0(VALU_DEP_1)
	v_fmac_f64_e32 v[116:117], v[100:101], v[114:115]
	ds_load_2addr_b64 v[94:97], v2 offset0:73 offset1:74
	ds_load_2addr_b64 v[98:101], v2 offset0:75 offset1:76
	s_wait_dscnt 0x1
	v_fmac_f64_e32 v[116:117], v[102:103], v[94:95]
	s_wait_loadcnt 0x2
	s_delay_alu instid0(VALU_DEP_1) | instskip(SKIP_1) | instid1(VALU_DEP_1)
	v_fmac_f64_e32 v[116:117], v[104:105], v[96:97]
	s_wait_dscnt 0x0
	v_fmac_f64_e32 v[116:117], v[106:107], v[98:99]
	s_wait_loadcnt 0x1
	s_delay_alu instid0(VALU_DEP_1)
	v_fmac_f64_e32 v[116:117], v[86:87], v[100:101]
	ds_load_2addr_b64 v[94:97], v2 offset0:77 offset1:78
	ds_load_b64 v[86:87], v2 offset:632
	s_wait_dscnt 0x1
	v_fmac_f64_e32 v[116:117], v[88:89], v[94:95]
	s_wait_loadcnt 0x0
	s_delay_alu instid0(VALU_DEP_1) | instskip(SKIP_1) | instid1(VALU_DEP_1)
	v_fmac_f64_e32 v[116:117], v[90:91], v[96:97]
	s_wait_dscnt 0x0
	v_fmac_f64_e32 v[116:117], v[92:93], v[86:87]
	s_delay_alu instid0(VALU_DEP_1)
	v_add_f64_e64 v[84:85], v[84:85], -v[116:117]
	scratch_store_b64 off, v[84:85], off offset:192
	s_wait_xcnt 0x0
	v_cmpx_lt_u32_e32 23, v0
	s_cbranch_execz .LBB103_203
; %bb.202:
	scratch_load_b64 v[84:85], off, off offset:184
	v_mov_b64_e32 v[86:87], 0
	scratch_store_b64 off, v[86:87], off offset:184
	s_wait_loadcnt 0x0
	ds_store_b64 v1, v[84:85]
.LBB103_203:
	s_wait_xcnt 0x0
	s_or_b32 exec_lo, exec_lo, s0
	s_wait_storecnt_dscnt 0x0
	s_barrier_signal -1
	s_barrier_wait -1
	s_clause 0x5
	scratch_load_b128 v[84:87], off, off offset:184
	scratch_load_b128 v[88:91], off, off offset:200
	scratch_load_b128 v[92:95], off, off offset:216
	scratch_load_b128 v[96:99], off, off offset:232
	scratch_load_b128 v[100:103], off, off offset:248
	scratch_load_b128 v[104:107], off, off offset:264
	ds_load_b128 v[108:111], v2 offset:512
	ds_load_b128 v[112:115], v2 offset:528
	s_mov_b32 s0, exec_lo
	s_wait_loadcnt_dscnt 0x501
	v_fma_f64 v[116:117], v[86:87], v[108:109], 0
	s_wait_loadcnt 0x4
	s_delay_alu instid0(VALU_DEP_1) | instskip(SKIP_4) | instid1(VALU_DEP_1)
	v_fmac_f64_e32 v[116:117], v[88:89], v[110:111]
	scratch_load_b128 v[86:89], off, off offset:280
	s_wait_dscnt 0x0
	v_fmac_f64_e32 v[116:117], v[90:91], v[112:113]
	s_wait_loadcnt 0x4
	v_fmac_f64_e32 v[116:117], v[92:93], v[114:115]
	scratch_load_b128 v[90:93], off, off offset:296
	ds_load_b128 v[108:111], v2 offset:544
	ds_load_b128 v[112:115], v2 offset:560
	s_wait_dscnt 0x1
	v_fmac_f64_e32 v[116:117], v[94:95], v[108:109]
	scratch_load_b64 v[108:109], off, off offset:312
	s_wait_loadcnt 0x5
	v_fmac_f64_e32 v[116:117], v[96:97], v[110:111]
	s_wait_dscnt 0x0
	s_delay_alu instid0(VALU_DEP_1) | instskip(SKIP_1) | instid1(VALU_DEP_1)
	v_fmac_f64_e32 v[116:117], v[98:99], v[112:113]
	s_wait_loadcnt 0x4
	v_fmac_f64_e32 v[116:117], v[100:101], v[114:115]
	ds_load_b128 v[94:97], v2 offset:576
	ds_load_b128 v[98:101], v2 offset:592
	s_wait_dscnt 0x1
	v_fmac_f64_e32 v[116:117], v[102:103], v[94:95]
	s_wait_loadcnt 0x3
	s_delay_alu instid0(VALU_DEP_1) | instskip(SKIP_1) | instid1(VALU_DEP_1)
	v_fmac_f64_e32 v[116:117], v[104:105], v[96:97]
	s_wait_dscnt 0x0
	v_fmac_f64_e32 v[116:117], v[106:107], v[98:99]
	s_wait_loadcnt 0x2
	s_delay_alu instid0(VALU_DEP_1)
	v_fmac_f64_e32 v[116:117], v[86:87], v[100:101]
	ds_load_b128 v[94:97], v2 offset:608
	ds_load_b128 v[98:101], v2 offset:624
	s_wait_dscnt 0x1
	v_fmac_f64_e32 v[116:117], v[88:89], v[94:95]
	s_wait_loadcnt 0x1
	s_delay_alu instid0(VALU_DEP_1) | instskip(SKIP_1) | instid1(VALU_DEP_1)
	v_fmac_f64_e32 v[116:117], v[90:91], v[96:97]
	s_wait_dscnt 0x0
	v_fmac_f64_e32 v[116:117], v[92:93], v[98:99]
	s_wait_loadcnt 0x0
	s_delay_alu instid0(VALU_DEP_1) | instskip(NEXT) | instid1(VALU_DEP_1)
	v_fmac_f64_e32 v[116:117], v[108:109], v[100:101]
	v_add_f64_e64 v[2:3], v[84:85], -v[116:117]
	scratch_store_b64 off, v[2:3], off offset:184
	s_wait_xcnt 0x0
	v_cmpx_lt_u32_e32 22, v0
	s_cbranch_execz .LBB103_205
; %bb.204:
	scratch_load_b64 v[2:3], off, off offset:176
	v_mov_b64_e32 v[84:85], 0
	scratch_store_b64 off, v[84:85], off offset:176
	s_wait_loadcnt 0x0
	ds_store_b64 v1, v[2:3]
.LBB103_205:
	s_wait_xcnt 0x0
	s_or_b32 exec_lo, exec_lo, s0
	s_wait_storecnt_dscnt 0x0
	s_barrier_signal -1
	s_barrier_wait -1
	s_clause 0x5
	scratch_load_b128 v[84:87], off, off offset:176
	scratch_load_b128 v[88:91], off, off offset:192
	;; [unrolled: 1-line block ×6, first 2 shown]
	v_mov_b32_e32 v2, 0
	ds_load_2addr_b64 v[108:111], v2 offset0:63 offset1:64
	ds_load_2addr_b64 v[112:115], v2 offset0:65 offset1:66
	s_mov_b32 s0, exec_lo
	s_wait_loadcnt_dscnt 0x501
	v_fma_f64 v[116:117], v[86:87], v[108:109], 0
	s_wait_loadcnt 0x4
	s_delay_alu instid0(VALU_DEP_1) | instskip(SKIP_4) | instid1(VALU_DEP_1)
	v_fmac_f64_e32 v[116:117], v[88:89], v[110:111]
	scratch_load_b128 v[86:89], off, off offset:272
	s_wait_dscnt 0x0
	v_fmac_f64_e32 v[116:117], v[90:91], v[112:113]
	s_wait_loadcnt 0x4
	v_fmac_f64_e32 v[116:117], v[92:93], v[114:115]
	scratch_load_b128 v[90:93], off, off offset:288
	ds_load_2addr_b64 v[108:111], v2 offset0:67 offset1:68
	ds_load_2addr_b64 v[112:115], v2 offset0:69 offset1:70
	s_wait_dscnt 0x1
	v_fmac_f64_e32 v[116:117], v[94:95], v[108:109]
	s_wait_loadcnt 0x4
	s_delay_alu instid0(VALU_DEP_1) | instskip(SKIP_4) | instid1(VALU_DEP_1)
	v_fmac_f64_e32 v[116:117], v[96:97], v[110:111]
	scratch_load_b128 v[94:97], off, off offset:304
	s_wait_dscnt 0x0
	v_fmac_f64_e32 v[116:117], v[98:99], v[112:113]
	s_wait_loadcnt 0x4
	v_fmac_f64_e32 v[116:117], v[100:101], v[114:115]
	ds_load_2addr_b64 v[98:101], v2 offset0:71 offset1:72
	ds_load_2addr_b64 v[108:111], v2 offset0:73 offset1:74
	s_wait_dscnt 0x1
	v_fmac_f64_e32 v[116:117], v[102:103], v[98:99]
	s_wait_loadcnt 0x3
	s_delay_alu instid0(VALU_DEP_1)
	v_fmac_f64_e32 v[116:117], v[104:105], v[100:101]
	ds_load_2addr_b64 v[98:101], v2 offset0:75 offset1:76
	ds_load_2addr_b64 v[102:105], v2 offset0:77 offset1:78
	s_wait_dscnt 0x2
	v_fmac_f64_e32 v[116:117], v[106:107], v[108:109]
	s_wait_loadcnt 0x2
	s_delay_alu instid0(VALU_DEP_1) | instskip(SKIP_4) | instid1(VALU_DEP_1)
	v_fmac_f64_e32 v[116:117], v[86:87], v[110:111]
	ds_load_b64 v[86:87], v2 offset:632
	s_wait_dscnt 0x2
	v_fmac_f64_e32 v[116:117], v[88:89], v[98:99]
	s_wait_loadcnt 0x1
	v_fmac_f64_e32 v[116:117], v[90:91], v[100:101]
	s_wait_dscnt 0x1
	s_delay_alu instid0(VALU_DEP_1) | instskip(SKIP_1) | instid1(VALU_DEP_1)
	v_fmac_f64_e32 v[116:117], v[92:93], v[102:103]
	s_wait_loadcnt 0x0
	v_fmac_f64_e32 v[116:117], v[94:95], v[104:105]
	s_wait_dscnt 0x0
	s_delay_alu instid0(VALU_DEP_1) | instskip(NEXT) | instid1(VALU_DEP_1)
	v_fmac_f64_e32 v[116:117], v[96:97], v[86:87]
	v_add_f64_e64 v[84:85], v[84:85], -v[116:117]
	scratch_store_b64 off, v[84:85], off offset:176
	s_wait_xcnt 0x0
	v_cmpx_lt_u32_e32 21, v0
	s_cbranch_execz .LBB103_207
; %bb.206:
	scratch_load_b64 v[84:85], off, off offset:168
	v_mov_b64_e32 v[86:87], 0
	scratch_store_b64 off, v[86:87], off offset:168
	s_wait_loadcnt 0x0
	ds_store_b64 v1, v[84:85]
.LBB103_207:
	s_wait_xcnt 0x0
	s_or_b32 exec_lo, exec_lo, s0
	s_wait_storecnt_dscnt 0x0
	s_barrier_signal -1
	s_barrier_wait -1
	s_clause 0x5
	scratch_load_b128 v[84:87], off, off offset:168
	scratch_load_b128 v[88:91], off, off offset:184
	scratch_load_b128 v[92:95], off, off offset:200
	scratch_load_b128 v[96:99], off, off offset:216
	scratch_load_b128 v[100:103], off, off offset:232
	scratch_load_b128 v[104:107], off, off offset:248
	ds_load_b128 v[108:111], v2 offset:496
	ds_load_b128 v[112:115], v2 offset:512
	s_mov_b32 s0, exec_lo
	s_wait_loadcnt_dscnt 0x501
	v_fma_f64 v[116:117], v[86:87], v[108:109], 0
	s_wait_loadcnt 0x4
	s_delay_alu instid0(VALU_DEP_1) | instskip(SKIP_4) | instid1(VALU_DEP_1)
	v_fmac_f64_e32 v[116:117], v[88:89], v[110:111]
	scratch_load_b128 v[86:89], off, off offset:264
	s_wait_dscnt 0x0
	v_fmac_f64_e32 v[116:117], v[90:91], v[112:113]
	s_wait_loadcnt 0x4
	v_fmac_f64_e32 v[116:117], v[92:93], v[114:115]
	scratch_load_b128 v[90:93], off, off offset:280
	ds_load_b128 v[108:111], v2 offset:528
	ds_load_b128 v[112:115], v2 offset:544
	s_wait_dscnt 0x1
	v_fmac_f64_e32 v[116:117], v[94:95], v[108:109]
	s_wait_loadcnt 0x4
	s_delay_alu instid0(VALU_DEP_1)
	v_fmac_f64_e32 v[116:117], v[96:97], v[110:111]
	scratch_load_b128 v[94:97], off, off offset:296
	s_wait_dscnt 0x0
	v_fmac_f64_e32 v[116:117], v[98:99], v[112:113]
	scratch_load_b64 v[112:113], off, off offset:312
	s_wait_loadcnt 0x5
	v_fmac_f64_e32 v[116:117], v[100:101], v[114:115]
	ds_load_b128 v[98:101], v2 offset:560
	ds_load_b128 v[108:111], v2 offset:576
	s_wait_dscnt 0x1
	v_fmac_f64_e32 v[116:117], v[102:103], v[98:99]
	s_wait_loadcnt 0x4
	s_delay_alu instid0(VALU_DEP_1)
	v_fmac_f64_e32 v[116:117], v[104:105], v[100:101]
	ds_load_b128 v[98:101], v2 offset:592
	ds_load_b128 v[102:105], v2 offset:608
	s_wait_dscnt 0x2
	v_fmac_f64_e32 v[116:117], v[106:107], v[108:109]
	s_wait_loadcnt 0x3
	s_delay_alu instid0(VALU_DEP_1) | instskip(SKIP_1) | instid1(VALU_DEP_1)
	v_fmac_f64_e32 v[116:117], v[86:87], v[110:111]
	s_wait_dscnt 0x1
	v_fmac_f64_e32 v[116:117], v[88:89], v[98:99]
	ds_load_b128 v[86:89], v2 offset:624
	s_wait_loadcnt 0x2
	v_fmac_f64_e32 v[116:117], v[90:91], v[100:101]
	s_wait_dscnt 0x1
	s_delay_alu instid0(VALU_DEP_1) | instskip(SKIP_1) | instid1(VALU_DEP_1)
	v_fmac_f64_e32 v[116:117], v[92:93], v[102:103]
	s_wait_loadcnt 0x1
	v_fmac_f64_e32 v[116:117], v[94:95], v[104:105]
	s_wait_dscnt 0x0
	s_delay_alu instid0(VALU_DEP_1) | instskip(SKIP_1) | instid1(VALU_DEP_1)
	v_fmac_f64_e32 v[116:117], v[96:97], v[86:87]
	s_wait_loadcnt 0x0
	v_fmac_f64_e32 v[116:117], v[112:113], v[88:89]
	s_delay_alu instid0(VALU_DEP_1)
	v_add_f64_e64 v[2:3], v[84:85], -v[116:117]
	scratch_store_b64 off, v[2:3], off offset:168
	s_wait_xcnt 0x0
	v_cmpx_lt_u32_e32 20, v0
	s_cbranch_execz .LBB103_209
; %bb.208:
	scratch_load_b64 v[2:3], off, off offset:160
	v_mov_b64_e32 v[84:85], 0
	scratch_store_b64 off, v[84:85], off offset:160
	s_wait_loadcnt 0x0
	ds_store_b64 v1, v[2:3]
.LBB103_209:
	s_wait_xcnt 0x0
	s_or_b32 exec_lo, exec_lo, s0
	s_wait_storecnt_dscnt 0x0
	s_barrier_signal -1
	s_barrier_wait -1
	s_clause 0x5
	scratch_load_b128 v[84:87], off, off offset:160
	scratch_load_b128 v[88:91], off, off offset:176
	;; [unrolled: 1-line block ×6, first 2 shown]
	v_mov_b32_e32 v2, 0
	ds_load_2addr_b64 v[108:111], v2 offset0:61 offset1:62
	ds_load_2addr_b64 v[112:115], v2 offset0:63 offset1:64
	s_mov_b32 s0, exec_lo
	s_wait_loadcnt_dscnt 0x501
	v_fma_f64 v[116:117], v[86:87], v[108:109], 0
	s_wait_loadcnt 0x4
	s_delay_alu instid0(VALU_DEP_1) | instskip(SKIP_4) | instid1(VALU_DEP_1)
	v_fmac_f64_e32 v[116:117], v[88:89], v[110:111]
	scratch_load_b128 v[86:89], off, off offset:256
	s_wait_dscnt 0x0
	v_fmac_f64_e32 v[116:117], v[90:91], v[112:113]
	s_wait_loadcnt 0x4
	v_fmac_f64_e32 v[116:117], v[92:93], v[114:115]
	scratch_load_b128 v[90:93], off, off offset:272
	ds_load_2addr_b64 v[108:111], v2 offset0:65 offset1:66
	ds_load_2addr_b64 v[112:115], v2 offset0:67 offset1:68
	s_wait_dscnt 0x1
	v_fmac_f64_e32 v[116:117], v[94:95], v[108:109]
	s_wait_loadcnt 0x4
	s_delay_alu instid0(VALU_DEP_1) | instskip(SKIP_4) | instid1(VALU_DEP_1)
	v_fmac_f64_e32 v[116:117], v[96:97], v[110:111]
	scratch_load_b128 v[94:97], off, off offset:288
	s_wait_dscnt 0x0
	v_fmac_f64_e32 v[116:117], v[98:99], v[112:113]
	s_wait_loadcnt 0x4
	v_fmac_f64_e32 v[116:117], v[100:101], v[114:115]
	scratch_load_b128 v[98:101], off, off offset:304
	ds_load_2addr_b64 v[108:111], v2 offset0:69 offset1:70
	ds_load_2addr_b64 v[112:115], v2 offset0:71 offset1:72
	s_wait_dscnt 0x1
	v_fmac_f64_e32 v[116:117], v[102:103], v[108:109]
	s_wait_loadcnt 0x4
	s_delay_alu instid0(VALU_DEP_1) | instskip(SKIP_1) | instid1(VALU_DEP_1)
	v_fmac_f64_e32 v[116:117], v[104:105], v[110:111]
	s_wait_dscnt 0x0
	v_fmac_f64_e32 v[116:117], v[106:107], v[112:113]
	ds_load_2addr_b64 v[102:105], v2 offset0:73 offset1:74
	ds_load_2addr_b64 v[106:109], v2 offset0:75 offset1:76
	s_wait_loadcnt 0x3
	v_fmac_f64_e32 v[116:117], v[86:87], v[114:115]
	s_wait_dscnt 0x1
	s_delay_alu instid0(VALU_DEP_1) | instskip(SKIP_1) | instid1(VALU_DEP_1)
	v_fmac_f64_e32 v[116:117], v[88:89], v[102:103]
	s_wait_loadcnt 0x2
	v_fmac_f64_e32 v[116:117], v[90:91], v[104:105]
	ds_load_2addr_b64 v[86:89], v2 offset0:77 offset1:78
	ds_load_b64 v[90:91], v2 offset:632
	s_wait_dscnt 0x2
	v_fmac_f64_e32 v[116:117], v[92:93], v[106:107]
	s_wait_loadcnt 0x1
	s_delay_alu instid0(VALU_DEP_1) | instskip(SKIP_1) | instid1(VALU_DEP_1)
	v_fmac_f64_e32 v[116:117], v[94:95], v[108:109]
	s_wait_dscnt 0x1
	v_fmac_f64_e32 v[116:117], v[96:97], v[86:87]
	s_wait_loadcnt 0x0
	s_delay_alu instid0(VALU_DEP_1) | instskip(SKIP_1) | instid1(VALU_DEP_1)
	v_fmac_f64_e32 v[116:117], v[98:99], v[88:89]
	s_wait_dscnt 0x0
	v_fmac_f64_e32 v[116:117], v[100:101], v[90:91]
	s_delay_alu instid0(VALU_DEP_1)
	v_add_f64_e64 v[84:85], v[84:85], -v[116:117]
	scratch_store_b64 off, v[84:85], off offset:160
	s_wait_xcnt 0x0
	v_cmpx_lt_u32_e32 19, v0
	s_cbranch_execz .LBB103_211
; %bb.210:
	scratch_load_b64 v[84:85], off, off offset:152
	v_mov_b64_e32 v[86:87], 0
	scratch_store_b64 off, v[86:87], off offset:152
	s_wait_loadcnt 0x0
	ds_store_b64 v1, v[84:85]
.LBB103_211:
	s_wait_xcnt 0x0
	s_or_b32 exec_lo, exec_lo, s0
	s_wait_storecnt_dscnt 0x0
	s_barrier_signal -1
	s_barrier_wait -1
	s_clause 0x5
	scratch_load_b128 v[84:87], off, off offset:152
	scratch_load_b128 v[88:91], off, off offset:168
	;; [unrolled: 1-line block ×6, first 2 shown]
	ds_load_b128 v[108:111], v2 offset:480
	ds_load_b128 v[112:115], v2 offset:496
	s_mov_b32 s0, exec_lo
	s_wait_loadcnt_dscnt 0x501
	v_fma_f64 v[116:117], v[86:87], v[108:109], 0
	s_wait_loadcnt 0x4
	s_delay_alu instid0(VALU_DEP_1) | instskip(SKIP_4) | instid1(VALU_DEP_1)
	v_fmac_f64_e32 v[116:117], v[88:89], v[110:111]
	scratch_load_b128 v[86:89], off, off offset:248
	s_wait_dscnt 0x0
	v_fmac_f64_e32 v[116:117], v[90:91], v[112:113]
	s_wait_loadcnt 0x4
	v_fmac_f64_e32 v[116:117], v[92:93], v[114:115]
	scratch_load_b128 v[90:93], off, off offset:264
	ds_load_b128 v[108:111], v2 offset:512
	ds_load_b128 v[112:115], v2 offset:528
	s_wait_dscnt 0x1
	v_fmac_f64_e32 v[116:117], v[94:95], v[108:109]
	s_wait_loadcnt 0x4
	s_delay_alu instid0(VALU_DEP_1) | instskip(SKIP_4) | instid1(VALU_DEP_1)
	v_fmac_f64_e32 v[116:117], v[96:97], v[110:111]
	scratch_load_b128 v[94:97], off, off offset:280
	s_wait_dscnt 0x0
	v_fmac_f64_e32 v[116:117], v[98:99], v[112:113]
	s_wait_loadcnt 0x4
	v_fmac_f64_e32 v[116:117], v[100:101], v[114:115]
	scratch_load_b128 v[98:101], off, off offset:296
	ds_load_b128 v[108:111], v2 offset:544
	ds_load_b128 v[112:115], v2 offset:560
	s_wait_dscnt 0x1
	v_fmac_f64_e32 v[116:117], v[102:103], v[108:109]
	s_wait_loadcnt 0x4
	s_delay_alu instid0(VALU_DEP_1)
	v_fmac_f64_e32 v[116:117], v[104:105], v[110:111]
	scratch_load_b64 v[110:111], off, off offset:312
	s_wait_dscnt 0x0
	v_fmac_f64_e32 v[116:117], v[106:107], v[112:113]
	ds_load_b128 v[102:105], v2 offset:576
	ds_load_b128 v[106:109], v2 offset:592
	s_wait_loadcnt 0x4
	v_fmac_f64_e32 v[116:117], v[86:87], v[114:115]
	s_wait_dscnt 0x1
	s_delay_alu instid0(VALU_DEP_1) | instskip(SKIP_1) | instid1(VALU_DEP_1)
	v_fmac_f64_e32 v[116:117], v[88:89], v[102:103]
	s_wait_loadcnt 0x3
	v_fmac_f64_e32 v[116:117], v[90:91], v[104:105]
	s_wait_dscnt 0x0
	s_delay_alu instid0(VALU_DEP_1)
	v_fmac_f64_e32 v[116:117], v[92:93], v[106:107]
	ds_load_b128 v[86:89], v2 offset:608
	ds_load_b128 v[90:93], v2 offset:624
	s_wait_loadcnt 0x2
	v_fmac_f64_e32 v[116:117], v[94:95], v[108:109]
	s_wait_dscnt 0x1
	s_delay_alu instid0(VALU_DEP_1) | instskip(SKIP_1) | instid1(VALU_DEP_1)
	v_fmac_f64_e32 v[116:117], v[96:97], v[86:87]
	s_wait_loadcnt 0x1
	v_fmac_f64_e32 v[116:117], v[98:99], v[88:89]
	s_wait_dscnt 0x0
	s_delay_alu instid0(VALU_DEP_1) | instskip(SKIP_1) | instid1(VALU_DEP_1)
	v_fmac_f64_e32 v[116:117], v[100:101], v[90:91]
	s_wait_loadcnt 0x0
	v_fmac_f64_e32 v[116:117], v[110:111], v[92:93]
	s_delay_alu instid0(VALU_DEP_1)
	v_add_f64_e64 v[2:3], v[84:85], -v[116:117]
	scratch_store_b64 off, v[2:3], off offset:152
	s_wait_xcnt 0x0
	v_cmpx_lt_u32_e32 18, v0
	s_cbranch_execz .LBB103_213
; %bb.212:
	scratch_load_b64 v[2:3], off, off offset:144
	v_mov_b64_e32 v[84:85], 0
	scratch_store_b64 off, v[84:85], off offset:144
	s_wait_loadcnt 0x0
	ds_store_b64 v1, v[2:3]
.LBB103_213:
	s_wait_xcnt 0x0
	s_or_b32 exec_lo, exec_lo, s0
	s_wait_storecnt_dscnt 0x0
	s_barrier_signal -1
	s_barrier_wait -1
	s_clause 0x5
	scratch_load_b128 v[84:87], off, off offset:144
	scratch_load_b128 v[88:91], off, off offset:160
	;; [unrolled: 1-line block ×6, first 2 shown]
	v_mov_b32_e32 v2, 0
	ds_load_2addr_b64 v[108:111], v2 offset0:59 offset1:60
	ds_load_2addr_b64 v[112:115], v2 offset0:61 offset1:62
	s_mov_b32 s0, exec_lo
	s_wait_loadcnt_dscnt 0x501
	v_fma_f64 v[116:117], v[86:87], v[108:109], 0
	s_wait_loadcnt 0x4
	s_delay_alu instid0(VALU_DEP_1) | instskip(SKIP_4) | instid1(VALU_DEP_1)
	v_fmac_f64_e32 v[116:117], v[88:89], v[110:111]
	scratch_load_b128 v[86:89], off, off offset:240
	s_wait_dscnt 0x0
	v_fmac_f64_e32 v[116:117], v[90:91], v[112:113]
	s_wait_loadcnt 0x4
	v_fmac_f64_e32 v[116:117], v[92:93], v[114:115]
	scratch_load_b128 v[90:93], off, off offset:256
	ds_load_2addr_b64 v[108:111], v2 offset0:63 offset1:64
	ds_load_2addr_b64 v[112:115], v2 offset0:65 offset1:66
	s_wait_dscnt 0x1
	v_fmac_f64_e32 v[116:117], v[94:95], v[108:109]
	s_wait_loadcnt 0x4
	s_delay_alu instid0(VALU_DEP_1) | instskip(SKIP_4) | instid1(VALU_DEP_1)
	v_fmac_f64_e32 v[116:117], v[96:97], v[110:111]
	scratch_load_b128 v[94:97], off, off offset:272
	s_wait_dscnt 0x0
	v_fmac_f64_e32 v[116:117], v[98:99], v[112:113]
	s_wait_loadcnt 0x4
	v_fmac_f64_e32 v[116:117], v[100:101], v[114:115]
	scratch_load_b128 v[98:101], off, off offset:288
	ds_load_2addr_b64 v[108:111], v2 offset0:67 offset1:68
	ds_load_2addr_b64 v[112:115], v2 offset0:69 offset1:70
	s_wait_dscnt 0x1
	v_fmac_f64_e32 v[116:117], v[102:103], v[108:109]
	s_wait_loadcnt 0x4
	s_delay_alu instid0(VALU_DEP_1)
	v_fmac_f64_e32 v[116:117], v[104:105], v[110:111]
	scratch_load_b128 v[102:105], off, off offset:304
	s_wait_dscnt 0x0
	v_fmac_f64_e32 v[116:117], v[106:107], v[112:113]
	ds_load_2addr_b64 v[106:109], v2 offset0:71 offset1:72
	ds_load_2addr_b64 v[110:113], v2 offset0:73 offset1:74
	s_wait_loadcnt 0x4
	v_fmac_f64_e32 v[116:117], v[86:87], v[114:115]
	s_wait_dscnt 0x1
	s_delay_alu instid0(VALU_DEP_1) | instskip(SKIP_1) | instid1(VALU_DEP_1)
	v_fmac_f64_e32 v[116:117], v[88:89], v[106:107]
	s_wait_loadcnt 0x3
	v_fmac_f64_e32 v[116:117], v[90:91], v[108:109]
	s_wait_dscnt 0x0
	s_delay_alu instid0(VALU_DEP_1)
	v_fmac_f64_e32 v[116:117], v[92:93], v[110:111]
	ds_load_2addr_b64 v[86:89], v2 offset0:75 offset1:76
	ds_load_2addr_b64 v[90:93], v2 offset0:77 offset1:78
	s_wait_loadcnt 0x2
	v_fmac_f64_e32 v[116:117], v[94:95], v[112:113]
	s_wait_dscnt 0x1
	s_delay_alu instid0(VALU_DEP_1) | instskip(SKIP_4) | instid1(VALU_DEP_1)
	v_fmac_f64_e32 v[116:117], v[96:97], v[86:87]
	ds_load_b64 v[86:87], v2 offset:632
	s_wait_loadcnt 0x1
	v_fmac_f64_e32 v[116:117], v[98:99], v[88:89]
	s_wait_dscnt 0x1
	v_fmac_f64_e32 v[116:117], v[100:101], v[90:91]
	s_wait_loadcnt 0x0
	s_delay_alu instid0(VALU_DEP_1) | instskip(SKIP_1) | instid1(VALU_DEP_1)
	v_fmac_f64_e32 v[116:117], v[102:103], v[92:93]
	s_wait_dscnt 0x0
	v_fmac_f64_e32 v[116:117], v[104:105], v[86:87]
	s_delay_alu instid0(VALU_DEP_1)
	v_add_f64_e64 v[84:85], v[84:85], -v[116:117]
	scratch_store_b64 off, v[84:85], off offset:144
	s_wait_xcnt 0x0
	v_cmpx_lt_u32_e32 17, v0
	s_cbranch_execz .LBB103_215
; %bb.214:
	scratch_load_b64 v[84:85], off, off offset:136
	v_mov_b64_e32 v[86:87], 0
	scratch_store_b64 off, v[86:87], off offset:136
	s_wait_loadcnt 0x0
	ds_store_b64 v1, v[84:85]
.LBB103_215:
	s_wait_xcnt 0x0
	s_or_b32 exec_lo, exec_lo, s0
	s_wait_storecnt_dscnt 0x0
	s_barrier_signal -1
	s_barrier_wait -1
	s_clause 0x5
	scratch_load_b128 v[84:87], off, off offset:136
	scratch_load_b128 v[88:91], off, off offset:152
	scratch_load_b128 v[92:95], off, off offset:168
	scratch_load_b128 v[96:99], off, off offset:184
	scratch_load_b128 v[100:103], off, off offset:200
	scratch_load_b128 v[104:107], off, off offset:216
	ds_load_b128 v[108:111], v2 offset:464
	ds_load_b128 v[112:115], v2 offset:480
	scratch_load_b128 v[116:119], off, off offset:232
	s_mov_b32 s0, exec_lo
	s_wait_loadcnt_dscnt 0x601
	v_fma_f64 v[120:121], v[86:87], v[108:109], 0
	s_wait_loadcnt 0x5
	s_delay_alu instid0(VALU_DEP_1) | instskip(SKIP_4) | instid1(VALU_DEP_1)
	v_fmac_f64_e32 v[120:121], v[88:89], v[110:111]
	scratch_load_b128 v[86:89], off, off offset:248
	s_wait_dscnt 0x0
	v_fmac_f64_e32 v[120:121], v[90:91], v[112:113]
	s_wait_loadcnt 0x5
	v_fmac_f64_e32 v[120:121], v[92:93], v[114:115]
	ds_load_b128 v[90:93], v2 offset:496
	ds_load_b128 v[108:111], v2 offset:512
	s_wait_dscnt 0x1
	v_fmac_f64_e32 v[120:121], v[94:95], v[90:91]
	s_wait_loadcnt 0x4
	s_delay_alu instid0(VALU_DEP_1)
	v_fmac_f64_e32 v[120:121], v[96:97], v[92:93]
	s_clause 0x1
	scratch_load_b128 v[90:93], off, off offset:264
	scratch_load_b128 v[94:97], off, off offset:280
	s_wait_dscnt 0x0
	v_fmac_f64_e32 v[120:121], v[98:99], v[108:109]
	s_wait_loadcnt 0x5
	s_delay_alu instid0(VALU_DEP_1)
	v_fmac_f64_e32 v[120:121], v[100:101], v[110:111]
	ds_load_b128 v[98:101], v2 offset:528
	ds_load_b128 v[108:111], v2 offset:544
	s_wait_dscnt 0x1
	v_fmac_f64_e32 v[120:121], v[102:103], v[98:99]
	s_wait_loadcnt 0x4
	s_delay_alu instid0(VALU_DEP_1) | instskip(SKIP_4) | instid1(VALU_DEP_1)
	v_fmac_f64_e32 v[120:121], v[104:105], v[100:101]
	scratch_load_b128 v[98:101], off, off offset:296
	s_wait_dscnt 0x0
	v_fmac_f64_e32 v[120:121], v[106:107], v[108:109]
	s_wait_loadcnt 0x4
	v_fmac_f64_e32 v[120:121], v[116:117], v[110:111]
	scratch_load_b64 v[110:111], off, off offset:312
	ds_load_b128 v[102:105], v2 offset:560
	ds_load_b128 v[106:109], v2 offset:576
	s_wait_dscnt 0x1
	v_fmac_f64_e32 v[120:121], v[118:119], v[102:103]
	s_wait_loadcnt 0x4
	s_delay_alu instid0(VALU_DEP_1) | instskip(SKIP_1) | instid1(VALU_DEP_1)
	v_fmac_f64_e32 v[120:121], v[86:87], v[104:105]
	s_wait_dscnt 0x0
	v_fmac_f64_e32 v[120:121], v[88:89], v[106:107]
	ds_load_b128 v[86:89], v2 offset:592
	ds_load_b128 v[102:105], v2 offset:608
	s_wait_loadcnt 0x3
	v_fmac_f64_e32 v[120:121], v[90:91], v[108:109]
	s_wait_dscnt 0x1
	s_delay_alu instid0(VALU_DEP_1) | instskip(SKIP_1) | instid1(VALU_DEP_1)
	v_fmac_f64_e32 v[120:121], v[92:93], v[86:87]
	s_wait_loadcnt 0x2
	v_fmac_f64_e32 v[120:121], v[94:95], v[88:89]
	ds_load_b128 v[86:89], v2 offset:624
	s_wait_dscnt 0x1
	v_fmac_f64_e32 v[120:121], v[96:97], v[102:103]
	s_wait_loadcnt 0x1
	s_delay_alu instid0(VALU_DEP_1) | instskip(SKIP_1) | instid1(VALU_DEP_1)
	v_fmac_f64_e32 v[120:121], v[98:99], v[104:105]
	s_wait_dscnt 0x0
	v_fmac_f64_e32 v[120:121], v[100:101], v[86:87]
	s_wait_loadcnt 0x0
	s_delay_alu instid0(VALU_DEP_1) | instskip(NEXT) | instid1(VALU_DEP_1)
	v_fmac_f64_e32 v[120:121], v[110:111], v[88:89]
	v_add_f64_e64 v[2:3], v[84:85], -v[120:121]
	scratch_store_b64 off, v[2:3], off offset:136
	s_wait_xcnt 0x0
	v_cmpx_lt_u32_e32 16, v0
	s_cbranch_execz .LBB103_217
; %bb.216:
	scratch_load_b64 v[2:3], off, off offset:128
	v_mov_b64_e32 v[84:85], 0
	scratch_store_b64 off, v[84:85], off offset:128
	s_wait_loadcnt 0x0
	ds_store_b64 v1, v[2:3]
.LBB103_217:
	s_wait_xcnt 0x0
	s_or_b32 exec_lo, exec_lo, s0
	s_wait_storecnt_dscnt 0x0
	s_barrier_signal -1
	s_barrier_wait -1
	s_clause 0x5
	scratch_load_b128 v[84:87], off, off offset:128
	scratch_load_b128 v[88:91], off, off offset:144
	;; [unrolled: 1-line block ×6, first 2 shown]
	v_mov_b32_e32 v2, 0
	ds_load_2addr_b64 v[108:111], v2 offset0:57 offset1:58
	ds_load_2addr_b64 v[112:115], v2 offset0:59 offset1:60
	scratch_load_b128 v[116:119], off, off offset:224
	s_mov_b32 s0, exec_lo
	s_wait_loadcnt_dscnt 0x601
	v_fma_f64 v[120:121], v[86:87], v[108:109], 0
	s_wait_loadcnt 0x5
	s_delay_alu instid0(VALU_DEP_1) | instskip(SKIP_4) | instid1(VALU_DEP_1)
	v_fmac_f64_e32 v[120:121], v[88:89], v[110:111]
	scratch_load_b128 v[86:89], off, off offset:240
	s_wait_dscnt 0x0
	v_fmac_f64_e32 v[120:121], v[90:91], v[112:113]
	s_wait_loadcnt 0x5
	v_fmac_f64_e32 v[120:121], v[92:93], v[114:115]
	ds_load_2addr_b64 v[90:93], v2 offset0:61 offset1:62
	ds_load_2addr_b64 v[108:111], v2 offset0:63 offset1:64
	s_wait_dscnt 0x1
	v_fmac_f64_e32 v[120:121], v[94:95], v[90:91]
	s_wait_loadcnt 0x4
	s_delay_alu instid0(VALU_DEP_1)
	v_fmac_f64_e32 v[120:121], v[96:97], v[92:93]
	s_clause 0x1
	scratch_load_b128 v[90:93], off, off offset:256
	scratch_load_b128 v[94:97], off, off offset:272
	s_wait_dscnt 0x0
	v_fmac_f64_e32 v[120:121], v[98:99], v[108:109]
	s_wait_loadcnt 0x5
	s_delay_alu instid0(VALU_DEP_1)
	v_fmac_f64_e32 v[120:121], v[100:101], v[110:111]
	ds_load_2addr_b64 v[98:101], v2 offset0:65 offset1:66
	ds_load_2addr_b64 v[108:111], v2 offset0:67 offset1:68
	s_wait_dscnt 0x1
	v_fmac_f64_e32 v[120:121], v[102:103], v[98:99]
	s_wait_loadcnt 0x4
	s_delay_alu instid0(VALU_DEP_1)
	v_fmac_f64_e32 v[120:121], v[104:105], v[100:101]
	s_clause 0x1
	scratch_load_b128 v[98:101], off, off offset:288
	scratch_load_b128 v[102:105], off, off offset:304
	s_wait_dscnt 0x0
	v_fmac_f64_e32 v[120:121], v[106:107], v[108:109]
	s_wait_loadcnt 0x5
	s_delay_alu instid0(VALU_DEP_1)
	v_fmac_f64_e32 v[120:121], v[116:117], v[110:111]
	ds_load_2addr_b64 v[106:109], v2 offset0:69 offset1:70
	ds_load_2addr_b64 v[110:113], v2 offset0:71 offset1:72
	s_wait_dscnt 0x1
	v_fmac_f64_e32 v[120:121], v[118:119], v[106:107]
	s_wait_loadcnt 0x4
	s_delay_alu instid0(VALU_DEP_1) | instskip(SKIP_1) | instid1(VALU_DEP_1)
	v_fmac_f64_e32 v[120:121], v[86:87], v[108:109]
	s_wait_dscnt 0x0
	v_fmac_f64_e32 v[120:121], v[88:89], v[110:111]
	ds_load_2addr_b64 v[86:89], v2 offset0:73 offset1:74
	ds_load_2addr_b64 v[106:109], v2 offset0:75 offset1:76
	s_wait_loadcnt 0x3
	v_fmac_f64_e32 v[120:121], v[90:91], v[112:113]
	s_wait_dscnt 0x1
	s_delay_alu instid0(VALU_DEP_1) | instskip(SKIP_1) | instid1(VALU_DEP_1)
	v_fmac_f64_e32 v[120:121], v[92:93], v[86:87]
	s_wait_loadcnt 0x2
	v_fmac_f64_e32 v[120:121], v[94:95], v[88:89]
	ds_load_2addr_b64 v[86:89], v2 offset0:77 offset1:78
	ds_load_b64 v[90:91], v2 offset:632
	s_wait_dscnt 0x2
	v_fmac_f64_e32 v[120:121], v[96:97], v[106:107]
	s_wait_loadcnt 0x1
	s_delay_alu instid0(VALU_DEP_1) | instskip(SKIP_1) | instid1(VALU_DEP_1)
	v_fmac_f64_e32 v[120:121], v[98:99], v[108:109]
	s_wait_dscnt 0x1
	v_fmac_f64_e32 v[120:121], v[100:101], v[86:87]
	s_wait_loadcnt 0x0
	s_delay_alu instid0(VALU_DEP_1) | instskip(SKIP_1) | instid1(VALU_DEP_1)
	v_fmac_f64_e32 v[120:121], v[102:103], v[88:89]
	s_wait_dscnt 0x0
	v_fmac_f64_e32 v[120:121], v[104:105], v[90:91]
	s_delay_alu instid0(VALU_DEP_1)
	v_add_f64_e64 v[84:85], v[84:85], -v[120:121]
	scratch_store_b64 off, v[84:85], off offset:128
	s_wait_xcnt 0x0
	v_cmpx_lt_u32_e32 15, v0
	s_cbranch_execz .LBB103_219
; %bb.218:
	scratch_load_b64 v[84:85], off, off offset:120
	v_mov_b64_e32 v[86:87], 0
	scratch_store_b64 off, v[86:87], off offset:120
	s_wait_loadcnt 0x0
	ds_store_b64 v1, v[84:85]
.LBB103_219:
	s_wait_xcnt 0x0
	s_or_b32 exec_lo, exec_lo, s0
	s_wait_storecnt_dscnt 0x0
	s_barrier_signal -1
	s_barrier_wait -1
	s_clause 0x5
	scratch_load_b128 v[84:87], off, off offset:120
	scratch_load_b128 v[88:91], off, off offset:136
	;; [unrolled: 1-line block ×6, first 2 shown]
	ds_load_b128 v[108:111], v2 offset:448
	ds_load_b128 v[112:115], v2 offset:464
	scratch_load_b128 v[116:119], off, off offset:216
	s_mov_b32 s0, exec_lo
	s_wait_loadcnt_dscnt 0x601
	v_fma_f64 v[120:121], v[86:87], v[108:109], 0
	s_wait_loadcnt 0x5
	s_delay_alu instid0(VALU_DEP_1) | instskip(SKIP_4) | instid1(VALU_DEP_1)
	v_fmac_f64_e32 v[120:121], v[88:89], v[110:111]
	scratch_load_b128 v[86:89], off, off offset:232
	s_wait_dscnt 0x0
	v_fmac_f64_e32 v[120:121], v[90:91], v[112:113]
	s_wait_loadcnt 0x5
	v_fmac_f64_e32 v[120:121], v[92:93], v[114:115]
	ds_load_b128 v[90:93], v2 offset:480
	ds_load_b128 v[108:111], v2 offset:496
	s_wait_dscnt 0x1
	v_fmac_f64_e32 v[120:121], v[94:95], v[90:91]
	s_wait_loadcnt 0x4
	s_delay_alu instid0(VALU_DEP_1)
	v_fmac_f64_e32 v[120:121], v[96:97], v[92:93]
	s_clause 0x1
	scratch_load_b128 v[90:93], off, off offset:248
	scratch_load_b128 v[94:97], off, off offset:264
	s_wait_dscnt 0x0
	v_fmac_f64_e32 v[120:121], v[98:99], v[108:109]
	s_wait_loadcnt 0x5
	s_delay_alu instid0(VALU_DEP_1)
	v_fmac_f64_e32 v[120:121], v[100:101], v[110:111]
	ds_load_b128 v[98:101], v2 offset:512
	ds_load_b128 v[108:111], v2 offset:528
	s_wait_dscnt 0x1
	v_fmac_f64_e32 v[120:121], v[102:103], v[98:99]
	s_wait_loadcnt 0x4
	s_delay_alu instid0(VALU_DEP_1)
	v_fmac_f64_e32 v[120:121], v[104:105], v[100:101]
	s_clause 0x1
	scratch_load_b128 v[98:101], off, off offset:280
	scratch_load_b128 v[102:105], off, off offset:296
	s_wait_dscnt 0x0
	v_fmac_f64_e32 v[120:121], v[106:107], v[108:109]
	s_wait_loadcnt 0x5
	s_delay_alu instid0(VALU_DEP_1)
	v_fmac_f64_e32 v[120:121], v[116:117], v[110:111]
	ds_load_b128 v[106:109], v2 offset:544
	ds_load_b128 v[110:113], v2 offset:560
	scratch_load_b64 v[114:115], off, off offset:312
	s_wait_dscnt 0x1
	v_fmac_f64_e32 v[120:121], v[118:119], v[106:107]
	s_wait_loadcnt 0x5
	s_delay_alu instid0(VALU_DEP_1) | instskip(SKIP_1) | instid1(VALU_DEP_1)
	v_fmac_f64_e32 v[120:121], v[86:87], v[108:109]
	s_wait_dscnt 0x0
	v_fmac_f64_e32 v[120:121], v[88:89], v[110:111]
	ds_load_b128 v[86:89], v2 offset:576
	ds_load_b128 v[106:109], v2 offset:592
	s_wait_loadcnt 0x4
	v_fmac_f64_e32 v[120:121], v[90:91], v[112:113]
	s_wait_dscnt 0x1
	s_delay_alu instid0(VALU_DEP_1) | instskip(SKIP_1) | instid1(VALU_DEP_1)
	v_fmac_f64_e32 v[120:121], v[92:93], v[86:87]
	s_wait_loadcnt 0x3
	v_fmac_f64_e32 v[120:121], v[94:95], v[88:89]
	ds_load_b128 v[86:89], v2 offset:608
	ds_load_b128 v[90:93], v2 offset:624
	s_wait_dscnt 0x2
	v_fmac_f64_e32 v[120:121], v[96:97], v[106:107]
	s_wait_loadcnt 0x2
	s_delay_alu instid0(VALU_DEP_1) | instskip(SKIP_1) | instid1(VALU_DEP_1)
	v_fmac_f64_e32 v[120:121], v[98:99], v[108:109]
	s_wait_dscnt 0x1
	v_fmac_f64_e32 v[120:121], v[100:101], v[86:87]
	s_wait_loadcnt 0x1
	s_delay_alu instid0(VALU_DEP_1) | instskip(SKIP_1) | instid1(VALU_DEP_1)
	v_fmac_f64_e32 v[120:121], v[102:103], v[88:89]
	s_wait_dscnt 0x0
	v_fmac_f64_e32 v[120:121], v[104:105], v[90:91]
	s_wait_loadcnt 0x0
	s_delay_alu instid0(VALU_DEP_1) | instskip(NEXT) | instid1(VALU_DEP_1)
	v_fmac_f64_e32 v[120:121], v[114:115], v[92:93]
	v_add_f64_e64 v[2:3], v[84:85], -v[120:121]
	scratch_store_b64 off, v[2:3], off offset:120
	s_wait_xcnt 0x0
	v_cmpx_lt_u32_e32 14, v0
	s_cbranch_execz .LBB103_221
; %bb.220:
	scratch_load_b64 v[2:3], off, off offset:112
	v_mov_b64_e32 v[84:85], 0
	scratch_store_b64 off, v[84:85], off offset:112
	s_wait_loadcnt 0x0
	ds_store_b64 v1, v[2:3]
.LBB103_221:
	s_wait_xcnt 0x0
	s_or_b32 exec_lo, exec_lo, s0
	s_wait_storecnt_dscnt 0x0
	s_barrier_signal -1
	s_barrier_wait -1
	s_clause 0x5
	scratch_load_b128 v[84:87], off, off offset:112
	scratch_load_b128 v[88:91], off, off offset:128
	scratch_load_b128 v[92:95], off, off offset:144
	scratch_load_b128 v[96:99], off, off offset:160
	scratch_load_b128 v[100:103], off, off offset:176
	scratch_load_b128 v[104:107], off, off offset:192
	v_mov_b32_e32 v2, 0
	ds_load_2addr_b64 v[108:111], v2 offset0:55 offset1:56
	ds_load_2addr_b64 v[112:115], v2 offset0:57 offset1:58
	scratch_load_b128 v[116:119], off, off offset:208
	s_mov_b32 s0, exec_lo
	s_wait_loadcnt_dscnt 0x601
	v_fma_f64 v[120:121], v[86:87], v[108:109], 0
	s_wait_loadcnt 0x5
	s_delay_alu instid0(VALU_DEP_1) | instskip(SKIP_4) | instid1(VALU_DEP_1)
	v_fmac_f64_e32 v[120:121], v[88:89], v[110:111]
	scratch_load_b128 v[86:89], off, off offset:224
	s_wait_dscnt 0x0
	v_fmac_f64_e32 v[120:121], v[90:91], v[112:113]
	s_wait_loadcnt 0x5
	v_fmac_f64_e32 v[120:121], v[92:93], v[114:115]
	ds_load_2addr_b64 v[90:93], v2 offset0:59 offset1:60
	ds_load_2addr_b64 v[108:111], v2 offset0:61 offset1:62
	s_wait_dscnt 0x1
	v_fmac_f64_e32 v[120:121], v[94:95], v[90:91]
	s_wait_loadcnt 0x4
	s_delay_alu instid0(VALU_DEP_1)
	v_fmac_f64_e32 v[120:121], v[96:97], v[92:93]
	s_clause 0x1
	scratch_load_b128 v[90:93], off, off offset:240
	scratch_load_b128 v[94:97], off, off offset:256
	s_wait_dscnt 0x0
	v_fmac_f64_e32 v[120:121], v[98:99], v[108:109]
	s_wait_loadcnt 0x5
	s_delay_alu instid0(VALU_DEP_1)
	v_fmac_f64_e32 v[120:121], v[100:101], v[110:111]
	ds_load_2addr_b64 v[98:101], v2 offset0:63 offset1:64
	ds_load_2addr_b64 v[108:111], v2 offset0:65 offset1:66
	s_wait_dscnt 0x1
	v_fmac_f64_e32 v[120:121], v[102:103], v[98:99]
	s_wait_loadcnt 0x4
	s_delay_alu instid0(VALU_DEP_1)
	v_fmac_f64_e32 v[120:121], v[104:105], v[100:101]
	s_clause 0x1
	scratch_load_b128 v[98:101], off, off offset:272
	scratch_load_b128 v[102:105], off, off offset:288
	s_wait_dscnt 0x0
	v_fmac_f64_e32 v[120:121], v[106:107], v[108:109]
	s_wait_loadcnt 0x5
	s_delay_alu instid0(VALU_DEP_1)
	v_fmac_f64_e32 v[120:121], v[116:117], v[110:111]
	ds_load_2addr_b64 v[106:109], v2 offset0:67 offset1:68
	ds_load_2addr_b64 v[110:113], v2 offset0:69 offset1:70
	s_wait_dscnt 0x1
	v_fmac_f64_e32 v[120:121], v[118:119], v[106:107]
	s_wait_loadcnt 0x4
	s_delay_alu instid0(VALU_DEP_1) | instskip(SKIP_4) | instid1(VALU_DEP_1)
	v_fmac_f64_e32 v[120:121], v[86:87], v[108:109]
	scratch_load_b128 v[106:109], off, off offset:304
	s_wait_dscnt 0x0
	v_fmac_f64_e32 v[120:121], v[88:89], v[110:111]
	s_wait_loadcnt 0x4
	v_fmac_f64_e32 v[120:121], v[90:91], v[112:113]
	ds_load_2addr_b64 v[86:89], v2 offset0:71 offset1:72
	ds_load_2addr_b64 v[110:113], v2 offset0:73 offset1:74
	s_wait_dscnt 0x1
	v_fmac_f64_e32 v[120:121], v[92:93], v[86:87]
	s_wait_loadcnt 0x3
	s_delay_alu instid0(VALU_DEP_1)
	v_fmac_f64_e32 v[120:121], v[94:95], v[88:89]
	ds_load_2addr_b64 v[86:89], v2 offset0:75 offset1:76
	ds_load_2addr_b64 v[90:93], v2 offset0:77 offset1:78
	s_wait_dscnt 0x2
	v_fmac_f64_e32 v[120:121], v[96:97], v[110:111]
	s_wait_loadcnt 0x2
	s_delay_alu instid0(VALU_DEP_1) | instskip(SKIP_1) | instid1(VALU_DEP_1)
	v_fmac_f64_e32 v[120:121], v[98:99], v[112:113]
	s_wait_dscnt 0x1
	v_fmac_f64_e32 v[120:121], v[100:101], v[86:87]
	ds_load_b64 v[86:87], v2 offset:632
	s_wait_loadcnt 0x1
	v_fmac_f64_e32 v[120:121], v[102:103], v[88:89]
	s_wait_dscnt 0x1
	s_delay_alu instid0(VALU_DEP_1) | instskip(SKIP_1) | instid1(VALU_DEP_1)
	v_fmac_f64_e32 v[120:121], v[104:105], v[90:91]
	s_wait_loadcnt 0x0
	v_fmac_f64_e32 v[120:121], v[106:107], v[92:93]
	s_wait_dscnt 0x0
	s_delay_alu instid0(VALU_DEP_1) | instskip(NEXT) | instid1(VALU_DEP_1)
	v_fmac_f64_e32 v[120:121], v[108:109], v[86:87]
	v_add_f64_e64 v[84:85], v[84:85], -v[120:121]
	scratch_store_b64 off, v[84:85], off offset:112
	s_wait_xcnt 0x0
	v_cmpx_lt_u32_e32 13, v0
	s_cbranch_execz .LBB103_223
; %bb.222:
	scratch_load_b64 v[84:85], off, off offset:104
	v_mov_b64_e32 v[86:87], 0
	scratch_store_b64 off, v[86:87], off offset:104
	s_wait_loadcnt 0x0
	ds_store_b64 v1, v[84:85]
.LBB103_223:
	s_wait_xcnt 0x0
	s_or_b32 exec_lo, exec_lo, s0
	s_wait_storecnt_dscnt 0x0
	s_barrier_signal -1
	s_barrier_wait -1
	s_clause 0x5
	scratch_load_b128 v[84:87], off, off offset:104
	scratch_load_b128 v[88:91], off, off offset:120
	;; [unrolled: 1-line block ×6, first 2 shown]
	ds_load_b128 v[108:111], v2 offset:432
	ds_load_b128 v[112:115], v2 offset:448
	scratch_load_b128 v[116:119], off, off offset:200
	s_mov_b32 s0, exec_lo
	s_wait_loadcnt_dscnt 0x601
	v_fma_f64 v[120:121], v[86:87], v[108:109], 0
	s_wait_loadcnt 0x5
	s_delay_alu instid0(VALU_DEP_1) | instskip(SKIP_4) | instid1(VALU_DEP_1)
	v_fmac_f64_e32 v[120:121], v[88:89], v[110:111]
	scratch_load_b128 v[86:89], off, off offset:216
	s_wait_dscnt 0x0
	v_fmac_f64_e32 v[120:121], v[90:91], v[112:113]
	s_wait_loadcnt 0x5
	v_fmac_f64_e32 v[120:121], v[92:93], v[114:115]
	ds_load_b128 v[90:93], v2 offset:464
	ds_load_b128 v[108:111], v2 offset:480
	scratch_load_b128 v[112:115], off, off offset:232
	s_wait_dscnt 0x1
	v_fmac_f64_e32 v[120:121], v[94:95], v[90:91]
	s_wait_loadcnt 0x5
	s_delay_alu instid0(VALU_DEP_1) | instskip(SKIP_4) | instid1(VALU_DEP_1)
	v_fmac_f64_e32 v[120:121], v[96:97], v[92:93]
	scratch_load_b128 v[90:93], off, off offset:248
	s_wait_dscnt 0x0
	v_fmac_f64_e32 v[120:121], v[98:99], v[108:109]
	s_wait_loadcnt 0x5
	v_fmac_f64_e32 v[120:121], v[100:101], v[110:111]
	ds_load_b128 v[94:97], v2 offset:496
	ds_load_b128 v[98:101], v2 offset:512
	s_wait_dscnt 0x1
	v_fmac_f64_e32 v[120:121], v[102:103], v[94:95]
	s_wait_loadcnt 0x4
	s_delay_alu instid0(VALU_DEP_1) | instskip(SKIP_4) | instid1(VALU_DEP_1)
	v_fmac_f64_e32 v[120:121], v[104:105], v[96:97]
	scratch_load_b128 v[94:97], off, off offset:264
	s_wait_dscnt 0x0
	v_fmac_f64_e32 v[120:121], v[106:107], v[98:99]
	s_wait_loadcnt 0x4
	v_fmac_f64_e32 v[120:121], v[116:117], v[100:101]
	scratch_load_b128 v[98:101], off, off offset:280
	ds_load_b128 v[102:105], v2 offset:528
	ds_load_b128 v[106:109], v2 offset:544
	scratch_load_b64 v[110:111], off, off offset:312
	s_wait_dscnt 0x1
	v_fmac_f64_e32 v[120:121], v[118:119], v[102:103]
	s_wait_loadcnt 0x5
	s_delay_alu instid0(VALU_DEP_1) | instskip(SKIP_4) | instid1(VALU_DEP_1)
	v_fmac_f64_e32 v[120:121], v[86:87], v[104:105]
	scratch_load_b128 v[102:105], off, off offset:296
	s_wait_dscnt 0x0
	v_fmac_f64_e32 v[120:121], v[88:89], v[106:107]
	s_wait_loadcnt 0x5
	v_fmac_f64_e32 v[120:121], v[112:113], v[108:109]
	ds_load_b128 v[86:89], v2 offset:560
	ds_load_b128 v[106:109], v2 offset:576
	s_wait_dscnt 0x1
	v_fmac_f64_e32 v[120:121], v[114:115], v[86:87]
	s_wait_loadcnt 0x4
	s_delay_alu instid0(VALU_DEP_1) | instskip(SKIP_1) | instid1(VALU_DEP_1)
	v_fmac_f64_e32 v[120:121], v[90:91], v[88:89]
	s_wait_dscnt 0x0
	v_fmac_f64_e32 v[120:121], v[92:93], v[106:107]
	ds_load_b128 v[86:89], v2 offset:592
	ds_load_b128 v[90:93], v2 offset:608
	s_wait_loadcnt 0x3
	v_fmac_f64_e32 v[120:121], v[94:95], v[108:109]
	s_wait_dscnt 0x1
	s_delay_alu instid0(VALU_DEP_1) | instskip(SKIP_1) | instid1(VALU_DEP_1)
	v_fmac_f64_e32 v[120:121], v[96:97], v[86:87]
	s_wait_loadcnt 0x2
	v_fmac_f64_e32 v[120:121], v[98:99], v[88:89]
	ds_load_b128 v[86:89], v2 offset:624
	s_wait_dscnt 0x1
	v_fmac_f64_e32 v[120:121], v[100:101], v[90:91]
	s_wait_loadcnt 0x0
	s_delay_alu instid0(VALU_DEP_1) | instskip(SKIP_1) | instid1(VALU_DEP_1)
	v_fmac_f64_e32 v[120:121], v[102:103], v[92:93]
	s_wait_dscnt 0x0
	v_fmac_f64_e32 v[120:121], v[104:105], v[86:87]
	s_delay_alu instid0(VALU_DEP_1) | instskip(NEXT) | instid1(VALU_DEP_1)
	v_fmac_f64_e32 v[120:121], v[110:111], v[88:89]
	v_add_f64_e64 v[2:3], v[84:85], -v[120:121]
	scratch_store_b64 off, v[2:3], off offset:104
	s_wait_xcnt 0x0
	v_cmpx_lt_u32_e32 12, v0
	s_cbranch_execz .LBB103_225
; %bb.224:
	scratch_load_b64 v[2:3], off, off offset:96
	v_mov_b64_e32 v[84:85], 0
	scratch_store_b64 off, v[84:85], off offset:96
	s_wait_loadcnt 0x0
	ds_store_b64 v1, v[2:3]
.LBB103_225:
	s_wait_xcnt 0x0
	s_or_b32 exec_lo, exec_lo, s0
	s_wait_storecnt_dscnt 0x0
	s_barrier_signal -1
	s_barrier_wait -1
	s_clause 0x5
	scratch_load_b128 v[84:87], off, off offset:96
	scratch_load_b128 v[88:91], off, off offset:112
	;; [unrolled: 1-line block ×6, first 2 shown]
	v_mov_b32_e32 v2, 0
	ds_load_2addr_b64 v[108:111], v2 offset0:53 offset1:54
	ds_load_2addr_b64 v[112:115], v2 offset0:55 offset1:56
	scratch_load_b128 v[116:119], off, off offset:192
	s_mov_b32 s0, exec_lo
	s_wait_loadcnt_dscnt 0x601
	v_fma_f64 v[120:121], v[86:87], v[108:109], 0
	s_wait_loadcnt 0x5
	s_delay_alu instid0(VALU_DEP_1) | instskip(SKIP_4) | instid1(VALU_DEP_1)
	v_fmac_f64_e32 v[120:121], v[88:89], v[110:111]
	scratch_load_b128 v[86:89], off, off offset:208
	s_wait_dscnt 0x0
	v_fmac_f64_e32 v[120:121], v[90:91], v[112:113]
	s_wait_loadcnt 0x5
	v_fmac_f64_e32 v[120:121], v[92:93], v[114:115]
	ds_load_2addr_b64 v[90:93], v2 offset0:57 offset1:58
	ds_load_2addr_b64 v[108:111], v2 offset0:59 offset1:60
	scratch_load_b128 v[112:115], off, off offset:224
	s_wait_dscnt 0x1
	v_fmac_f64_e32 v[120:121], v[94:95], v[90:91]
	s_wait_loadcnt 0x5
	s_delay_alu instid0(VALU_DEP_1) | instskip(SKIP_4) | instid1(VALU_DEP_1)
	v_fmac_f64_e32 v[120:121], v[96:97], v[92:93]
	scratch_load_b128 v[90:93], off, off offset:240
	s_wait_dscnt 0x0
	v_fmac_f64_e32 v[120:121], v[98:99], v[108:109]
	s_wait_loadcnt 0x5
	v_fmac_f64_e32 v[120:121], v[100:101], v[110:111]
	ds_load_2addr_b64 v[94:97], v2 offset0:61 offset1:62
	ds_load_2addr_b64 v[98:101], v2 offset0:63 offset1:64
	s_wait_dscnt 0x1
	v_fmac_f64_e32 v[120:121], v[102:103], v[94:95]
	s_wait_loadcnt 0x4
	s_delay_alu instid0(VALU_DEP_1) | instskip(SKIP_4) | instid1(VALU_DEP_1)
	v_fmac_f64_e32 v[120:121], v[104:105], v[96:97]
	scratch_load_b128 v[94:97], off, off offset:256
	s_wait_dscnt 0x0
	v_fmac_f64_e32 v[120:121], v[106:107], v[98:99]
	s_wait_loadcnt 0x4
	v_fmac_f64_e32 v[120:121], v[116:117], v[100:101]
	scratch_load_b128 v[98:101], off, off offset:272
	ds_load_2addr_b64 v[102:105], v2 offset0:65 offset1:66
	ds_load_2addr_b64 v[106:109], v2 offset0:67 offset1:68
	s_wait_dscnt 0x1
	v_fmac_f64_e32 v[120:121], v[118:119], v[102:103]
	s_wait_loadcnt 0x4
	s_delay_alu instid0(VALU_DEP_1)
	v_fmac_f64_e32 v[120:121], v[86:87], v[104:105]
	scratch_load_b128 v[102:105], off, off offset:288
	s_wait_dscnt 0x0
	v_fmac_f64_e32 v[120:121], v[88:89], v[106:107]
	scratch_load_b128 v[86:89], off, off offset:304
	s_wait_loadcnt 0x5
	v_fmac_f64_e32 v[120:121], v[112:113], v[108:109]
	ds_load_2addr_b64 v[106:109], v2 offset0:69 offset1:70
	ds_load_2addr_b64 v[110:113], v2 offset0:71 offset1:72
	s_wait_dscnt 0x1
	v_fmac_f64_e32 v[120:121], v[114:115], v[106:107]
	s_wait_loadcnt 0x4
	s_delay_alu instid0(VALU_DEP_1) | instskip(SKIP_1) | instid1(VALU_DEP_1)
	v_fmac_f64_e32 v[120:121], v[90:91], v[108:109]
	s_wait_dscnt 0x0
	v_fmac_f64_e32 v[120:121], v[92:93], v[110:111]
	ds_load_2addr_b64 v[90:93], v2 offset0:73 offset1:74
	ds_load_2addr_b64 v[106:109], v2 offset0:75 offset1:76
	s_wait_loadcnt 0x3
	v_fmac_f64_e32 v[120:121], v[94:95], v[112:113]
	s_wait_dscnt 0x1
	s_delay_alu instid0(VALU_DEP_1) | instskip(SKIP_1) | instid1(VALU_DEP_1)
	v_fmac_f64_e32 v[120:121], v[96:97], v[90:91]
	s_wait_loadcnt 0x2
	v_fmac_f64_e32 v[120:121], v[98:99], v[92:93]
	ds_load_2addr_b64 v[90:93], v2 offset0:77 offset1:78
	ds_load_b64 v[94:95], v2 offset:632
	s_wait_dscnt 0x2
	v_fmac_f64_e32 v[120:121], v[100:101], v[106:107]
	s_wait_loadcnt 0x1
	s_delay_alu instid0(VALU_DEP_1) | instskip(SKIP_1) | instid1(VALU_DEP_1)
	v_fmac_f64_e32 v[120:121], v[102:103], v[108:109]
	s_wait_dscnt 0x1
	v_fmac_f64_e32 v[120:121], v[104:105], v[90:91]
	s_wait_loadcnt 0x0
	s_delay_alu instid0(VALU_DEP_1) | instskip(SKIP_1) | instid1(VALU_DEP_1)
	v_fmac_f64_e32 v[120:121], v[86:87], v[92:93]
	s_wait_dscnt 0x0
	v_fmac_f64_e32 v[120:121], v[88:89], v[94:95]
	s_delay_alu instid0(VALU_DEP_1)
	v_add_f64_e64 v[84:85], v[84:85], -v[120:121]
	scratch_store_b64 off, v[84:85], off offset:96
	s_wait_xcnt 0x0
	v_cmpx_lt_u32_e32 11, v0
	s_cbranch_execz .LBB103_227
; %bb.226:
	scratch_load_b64 v[84:85], off, off offset:88
	v_mov_b64_e32 v[86:87], 0
	scratch_store_b64 off, v[86:87], off offset:88
	s_wait_loadcnt 0x0
	ds_store_b64 v1, v[84:85]
.LBB103_227:
	s_wait_xcnt 0x0
	s_or_b32 exec_lo, exec_lo, s0
	s_wait_storecnt_dscnt 0x0
	s_barrier_signal -1
	s_barrier_wait -1
	s_clause 0x5
	scratch_load_b128 v[84:87], off, off offset:88
	scratch_load_b128 v[88:91], off, off offset:104
	;; [unrolled: 1-line block ×6, first 2 shown]
	ds_load_b128 v[108:111], v2 offset:416
	ds_load_b128 v[112:115], v2 offset:432
	scratch_load_b128 v[116:119], off, off offset:184
	s_mov_b32 s0, exec_lo
	s_wait_loadcnt_dscnt 0x601
	v_fma_f64 v[120:121], v[86:87], v[108:109], 0
	s_wait_loadcnt 0x5
	s_delay_alu instid0(VALU_DEP_1) | instskip(SKIP_4) | instid1(VALU_DEP_1)
	v_fmac_f64_e32 v[120:121], v[88:89], v[110:111]
	scratch_load_b128 v[86:89], off, off offset:200
	s_wait_dscnt 0x0
	v_fmac_f64_e32 v[120:121], v[90:91], v[112:113]
	s_wait_loadcnt 0x5
	v_fmac_f64_e32 v[120:121], v[92:93], v[114:115]
	ds_load_b128 v[90:93], v2 offset:448
	ds_load_b128 v[108:111], v2 offset:464
	scratch_load_b128 v[112:115], off, off offset:216
	s_wait_dscnt 0x1
	v_fmac_f64_e32 v[120:121], v[94:95], v[90:91]
	s_wait_loadcnt 0x5
	s_delay_alu instid0(VALU_DEP_1) | instskip(SKIP_4) | instid1(VALU_DEP_1)
	v_fmac_f64_e32 v[120:121], v[96:97], v[92:93]
	scratch_load_b128 v[90:93], off, off offset:232
	s_wait_dscnt 0x0
	v_fmac_f64_e32 v[120:121], v[98:99], v[108:109]
	s_wait_loadcnt 0x5
	v_fmac_f64_e32 v[120:121], v[100:101], v[110:111]
	ds_load_b128 v[94:97], v2 offset:480
	ds_load_b128 v[98:101], v2 offset:496
	s_wait_dscnt 0x1
	v_fmac_f64_e32 v[120:121], v[102:103], v[94:95]
	s_wait_loadcnt 0x4
	s_delay_alu instid0(VALU_DEP_1) | instskip(SKIP_4) | instid1(VALU_DEP_1)
	v_fmac_f64_e32 v[120:121], v[104:105], v[96:97]
	scratch_load_b128 v[94:97], off, off offset:248
	s_wait_dscnt 0x0
	v_fmac_f64_e32 v[120:121], v[106:107], v[98:99]
	s_wait_loadcnt 0x4
	v_fmac_f64_e32 v[120:121], v[116:117], v[100:101]
	scratch_load_b128 v[98:101], off, off offset:264
	ds_load_b128 v[102:105], v2 offset:512
	ds_load_b128 v[106:109], v2 offset:528
	s_wait_dscnt 0x1
	v_fmac_f64_e32 v[120:121], v[118:119], v[102:103]
	s_wait_loadcnt 0x4
	s_delay_alu instid0(VALU_DEP_1)
	v_fmac_f64_e32 v[120:121], v[86:87], v[104:105]
	scratch_load_b128 v[102:105], off, off offset:280
	s_wait_dscnt 0x0
	v_fmac_f64_e32 v[120:121], v[88:89], v[106:107]
	scratch_load_b128 v[86:89], off, off offset:296
	s_wait_loadcnt 0x5
	v_fmac_f64_e32 v[120:121], v[112:113], v[108:109]
	ds_load_b128 v[106:109], v2 offset:544
	ds_load_b128 v[110:113], v2 offset:560
	s_wait_dscnt 0x1
	v_fmac_f64_e32 v[120:121], v[114:115], v[106:107]
	scratch_load_b64 v[114:115], off, off offset:312
	s_wait_loadcnt 0x5
	v_fmac_f64_e32 v[120:121], v[90:91], v[108:109]
	s_wait_dscnt 0x0
	s_delay_alu instid0(VALU_DEP_1)
	v_fmac_f64_e32 v[120:121], v[92:93], v[110:111]
	ds_load_b128 v[90:93], v2 offset:576
	ds_load_b128 v[106:109], v2 offset:592
	s_wait_loadcnt 0x4
	v_fmac_f64_e32 v[120:121], v[94:95], v[112:113]
	s_wait_dscnt 0x1
	s_delay_alu instid0(VALU_DEP_1) | instskip(SKIP_1) | instid1(VALU_DEP_1)
	v_fmac_f64_e32 v[120:121], v[96:97], v[90:91]
	s_wait_loadcnt 0x3
	v_fmac_f64_e32 v[120:121], v[98:99], v[92:93]
	ds_load_b128 v[90:93], v2 offset:608
	ds_load_b128 v[94:97], v2 offset:624
	s_wait_dscnt 0x2
	v_fmac_f64_e32 v[120:121], v[100:101], v[106:107]
	s_wait_loadcnt 0x2
	s_delay_alu instid0(VALU_DEP_1) | instskip(SKIP_1) | instid1(VALU_DEP_1)
	v_fmac_f64_e32 v[120:121], v[102:103], v[108:109]
	s_wait_dscnt 0x1
	v_fmac_f64_e32 v[120:121], v[104:105], v[90:91]
	s_wait_loadcnt 0x1
	s_delay_alu instid0(VALU_DEP_1) | instskip(SKIP_1) | instid1(VALU_DEP_1)
	v_fmac_f64_e32 v[120:121], v[86:87], v[92:93]
	s_wait_dscnt 0x0
	v_fmac_f64_e32 v[120:121], v[88:89], v[94:95]
	s_wait_loadcnt 0x0
	s_delay_alu instid0(VALU_DEP_1) | instskip(NEXT) | instid1(VALU_DEP_1)
	v_fmac_f64_e32 v[120:121], v[114:115], v[96:97]
	v_add_f64_e64 v[2:3], v[84:85], -v[120:121]
	scratch_store_b64 off, v[2:3], off offset:88
	s_wait_xcnt 0x0
	v_cmpx_lt_u32_e32 10, v0
	s_cbranch_execz .LBB103_229
; %bb.228:
	scratch_load_b64 v[2:3], off, off offset:80
	v_mov_b64_e32 v[84:85], 0
	scratch_store_b64 off, v[84:85], off offset:80
	s_wait_loadcnt 0x0
	ds_store_b64 v1, v[2:3]
.LBB103_229:
	s_wait_xcnt 0x0
	s_or_b32 exec_lo, exec_lo, s0
	s_wait_storecnt_dscnt 0x0
	s_barrier_signal -1
	s_barrier_wait -1
	s_clause 0x5
	scratch_load_b128 v[84:87], off, off offset:80
	scratch_load_b128 v[88:91], off, off offset:96
	;; [unrolled: 1-line block ×6, first 2 shown]
	v_mov_b32_e32 v2, 0
	ds_load_2addr_b64 v[108:111], v2 offset0:51 offset1:52
	ds_load_2addr_b64 v[112:115], v2 offset0:53 offset1:54
	scratch_load_b128 v[116:119], off, off offset:176
	s_mov_b32 s0, exec_lo
	s_wait_loadcnt_dscnt 0x601
	v_fma_f64 v[120:121], v[86:87], v[108:109], 0
	s_wait_loadcnt 0x5
	s_delay_alu instid0(VALU_DEP_1) | instskip(SKIP_4) | instid1(VALU_DEP_1)
	v_fmac_f64_e32 v[120:121], v[88:89], v[110:111]
	scratch_load_b128 v[86:89], off, off offset:192
	s_wait_dscnt 0x0
	v_fmac_f64_e32 v[120:121], v[90:91], v[112:113]
	s_wait_loadcnt 0x5
	v_fmac_f64_e32 v[120:121], v[92:93], v[114:115]
	ds_load_2addr_b64 v[90:93], v2 offset0:55 offset1:56
	ds_load_2addr_b64 v[108:111], v2 offset0:57 offset1:58
	scratch_load_b128 v[112:115], off, off offset:208
	s_wait_dscnt 0x1
	v_fmac_f64_e32 v[120:121], v[94:95], v[90:91]
	s_wait_loadcnt 0x5
	s_delay_alu instid0(VALU_DEP_1) | instskip(SKIP_4) | instid1(VALU_DEP_1)
	v_fmac_f64_e32 v[120:121], v[96:97], v[92:93]
	scratch_load_b128 v[90:93], off, off offset:224
	s_wait_dscnt 0x0
	v_fmac_f64_e32 v[120:121], v[98:99], v[108:109]
	s_wait_loadcnt 0x5
	v_fmac_f64_e32 v[120:121], v[100:101], v[110:111]
	ds_load_2addr_b64 v[94:97], v2 offset0:59 offset1:60
	ds_load_2addr_b64 v[98:101], v2 offset0:61 offset1:62
	s_wait_dscnt 0x1
	v_fmac_f64_e32 v[120:121], v[102:103], v[94:95]
	s_wait_loadcnt 0x4
	s_delay_alu instid0(VALU_DEP_1) | instskip(SKIP_4) | instid1(VALU_DEP_1)
	v_fmac_f64_e32 v[120:121], v[104:105], v[96:97]
	scratch_load_b128 v[94:97], off, off offset:240
	s_wait_dscnt 0x0
	v_fmac_f64_e32 v[120:121], v[106:107], v[98:99]
	s_wait_loadcnt 0x4
	v_fmac_f64_e32 v[120:121], v[116:117], v[100:101]
	scratch_load_b128 v[98:101], off, off offset:256
	ds_load_2addr_b64 v[102:105], v2 offset0:63 offset1:64
	ds_load_2addr_b64 v[106:109], v2 offset0:65 offset1:66
	s_wait_dscnt 0x1
	v_fmac_f64_e32 v[120:121], v[118:119], v[102:103]
	s_wait_loadcnt 0x4
	s_delay_alu instid0(VALU_DEP_1)
	v_fmac_f64_e32 v[120:121], v[86:87], v[104:105]
	scratch_load_b128 v[102:105], off, off offset:272
	s_wait_dscnt 0x0
	v_fmac_f64_e32 v[120:121], v[88:89], v[106:107]
	scratch_load_b128 v[86:89], off, off offset:288
	s_wait_loadcnt 0x5
	v_fmac_f64_e32 v[120:121], v[112:113], v[108:109]
	ds_load_2addr_b64 v[106:109], v2 offset0:67 offset1:68
	ds_load_2addr_b64 v[110:113], v2 offset0:69 offset1:70
	s_wait_dscnt 0x1
	v_fmac_f64_e32 v[120:121], v[114:115], v[106:107]
	s_wait_loadcnt 0x4
	s_delay_alu instid0(VALU_DEP_1) | instskip(SKIP_4) | instid1(VALU_DEP_1)
	v_fmac_f64_e32 v[120:121], v[90:91], v[108:109]
	scratch_load_b128 v[106:109], off, off offset:304
	s_wait_dscnt 0x0
	v_fmac_f64_e32 v[120:121], v[92:93], v[110:111]
	s_wait_loadcnt 0x4
	v_fmac_f64_e32 v[120:121], v[94:95], v[112:113]
	ds_load_2addr_b64 v[90:93], v2 offset0:71 offset1:72
	ds_load_2addr_b64 v[110:113], v2 offset0:73 offset1:74
	s_wait_dscnt 0x1
	v_fmac_f64_e32 v[120:121], v[96:97], v[90:91]
	s_wait_loadcnt 0x3
	s_delay_alu instid0(VALU_DEP_1)
	v_fmac_f64_e32 v[120:121], v[98:99], v[92:93]
	ds_load_2addr_b64 v[90:93], v2 offset0:75 offset1:76
	ds_load_2addr_b64 v[94:97], v2 offset0:77 offset1:78
	s_wait_dscnt 0x2
	v_fmac_f64_e32 v[120:121], v[100:101], v[110:111]
	s_wait_loadcnt 0x2
	s_delay_alu instid0(VALU_DEP_1) | instskip(SKIP_1) | instid1(VALU_DEP_1)
	v_fmac_f64_e32 v[120:121], v[102:103], v[112:113]
	s_wait_dscnt 0x1
	v_fmac_f64_e32 v[120:121], v[104:105], v[90:91]
	s_wait_loadcnt 0x1
	s_delay_alu instid0(VALU_DEP_1) | instskip(SKIP_4) | instid1(VALU_DEP_1)
	v_fmac_f64_e32 v[120:121], v[86:87], v[92:93]
	ds_load_b64 v[86:87], v2 offset:632
	s_wait_dscnt 0x1
	v_fmac_f64_e32 v[120:121], v[88:89], v[94:95]
	s_wait_loadcnt 0x0
	v_fmac_f64_e32 v[120:121], v[106:107], v[96:97]
	s_wait_dscnt 0x0
	s_delay_alu instid0(VALU_DEP_1) | instskip(NEXT) | instid1(VALU_DEP_1)
	v_fmac_f64_e32 v[120:121], v[108:109], v[86:87]
	v_add_f64_e64 v[84:85], v[84:85], -v[120:121]
	scratch_store_b64 off, v[84:85], off offset:80
	s_wait_xcnt 0x0
	v_cmpx_lt_u32_e32 9, v0
	s_cbranch_execz .LBB103_231
; %bb.230:
	scratch_load_b64 v[84:85], off, off offset:72
	v_mov_b64_e32 v[86:87], 0
	scratch_store_b64 off, v[86:87], off offset:72
	s_wait_loadcnt 0x0
	ds_store_b64 v1, v[84:85]
.LBB103_231:
	s_wait_xcnt 0x0
	s_or_b32 exec_lo, exec_lo, s0
	s_wait_storecnt_dscnt 0x0
	s_barrier_signal -1
	s_barrier_wait -1
	s_clause 0x5
	scratch_load_b128 v[84:87], off, off offset:72
	scratch_load_b128 v[88:91], off, off offset:88
	;; [unrolled: 1-line block ×6, first 2 shown]
	ds_load_b128 v[108:111], v2 offset:400
	ds_load_b128 v[112:115], v2 offset:416
	scratch_load_b128 v[116:119], off, off offset:168
	s_mov_b32 s0, exec_lo
	s_wait_loadcnt_dscnt 0x601
	v_fma_f64 v[120:121], v[86:87], v[108:109], 0
	s_wait_loadcnt 0x5
	s_delay_alu instid0(VALU_DEP_1) | instskip(SKIP_4) | instid1(VALU_DEP_1)
	v_fmac_f64_e32 v[120:121], v[88:89], v[110:111]
	scratch_load_b128 v[86:89], off, off offset:184
	s_wait_dscnt 0x0
	v_fmac_f64_e32 v[120:121], v[90:91], v[112:113]
	s_wait_loadcnt 0x5
	v_fmac_f64_e32 v[120:121], v[92:93], v[114:115]
	ds_load_b128 v[90:93], v2 offset:432
	ds_load_b128 v[108:111], v2 offset:448
	scratch_load_b128 v[112:115], off, off offset:200
	s_wait_dscnt 0x1
	v_fmac_f64_e32 v[120:121], v[94:95], v[90:91]
	s_wait_loadcnt 0x5
	s_delay_alu instid0(VALU_DEP_1) | instskip(SKIP_4) | instid1(VALU_DEP_1)
	v_fmac_f64_e32 v[120:121], v[96:97], v[92:93]
	scratch_load_b128 v[90:93], off, off offset:216
	s_wait_dscnt 0x0
	v_fmac_f64_e32 v[120:121], v[98:99], v[108:109]
	s_wait_loadcnt 0x5
	v_fmac_f64_e32 v[120:121], v[100:101], v[110:111]
	ds_load_b128 v[94:97], v2 offset:464
	ds_load_b128 v[98:101], v2 offset:480
	scratch_load_b128 v[108:111], off, off offset:232
	s_wait_dscnt 0x1
	v_fmac_f64_e32 v[120:121], v[102:103], v[94:95]
	s_wait_loadcnt 0x5
	s_delay_alu instid0(VALU_DEP_1) | instskip(SKIP_4) | instid1(VALU_DEP_1)
	v_fmac_f64_e32 v[120:121], v[104:105], v[96:97]
	scratch_load_b128 v[94:97], off, off offset:248
	s_wait_dscnt 0x0
	v_fmac_f64_e32 v[120:121], v[106:107], v[98:99]
	s_wait_loadcnt 0x5
	v_fmac_f64_e32 v[120:121], v[116:117], v[100:101]
	ds_load_b128 v[98:101], v2 offset:496
	ds_load_b128 v[102:105], v2 offset:512
	s_wait_dscnt 0x1
	v_fmac_f64_e32 v[120:121], v[118:119], v[98:99]
	s_wait_loadcnt 0x4
	s_delay_alu instid0(VALU_DEP_1)
	v_fmac_f64_e32 v[120:121], v[86:87], v[100:101]
	scratch_load_b128 v[98:101], off, off offset:264
	s_wait_dscnt 0x0
	v_fmac_f64_e32 v[120:121], v[88:89], v[102:103]
	scratch_load_b128 v[86:89], off, off offset:280
	s_wait_loadcnt 0x5
	v_fmac_f64_e32 v[120:121], v[112:113], v[104:105]
	ds_load_b128 v[102:105], v2 offset:528
	ds_load_b128 v[116:119], v2 offset:544
	scratch_load_b64 v[112:113], off, off offset:312
	s_wait_dscnt 0x1
	v_fmac_f64_e32 v[120:121], v[114:115], v[102:103]
	s_wait_loadcnt 0x5
	s_delay_alu instid0(VALU_DEP_1) | instskip(SKIP_4) | instid1(VALU_DEP_1)
	v_fmac_f64_e32 v[120:121], v[90:91], v[104:105]
	scratch_load_b128 v[102:105], off, off offset:296
	s_wait_dscnt 0x0
	v_fmac_f64_e32 v[120:121], v[92:93], v[116:117]
	s_wait_loadcnt 0x5
	v_fmac_f64_e32 v[120:121], v[108:109], v[118:119]
	ds_load_b128 v[90:93], v2 offset:560
	ds_load_b128 v[106:109], v2 offset:576
	s_wait_dscnt 0x1
	v_fmac_f64_e32 v[120:121], v[110:111], v[90:91]
	s_wait_loadcnt 0x4
	s_delay_alu instid0(VALU_DEP_1) | instskip(SKIP_1) | instid1(VALU_DEP_1)
	v_fmac_f64_e32 v[120:121], v[94:95], v[92:93]
	s_wait_dscnt 0x0
	v_fmac_f64_e32 v[120:121], v[96:97], v[106:107]
	ds_load_b128 v[90:93], v2 offset:592
	ds_load_b128 v[94:97], v2 offset:608
	s_wait_loadcnt 0x3
	v_fmac_f64_e32 v[120:121], v[98:99], v[108:109]
	s_wait_dscnt 0x1
	s_delay_alu instid0(VALU_DEP_1) | instskip(SKIP_1) | instid1(VALU_DEP_1)
	v_fmac_f64_e32 v[120:121], v[100:101], v[90:91]
	s_wait_loadcnt 0x2
	v_fmac_f64_e32 v[120:121], v[86:87], v[92:93]
	s_wait_dscnt 0x0
	s_delay_alu instid0(VALU_DEP_1) | instskip(SKIP_4) | instid1(VALU_DEP_1)
	v_fmac_f64_e32 v[120:121], v[88:89], v[94:95]
	ds_load_b128 v[86:89], v2 offset:624
	s_wait_loadcnt 0x0
	v_fmac_f64_e32 v[120:121], v[102:103], v[96:97]
	s_wait_dscnt 0x0
	v_fmac_f64_e32 v[120:121], v[104:105], v[86:87]
	s_delay_alu instid0(VALU_DEP_1) | instskip(NEXT) | instid1(VALU_DEP_1)
	v_fmac_f64_e32 v[120:121], v[112:113], v[88:89]
	v_add_f64_e64 v[2:3], v[84:85], -v[120:121]
	scratch_store_b64 off, v[2:3], off offset:72
	s_wait_xcnt 0x0
	v_cmpx_lt_u32_e32 8, v0
	s_cbranch_execz .LBB103_233
; %bb.232:
	scratch_load_b64 v[2:3], off, off offset:64
	v_mov_b64_e32 v[84:85], 0
	scratch_store_b64 off, v[84:85], off offset:64
	s_wait_loadcnt 0x0
	ds_store_b64 v1, v[2:3]
.LBB103_233:
	s_wait_xcnt 0x0
	s_or_b32 exec_lo, exec_lo, s0
	s_wait_storecnt_dscnt 0x0
	s_barrier_signal -1
	s_barrier_wait -1
	s_clause 0x5
	scratch_load_b128 v[84:87], off, off offset:64
	scratch_load_b128 v[88:91], off, off offset:80
	;; [unrolled: 1-line block ×6, first 2 shown]
	v_mov_b32_e32 v2, 0
	ds_load_2addr_b64 v[108:111], v2 offset0:49 offset1:50
	ds_load_2addr_b64 v[112:115], v2 offset0:51 offset1:52
	scratch_load_b128 v[116:119], off, off offset:160
	s_mov_b32 s0, exec_lo
	s_wait_loadcnt_dscnt 0x601
	v_fma_f64 v[120:121], v[86:87], v[108:109], 0
	s_wait_loadcnt 0x5
	s_delay_alu instid0(VALU_DEP_1) | instskip(SKIP_4) | instid1(VALU_DEP_1)
	v_fmac_f64_e32 v[120:121], v[88:89], v[110:111]
	scratch_load_b128 v[86:89], off, off offset:176
	s_wait_dscnt 0x0
	v_fmac_f64_e32 v[120:121], v[90:91], v[112:113]
	s_wait_loadcnt 0x5
	v_fmac_f64_e32 v[120:121], v[92:93], v[114:115]
	ds_load_2addr_b64 v[90:93], v2 offset0:53 offset1:54
	ds_load_2addr_b64 v[108:111], v2 offset0:55 offset1:56
	scratch_load_b128 v[112:115], off, off offset:192
	s_wait_dscnt 0x1
	v_fmac_f64_e32 v[120:121], v[94:95], v[90:91]
	s_wait_loadcnt 0x5
	s_delay_alu instid0(VALU_DEP_1) | instskip(SKIP_4) | instid1(VALU_DEP_1)
	v_fmac_f64_e32 v[120:121], v[96:97], v[92:93]
	scratch_load_b128 v[90:93], off, off offset:208
	s_wait_dscnt 0x0
	v_fmac_f64_e32 v[120:121], v[98:99], v[108:109]
	s_wait_loadcnt 0x5
	v_fmac_f64_e32 v[120:121], v[100:101], v[110:111]
	ds_load_2addr_b64 v[94:97], v2 offset0:57 offset1:58
	ds_load_2addr_b64 v[98:101], v2 offset0:59 offset1:60
	scratch_load_b128 v[108:111], off, off offset:224
	s_wait_dscnt 0x1
	v_fmac_f64_e32 v[120:121], v[102:103], v[94:95]
	s_wait_loadcnt 0x5
	s_delay_alu instid0(VALU_DEP_1) | instskip(SKIP_4) | instid1(VALU_DEP_1)
	v_fmac_f64_e32 v[120:121], v[104:105], v[96:97]
	scratch_load_b128 v[94:97], off, off offset:240
	s_wait_dscnt 0x0
	v_fmac_f64_e32 v[120:121], v[106:107], v[98:99]
	s_wait_loadcnt 0x5
	v_fmac_f64_e32 v[120:121], v[116:117], v[100:101]
	ds_load_2addr_b64 v[98:101], v2 offset0:61 offset1:62
	ds_load_2addr_b64 v[102:105], v2 offset0:63 offset1:64
	s_wait_dscnt 0x1
	v_fmac_f64_e32 v[120:121], v[118:119], v[98:99]
	s_wait_loadcnt 0x4
	s_delay_alu instid0(VALU_DEP_1)
	v_fmac_f64_e32 v[120:121], v[86:87], v[100:101]
	scratch_load_b128 v[98:101], off, off offset:256
	s_wait_dscnt 0x0
	v_fmac_f64_e32 v[120:121], v[88:89], v[102:103]
	scratch_load_b128 v[86:89], off, off offset:272
	s_wait_loadcnt 0x5
	v_fmac_f64_e32 v[120:121], v[112:113], v[104:105]
	ds_load_2addr_b64 v[102:105], v2 offset0:65 offset1:66
	ds_load_2addr_b64 v[116:119], v2 offset0:67 offset1:68
	s_wait_dscnt 0x1
	v_fmac_f64_e32 v[120:121], v[114:115], v[102:103]
	s_wait_loadcnt 0x4
	s_delay_alu instid0(VALU_DEP_1)
	v_fmac_f64_e32 v[120:121], v[90:91], v[104:105]
	scratch_load_b128 v[102:105], off, off offset:288
	s_wait_dscnt 0x0
	v_fmac_f64_e32 v[120:121], v[92:93], v[116:117]
	scratch_load_b128 v[90:93], off, off offset:304
	s_wait_loadcnt 0x5
	v_fmac_f64_e32 v[120:121], v[108:109], v[118:119]
	ds_load_2addr_b64 v[106:109], v2 offset0:69 offset1:70
	ds_load_2addr_b64 v[112:115], v2 offset0:71 offset1:72
	s_wait_dscnt 0x1
	v_fmac_f64_e32 v[120:121], v[110:111], v[106:107]
	s_wait_loadcnt 0x4
	s_delay_alu instid0(VALU_DEP_1) | instskip(SKIP_1) | instid1(VALU_DEP_1)
	v_fmac_f64_e32 v[120:121], v[94:95], v[108:109]
	s_wait_dscnt 0x0
	v_fmac_f64_e32 v[120:121], v[96:97], v[112:113]
	ds_load_2addr_b64 v[94:97], v2 offset0:73 offset1:74
	ds_load_2addr_b64 v[106:109], v2 offset0:75 offset1:76
	s_wait_loadcnt 0x3
	v_fmac_f64_e32 v[120:121], v[98:99], v[114:115]
	s_wait_dscnt 0x1
	s_delay_alu instid0(VALU_DEP_1) | instskip(SKIP_1) | instid1(VALU_DEP_1)
	v_fmac_f64_e32 v[120:121], v[100:101], v[94:95]
	s_wait_loadcnt 0x2
	v_fmac_f64_e32 v[120:121], v[86:87], v[96:97]
	s_wait_dscnt 0x0
	s_delay_alu instid0(VALU_DEP_1)
	v_fmac_f64_e32 v[120:121], v[88:89], v[106:107]
	ds_load_2addr_b64 v[86:89], v2 offset0:77 offset1:78
	ds_load_b64 v[94:95], v2 offset:632
	s_wait_loadcnt 0x1
	v_fmac_f64_e32 v[120:121], v[102:103], v[108:109]
	s_wait_dscnt 0x1
	s_delay_alu instid0(VALU_DEP_1) | instskip(SKIP_1) | instid1(VALU_DEP_1)
	v_fmac_f64_e32 v[120:121], v[104:105], v[86:87]
	s_wait_loadcnt 0x0
	v_fmac_f64_e32 v[120:121], v[90:91], v[88:89]
	s_wait_dscnt 0x0
	s_delay_alu instid0(VALU_DEP_1) | instskip(NEXT) | instid1(VALU_DEP_1)
	v_fmac_f64_e32 v[120:121], v[92:93], v[94:95]
	v_add_f64_e64 v[84:85], v[84:85], -v[120:121]
	scratch_store_b64 off, v[84:85], off offset:64
	s_wait_xcnt 0x0
	v_cmpx_lt_u32_e32 7, v0
	s_cbranch_execz .LBB103_235
; %bb.234:
	scratch_load_b64 v[84:85], off, off offset:56
	v_mov_b64_e32 v[86:87], 0
	scratch_store_b64 off, v[86:87], off offset:56
	s_wait_loadcnt 0x0
	ds_store_b64 v1, v[84:85]
.LBB103_235:
	s_wait_xcnt 0x0
	s_or_b32 exec_lo, exec_lo, s0
	s_wait_storecnt_dscnt 0x0
	s_barrier_signal -1
	s_barrier_wait -1
	s_clause 0x5
	scratch_load_b128 v[84:87], off, off offset:56
	scratch_load_b128 v[88:91], off, off offset:72
	;; [unrolled: 1-line block ×6, first 2 shown]
	ds_load_b128 v[108:111], v2 offset:384
	ds_load_b128 v[112:115], v2 offset:400
	scratch_load_b128 v[116:119], off, off offset:152
	s_mov_b32 s0, exec_lo
	s_wait_loadcnt_dscnt 0x601
	v_fma_f64 v[120:121], v[86:87], v[108:109], 0
	s_wait_loadcnt 0x5
	s_delay_alu instid0(VALU_DEP_1) | instskip(SKIP_4) | instid1(VALU_DEP_1)
	v_fmac_f64_e32 v[120:121], v[88:89], v[110:111]
	scratch_load_b128 v[86:89], off, off offset:168
	s_wait_dscnt 0x0
	v_fmac_f64_e32 v[120:121], v[90:91], v[112:113]
	s_wait_loadcnt 0x5
	v_fmac_f64_e32 v[120:121], v[92:93], v[114:115]
	ds_load_b128 v[90:93], v2 offset:416
	ds_load_b128 v[108:111], v2 offset:432
	scratch_load_b128 v[112:115], off, off offset:184
	s_wait_dscnt 0x1
	v_fmac_f64_e32 v[120:121], v[94:95], v[90:91]
	s_wait_loadcnt 0x5
	s_delay_alu instid0(VALU_DEP_1) | instskip(SKIP_4) | instid1(VALU_DEP_1)
	v_fmac_f64_e32 v[120:121], v[96:97], v[92:93]
	scratch_load_b128 v[90:93], off, off offset:200
	s_wait_dscnt 0x0
	v_fmac_f64_e32 v[120:121], v[98:99], v[108:109]
	s_wait_loadcnt 0x5
	v_fmac_f64_e32 v[120:121], v[100:101], v[110:111]
	ds_load_b128 v[94:97], v2 offset:448
	ds_load_b128 v[98:101], v2 offset:464
	scratch_load_b128 v[108:111], off, off offset:216
	s_wait_dscnt 0x1
	v_fmac_f64_e32 v[120:121], v[102:103], v[94:95]
	s_wait_loadcnt 0x5
	s_delay_alu instid0(VALU_DEP_1) | instskip(SKIP_4) | instid1(VALU_DEP_1)
	v_fmac_f64_e32 v[120:121], v[104:105], v[96:97]
	scratch_load_b128 v[94:97], off, off offset:232
	s_wait_dscnt 0x0
	v_fmac_f64_e32 v[120:121], v[106:107], v[98:99]
	s_wait_loadcnt 0x5
	v_fmac_f64_e32 v[120:121], v[116:117], v[100:101]
	ds_load_b128 v[98:101], v2 offset:480
	ds_load_b128 v[102:105], v2 offset:496
	s_wait_dscnt 0x1
	v_fmac_f64_e32 v[120:121], v[118:119], v[98:99]
	s_wait_loadcnt 0x4
	s_delay_alu instid0(VALU_DEP_1)
	v_fmac_f64_e32 v[120:121], v[86:87], v[100:101]
	scratch_load_b128 v[98:101], off, off offset:248
	s_wait_dscnt 0x0
	v_fmac_f64_e32 v[120:121], v[88:89], v[102:103]
	scratch_load_b128 v[86:89], off, off offset:264
	s_wait_loadcnt 0x5
	v_fmac_f64_e32 v[120:121], v[112:113], v[104:105]
	ds_load_b128 v[102:105], v2 offset:512
	ds_load_b128 v[116:119], v2 offset:528
	s_wait_dscnt 0x1
	v_fmac_f64_e32 v[120:121], v[114:115], v[102:103]
	s_wait_loadcnt 0x4
	s_delay_alu instid0(VALU_DEP_1)
	v_fmac_f64_e32 v[120:121], v[90:91], v[104:105]
	scratch_load_b128 v[102:105], off, off offset:280
	s_wait_dscnt 0x0
	v_fmac_f64_e32 v[120:121], v[92:93], v[116:117]
	scratch_load_b128 v[90:93], off, off offset:296
	s_wait_loadcnt 0x5
	v_fmac_f64_e32 v[120:121], v[108:109], v[118:119]
	ds_load_b128 v[106:109], v2 offset:544
	ds_load_b128 v[112:115], v2 offset:560
	s_wait_dscnt 0x1
	v_fmac_f64_e32 v[120:121], v[110:111], v[106:107]
	scratch_load_b64 v[110:111], off, off offset:312
	s_wait_loadcnt 0x5
	v_fmac_f64_e32 v[120:121], v[94:95], v[108:109]
	s_wait_dscnt 0x0
	s_delay_alu instid0(VALU_DEP_1)
	v_fmac_f64_e32 v[120:121], v[96:97], v[112:113]
	ds_load_b128 v[94:97], v2 offset:576
	ds_load_b128 v[106:109], v2 offset:592
	s_wait_loadcnt 0x4
	v_fmac_f64_e32 v[120:121], v[98:99], v[114:115]
	s_wait_dscnt 0x1
	s_delay_alu instid0(VALU_DEP_1) | instskip(SKIP_1) | instid1(VALU_DEP_1)
	v_fmac_f64_e32 v[120:121], v[100:101], v[94:95]
	s_wait_loadcnt 0x3
	v_fmac_f64_e32 v[120:121], v[86:87], v[96:97]
	s_wait_dscnt 0x0
	s_delay_alu instid0(VALU_DEP_1)
	v_fmac_f64_e32 v[120:121], v[88:89], v[106:107]
	ds_load_b128 v[86:89], v2 offset:608
	ds_load_b128 v[94:97], v2 offset:624
	s_wait_loadcnt 0x2
	v_fmac_f64_e32 v[120:121], v[102:103], v[108:109]
	s_wait_dscnt 0x1
	s_delay_alu instid0(VALU_DEP_1) | instskip(SKIP_1) | instid1(VALU_DEP_1)
	v_fmac_f64_e32 v[120:121], v[104:105], v[86:87]
	s_wait_loadcnt 0x1
	v_fmac_f64_e32 v[120:121], v[90:91], v[88:89]
	s_wait_dscnt 0x0
	s_delay_alu instid0(VALU_DEP_1) | instskip(SKIP_1) | instid1(VALU_DEP_1)
	v_fmac_f64_e32 v[120:121], v[92:93], v[94:95]
	s_wait_loadcnt 0x0
	v_fmac_f64_e32 v[120:121], v[110:111], v[96:97]
	s_delay_alu instid0(VALU_DEP_1)
	v_add_f64_e64 v[2:3], v[84:85], -v[120:121]
	scratch_store_b64 off, v[2:3], off offset:56
	s_wait_xcnt 0x0
	v_cmpx_lt_u32_e32 6, v0
	s_cbranch_execz .LBB103_237
; %bb.236:
	scratch_load_b64 v[2:3], off, off offset:48
	v_mov_b64_e32 v[84:85], 0
	scratch_store_b64 off, v[84:85], off offset:48
	s_wait_loadcnt 0x0
	ds_store_b64 v1, v[2:3]
.LBB103_237:
	s_wait_xcnt 0x0
	s_or_b32 exec_lo, exec_lo, s0
	s_wait_storecnt_dscnt 0x0
	s_barrier_signal -1
	s_barrier_wait -1
	s_clause 0x5
	scratch_load_b128 v[84:87], off, off offset:48
	scratch_load_b128 v[88:91], off, off offset:64
	;; [unrolled: 1-line block ×6, first 2 shown]
	v_mov_b32_e32 v2, 0
	ds_load_2addr_b64 v[108:111], v2 offset0:47 offset1:48
	ds_load_2addr_b64 v[112:115], v2 offset0:49 offset1:50
	scratch_load_b128 v[116:119], off, off offset:144
	s_mov_b32 s0, exec_lo
	s_wait_loadcnt_dscnt 0x601
	v_fma_f64 v[120:121], v[86:87], v[108:109], 0
	s_wait_loadcnt 0x5
	s_delay_alu instid0(VALU_DEP_1) | instskip(SKIP_4) | instid1(VALU_DEP_1)
	v_fmac_f64_e32 v[120:121], v[88:89], v[110:111]
	scratch_load_b128 v[86:89], off, off offset:160
	s_wait_dscnt 0x0
	v_fmac_f64_e32 v[120:121], v[90:91], v[112:113]
	s_wait_loadcnt 0x5
	v_fmac_f64_e32 v[120:121], v[92:93], v[114:115]
	ds_load_2addr_b64 v[90:93], v2 offset0:51 offset1:52
	ds_load_2addr_b64 v[108:111], v2 offset0:53 offset1:54
	scratch_load_b128 v[112:115], off, off offset:176
	s_wait_dscnt 0x1
	v_fmac_f64_e32 v[120:121], v[94:95], v[90:91]
	s_wait_loadcnt 0x5
	s_delay_alu instid0(VALU_DEP_1) | instskip(SKIP_4) | instid1(VALU_DEP_1)
	v_fmac_f64_e32 v[120:121], v[96:97], v[92:93]
	scratch_load_b128 v[90:93], off, off offset:192
	s_wait_dscnt 0x0
	v_fmac_f64_e32 v[120:121], v[98:99], v[108:109]
	s_wait_loadcnt 0x5
	v_fmac_f64_e32 v[120:121], v[100:101], v[110:111]
	ds_load_2addr_b64 v[94:97], v2 offset0:55 offset1:56
	ds_load_2addr_b64 v[98:101], v2 offset0:57 offset1:58
	scratch_load_b128 v[108:111], off, off offset:208
	s_wait_dscnt 0x1
	v_fmac_f64_e32 v[120:121], v[102:103], v[94:95]
	s_wait_loadcnt 0x5
	s_delay_alu instid0(VALU_DEP_1) | instskip(SKIP_4) | instid1(VALU_DEP_1)
	v_fmac_f64_e32 v[120:121], v[104:105], v[96:97]
	scratch_load_b128 v[94:97], off, off offset:224
	s_wait_dscnt 0x0
	v_fmac_f64_e32 v[120:121], v[106:107], v[98:99]
	s_wait_loadcnt 0x5
	v_fmac_f64_e32 v[120:121], v[116:117], v[100:101]
	ds_load_2addr_b64 v[98:101], v2 offset0:59 offset1:60
	ds_load_2addr_b64 v[102:105], v2 offset0:61 offset1:62
	s_wait_dscnt 0x1
	v_fmac_f64_e32 v[120:121], v[118:119], v[98:99]
	s_wait_loadcnt 0x4
	s_delay_alu instid0(VALU_DEP_1)
	v_fmac_f64_e32 v[120:121], v[86:87], v[100:101]
	scratch_load_b128 v[98:101], off, off offset:240
	s_wait_dscnt 0x0
	v_fmac_f64_e32 v[120:121], v[88:89], v[102:103]
	scratch_load_b128 v[86:89], off, off offset:256
	s_wait_loadcnt 0x5
	v_fmac_f64_e32 v[120:121], v[112:113], v[104:105]
	ds_load_2addr_b64 v[102:105], v2 offset0:63 offset1:64
	ds_load_2addr_b64 v[116:119], v2 offset0:65 offset1:66
	s_wait_dscnt 0x1
	v_fmac_f64_e32 v[120:121], v[114:115], v[102:103]
	s_wait_loadcnt 0x4
	s_delay_alu instid0(VALU_DEP_1)
	v_fmac_f64_e32 v[120:121], v[90:91], v[104:105]
	scratch_load_b128 v[102:105], off, off offset:272
	s_wait_dscnt 0x0
	v_fmac_f64_e32 v[120:121], v[92:93], v[116:117]
	scratch_load_b128 v[90:93], off, off offset:288
	s_wait_loadcnt 0x5
	v_fmac_f64_e32 v[120:121], v[108:109], v[118:119]
	ds_load_2addr_b64 v[106:109], v2 offset0:67 offset1:68
	ds_load_2addr_b64 v[112:115], v2 offset0:69 offset1:70
	s_wait_dscnt 0x1
	v_fmac_f64_e32 v[120:121], v[110:111], v[106:107]
	s_wait_loadcnt 0x4
	s_delay_alu instid0(VALU_DEP_1)
	v_fmac_f64_e32 v[120:121], v[94:95], v[108:109]
	scratch_load_b128 v[106:109], off, off offset:304
	s_wait_dscnt 0x0
	v_fmac_f64_e32 v[120:121], v[96:97], v[112:113]
	ds_load_2addr_b64 v[94:97], v2 offset0:71 offset1:72
	ds_load_2addr_b64 v[110:113], v2 offset0:73 offset1:74
	s_wait_loadcnt 0x4
	v_fmac_f64_e32 v[120:121], v[98:99], v[114:115]
	s_wait_dscnt 0x1
	s_delay_alu instid0(VALU_DEP_1) | instskip(SKIP_1) | instid1(VALU_DEP_1)
	v_fmac_f64_e32 v[120:121], v[100:101], v[94:95]
	s_wait_loadcnt 0x3
	v_fmac_f64_e32 v[120:121], v[86:87], v[96:97]
	s_wait_dscnt 0x0
	s_delay_alu instid0(VALU_DEP_1)
	v_fmac_f64_e32 v[120:121], v[88:89], v[110:111]
	ds_load_2addr_b64 v[86:89], v2 offset0:75 offset1:76
	ds_load_2addr_b64 v[94:97], v2 offset0:77 offset1:78
	s_wait_loadcnt 0x2
	v_fmac_f64_e32 v[120:121], v[102:103], v[112:113]
	s_wait_dscnt 0x1
	s_delay_alu instid0(VALU_DEP_1) | instskip(SKIP_4) | instid1(VALU_DEP_1)
	v_fmac_f64_e32 v[120:121], v[104:105], v[86:87]
	ds_load_b64 v[86:87], v2 offset:632
	s_wait_loadcnt 0x1
	v_fmac_f64_e32 v[120:121], v[90:91], v[88:89]
	s_wait_dscnt 0x1
	v_fmac_f64_e32 v[120:121], v[92:93], v[94:95]
	s_wait_loadcnt 0x0
	s_delay_alu instid0(VALU_DEP_1) | instskip(SKIP_1) | instid1(VALU_DEP_1)
	v_fmac_f64_e32 v[120:121], v[106:107], v[96:97]
	s_wait_dscnt 0x0
	v_fmac_f64_e32 v[120:121], v[108:109], v[86:87]
	s_delay_alu instid0(VALU_DEP_1)
	v_add_f64_e64 v[84:85], v[84:85], -v[120:121]
	scratch_store_b64 off, v[84:85], off offset:48
	s_wait_xcnt 0x0
	v_cmpx_lt_u32_e32 5, v0
	s_cbranch_execz .LBB103_239
; %bb.238:
	scratch_load_b64 v[84:85], off, off offset:40
	v_mov_b64_e32 v[86:87], 0
	scratch_store_b64 off, v[86:87], off offset:40
	s_wait_loadcnt 0x0
	ds_store_b64 v1, v[84:85]
.LBB103_239:
	s_wait_xcnt 0x0
	s_or_b32 exec_lo, exec_lo, s0
	s_wait_storecnt_dscnt 0x0
	s_barrier_signal -1
	s_barrier_wait -1
	s_clause 0x5
	scratch_load_b128 v[84:87], off, off offset:40
	scratch_load_b128 v[88:91], off, off offset:56
	;; [unrolled: 1-line block ×6, first 2 shown]
	ds_load_b128 v[108:111], v2 offset:368
	ds_load_b128 v[112:115], v2 offset:384
	scratch_load_b128 v[116:119], off, off offset:136
	s_mov_b32 s0, exec_lo
	s_wait_loadcnt_dscnt 0x601
	v_fma_f64 v[120:121], v[86:87], v[108:109], 0
	s_wait_loadcnt 0x5
	s_delay_alu instid0(VALU_DEP_1) | instskip(SKIP_4) | instid1(VALU_DEP_1)
	v_fmac_f64_e32 v[120:121], v[88:89], v[110:111]
	scratch_load_b128 v[86:89], off, off offset:152
	s_wait_dscnt 0x0
	v_fmac_f64_e32 v[120:121], v[90:91], v[112:113]
	s_wait_loadcnt 0x5
	v_fmac_f64_e32 v[120:121], v[92:93], v[114:115]
	ds_load_b128 v[90:93], v2 offset:400
	ds_load_b128 v[108:111], v2 offset:416
	scratch_load_b128 v[112:115], off, off offset:168
	s_wait_dscnt 0x1
	v_fmac_f64_e32 v[120:121], v[94:95], v[90:91]
	s_wait_loadcnt 0x5
	s_delay_alu instid0(VALU_DEP_1) | instskip(SKIP_4) | instid1(VALU_DEP_1)
	v_fmac_f64_e32 v[120:121], v[96:97], v[92:93]
	scratch_load_b128 v[90:93], off, off offset:184
	s_wait_dscnt 0x0
	v_fmac_f64_e32 v[120:121], v[98:99], v[108:109]
	s_wait_loadcnt 0x5
	v_fmac_f64_e32 v[120:121], v[100:101], v[110:111]
	ds_load_b128 v[94:97], v2 offset:432
	ds_load_b128 v[98:101], v2 offset:448
	scratch_load_b128 v[108:111], off, off offset:200
	s_wait_dscnt 0x1
	v_fmac_f64_e32 v[120:121], v[102:103], v[94:95]
	s_wait_loadcnt 0x5
	s_delay_alu instid0(VALU_DEP_1) | instskip(SKIP_4) | instid1(VALU_DEP_1)
	v_fmac_f64_e32 v[120:121], v[104:105], v[96:97]
	scratch_load_b128 v[94:97], off, off offset:216
	s_wait_dscnt 0x0
	v_fmac_f64_e32 v[120:121], v[106:107], v[98:99]
	s_wait_loadcnt 0x5
	v_fmac_f64_e32 v[120:121], v[116:117], v[100:101]
	ds_load_b128 v[98:101], v2 offset:464
	ds_load_b128 v[102:105], v2 offset:480
	s_wait_dscnt 0x1
	v_fmac_f64_e32 v[120:121], v[118:119], v[98:99]
	scratch_load_b128 v[116:119], off, off offset:232
	s_wait_loadcnt 0x5
	v_fmac_f64_e32 v[120:121], v[86:87], v[100:101]
	s_wait_dscnt 0x0
	s_delay_alu instid0(VALU_DEP_1)
	v_fmac_f64_e32 v[120:121], v[88:89], v[102:103]
	scratch_load_b128 v[86:89], off, off offset:248
	s_wait_loadcnt 0x5
	v_fmac_f64_e32 v[120:121], v[112:113], v[104:105]
	ds_load_b128 v[98:101], v2 offset:496
	ds_load_b128 v[102:105], v2 offset:512
	s_wait_dscnt 0x1
	v_fmac_f64_e32 v[120:121], v[114:115], v[98:99]
	s_wait_loadcnt 0x4
	s_delay_alu instid0(VALU_DEP_1)
	v_fmac_f64_e32 v[120:121], v[90:91], v[100:101]
	scratch_load_b128 v[98:101], off, off offset:264
	s_wait_dscnt 0x0
	v_fmac_f64_e32 v[120:121], v[92:93], v[102:103]
	scratch_load_b128 v[90:93], off, off offset:280
	s_wait_loadcnt 0x5
	v_fmac_f64_e32 v[120:121], v[108:109], v[104:105]
	ds_load_b128 v[102:105], v2 offset:528
	ds_load_b128 v[106:109], v2 offset:544
	s_wait_dscnt 0x1
	v_fmac_f64_e32 v[120:121], v[110:111], v[102:103]
	scratch_load_b64 v[110:111], off, off offset:312
	s_wait_loadcnt 0x5
	v_fmac_f64_e32 v[120:121], v[94:95], v[104:105]
	scratch_load_b128 v[102:105], off, off offset:296
	s_wait_dscnt 0x0
	v_fmac_f64_e32 v[120:121], v[96:97], v[106:107]
	s_wait_loadcnt 0x5
	s_delay_alu instid0(VALU_DEP_1)
	v_fmac_f64_e32 v[120:121], v[116:117], v[108:109]
	ds_load_b128 v[94:97], v2 offset:560
	ds_load_b128 v[106:109], v2 offset:576
	s_wait_dscnt 0x1
	v_fmac_f64_e32 v[120:121], v[118:119], v[94:95]
	s_wait_loadcnt 0x4
	s_delay_alu instid0(VALU_DEP_1) | instskip(SKIP_1) | instid1(VALU_DEP_1)
	v_fmac_f64_e32 v[120:121], v[86:87], v[96:97]
	s_wait_dscnt 0x0
	v_fmac_f64_e32 v[120:121], v[88:89], v[106:107]
	ds_load_b128 v[86:89], v2 offset:592
	ds_load_b128 v[94:97], v2 offset:608
	s_wait_loadcnt 0x3
	v_fmac_f64_e32 v[120:121], v[98:99], v[108:109]
	s_wait_dscnt 0x1
	s_delay_alu instid0(VALU_DEP_1) | instskip(SKIP_1) | instid1(VALU_DEP_1)
	v_fmac_f64_e32 v[120:121], v[100:101], v[86:87]
	s_wait_loadcnt 0x2
	v_fmac_f64_e32 v[120:121], v[90:91], v[88:89]
	ds_load_b128 v[86:89], v2 offset:624
	s_wait_dscnt 0x1
	v_fmac_f64_e32 v[120:121], v[92:93], v[94:95]
	s_wait_loadcnt 0x0
	s_delay_alu instid0(VALU_DEP_1) | instskip(SKIP_1) | instid1(VALU_DEP_1)
	v_fmac_f64_e32 v[120:121], v[102:103], v[96:97]
	s_wait_dscnt 0x0
	v_fmac_f64_e32 v[120:121], v[104:105], v[86:87]
	s_delay_alu instid0(VALU_DEP_1) | instskip(NEXT) | instid1(VALU_DEP_1)
	v_fmac_f64_e32 v[120:121], v[110:111], v[88:89]
	v_add_f64_e64 v[2:3], v[84:85], -v[120:121]
	scratch_store_b64 off, v[2:3], off offset:40
	s_wait_xcnt 0x0
	v_cmpx_lt_u32_e32 4, v0
	s_cbranch_execz .LBB103_241
; %bb.240:
	scratch_load_b64 v[2:3], off, off offset:32
	v_mov_b64_e32 v[84:85], 0
	scratch_store_b64 off, v[84:85], off offset:32
	s_wait_loadcnt 0x0
	ds_store_b64 v1, v[2:3]
.LBB103_241:
	s_wait_xcnt 0x0
	s_or_b32 exec_lo, exec_lo, s0
	s_wait_storecnt_dscnt 0x0
	s_barrier_signal -1
	s_barrier_wait -1
	s_clause 0x5
	scratch_load_b128 v[84:87], off, off offset:32
	scratch_load_b128 v[88:91], off, off offset:48
	;; [unrolled: 1-line block ×6, first 2 shown]
	v_mov_b32_e32 v2, 0
	ds_load_2addr_b64 v[108:111], v2 offset0:45 offset1:46
	ds_load_2addr_b64 v[112:115], v2 offset0:47 offset1:48
	scratch_load_b128 v[116:119], off, off offset:128
	s_mov_b32 s0, exec_lo
	s_wait_loadcnt_dscnt 0x601
	v_fma_f64 v[120:121], v[86:87], v[108:109], 0
	s_wait_loadcnt 0x5
	s_delay_alu instid0(VALU_DEP_1) | instskip(SKIP_4) | instid1(VALU_DEP_1)
	v_fmac_f64_e32 v[120:121], v[88:89], v[110:111]
	scratch_load_b128 v[86:89], off, off offset:144
	s_wait_dscnt 0x0
	v_fmac_f64_e32 v[120:121], v[90:91], v[112:113]
	s_wait_loadcnt 0x5
	v_fmac_f64_e32 v[120:121], v[92:93], v[114:115]
	ds_load_2addr_b64 v[90:93], v2 offset0:49 offset1:50
	ds_load_2addr_b64 v[108:111], v2 offset0:51 offset1:52
	scratch_load_b128 v[112:115], off, off offset:160
	s_wait_dscnt 0x1
	v_fmac_f64_e32 v[120:121], v[94:95], v[90:91]
	s_wait_loadcnt 0x5
	s_delay_alu instid0(VALU_DEP_1) | instskip(SKIP_4) | instid1(VALU_DEP_1)
	v_fmac_f64_e32 v[120:121], v[96:97], v[92:93]
	scratch_load_b128 v[90:93], off, off offset:176
	s_wait_dscnt 0x0
	v_fmac_f64_e32 v[120:121], v[98:99], v[108:109]
	s_wait_loadcnt 0x5
	v_fmac_f64_e32 v[120:121], v[100:101], v[110:111]
	ds_load_2addr_b64 v[94:97], v2 offset0:53 offset1:54
	ds_load_2addr_b64 v[98:101], v2 offset0:55 offset1:56
	scratch_load_b128 v[108:111], off, off offset:192
	s_wait_dscnt 0x1
	v_fmac_f64_e32 v[120:121], v[102:103], v[94:95]
	s_wait_loadcnt 0x5
	s_delay_alu instid0(VALU_DEP_1) | instskip(SKIP_4) | instid1(VALU_DEP_1)
	v_fmac_f64_e32 v[120:121], v[104:105], v[96:97]
	scratch_load_b128 v[94:97], off, off offset:208
	s_wait_dscnt 0x0
	v_fmac_f64_e32 v[120:121], v[106:107], v[98:99]
	s_wait_loadcnt 0x5
	v_fmac_f64_e32 v[120:121], v[116:117], v[100:101]
	ds_load_2addr_b64 v[98:101], v2 offset0:57 offset1:58
	ds_load_2addr_b64 v[102:105], v2 offset0:59 offset1:60
	s_wait_dscnt 0x1
	v_fmac_f64_e32 v[120:121], v[118:119], v[98:99]
	scratch_load_b128 v[116:119], off, off offset:224
	s_wait_loadcnt 0x5
	v_fmac_f64_e32 v[120:121], v[86:87], v[100:101]
	s_wait_dscnt 0x0
	s_delay_alu instid0(VALU_DEP_1)
	v_fmac_f64_e32 v[120:121], v[88:89], v[102:103]
	scratch_load_b128 v[86:89], off, off offset:240
	s_wait_loadcnt 0x5
	v_fmac_f64_e32 v[120:121], v[112:113], v[104:105]
	ds_load_2addr_b64 v[98:101], v2 offset0:61 offset1:62
	ds_load_2addr_b64 v[102:105], v2 offset0:63 offset1:64
	s_wait_dscnt 0x1
	v_fmac_f64_e32 v[120:121], v[114:115], v[98:99]
	s_wait_loadcnt 0x4
	s_delay_alu instid0(VALU_DEP_1)
	v_fmac_f64_e32 v[120:121], v[90:91], v[100:101]
	scratch_load_b128 v[98:101], off, off offset:256
	s_wait_dscnt 0x0
	v_fmac_f64_e32 v[120:121], v[92:93], v[102:103]
	scratch_load_b128 v[90:93], off, off offset:272
	s_wait_loadcnt 0x5
	v_fmac_f64_e32 v[120:121], v[108:109], v[104:105]
	ds_load_2addr_b64 v[102:105], v2 offset0:65 offset1:66
	ds_load_2addr_b64 v[106:109], v2 offset0:67 offset1:68
	s_wait_dscnt 0x1
	v_fmac_f64_e32 v[120:121], v[110:111], v[102:103]
	s_wait_loadcnt 0x4
	s_delay_alu instid0(VALU_DEP_1)
	v_fmac_f64_e32 v[120:121], v[94:95], v[104:105]
	scratch_load_b128 v[102:105], off, off offset:288
	s_wait_dscnt 0x0
	v_fmac_f64_e32 v[120:121], v[96:97], v[106:107]
	scratch_load_b128 v[94:97], off, off offset:304
	s_wait_loadcnt 0x5
	v_fmac_f64_e32 v[120:121], v[116:117], v[108:109]
	ds_load_2addr_b64 v[106:109], v2 offset0:69 offset1:70
	ds_load_2addr_b64 v[110:113], v2 offset0:71 offset1:72
	s_wait_dscnt 0x1
	v_fmac_f64_e32 v[120:121], v[118:119], v[106:107]
	s_wait_loadcnt 0x4
	s_delay_alu instid0(VALU_DEP_1) | instskip(SKIP_1) | instid1(VALU_DEP_1)
	v_fmac_f64_e32 v[120:121], v[86:87], v[108:109]
	s_wait_dscnt 0x0
	v_fmac_f64_e32 v[120:121], v[88:89], v[110:111]
	ds_load_2addr_b64 v[86:89], v2 offset0:73 offset1:74
	ds_load_2addr_b64 v[106:109], v2 offset0:75 offset1:76
	s_wait_loadcnt 0x3
	v_fmac_f64_e32 v[120:121], v[98:99], v[112:113]
	s_wait_dscnt 0x1
	s_delay_alu instid0(VALU_DEP_1) | instskip(SKIP_1) | instid1(VALU_DEP_1)
	v_fmac_f64_e32 v[120:121], v[100:101], v[86:87]
	s_wait_loadcnt 0x2
	v_fmac_f64_e32 v[120:121], v[90:91], v[88:89]
	ds_load_2addr_b64 v[86:89], v2 offset0:77 offset1:78
	ds_load_b64 v[90:91], v2 offset:632
	s_wait_dscnt 0x2
	v_fmac_f64_e32 v[120:121], v[92:93], v[106:107]
	s_wait_loadcnt 0x1
	s_delay_alu instid0(VALU_DEP_1) | instskip(SKIP_1) | instid1(VALU_DEP_1)
	v_fmac_f64_e32 v[120:121], v[102:103], v[108:109]
	s_wait_dscnt 0x1
	v_fmac_f64_e32 v[120:121], v[104:105], v[86:87]
	s_wait_loadcnt 0x0
	s_delay_alu instid0(VALU_DEP_1) | instskip(SKIP_1) | instid1(VALU_DEP_1)
	v_fmac_f64_e32 v[120:121], v[94:95], v[88:89]
	s_wait_dscnt 0x0
	v_fmac_f64_e32 v[120:121], v[96:97], v[90:91]
	s_delay_alu instid0(VALU_DEP_1)
	v_add_f64_e64 v[84:85], v[84:85], -v[120:121]
	scratch_store_b64 off, v[84:85], off offset:32
	s_wait_xcnt 0x0
	v_cmpx_lt_u32_e32 3, v0
	s_cbranch_execz .LBB103_243
; %bb.242:
	scratch_load_b64 v[84:85], off, off offset:24
	v_mov_b64_e32 v[86:87], 0
	scratch_store_b64 off, v[86:87], off offset:24
	s_wait_loadcnt 0x0
	ds_store_b64 v1, v[84:85]
.LBB103_243:
	s_wait_xcnt 0x0
	s_or_b32 exec_lo, exec_lo, s0
	s_wait_storecnt_dscnt 0x0
	s_barrier_signal -1
	s_barrier_wait -1
	s_clause 0x5
	scratch_load_b128 v[84:87], off, off offset:24
	scratch_load_b128 v[88:91], off, off offset:40
	scratch_load_b128 v[92:95], off, off offset:56
	scratch_load_b128 v[96:99], off, off offset:72
	scratch_load_b128 v[100:103], off, off offset:88
	scratch_load_b128 v[104:107], off, off offset:104
	ds_load_b128 v[108:111], v2 offset:352
	ds_load_b128 v[112:115], v2 offset:368
	scratch_load_b128 v[116:119], off, off offset:120
	s_mov_b32 s0, exec_lo
	s_wait_loadcnt_dscnt 0x601
	v_fma_f64 v[120:121], v[86:87], v[108:109], 0
	s_wait_loadcnt 0x5
	s_delay_alu instid0(VALU_DEP_1) | instskip(SKIP_4) | instid1(VALU_DEP_1)
	v_fmac_f64_e32 v[120:121], v[88:89], v[110:111]
	scratch_load_b128 v[86:89], off, off offset:136
	s_wait_dscnt 0x0
	v_fmac_f64_e32 v[120:121], v[90:91], v[112:113]
	s_wait_loadcnt 0x5
	v_fmac_f64_e32 v[120:121], v[92:93], v[114:115]
	ds_load_b128 v[90:93], v2 offset:384
	ds_load_b128 v[108:111], v2 offset:400
	scratch_load_b128 v[112:115], off, off offset:152
	s_wait_dscnt 0x1
	v_fmac_f64_e32 v[120:121], v[94:95], v[90:91]
	s_wait_loadcnt 0x5
	s_delay_alu instid0(VALU_DEP_1) | instskip(SKIP_4) | instid1(VALU_DEP_1)
	v_fmac_f64_e32 v[120:121], v[96:97], v[92:93]
	scratch_load_b128 v[90:93], off, off offset:168
	s_wait_dscnt 0x0
	v_fmac_f64_e32 v[120:121], v[98:99], v[108:109]
	s_wait_loadcnt 0x5
	v_fmac_f64_e32 v[120:121], v[100:101], v[110:111]
	ds_load_b128 v[94:97], v2 offset:416
	ds_load_b128 v[98:101], v2 offset:432
	scratch_load_b128 v[108:111], off, off offset:184
	s_wait_dscnt 0x1
	v_fmac_f64_e32 v[120:121], v[102:103], v[94:95]
	s_wait_loadcnt 0x5
	s_delay_alu instid0(VALU_DEP_1) | instskip(SKIP_4) | instid1(VALU_DEP_1)
	v_fmac_f64_e32 v[120:121], v[104:105], v[96:97]
	scratch_load_b128 v[94:97], off, off offset:200
	s_wait_dscnt 0x0
	v_fmac_f64_e32 v[120:121], v[106:107], v[98:99]
	s_wait_loadcnt 0x5
	v_fmac_f64_e32 v[120:121], v[116:117], v[100:101]
	ds_load_b128 v[98:101], v2 offset:448
	ds_load_b128 v[102:105], v2 offset:464
	s_wait_dscnt 0x1
	v_fmac_f64_e32 v[120:121], v[118:119], v[98:99]
	scratch_load_b128 v[116:119], off, off offset:216
	s_wait_loadcnt 0x5
	v_fmac_f64_e32 v[120:121], v[86:87], v[100:101]
	s_wait_dscnt 0x0
	s_delay_alu instid0(VALU_DEP_1)
	v_fmac_f64_e32 v[120:121], v[88:89], v[102:103]
	scratch_load_b128 v[86:89], off, off offset:232
	s_wait_loadcnt 0x5
	v_fmac_f64_e32 v[120:121], v[112:113], v[104:105]
	ds_load_b128 v[98:101], v2 offset:480
	ds_load_b128 v[102:105], v2 offset:496
	s_wait_dscnt 0x1
	v_fmac_f64_e32 v[120:121], v[114:115], v[98:99]
	s_wait_loadcnt 0x4
	s_delay_alu instid0(VALU_DEP_1)
	v_fmac_f64_e32 v[120:121], v[90:91], v[100:101]
	scratch_load_b128 v[98:101], off, off offset:248
	s_wait_dscnt 0x0
	v_fmac_f64_e32 v[120:121], v[92:93], v[102:103]
	scratch_load_b128 v[90:93], off, off offset:264
	s_wait_loadcnt 0x5
	v_fmac_f64_e32 v[120:121], v[108:109], v[104:105]
	ds_load_b128 v[102:105], v2 offset:512
	ds_load_b128 v[106:109], v2 offset:528
	s_wait_dscnt 0x1
	v_fmac_f64_e32 v[120:121], v[110:111], v[102:103]
	s_wait_loadcnt 0x4
	s_delay_alu instid0(VALU_DEP_1)
	v_fmac_f64_e32 v[120:121], v[94:95], v[104:105]
	scratch_load_b128 v[102:105], off, off offset:280
	s_wait_dscnt 0x0
	v_fmac_f64_e32 v[120:121], v[96:97], v[106:107]
	scratch_load_b128 v[94:97], off, off offset:296
	s_wait_loadcnt 0x5
	v_fmac_f64_e32 v[120:121], v[116:117], v[108:109]
	ds_load_b128 v[106:109], v2 offset:544
	ds_load_b128 v[110:113], v2 offset:560
	scratch_load_b64 v[114:115], off, off offset:312
	s_wait_dscnt 0x1
	v_fmac_f64_e32 v[120:121], v[118:119], v[106:107]
	s_wait_loadcnt 0x5
	s_delay_alu instid0(VALU_DEP_1) | instskip(SKIP_1) | instid1(VALU_DEP_1)
	v_fmac_f64_e32 v[120:121], v[86:87], v[108:109]
	s_wait_dscnt 0x0
	v_fmac_f64_e32 v[120:121], v[88:89], v[110:111]
	ds_load_b128 v[86:89], v2 offset:576
	ds_load_b128 v[106:109], v2 offset:592
	s_wait_loadcnt 0x4
	v_fmac_f64_e32 v[120:121], v[98:99], v[112:113]
	s_wait_dscnt 0x1
	s_delay_alu instid0(VALU_DEP_1) | instskip(SKIP_1) | instid1(VALU_DEP_1)
	v_fmac_f64_e32 v[120:121], v[100:101], v[86:87]
	s_wait_loadcnt 0x3
	v_fmac_f64_e32 v[120:121], v[90:91], v[88:89]
	s_wait_dscnt 0x0
	s_delay_alu instid0(VALU_DEP_1)
	v_fmac_f64_e32 v[120:121], v[92:93], v[106:107]
	ds_load_b128 v[86:89], v2 offset:608
	ds_load_b128 v[90:93], v2 offset:624
	s_wait_loadcnt 0x2
	v_fmac_f64_e32 v[120:121], v[102:103], v[108:109]
	s_wait_dscnt 0x1
	s_delay_alu instid0(VALU_DEP_1) | instskip(SKIP_1) | instid1(VALU_DEP_1)
	v_fmac_f64_e32 v[120:121], v[104:105], v[86:87]
	s_wait_loadcnt 0x1
	v_fmac_f64_e32 v[120:121], v[94:95], v[88:89]
	s_wait_dscnt 0x0
	s_delay_alu instid0(VALU_DEP_1) | instskip(SKIP_1) | instid1(VALU_DEP_1)
	v_fmac_f64_e32 v[120:121], v[96:97], v[90:91]
	s_wait_loadcnt 0x0
	v_fmac_f64_e32 v[120:121], v[114:115], v[92:93]
	s_delay_alu instid0(VALU_DEP_1)
	v_add_f64_e64 v[2:3], v[84:85], -v[120:121]
	scratch_store_b64 off, v[2:3], off offset:24
	s_wait_xcnt 0x0
	v_cmpx_lt_u32_e32 2, v0
	s_cbranch_execz .LBB103_245
; %bb.244:
	scratch_load_b64 v[2:3], off, off offset:16
	v_mov_b64_e32 v[84:85], 0
	scratch_store_b64 off, v[84:85], off offset:16
	s_wait_loadcnt 0x0
	ds_store_b64 v1, v[2:3]
.LBB103_245:
	s_wait_xcnt 0x0
	s_or_b32 exec_lo, exec_lo, s0
	s_wait_storecnt_dscnt 0x0
	s_barrier_signal -1
	s_barrier_wait -1
	s_clause 0x5
	scratch_load_b128 v[84:87], off, off offset:16
	scratch_load_b128 v[88:91], off, off offset:32
	;; [unrolled: 1-line block ×6, first 2 shown]
	v_mov_b32_e32 v2, 0
	ds_load_2addr_b64 v[108:111], v2 offset0:43 offset1:44
	ds_load_2addr_b64 v[112:115], v2 offset0:45 offset1:46
	scratch_load_b128 v[116:119], off, off offset:112
	s_mov_b32 s0, exec_lo
	s_wait_loadcnt_dscnt 0x601
	v_fma_f64 v[120:121], v[86:87], v[108:109], 0
	s_wait_loadcnt 0x5
	s_delay_alu instid0(VALU_DEP_1) | instskip(SKIP_4) | instid1(VALU_DEP_1)
	v_fmac_f64_e32 v[120:121], v[88:89], v[110:111]
	scratch_load_b128 v[86:89], off, off offset:128
	s_wait_dscnt 0x0
	v_fmac_f64_e32 v[120:121], v[90:91], v[112:113]
	s_wait_loadcnt 0x5
	v_fmac_f64_e32 v[120:121], v[92:93], v[114:115]
	ds_load_2addr_b64 v[90:93], v2 offset0:47 offset1:48
	ds_load_2addr_b64 v[108:111], v2 offset0:49 offset1:50
	scratch_load_b128 v[112:115], off, off offset:144
	s_wait_dscnt 0x1
	v_fmac_f64_e32 v[120:121], v[94:95], v[90:91]
	s_wait_loadcnt 0x5
	s_delay_alu instid0(VALU_DEP_1) | instskip(SKIP_4) | instid1(VALU_DEP_1)
	v_fmac_f64_e32 v[120:121], v[96:97], v[92:93]
	scratch_load_b128 v[90:93], off, off offset:160
	s_wait_dscnt 0x0
	v_fmac_f64_e32 v[120:121], v[98:99], v[108:109]
	s_wait_loadcnt 0x5
	v_fmac_f64_e32 v[120:121], v[100:101], v[110:111]
	ds_load_2addr_b64 v[94:97], v2 offset0:51 offset1:52
	ds_load_2addr_b64 v[98:101], v2 offset0:53 offset1:54
	scratch_load_b128 v[108:111], off, off offset:176
	s_wait_dscnt 0x1
	v_fmac_f64_e32 v[120:121], v[102:103], v[94:95]
	s_wait_loadcnt 0x5
	s_delay_alu instid0(VALU_DEP_1) | instskip(SKIP_4) | instid1(VALU_DEP_1)
	v_fmac_f64_e32 v[120:121], v[104:105], v[96:97]
	scratch_load_b128 v[94:97], off, off offset:192
	s_wait_dscnt 0x0
	v_fmac_f64_e32 v[120:121], v[106:107], v[98:99]
	s_wait_loadcnt 0x5
	v_fmac_f64_e32 v[120:121], v[116:117], v[100:101]
	ds_load_2addr_b64 v[98:101], v2 offset0:55 offset1:56
	ds_load_2addr_b64 v[102:105], v2 offset0:57 offset1:58
	s_wait_dscnt 0x1
	v_fmac_f64_e32 v[120:121], v[118:119], v[98:99]
	scratch_load_b128 v[116:119], off, off offset:208
	s_wait_loadcnt 0x5
	v_fmac_f64_e32 v[120:121], v[86:87], v[100:101]
	s_wait_dscnt 0x0
	s_delay_alu instid0(VALU_DEP_1)
	v_fmac_f64_e32 v[120:121], v[88:89], v[102:103]
	scratch_load_b128 v[86:89], off, off offset:224
	s_wait_loadcnt 0x5
	v_fmac_f64_e32 v[120:121], v[112:113], v[104:105]
	ds_load_2addr_b64 v[98:101], v2 offset0:59 offset1:60
	ds_load_2addr_b64 v[102:105], v2 offset0:61 offset1:62
	s_wait_dscnt 0x1
	v_fmac_f64_e32 v[120:121], v[114:115], v[98:99]
	s_wait_loadcnt 0x4
	s_delay_alu instid0(VALU_DEP_1)
	v_fmac_f64_e32 v[120:121], v[90:91], v[100:101]
	scratch_load_b128 v[98:101], off, off offset:240
	s_wait_dscnt 0x0
	v_fmac_f64_e32 v[120:121], v[92:93], v[102:103]
	scratch_load_b128 v[90:93], off, off offset:256
	s_wait_loadcnt 0x5
	v_fmac_f64_e32 v[120:121], v[108:109], v[104:105]
	ds_load_2addr_b64 v[102:105], v2 offset0:63 offset1:64
	ds_load_2addr_b64 v[106:109], v2 offset0:65 offset1:66
	s_wait_dscnt 0x1
	v_fmac_f64_e32 v[120:121], v[110:111], v[102:103]
	s_wait_loadcnt 0x4
	s_delay_alu instid0(VALU_DEP_1)
	v_fmac_f64_e32 v[120:121], v[94:95], v[104:105]
	scratch_load_b128 v[102:105], off, off offset:272
	s_wait_dscnt 0x0
	v_fmac_f64_e32 v[120:121], v[96:97], v[106:107]
	scratch_load_b128 v[94:97], off, off offset:288
	s_wait_loadcnt 0x5
	v_fmac_f64_e32 v[120:121], v[116:117], v[108:109]
	ds_load_2addr_b64 v[106:109], v2 offset0:67 offset1:68
	ds_load_2addr_b64 v[110:113], v2 offset0:69 offset1:70
	s_wait_dscnt 0x1
	v_fmac_f64_e32 v[120:121], v[118:119], v[106:107]
	s_wait_loadcnt 0x4
	s_delay_alu instid0(VALU_DEP_1) | instskip(SKIP_4) | instid1(VALU_DEP_1)
	v_fmac_f64_e32 v[120:121], v[86:87], v[108:109]
	scratch_load_b128 v[106:109], off, off offset:304
	s_wait_dscnt 0x0
	v_fmac_f64_e32 v[120:121], v[88:89], v[110:111]
	s_wait_loadcnt 0x4
	v_fmac_f64_e32 v[120:121], v[98:99], v[112:113]
	ds_load_2addr_b64 v[86:89], v2 offset0:71 offset1:72
	ds_load_2addr_b64 v[110:113], v2 offset0:73 offset1:74
	s_wait_dscnt 0x1
	v_fmac_f64_e32 v[120:121], v[100:101], v[86:87]
	s_wait_loadcnt 0x3
	s_delay_alu instid0(VALU_DEP_1) | instskip(SKIP_1) | instid1(VALU_DEP_1)
	v_fmac_f64_e32 v[120:121], v[90:91], v[88:89]
	s_wait_dscnt 0x0
	v_fmac_f64_e32 v[120:121], v[92:93], v[110:111]
	ds_load_2addr_b64 v[86:89], v2 offset0:75 offset1:76
	ds_load_2addr_b64 v[90:93], v2 offset0:77 offset1:78
	s_wait_loadcnt 0x2
	v_fmac_f64_e32 v[120:121], v[102:103], v[112:113]
	s_wait_dscnt 0x1
	s_delay_alu instid0(VALU_DEP_1) | instskip(SKIP_4) | instid1(VALU_DEP_1)
	v_fmac_f64_e32 v[120:121], v[104:105], v[86:87]
	ds_load_b64 v[86:87], v2 offset:632
	s_wait_loadcnt 0x1
	v_fmac_f64_e32 v[120:121], v[94:95], v[88:89]
	s_wait_dscnt 0x1
	v_fmac_f64_e32 v[120:121], v[96:97], v[90:91]
	s_wait_loadcnt 0x0
	s_delay_alu instid0(VALU_DEP_1) | instskip(SKIP_1) | instid1(VALU_DEP_1)
	v_fmac_f64_e32 v[120:121], v[106:107], v[92:93]
	s_wait_dscnt 0x0
	v_fmac_f64_e32 v[120:121], v[108:109], v[86:87]
	s_delay_alu instid0(VALU_DEP_1)
	v_add_f64_e64 v[84:85], v[84:85], -v[120:121]
	scratch_store_b64 off, v[84:85], off offset:16
	s_wait_xcnt 0x0
	v_cmpx_lt_u32_e32 1, v0
	s_cbranch_execz .LBB103_247
; %bb.246:
	scratch_load_b64 v[84:85], off, off offset:8
	v_mov_b64_e32 v[86:87], 0
	scratch_store_b64 off, v[86:87], off offset:8
	s_wait_loadcnt 0x0
	ds_store_b64 v1, v[84:85]
.LBB103_247:
	s_wait_xcnt 0x0
	s_or_b32 exec_lo, exec_lo, s0
	s_wait_storecnt_dscnt 0x0
	s_barrier_signal -1
	s_barrier_wait -1
	s_clause 0x3
	scratch_load_b128 v[84:87], off, off offset:8
	scratch_load_b128 v[88:91], off, off offset:24
	scratch_load_b128 v[92:95], off, off offset:40
	scratch_load_b128 v[96:99], off, off offset:56
	ds_load_b128 v[100:103], v2 offset:336
	ds_load_b128 v[104:107], v2 offset:352
	scratch_load_b128 v[108:111], off, off offset:72
	v_dual_ashrrev_i32 v9, 31, v8 :: v_dual_ashrrev_i32 v11, 31, v10
	v_dual_ashrrev_i32 v13, 31, v12 :: v_dual_ashrrev_i32 v15, 31, v14
	;; [unrolled: 1-line block ×18, first 2 shown]
	v_ashrrev_i32_e32 v81, 31, v80
	s_mov_b32 s0, exec_lo
	v_ashrrev_i32_e32 v35, 31, v34
	s_wait_loadcnt_dscnt 0x401
	v_fma_f64 v[112:113], v[86:87], v[100:101], 0
	s_wait_loadcnt 0x3
	s_delay_alu instid0(VALU_DEP_1) | instskip(SKIP_4) | instid1(VALU_DEP_1)
	v_fmac_f64_e32 v[112:113], v[88:89], v[102:103]
	scratch_load_b128 v[86:89], off, off offset:88
	s_wait_dscnt 0x0
	v_fmac_f64_e32 v[112:113], v[90:91], v[104:105]
	s_wait_loadcnt 0x3
	v_fmac_f64_e32 v[112:113], v[92:93], v[106:107]
	ds_load_b128 v[90:93], v2 offset:368
	ds_load_b128 v[100:103], v2 offset:384
	scratch_load_b128 v[104:107], off, off offset:104
	s_wait_dscnt 0x1
	v_fmac_f64_e32 v[112:113], v[94:95], v[90:91]
	s_wait_loadcnt 0x3
	s_delay_alu instid0(VALU_DEP_1)
	v_fmac_f64_e32 v[112:113], v[96:97], v[92:93]
	scratch_load_b128 v[90:93], off, off offset:120
	s_wait_dscnt 0x0
	v_fmac_f64_e32 v[112:113], v[98:99], v[100:101]
	ds_load_b128 v[94:97], v2 offset:400
	ds_load_b128 v[98:101], v2 offset:416
	s_wait_loadcnt 0x3
	v_fmac_f64_e32 v[112:113], v[108:109], v[102:103]
	s_wait_dscnt 0x1
	s_delay_alu instid0(VALU_DEP_1) | instskip(SKIP_4) | instid1(VALU_DEP_1)
	v_fmac_f64_e32 v[112:113], v[110:111], v[94:95]
	scratch_load_b128 v[108:111], off, off offset:136
	s_wait_loadcnt 0x3
	v_fmac_f64_e32 v[112:113], v[86:87], v[96:97]
	s_wait_dscnt 0x0
	v_fmac_f64_e32 v[112:113], v[88:89], v[98:99]
	scratch_load_b128 v[86:89], off, off offset:152
	s_wait_loadcnt 0x3
	v_fmac_f64_e32 v[112:113], v[104:105], v[100:101]
	ds_load_b128 v[94:97], v2 offset:432
	ds_load_b128 v[98:101], v2 offset:448
	scratch_load_b128 v[102:105], off, off offset:168
	s_wait_dscnt 0x1
	v_fmac_f64_e32 v[112:113], v[106:107], v[94:95]
	s_wait_loadcnt 0x3
	s_delay_alu instid0(VALU_DEP_1) | instskip(SKIP_4) | instid1(VALU_DEP_1)
	v_fmac_f64_e32 v[112:113], v[90:91], v[96:97]
	scratch_load_b128 v[94:97], off, off offset:184
	s_wait_dscnt 0x0
	v_fmac_f64_e32 v[112:113], v[92:93], v[98:99]
	s_wait_loadcnt 0x3
	v_fmac_f64_e32 v[112:113], v[108:109], v[100:101]
	ds_load_b128 v[90:93], v2 offset:464
	ds_load_b128 v[98:101], v2 offset:480
	scratch_load_b128 v[106:109], off, off offset:200
	s_wait_dscnt 0x1
	v_fmac_f64_e32 v[112:113], v[110:111], v[90:91]
	s_wait_loadcnt 0x3
	s_delay_alu instid0(VALU_DEP_1) | instskip(SKIP_1) | instid1(VALU_DEP_1)
	v_fmac_f64_e32 v[112:113], v[86:87], v[92:93]
	s_wait_dscnt 0x0
	v_fmac_f64_e32 v[112:113], v[88:89], v[98:99]
	scratch_load_b128 v[86:89], off, off offset:216
	s_wait_loadcnt 0x3
	v_fmac_f64_e32 v[112:113], v[102:103], v[100:101]
	ds_load_b128 v[90:93], v2 offset:496
	ds_load_b128 v[98:101], v2 offset:512
	s_wait_dscnt 0x1
	v_fmac_f64_e32 v[112:113], v[104:105], v[90:91]
	scratch_load_b128 v[102:105], off, off offset:232
	s_wait_loadcnt 0x3
	v_fmac_f64_e32 v[112:113], v[94:95], v[92:93]
	scratch_load_b128 v[90:93], off, off offset:248
	s_wait_dscnt 0x0
	v_fmac_f64_e32 v[112:113], v[96:97], v[98:99]
	s_wait_loadcnt 0x3
	s_delay_alu instid0(VALU_DEP_1)
	v_fmac_f64_e32 v[112:113], v[106:107], v[100:101]
	ds_load_b128 v[94:97], v2 offset:528
	ds_load_b128 v[98:101], v2 offset:544
	s_wait_dscnt 0x1
	v_fmac_f64_e32 v[112:113], v[108:109], v[94:95]
	scratch_load_b128 v[106:109], off, off offset:264
	s_wait_loadcnt 0x3
	v_fmac_f64_e32 v[112:113], v[86:87], v[96:97]
	s_wait_dscnt 0x0
	s_delay_alu instid0(VALU_DEP_1)
	v_fmac_f64_e32 v[112:113], v[88:89], v[98:99]
	scratch_load_b128 v[86:89], off, off offset:280
	s_wait_loadcnt 0x3
	v_fmac_f64_e32 v[112:113], v[102:103], v[100:101]
	ds_load_b128 v[94:97], v2 offset:560
	ds_load_b128 v[98:101], v2 offset:576
	scratch_load_b64 v[110:111], off, off offset:312
	s_wait_dscnt 0x1
	v_fmac_f64_e32 v[112:113], v[104:105], v[94:95]
	scratch_load_b128 v[102:105], off, off offset:296
	s_wait_loadcnt 0x4
	v_fmac_f64_e32 v[112:113], v[90:91], v[96:97]
	s_wait_dscnt 0x0
	s_delay_alu instid0(VALU_DEP_1)
	v_fmac_f64_e32 v[112:113], v[92:93], v[98:99]
	ds_load_b128 v[90:93], v2 offset:592
	ds_load_b128 v[94:97], v2 offset:608
	s_wait_loadcnt 0x3
	v_fmac_f64_e32 v[112:113], v[106:107], v[100:101]
	s_wait_dscnt 0x1
	s_delay_alu instid0(VALU_DEP_1) | instskip(SKIP_1) | instid1(VALU_DEP_1)
	v_fmac_f64_e32 v[112:113], v[108:109], v[90:91]
	s_wait_loadcnt 0x2
	v_fmac_f64_e32 v[112:113], v[86:87], v[92:93]
	s_wait_dscnt 0x0
	s_delay_alu instid0(VALU_DEP_1) | instskip(SKIP_4) | instid1(VALU_DEP_1)
	v_fmac_f64_e32 v[112:113], v[88:89], v[94:95]
	ds_load_b128 v[86:89], v2 offset:624
	s_wait_loadcnt 0x0
	v_fmac_f64_e32 v[112:113], v[102:103], v[96:97]
	s_wait_dscnt 0x0
	v_fmac_f64_e32 v[112:113], v[104:105], v[86:87]
	s_delay_alu instid0(VALU_DEP_1) | instskip(NEXT) | instid1(VALU_DEP_1)
	v_fmac_f64_e32 v[112:113], v[110:111], v[88:89]
	v_add_f64_e64 v[2:3], v[84:85], -v[112:113]
	scratch_store_b64 off, v[2:3], off offset:8
	s_wait_xcnt 0x0
	v_cmpx_ne_u32_e32 0, v0
	s_cbranch_execz .LBB103_249
; %bb.248:
	scratch_load_b64 v[2:3], off, off
	v_mov_b64_e32 v[84:85], 0
	scratch_store_b64 off, v[84:85], off
	s_wait_loadcnt 0x0
	ds_store_b64 v1, v[2:3]
.LBB103_249:
	s_wait_xcnt 0x0
	s_or_b32 exec_lo, exec_lo, s0
	s_wait_storecnt_dscnt 0x0
	s_barrier_signal -1
	s_barrier_wait -1
	s_clause 0x5
	scratch_load_b128 v[88:91], off, off
	scratch_load_b128 v[0:3], off, off offset:16
	scratch_load_b128 v[92:95], off, off offset:32
	;; [unrolled: 1-line block ×5, first 2 shown]
	v_mov_b32_e32 v86, 0
	scratch_load_b128 v[112:115], off, off offset:96
	s_and_b32 vcc_lo, exec_lo, s12
	ds_load_2addr_b64 v[108:111], v86 offset0:41 offset1:42
	s_wait_loadcnt_dscnt 0x600
	v_fma_f64 v[84:85], v[90:91], v[108:109], 0
	s_wait_loadcnt 0x5
	s_delay_alu instid0(VALU_DEP_1)
	v_fmac_f64_e32 v[84:85], v[0:1], v[110:111]
	ds_load_2addr_b64 v[108:111], v86 offset0:43 offset1:44
	s_wait_dscnt 0x0
	v_fmac_f64_e32 v[84:85], v[2:3], v[108:109]
	scratch_load_b128 v[0:3], off, off offset:112
	s_wait_loadcnt 0x5
	v_fmac_f64_e32 v[84:85], v[92:93], v[110:111]
	ds_load_2addr_b64 v[90:93], v86 offset0:45 offset1:46
	scratch_load_b128 v[108:111], off, off offset:128
	s_wait_dscnt 0x0
	v_fmac_f64_e32 v[84:85], v[94:95], v[90:91]
	s_wait_loadcnt 0x5
	s_delay_alu instid0(VALU_DEP_1)
	v_fmac_f64_e32 v[84:85], v[96:97], v[92:93]
	ds_load_2addr_b64 v[90:93], v86 offset0:47 offset1:48
	scratch_load_b128 v[94:97], off, off offset:144
	s_wait_dscnt 0x0
	v_fmac_f64_e32 v[84:85], v[98:99], v[90:91]
	s_wait_loadcnt 0x5
	s_delay_alu instid0(VALU_DEP_1)
	;; [unrolled: 7-line block ×4, first 2 shown]
	v_fmac_f64_e32 v[84:85], v[112:113], v[92:93]
	ds_load_2addr_b64 v[90:93], v86 offset0:53 offset1:54
	s_wait_dscnt 0x0
	v_fmac_f64_e32 v[84:85], v[114:115], v[90:91]
	scratch_load_b128 v[112:115], off, off offset:192
	s_wait_loadcnt 0x5
	v_fmac_f64_e32 v[84:85], v[0:1], v[92:93]
	ds_load_2addr_b64 v[90:93], v86 offset0:55 offset1:56
	s_wait_dscnt 0x0
	v_fmac_f64_e32 v[84:85], v[2:3], v[90:91]
	scratch_load_b128 v[0:3], off, off offset:208
	s_wait_loadcnt 0x5
	v_fmac_f64_e32 v[84:85], v[108:109], v[92:93]
	ds_load_2addr_b64 v[90:93], v86 offset0:57 offset1:58
	scratch_load_b128 v[106:109], off, off offset:224
	s_wait_dscnt 0x0
	v_fmac_f64_e32 v[84:85], v[110:111], v[90:91]
	s_wait_loadcnt 0x5
	s_delay_alu instid0(VALU_DEP_1)
	v_fmac_f64_e32 v[84:85], v[94:95], v[92:93]
	ds_load_2addr_b64 v[90:93], v86 offset0:59 offset1:60
	s_wait_dscnt 0x0
	v_fmac_f64_e32 v[84:85], v[96:97], v[90:91]
	scratch_load_b128 v[94:97], off, off offset:240
	s_wait_loadcnt 0x5
	v_fmac_f64_e32 v[84:85], v[98:99], v[92:93]
	ds_load_2addr_b64 v[90:93], v86 offset0:61 offset1:62
	s_wait_dscnt 0x0
	v_fmac_f64_e32 v[84:85], v[100:101], v[90:91]
	scratch_load_b128 v[98:101], off, off offset:256
	s_wait_loadcnt 0x5
	v_fmac_f64_e32 v[84:85], v[102:103], v[92:93]
	ds_load_2addr_b64 v[90:93], v86 offset0:63 offset1:64
	s_wait_dscnt 0x0
	v_fmac_f64_e32 v[84:85], v[104:105], v[90:91]
	scratch_load_b128 v[102:105], off, off offset:272
	s_wait_loadcnt 0x5
	v_fmac_f64_e32 v[84:85], v[112:113], v[92:93]
	ds_load_2addr_b64 v[90:93], v86 offset0:65 offset1:66
	scratch_load_b128 v[110:113], off, off offset:288
	s_wait_dscnt 0x0
	v_fmac_f64_e32 v[84:85], v[114:115], v[90:91]
	s_wait_loadcnt 0x5
	s_delay_alu instid0(VALU_DEP_1)
	v_fmac_f64_e32 v[84:85], v[0:1], v[92:93]
	ds_load_2addr_b64 v[90:93], v86 offset0:67 offset1:68
	s_wait_dscnt 0x0
	v_fmac_f64_e32 v[84:85], v[2:3], v[90:91]
	scratch_load_b128 v[0:3], off, off offset:304
	s_wait_loadcnt 0x5
	v_fmac_f64_e32 v[84:85], v[106:107], v[92:93]
	ds_load_2addr_b64 v[90:93], v86 offset0:69 offset1:70
	s_wait_dscnt 0x0
	v_fmac_f64_e32 v[84:85], v[108:109], v[90:91]
	s_wait_loadcnt 0x4
	s_delay_alu instid0(VALU_DEP_1) | instskip(SKIP_4) | instid1(VALU_DEP_1)
	v_fmac_f64_e32 v[84:85], v[94:95], v[92:93]
	ds_load_2addr_b64 v[90:93], v86 offset0:71 offset1:72
	s_wait_dscnt 0x0
	v_fmac_f64_e32 v[84:85], v[96:97], v[90:91]
	s_wait_loadcnt 0x3
	v_fmac_f64_e32 v[84:85], v[98:99], v[92:93]
	ds_load_2addr_b64 v[90:93], v86 offset0:73 offset1:74
	s_wait_dscnt 0x0
	v_fmac_f64_e32 v[84:85], v[100:101], v[90:91]
	s_wait_loadcnt 0x2
	s_delay_alu instid0(VALU_DEP_1) | instskip(SKIP_4) | instid1(VALU_DEP_1)
	v_fmac_f64_e32 v[84:85], v[102:103], v[92:93]
	ds_load_2addr_b64 v[90:93], v86 offset0:75 offset1:76
	s_wait_dscnt 0x0
	v_fmac_f64_e32 v[84:85], v[104:105], v[90:91]
	s_wait_loadcnt 0x1
	v_fmac_f64_e32 v[84:85], v[110:111], v[92:93]
	ds_load_2addr_b64 v[90:93], v86 offset0:77 offset1:78
	s_wait_dscnt 0x0
	v_fmac_f64_e32 v[84:85], v[112:113], v[90:91]
	ds_load_b64 v[90:91], v86 offset:632
	s_wait_loadcnt 0x0
	v_fmac_f64_e32 v[84:85], v[0:1], v[92:93]
	s_wait_dscnt 0x0
	s_delay_alu instid0(VALU_DEP_1) | instskip(NEXT) | instid1(VALU_DEP_1)
	v_fmac_f64_e32 v[84:85], v[2:3], v[90:91]
	v_add_f64_e64 v[84:85], v[88:89], -v[84:85]
	scratch_store_b64 off, v[84:85], off
	s_cbranch_vccz .LBB103_328
; %bb.250:
	global_load_b32 v2, v86, s[8:9] offset:152
	s_wait_loadcnt 0x0
	v_cmp_ne_u32_e32 vcc_lo, 39, v2
	s_cbranch_vccz .LBB103_252
; %bb.251:
	v_lshlrev_b32_e32 v2, 3, v2
	s_wait_xcnt 0x1
	s_delay_alu instid0(VALU_DEP_1)
	v_mov_b32_e32 v84, v2
	scratch_load_b64 v[2:3], v84, off offset:-8
	s_wait_loadcnt 0x0
	scratch_store_b64 off, v[2:3], off offset:304
	scratch_store_b64 v84, v[0:1], off offset:-8
.LBB103_252:
	s_wait_xcnt 0x0
	v_mov_b32_e32 v0, 0
	global_load_b32 v1, v0, s[8:9] offset:148
	s_wait_loadcnt 0x0
	v_cmp_eq_u32_e32 vcc_lo, 38, v1
	s_cbranch_vccnz .LBB103_254
; %bb.253:
	v_lshlrev_b32_e32 v1, 3, v1
	scratch_load_b64 v[2:3], v1, off offset:-8
	scratch_load_b64 v[84:85], off, off offset:296
	s_wait_loadcnt 0x1
	scratch_store_b64 off, v[2:3], off offset:296
	s_wait_loadcnt 0x0
	scratch_store_b64 v1, v[84:85], off offset:-8
.LBB103_254:
	global_load_b32 v0, v0, s[8:9] offset:144
	s_wait_loadcnt 0x0
	v_cmp_eq_u32_e32 vcc_lo, 37, v0
	s_cbranch_vccnz .LBB103_256
; %bb.255:
	s_wait_xcnt 0x0
	v_lshlrev_b32_e32 v0, 3, v0
	s_delay_alu instid0(VALU_DEP_1)
	v_mov_b32_e32 v84, v0
	scratch_load_b64 v[0:1], v84, off offset:-8
	scratch_load_b64 v[2:3], off, off offset:288
	s_wait_loadcnt 0x1
	scratch_store_b64 off, v[0:1], off offset:288
	s_wait_loadcnt 0x0
	scratch_store_b64 v84, v[2:3], off offset:-8
.LBB103_256:
	s_wait_xcnt 0x0
	v_mov_b32_e32 v0, 0
	global_load_b32 v1, v0, s[8:9] offset:140
	s_wait_loadcnt 0x0
	v_cmp_eq_u32_e32 vcc_lo, 36, v1
	s_cbranch_vccnz .LBB103_258
; %bb.257:
	v_lshlrev_b32_e32 v1, 3, v1
	scratch_load_b64 v[2:3], v1, off offset:-8
	scratch_load_b64 v[84:85], off, off offset:280
	s_wait_loadcnt 0x1
	scratch_store_b64 off, v[2:3], off offset:280
	s_wait_loadcnt 0x0
	scratch_store_b64 v1, v[84:85], off offset:-8
.LBB103_258:
	global_load_b32 v0, v0, s[8:9] offset:136
	s_wait_loadcnt 0x0
	v_cmp_eq_u32_e32 vcc_lo, 35, v0
	s_cbranch_vccnz .LBB103_260
; %bb.259:
	s_wait_xcnt 0x0
	v_lshlrev_b32_e32 v0, 3, v0
	s_delay_alu instid0(VALU_DEP_1)
	v_mov_b32_e32 v84, v0
	scratch_load_b64 v[0:1], v84, off offset:-8
	scratch_load_b64 v[2:3], off, off offset:272
	s_wait_loadcnt 0x1
	scratch_store_b64 off, v[0:1], off offset:272
	s_wait_loadcnt 0x0
	scratch_store_b64 v84, v[2:3], off offset:-8
.LBB103_260:
	;; [unrolled: 31-line block ×18, first 2 shown]
	s_wait_xcnt 0x0
	v_mov_b32_e32 v0, 0
	global_load_b32 v1, v0, s[8:9] offset:4
	s_wait_loadcnt 0x0
	v_cmp_eq_u32_e32 vcc_lo, 2, v1
	s_cbranch_vccnz .LBB103_326
; %bb.325:
	v_lshlrev_b32_e32 v1, 3, v1
	scratch_load_b64 v[2:3], v1, off offset:-8
	scratch_load_b64 v[84:85], off, off offset:8
	s_wait_loadcnt 0x1
	scratch_store_b64 off, v[2:3], off offset:8
	s_wait_loadcnt 0x0
	scratch_store_b64 v1, v[84:85], off offset:-8
.LBB103_326:
	global_load_b32 v0, v0, s[8:9]
	scratch_load_b64 v[84:85], off, off
	s_wait_loadcnt 0x1
	v_cmp_eq_u32_e32 vcc_lo, 1, v0
	s_cbranch_vccnz .LBB103_328
; %bb.327:
	s_wait_xcnt 0x1
	v_lshlrev_b32_e32 v0, 3, v0
	s_delay_alu instid0(VALU_DEP_1)
	v_mov_b32_e32 v2, v0
	scratch_load_b64 v[0:1], v2, off offset:-8
	s_wait_loadcnt 0x0
	scratch_store_b64 off, v[0:1], off
	scratch_store_b64 v2, v[84:85], off offset:-8
	scratch_load_b64 v[84:85], off, off
.LBB103_328:
	s_wait_loadcnt 0x0
	flat_store_b64 v[4:5], v[84:85]
	scratch_load_b64 v[4:5], off, off offset:8
	v_lshl_add_u64 v[120:121], v[8:9], 3, s[2:3]
	v_lshl_add_u64 v[118:119], v[10:11], 3, s[2:3]
	;; [unrolled: 1-line block ×38, first 2 shown]
	s_wait_loadcnt 0x0
	flat_store_b64 v[6:7], v[4:5]
	scratch_load_b64 v[4:5], off, off offset:16
	s_wait_loadcnt 0x0
	flat_store_b64 v[120:121], v[4:5]
	scratch_load_b64 v[4:5], off, off offset:24
	;; [unrolled: 3-line block ×38, first 2 shown]
	s_wait_loadcnt 0x0
	flat_store_b64 v[0:1], v[2:3]
	s_sendmsg sendmsg(MSG_DEALLOC_VGPRS)
	s_endpgm
	.section	.rodata,"a",@progbits
	.p2align	6, 0x0
	.amdhsa_kernel _ZN9rocsolver6v33100L18getri_kernel_smallILi40EdPKPdEEvT1_iilPiilS6_bb
		.amdhsa_group_segment_fixed_size 648
		.amdhsa_private_segment_fixed_size 336
		.amdhsa_kernarg_size 60
		.amdhsa_user_sgpr_count 2
		.amdhsa_user_sgpr_dispatch_ptr 0
		.amdhsa_user_sgpr_queue_ptr 0
		.amdhsa_user_sgpr_kernarg_segment_ptr 1
		.amdhsa_user_sgpr_dispatch_id 0
		.amdhsa_user_sgpr_kernarg_preload_length 0
		.amdhsa_user_sgpr_kernarg_preload_offset 0
		.amdhsa_user_sgpr_private_segment_size 0
		.amdhsa_wavefront_size32 1
		.amdhsa_uses_dynamic_stack 0
		.amdhsa_enable_private_segment 1
		.amdhsa_system_sgpr_workgroup_id_x 1
		.amdhsa_system_sgpr_workgroup_id_y 0
		.amdhsa_system_sgpr_workgroup_id_z 0
		.amdhsa_system_sgpr_workgroup_info 0
		.amdhsa_system_vgpr_workitem_id 0
		.amdhsa_next_free_vgpr 122
		.amdhsa_next_free_sgpr 19
		.amdhsa_named_barrier_count 0
		.amdhsa_reserve_vcc 1
		.amdhsa_float_round_mode_32 0
		.amdhsa_float_round_mode_16_64 0
		.amdhsa_float_denorm_mode_32 3
		.amdhsa_float_denorm_mode_16_64 3
		.amdhsa_fp16_overflow 0
		.amdhsa_memory_ordered 1
		.amdhsa_forward_progress 1
		.amdhsa_inst_pref_size 255
		.amdhsa_round_robin_scheduling 0
		.amdhsa_exception_fp_ieee_invalid_op 0
		.amdhsa_exception_fp_denorm_src 0
		.amdhsa_exception_fp_ieee_div_zero 0
		.amdhsa_exception_fp_ieee_overflow 0
		.amdhsa_exception_fp_ieee_underflow 0
		.amdhsa_exception_fp_ieee_inexact 0
		.amdhsa_exception_int_div_zero 0
	.end_amdhsa_kernel
	.section	.text._ZN9rocsolver6v33100L18getri_kernel_smallILi40EdPKPdEEvT1_iilPiilS6_bb,"axG",@progbits,_ZN9rocsolver6v33100L18getri_kernel_smallILi40EdPKPdEEvT1_iilPiilS6_bb,comdat
.Lfunc_end103:
	.size	_ZN9rocsolver6v33100L18getri_kernel_smallILi40EdPKPdEEvT1_iilPiilS6_bb, .Lfunc_end103-_ZN9rocsolver6v33100L18getri_kernel_smallILi40EdPKPdEEvT1_iilPiilS6_bb
                                        ; -- End function
	.set _ZN9rocsolver6v33100L18getri_kernel_smallILi40EdPKPdEEvT1_iilPiilS6_bb.num_vgpr, 122
	.set _ZN9rocsolver6v33100L18getri_kernel_smallILi40EdPKPdEEvT1_iilPiilS6_bb.num_agpr, 0
	.set _ZN9rocsolver6v33100L18getri_kernel_smallILi40EdPKPdEEvT1_iilPiilS6_bb.numbered_sgpr, 19
	.set _ZN9rocsolver6v33100L18getri_kernel_smallILi40EdPKPdEEvT1_iilPiilS6_bb.num_named_barrier, 0
	.set _ZN9rocsolver6v33100L18getri_kernel_smallILi40EdPKPdEEvT1_iilPiilS6_bb.private_seg_size, 336
	.set _ZN9rocsolver6v33100L18getri_kernel_smallILi40EdPKPdEEvT1_iilPiilS6_bb.uses_vcc, 1
	.set _ZN9rocsolver6v33100L18getri_kernel_smallILi40EdPKPdEEvT1_iilPiilS6_bb.uses_flat_scratch, 1
	.set _ZN9rocsolver6v33100L18getri_kernel_smallILi40EdPKPdEEvT1_iilPiilS6_bb.has_dyn_sized_stack, 0
	.set _ZN9rocsolver6v33100L18getri_kernel_smallILi40EdPKPdEEvT1_iilPiilS6_bb.has_recursion, 0
	.set _ZN9rocsolver6v33100L18getri_kernel_smallILi40EdPKPdEEvT1_iilPiilS6_bb.has_indirect_call, 0
	.section	.AMDGPU.csdata,"",@progbits
; Kernel info:
; codeLenInByte = 34912
; TotalNumSgprs: 21
; NumVgprs: 122
; ScratchSize: 336
; MemoryBound: 0
; FloatMode: 240
; IeeeMode: 1
; LDSByteSize: 648 bytes/workgroup (compile time only)
; SGPRBlocks: 0
; VGPRBlocks: 7
; NumSGPRsForWavesPerEU: 21
; NumVGPRsForWavesPerEU: 122
; NamedBarCnt: 0
; Occupancy: 8
; WaveLimiterHint : 1
; COMPUTE_PGM_RSRC2:SCRATCH_EN: 1
; COMPUTE_PGM_RSRC2:USER_SGPR: 2
; COMPUTE_PGM_RSRC2:TRAP_HANDLER: 0
; COMPUTE_PGM_RSRC2:TGID_X_EN: 1
; COMPUTE_PGM_RSRC2:TGID_Y_EN: 0
; COMPUTE_PGM_RSRC2:TGID_Z_EN: 0
; COMPUTE_PGM_RSRC2:TIDIG_COMP_CNT: 0
	.section	.text._ZN9rocsolver6v33100L18getri_kernel_smallILi41EdPKPdEEvT1_iilPiilS6_bb,"axG",@progbits,_ZN9rocsolver6v33100L18getri_kernel_smallILi41EdPKPdEEvT1_iilPiilS6_bb,comdat
	.globl	_ZN9rocsolver6v33100L18getri_kernel_smallILi41EdPKPdEEvT1_iilPiilS6_bb ; -- Begin function _ZN9rocsolver6v33100L18getri_kernel_smallILi41EdPKPdEEvT1_iilPiilS6_bb
	.p2align	8
	.type	_ZN9rocsolver6v33100L18getri_kernel_smallILi41EdPKPdEEvT1_iilPiilS6_bb,@function
_ZN9rocsolver6v33100L18getri_kernel_smallILi41EdPKPdEEvT1_iilPiilS6_bb: ; @_ZN9rocsolver6v33100L18getri_kernel_smallILi41EdPKPdEEvT1_iilPiilS6_bb
; %bb.0:
	s_mov_b32 s2, exec_lo
	v_cmpx_gt_u32_e32 41, v0
	s_cbranch_execz .LBB104_174
; %bb.1:
	s_clause 0x1
	s_load_b32 s13, s[0:1], 0x38
	s_load_b64 s[2:3], s[0:1], 0x0
	s_getreg_b32 s6, hwreg(HW_REG_IB_STS2, 6, 4)
	s_wait_kmcnt 0x0
	s_bitcmp1_b32 s13, 8
	s_cselect_b32 s12, -1, 0
	s_bfe_u32 s4, ttmp6, 0x4000c
	s_and_b32 s5, ttmp6, 15
	s_add_co_i32 s4, s4, 1
	s_delay_alu instid0(SALU_CYCLE_1) | instskip(NEXT) | instid1(SALU_CYCLE_1)
	s_mul_i32 s4, ttmp9, s4
	s_add_co_i32 s5, s5, s4
	s_cmp_eq_u32 s6, 0
	s_cselect_b32 s10, ttmp9, s5
	s_load_b128 s[4:7], s[0:1], 0x28
	s_ashr_i32 s11, s10, 31
	s_delay_alu instid0(SALU_CYCLE_1) | instskip(NEXT) | instid1(SALU_CYCLE_1)
	s_lshl_b64 s[8:9], s[10:11], 3
	s_add_nc_u64 s[2:3], s[2:3], s[8:9]
	s_bfe_u32 s8, s13, 0x10008
	s_load_b64 s[2:3], s[2:3], 0x0
	s_cmp_eq_u32 s8, 0
                                        ; implicit-def: $sgpr8_sgpr9
	s_cbranch_scc1 .LBB104_3
; %bb.2:
	s_load_b96 s[16:18], s[0:1], 0x18
	s_wait_kmcnt 0x0
	s_mul_u64 s[4:5], s[4:5], s[10:11]
	s_delay_alu instid0(SALU_CYCLE_1) | instskip(SKIP_4) | instid1(SALU_CYCLE_1)
	s_lshl_b64 s[4:5], s[4:5], 2
	s_ashr_i32 s9, s18, 31
	s_mov_b32 s8, s18
	s_add_nc_u64 s[4:5], s[16:17], s[4:5]
	s_lshl_b64 s[8:9], s[8:9], 2
	s_add_nc_u64 s[8:9], s[4:5], s[8:9]
.LBB104_3:
	s_wait_kmcnt 0x0
	s_clause 0x1
	s_load_b64 s[4:5], s[0:1], 0x8
	s_load_b32 s13, s[0:1], 0x38
	v_dual_mov_b32 v3, 0 :: v_dual_lshlrev_b32 v2, 3, v0
	s_wait_kmcnt 0x0
	s_ashr_i32 s1, s4, 31
	s_mov_b32 s0, s4
	s_delay_alu instid0(SALU_CYCLE_1) | instskip(NEXT) | instid1(SALU_CYCLE_1)
	s_lshl_b64 s[0:1], s[0:1], 3
	s_add_nc_u64 s[2:3], s[2:3], s[0:1]
	s_ashr_i32 s1, s5, 31
	flat_load_b64 v[8:9], v0, s[2:3] scale_offset
	v_add_nc_u64_e32 v[4:5], s[2:3], v[2:3]
	s_mov_b32 s0, s5
	s_bitcmp0_b32 s13, 0
	s_delay_alu instid0(VALU_DEP_1)
	v_lshl_add_u64 v[6:7], s[0:1], 3, v[4:5]
	s_mov_b32 s1, -1
	s_wait_loadcnt_dscnt 0x0
	scratch_store_b64 off, v[8:9], off
	flat_load_b64 v[10:11], v[6:7]
	s_wait_xcnt 0x1
	v_add3_u32 v8, s5, s5, v0
	s_wait_loadcnt_dscnt 0x0
	scratch_store_b64 off, v[10:11], off offset:8
	flat_load_b64 v[12:13], v8, s[2:3] scale_offset
	s_wait_xcnt 0x1
	v_add_nc_u32_e32 v10, s5, v8
	s_wait_loadcnt_dscnt 0x0
	scratch_store_b64 off, v[12:13], off offset:16
	flat_load_b64 v[14:15], v10, s[2:3] scale_offset
	s_wait_xcnt 0x1
	v_add_nc_u32_e32 v12, s5, v10
	;; [unrolled: 5-line block ×38, first 2 shown]
	s_wait_loadcnt_dscnt 0x0
	scratch_store_b64 off, v[86:87], off offset:312
	flat_load_b64 v[86:87], v84, s[2:3] scale_offset
	s_wait_loadcnt_dscnt 0x0
	scratch_store_b64 off, v[86:87], off offset:320
	s_cbranch_scc1 .LBB104_172
; %bb.4:
	v_cmp_eq_u32_e64 s0, 0, v0
	s_wait_xcnt 0x0
	s_and_saveexec_b32 s1, s0
; %bb.5:
	v_mov_b32_e32 v1, 0
	ds_store_b32 v1, v1 offset:328
; %bb.6:
	s_or_b32 exec_lo, exec_lo, s1
	s_wait_storecnt_dscnt 0x0
	s_barrier_signal -1
	s_barrier_wait -1
	scratch_load_b64 v[86:87], v0, off scale_offset
	s_mov_b32 s4, exec_lo
	s_wait_loadcnt 0x0
	v_cmpx_eq_f64_e32 0, v[86:87]
	s_cbranch_execz .LBB104_10
; %bb.7:
	v_mov_b32_e32 v1, 0
	s_mov_b32 s5, 0
	ds_load_b32 v3, v1 offset:328
	s_wait_dscnt 0x0
	v_readfirstlane_b32 s1, v3
	v_add_nc_u32_e32 v3, 1, v0
	s_cmp_eq_u32 s1, 0
	s_delay_alu instid0(VALU_DEP_1) | instskip(SKIP_1) | instid1(SALU_CYCLE_1)
	v_cmp_gt_i32_e32 vcc_lo, s1, v3
	s_cselect_b32 s13, -1, 0
	s_or_b32 s13, s13, vcc_lo
	s_delay_alu instid0(SALU_CYCLE_1)
	s_and_b32 exec_lo, exec_lo, s13
	s_cbranch_execz .LBB104_10
; %bb.8:
	v_mov_b32_e32 v9, s1
.LBB104_9:                              ; =>This Inner Loop Header: Depth=1
	ds_cmpstore_rtn_b32 v9, v1, v3, v9 offset:328
	s_wait_dscnt 0x0
	v_cmp_ne_u32_e32 vcc_lo, 0, v9
	v_cmp_le_i32_e64 s1, v9, v3
	s_and_b32 s1, vcc_lo, s1
	s_delay_alu instid0(SALU_CYCLE_1) | instskip(NEXT) | instid1(SALU_CYCLE_1)
	s_and_b32 s1, exec_lo, s1
	s_or_b32 s5, s1, s5
	s_delay_alu instid0(SALU_CYCLE_1)
	s_and_not1_b32 exec_lo, exec_lo, s5
	s_cbranch_execnz .LBB104_9
.LBB104_10:
	s_or_b32 exec_lo, exec_lo, s4
	v_mov_b32_e32 v1, 0
	s_barrier_signal -1
	s_barrier_wait -1
	ds_load_b32 v3, v1 offset:328
	s_and_saveexec_b32 s1, s0
	s_cbranch_execz .LBB104_12
; %bb.11:
	s_lshl_b64 s[4:5], s[10:11], 2
	s_delay_alu instid0(SALU_CYCLE_1)
	s_add_nc_u64 s[4:5], s[6:7], s[4:5]
	s_wait_dscnt 0x0
	global_store_b32 v1, v3, s[4:5]
.LBB104_12:
	s_wait_xcnt 0x0
	s_or_b32 exec_lo, exec_lo, s1
	s_wait_dscnt 0x0
	v_cmp_ne_u32_e32 vcc_lo, 0, v3
	s_mov_b32 s1, 0
	s_cbranch_vccnz .LBB104_172
; %bb.13:
	v_lshl_add_u32 v3, v0, 3, 0
	v_add_nc_u32_e32 v1, 0x150, v2
	scratch_load_b64 v[86:87], v3, off
	s_wait_loadcnt 0x0
	v_div_scale_f64 v[88:89], null, v[86:87], v[86:87], 1.0
	v_div_scale_f64 v[94:95], vcc_lo, 1.0, v[86:87], 1.0
	s_delay_alu instid0(VALU_DEP_2) | instskip(SKIP_1) | instid1(TRANS32_DEP_1)
	v_rcp_f64_e32 v[90:91], v[88:89]
	v_nop
	v_fma_f64 v[92:93], -v[88:89], v[90:91], 1.0
	s_delay_alu instid0(VALU_DEP_1) | instskip(NEXT) | instid1(VALU_DEP_1)
	v_fmac_f64_e32 v[90:91], v[90:91], v[92:93]
	v_fma_f64 v[92:93], -v[88:89], v[90:91], 1.0
	s_delay_alu instid0(VALU_DEP_1) | instskip(NEXT) | instid1(VALU_DEP_1)
	v_fmac_f64_e32 v[90:91], v[90:91], v[92:93]
	v_mul_f64_e32 v[92:93], v[94:95], v[90:91]
	s_delay_alu instid0(VALU_DEP_1) | instskip(NEXT) | instid1(VALU_DEP_1)
	v_fma_f64 v[88:89], -v[88:89], v[92:93], v[94:95]
	v_div_fmas_f64 v[88:89], v[88:89], v[90:91], v[92:93]
	s_delay_alu instid0(VALU_DEP_1)
	v_div_fixup_f64 v[86:87], v[88:89], v[86:87], 1.0
	scratch_store_b64 v3, v[86:87], off
	scratch_load_b64 v[88:89], off, off offset:8
	s_wait_xcnt 0x1
	v_xor_b32_e32 v87, 0x80000000, v87
	s_wait_loadcnt 0x0
	ds_store_2addr_b64 v2, v[86:87], v[88:89] offset1:42
	s_wait_storecnt_dscnt 0x0
	s_barrier_signal -1
	s_barrier_wait -1
	s_wait_xcnt 0x0
	s_and_saveexec_b32 s1, s0
	s_cbranch_execz .LBB104_15
; %bb.14:
	scratch_load_b64 v[86:87], v3, off
	ds_load_b64 v[88:89], v1
	s_wait_loadcnt_dscnt 0x0
	v_fma_f64 v[86:87], v[86:87], v[88:89], 0
	v_mov_b32_e32 v9, 0
	ds_load_b64 v[90:91], v9 offset:8
	s_wait_dscnt 0x0
	v_mul_f64_e32 v[86:87], v[86:87], v[90:91]
	scratch_store_b64 off, v[86:87], off offset:8
.LBB104_15:
	s_wait_xcnt 0x0
	s_or_b32 exec_lo, exec_lo, s1
	s_wait_storecnt 0x0
	s_barrier_signal -1
	s_barrier_wait -1
	scratch_load_b64 v[86:87], off, off offset:16
	s_mov_b32 s1, exec_lo
	s_wait_loadcnt 0x0
	ds_store_b64 v1, v[86:87]
	s_wait_dscnt 0x0
	s_barrier_signal -1
	s_barrier_wait -1
	v_cmpx_gt_u32_e32 2, v0
	s_cbranch_execz .LBB104_19
; %bb.16:
	scratch_load_b64 v[86:87], v3, off
	ds_load_b64 v[88:89], v1
	s_wait_loadcnt_dscnt 0x0
	v_fma_f64 v[86:87], v[86:87], v[88:89], 0
	s_and_saveexec_b32 s4, s0
	s_cbranch_execz .LBB104_18
; %bb.17:
	scratch_load_b64 v[88:89], off, off offset:8
	v_mov_b32_e32 v3, 0
	ds_load_b64 v[90:91], v3 offset:344
	s_wait_loadcnt_dscnt 0x0
	v_fmac_f64_e32 v[86:87], v[88:89], v[90:91]
.LBB104_18:
	s_or_b32 exec_lo, exec_lo, s4
	v_mov_b32_e32 v3, 0
	ds_load_b64 v[88:89], v3 offset:16
	s_wait_dscnt 0x0
	v_mul_f64_e32 v[86:87], v[86:87], v[88:89]
	scratch_store_b64 off, v[86:87], off offset:16
.LBB104_19:
	s_wait_xcnt 0x0
	s_or_b32 exec_lo, exec_lo, s1
	s_wait_storecnt 0x0
	s_barrier_signal -1
	s_barrier_wait -1
	scratch_load_b64 v[86:87], off, off offset:24
	v_add_nc_u32_e32 v3, -1, v0
	s_mov_b32 s0, exec_lo
	s_wait_loadcnt 0x0
	ds_store_b64 v1, v[86:87]
	s_wait_dscnt 0x0
	s_barrier_signal -1
	s_barrier_wait -1
	v_cmpx_gt_u32_e32 3, v0
	s_cbranch_execz .LBB104_23
; %bb.20:
	v_mov_b64_e32 v[86:87], 0
	v_dual_add_nc_u32 v9, -1, v0 :: v_dual_mov_b32 v13, v2
	v_add_nc_u32_e32 v11, 0x150, v2
	s_mov_b32 s1, 0
.LBB104_21:                             ; =>This Inner Loop Header: Depth=1
	scratch_load_b64 v[88:89], v13, off
	ds_load_b64 v[90:91], v11
	v_dual_add_nc_u32 v9, 1, v9 :: v_dual_add_nc_u32 v11, 8, v11
	s_wait_xcnt 0x0
	v_add_nc_u32_e32 v13, 8, v13
	s_delay_alu instid0(VALU_DEP_2)
	v_cmp_lt_u32_e32 vcc_lo, 1, v9
	s_or_b32 s1, vcc_lo, s1
	s_wait_loadcnt_dscnt 0x0
	v_fmac_f64_e32 v[86:87], v[88:89], v[90:91]
	s_and_not1_b32 exec_lo, exec_lo, s1
	s_cbranch_execnz .LBB104_21
; %bb.22:
	s_or_b32 exec_lo, exec_lo, s1
	v_mov_b32_e32 v9, 0
	ds_load_b64 v[88:89], v9 offset:24
	s_wait_dscnt 0x0
	v_mul_f64_e32 v[86:87], v[86:87], v[88:89]
	scratch_store_b64 off, v[86:87], off offset:24
.LBB104_23:
	s_wait_xcnt 0x0
	s_or_b32 exec_lo, exec_lo, s0
	s_wait_storecnt 0x0
	s_barrier_signal -1
	s_barrier_wait -1
	scratch_load_b64 v[86:87], off, off offset:32
	s_mov_b32 s0, exec_lo
	s_wait_loadcnt 0x0
	ds_store_b64 v1, v[86:87]
	s_wait_dscnt 0x0
	s_barrier_signal -1
	s_barrier_wait -1
	v_cmpx_gt_u32_e32 4, v0
	s_cbranch_execz .LBB104_27
; %bb.24:
	v_mov_b64_e32 v[86:87], 0
	v_dual_add_nc_u32 v9, -1, v0 :: v_dual_mov_b32 v13, v2
	v_add_nc_u32_e32 v11, 0x150, v2
	s_mov_b32 s1, 0
.LBB104_25:                             ; =>This Inner Loop Header: Depth=1
	scratch_load_b64 v[88:89], v13, off
	ds_load_b64 v[90:91], v11
	v_dual_add_nc_u32 v9, 1, v9 :: v_dual_add_nc_u32 v11, 8, v11
	s_wait_xcnt 0x0
	v_add_nc_u32_e32 v13, 8, v13
	s_delay_alu instid0(VALU_DEP_2)
	v_cmp_lt_u32_e32 vcc_lo, 2, v9
	s_or_b32 s1, vcc_lo, s1
	s_wait_loadcnt_dscnt 0x0
	v_fmac_f64_e32 v[86:87], v[88:89], v[90:91]
	s_and_not1_b32 exec_lo, exec_lo, s1
	s_cbranch_execnz .LBB104_25
; %bb.26:
	s_or_b32 exec_lo, exec_lo, s1
	v_mov_b32_e32 v9, 0
	ds_load_b64 v[88:89], v9 offset:32
	s_wait_dscnt 0x0
	v_mul_f64_e32 v[86:87], v[86:87], v[88:89]
	scratch_store_b64 off, v[86:87], off offset:32
.LBB104_27:
	s_wait_xcnt 0x0
	s_or_b32 exec_lo, exec_lo, s0
	s_wait_storecnt 0x0
	s_barrier_signal -1
	s_barrier_wait -1
	scratch_load_b64 v[86:87], off, off offset:40
	;; [unrolled: 40-line block ×20, first 2 shown]
	s_mov_b32 s0, exec_lo
	s_wait_loadcnt 0x0
	ds_store_b64 v1, v[86:87]
	s_wait_dscnt 0x0
	s_barrier_signal -1
	s_barrier_wait -1
	v_cmpx_gt_u32_e32 23, v0
	s_cbranch_execz .LBB104_103
; %bb.100:
	v_mov_b64_e32 v[86:87], 0
	v_dual_add_nc_u32 v9, -1, v0 :: v_dual_mov_b32 v13, v2
	v_add_nc_u32_e32 v11, 0x150, v2
	s_mov_b32 s1, 0
.LBB104_101:                            ; =>This Inner Loop Header: Depth=1
	scratch_load_b64 v[88:89], v13, off
	ds_load_b64 v[90:91], v11
	v_dual_add_nc_u32 v9, 1, v9 :: v_dual_add_nc_u32 v11, 8, v11
	s_wait_xcnt 0x0
	v_add_nc_u32_e32 v13, 8, v13
	s_delay_alu instid0(VALU_DEP_2)
	v_cmp_lt_u32_e32 vcc_lo, 21, v9
	s_or_b32 s1, vcc_lo, s1
	s_wait_loadcnt_dscnt 0x0
	v_fmac_f64_e32 v[86:87], v[88:89], v[90:91]
	s_and_not1_b32 exec_lo, exec_lo, s1
	s_cbranch_execnz .LBB104_101
; %bb.102:
	s_or_b32 exec_lo, exec_lo, s1
	v_mov_b32_e32 v9, 0
	ds_load_b64 v[88:89], v9 offset:184
	s_wait_dscnt 0x0
	v_mul_f64_e32 v[86:87], v[86:87], v[88:89]
	scratch_store_b64 off, v[86:87], off offset:184
.LBB104_103:
	s_wait_xcnt 0x0
	s_or_b32 exec_lo, exec_lo, s0
	s_wait_storecnt 0x0
	s_barrier_signal -1
	s_barrier_wait -1
	scratch_load_b64 v[86:87], off, off offset:192
	s_mov_b32 s0, exec_lo
	s_wait_loadcnt 0x0
	ds_store_b64 v1, v[86:87]
	s_wait_dscnt 0x0
	s_barrier_signal -1
	s_barrier_wait -1
	v_cmpx_gt_u32_e32 24, v0
	s_cbranch_execz .LBB104_107
; %bb.104:
	v_mov_b64_e32 v[86:87], 0
	v_dual_add_nc_u32 v9, -1, v0 :: v_dual_mov_b32 v13, v2
	v_add_nc_u32_e32 v11, 0x150, v2
	s_mov_b32 s1, 0
.LBB104_105:                            ; =>This Inner Loop Header: Depth=1
	scratch_load_b64 v[88:89], v13, off
	ds_load_b64 v[90:91], v11
	v_dual_add_nc_u32 v9, 1, v9 :: v_dual_add_nc_u32 v11, 8, v11
	s_wait_xcnt 0x0
	v_add_nc_u32_e32 v13, 8, v13
	s_delay_alu instid0(VALU_DEP_2)
	v_cmp_lt_u32_e32 vcc_lo, 22, v9
	s_or_b32 s1, vcc_lo, s1
	s_wait_loadcnt_dscnt 0x0
	v_fmac_f64_e32 v[86:87], v[88:89], v[90:91]
	s_and_not1_b32 exec_lo, exec_lo, s1
	s_cbranch_execnz .LBB104_105
; %bb.106:
	s_or_b32 exec_lo, exec_lo, s1
	v_mov_b32_e32 v9, 0
	ds_load_b64 v[88:89], v9 offset:192
	s_wait_dscnt 0x0
	v_mul_f64_e32 v[86:87], v[86:87], v[88:89]
	scratch_store_b64 off, v[86:87], off offset:192
.LBB104_107:
	s_wait_xcnt 0x0
	s_or_b32 exec_lo, exec_lo, s0
	s_wait_storecnt 0x0
	s_barrier_signal -1
	s_barrier_wait -1
	scratch_load_b64 v[86:87], off, off offset:200
	;; [unrolled: 40-line block ×17, first 2 shown]
	s_mov_b32 s0, exec_lo
	s_wait_loadcnt 0x0
	ds_store_b64 v1, v[86:87]
	s_wait_dscnt 0x0
	s_barrier_signal -1
	s_barrier_wait -1
	v_cmpx_ne_u32_e32 40, v0
	s_cbranch_execz .LBB104_171
; %bb.168:
	v_mov_b64_e32 v[86:87], 0
	s_mov_b32 s1, 0
.LBB104_169:                            ; =>This Inner Loop Header: Depth=1
	scratch_load_b64 v[88:89], v2, off
	ds_load_b64 v[90:91], v1
	v_dual_add_nc_u32 v3, 1, v3 :: v_dual_add_nc_u32 v1, 8, v1
	s_wait_xcnt 0x0
	v_add_nc_u32_e32 v2, 8, v2
	s_delay_alu instid0(VALU_DEP_2)
	v_cmp_lt_u32_e32 vcc_lo, 38, v3
	s_or_b32 s1, vcc_lo, s1
	s_wait_loadcnt_dscnt 0x0
	v_fmac_f64_e32 v[86:87], v[88:89], v[90:91]
	s_and_not1_b32 exec_lo, exec_lo, s1
	s_cbranch_execnz .LBB104_169
; %bb.170:
	s_or_b32 exec_lo, exec_lo, s1
	v_mov_b32_e32 v1, 0
	ds_load_b64 v[2:3], v1 offset:320
	s_wait_dscnt 0x0
	v_mul_f64_e32 v[2:3], v[86:87], v[2:3]
	scratch_store_b64 off, v[2:3], off offset:320
.LBB104_171:
	s_wait_xcnt 0x0
	s_or_b32 exec_lo, exec_lo, s0
	s_mov_b32 s1, -1
	s_wait_storecnt 0x0
	s_barrier_signal -1
	s_barrier_wait -1
.LBB104_172:
	s_and_b32 vcc_lo, exec_lo, s1
	s_cbranch_vccz .LBB104_174
; %bb.173:
	v_mov_b32_e32 v1, 0
	s_lshl_b64 s[0:1], s[10:11], 2
	s_delay_alu instid0(SALU_CYCLE_1)
	s_add_nc_u64 s[0:1], s[6:7], s[0:1]
	global_load_b32 v1, v1, s[0:1]
	s_wait_loadcnt 0x0
	v_cmp_ne_u32_e32 vcc_lo, 0, v1
	s_cbranch_vccz .LBB104_175
.LBB104_174:
	s_sendmsg sendmsg(MSG_DEALLOC_VGPRS)
	s_endpgm
.LBB104_175:
	s_wait_xcnt 0x0
	v_lshl_add_u32 v1, v0, 3, 0x150
	s_mov_b32 s0, exec_lo
	v_cmpx_eq_u32_e32 40, v0
	s_cbranch_execz .LBB104_177
; %bb.176:
	scratch_load_b64 v[2:3], off, off offset:312
	v_mov_b64_e32 v[86:87], 0
	scratch_store_b64 off, v[86:87], off offset:312
	s_wait_loadcnt 0x0
	ds_store_b64 v1, v[2:3]
.LBB104_177:
	s_wait_xcnt 0x0
	s_or_b32 exec_lo, exec_lo, s0
	s_wait_storecnt_dscnt 0x0
	s_barrier_signal -1
	s_barrier_wait -1
	scratch_load_b128 v[86:89], off, off offset:312
	v_mov_b32_e32 v2, 0
	s_mov_b32 s0, exec_lo
	ds_load_b64 v[90:91], v2 offset:656
	s_wait_loadcnt_dscnt 0x0
	v_fma_f64 v[88:89], v[88:89], v[90:91], 0
	s_delay_alu instid0(VALU_DEP_1)
	v_add_f64_e64 v[86:87], v[86:87], -v[88:89]
	scratch_store_b64 off, v[86:87], off offset:312
	s_wait_xcnt 0x0
	v_cmpx_lt_u32_e32 38, v0
	s_cbranch_execz .LBB104_179
; %bb.178:
	scratch_load_b64 v[86:87], off, off offset:304
	v_mov_b64_e32 v[88:89], 0
	scratch_store_b64 off, v[88:89], off offset:304
	s_wait_loadcnt 0x0
	ds_store_b64 v1, v[86:87]
.LBB104_179:
	s_wait_xcnt 0x0
	s_or_b32 exec_lo, exec_lo, s0
	s_wait_storecnt_dscnt 0x0
	s_barrier_signal -1
	s_barrier_wait -1
	s_clause 0x1
	scratch_load_b128 v[86:89], off, off offset:304
	scratch_load_b64 v[94:95], off, off offset:320
	ds_load_2addr_b64 v[90:93], v2 offset0:81 offset1:82
	s_mov_b32 s0, exec_lo
	s_wait_loadcnt_dscnt 0x100
	v_fma_f64 v[2:3], v[88:89], v[90:91], 0
	s_wait_loadcnt 0x0
	s_delay_alu instid0(VALU_DEP_1) | instskip(NEXT) | instid1(VALU_DEP_1)
	v_fmac_f64_e32 v[2:3], v[94:95], v[92:93]
	v_add_f64_e64 v[2:3], v[86:87], -v[2:3]
	scratch_store_b64 off, v[2:3], off offset:304
	s_wait_xcnt 0x0
	v_cmpx_lt_u32_e32 37, v0
	s_cbranch_execz .LBB104_181
; %bb.180:
	scratch_load_b64 v[2:3], off, off offset:296
	v_mov_b64_e32 v[86:87], 0
	scratch_store_b64 off, v[86:87], off offset:296
	s_wait_loadcnt 0x0
	ds_store_b64 v1, v[2:3]
.LBB104_181:
	s_wait_xcnt 0x0
	s_or_b32 exec_lo, exec_lo, s0
	s_wait_storecnt_dscnt 0x0
	s_barrier_signal -1
	s_barrier_wait -1
	s_clause 0x1
	scratch_load_b128 v[86:89], off, off offset:296
	scratch_load_b128 v[90:93], off, off offset:312
	v_mov_b32_e32 v2, 0
	ds_load_b128 v[94:97], v2 offset:640
	ds_load_b64 v[98:99], v2 offset:656
	s_mov_b32 s0, exec_lo
	s_wait_loadcnt_dscnt 0x101
	v_fma_f64 v[88:89], v[88:89], v[94:95], 0
	s_wait_loadcnt 0x0
	s_delay_alu instid0(VALU_DEP_1) | instskip(SKIP_1) | instid1(VALU_DEP_1)
	v_fmac_f64_e32 v[88:89], v[90:91], v[96:97]
	s_wait_dscnt 0x0
	v_fmac_f64_e32 v[88:89], v[92:93], v[98:99]
	s_delay_alu instid0(VALU_DEP_1)
	v_add_f64_e64 v[86:87], v[86:87], -v[88:89]
	scratch_store_b64 off, v[86:87], off offset:296
	s_wait_xcnt 0x0
	v_cmpx_lt_u32_e32 36, v0
	s_cbranch_execz .LBB104_183
; %bb.182:
	scratch_load_b64 v[86:87], off, off offset:288
	v_mov_b64_e32 v[88:89], 0
	scratch_store_b64 off, v[88:89], off offset:288
	s_wait_loadcnt 0x0
	ds_store_b64 v1, v[86:87]
.LBB104_183:
	s_wait_xcnt 0x0
	s_or_b32 exec_lo, exec_lo, s0
	s_wait_storecnt_dscnt 0x0
	s_barrier_signal -1
	s_barrier_wait -1
	s_clause 0x2
	scratch_load_b128 v[86:89], off, off offset:288
	scratch_load_b128 v[90:93], off, off offset:304
	scratch_load_b64 v[102:103], off, off offset:320
	ds_load_2addr_b64 v[94:97], v2 offset0:79 offset1:80
	ds_load_2addr_b64 v[98:101], v2 offset0:81 offset1:82
	s_mov_b32 s0, exec_lo
	s_wait_loadcnt_dscnt 0x201
	v_fma_f64 v[2:3], v[88:89], v[94:95], 0
	s_wait_loadcnt 0x1
	s_delay_alu instid0(VALU_DEP_1) | instskip(SKIP_1) | instid1(VALU_DEP_1)
	v_fmac_f64_e32 v[2:3], v[90:91], v[96:97]
	s_wait_dscnt 0x0
	v_fmac_f64_e32 v[2:3], v[92:93], v[98:99]
	s_wait_loadcnt 0x0
	s_delay_alu instid0(VALU_DEP_1) | instskip(NEXT) | instid1(VALU_DEP_1)
	v_fmac_f64_e32 v[2:3], v[102:103], v[100:101]
	v_add_f64_e64 v[2:3], v[86:87], -v[2:3]
	scratch_store_b64 off, v[2:3], off offset:288
	s_wait_xcnt 0x0
	v_cmpx_lt_u32_e32 35, v0
	s_cbranch_execz .LBB104_185
; %bb.184:
	scratch_load_b64 v[2:3], off, off offset:280
	v_mov_b64_e32 v[86:87], 0
	scratch_store_b64 off, v[86:87], off offset:280
	s_wait_loadcnt 0x0
	ds_store_b64 v1, v[2:3]
.LBB104_185:
	s_wait_xcnt 0x0
	s_or_b32 exec_lo, exec_lo, s0
	s_wait_storecnt_dscnt 0x0
	s_barrier_signal -1
	s_barrier_wait -1
	s_clause 0x2
	scratch_load_b128 v[86:89], off, off offset:280
	scratch_load_b128 v[90:93], off, off offset:296
	;; [unrolled: 1-line block ×3, first 2 shown]
	v_mov_b32_e32 v2, 0
	ds_load_b128 v[98:101], v2 offset:624
	ds_load_b128 v[102:105], v2 offset:640
	s_mov_b32 s0, exec_lo
	s_wait_loadcnt_dscnt 0x201
	v_fma_f64 v[88:89], v[88:89], v[98:99], 0
	s_wait_loadcnt 0x1
	s_delay_alu instid0(VALU_DEP_1) | instskip(SKIP_4) | instid1(VALU_DEP_1)
	v_fmac_f64_e32 v[88:89], v[90:91], v[100:101]
	ds_load_b64 v[90:91], v2 offset:656
	s_wait_dscnt 0x1
	v_fmac_f64_e32 v[88:89], v[92:93], v[102:103]
	s_wait_loadcnt 0x0
	v_fmac_f64_e32 v[88:89], v[94:95], v[104:105]
	s_wait_dscnt 0x0
	s_delay_alu instid0(VALU_DEP_1) | instskip(NEXT) | instid1(VALU_DEP_1)
	v_fmac_f64_e32 v[88:89], v[96:97], v[90:91]
	v_add_f64_e64 v[86:87], v[86:87], -v[88:89]
	scratch_store_b64 off, v[86:87], off offset:280
	s_wait_xcnt 0x0
	v_cmpx_lt_u32_e32 34, v0
	s_cbranch_execz .LBB104_187
; %bb.186:
	scratch_load_b64 v[86:87], off, off offset:272
	v_mov_b64_e32 v[88:89], 0
	scratch_store_b64 off, v[88:89], off offset:272
	s_wait_loadcnt 0x0
	ds_store_b64 v1, v[86:87]
.LBB104_187:
	s_wait_xcnt 0x0
	s_or_b32 exec_lo, exec_lo, s0
	s_wait_storecnt_dscnt 0x0
	s_barrier_signal -1
	s_barrier_wait -1
	s_clause 0x3
	scratch_load_b128 v[86:89], off, off offset:272
	scratch_load_b128 v[90:93], off, off offset:288
	;; [unrolled: 1-line block ×3, first 2 shown]
	scratch_load_b64 v[106:107], off, off offset:320
	ds_load_2addr_b64 v[98:101], v2 offset0:77 offset1:78
	ds_load_2addr_b64 v[102:105], v2 offset0:79 offset1:80
	s_mov_b32 s0, exec_lo
	s_wait_loadcnt_dscnt 0x301
	v_fma_f64 v[98:99], v[88:89], v[98:99], 0
	s_wait_loadcnt 0x2
	s_delay_alu instid0(VALU_DEP_1) | instskip(SKIP_4) | instid1(VALU_DEP_1)
	v_fmac_f64_e32 v[98:99], v[90:91], v[100:101]
	ds_load_2addr_b64 v[88:91], v2 offset0:81 offset1:82
	s_wait_dscnt 0x1
	v_fmac_f64_e32 v[98:99], v[92:93], v[102:103]
	s_wait_loadcnt 0x1
	v_fmac_f64_e32 v[98:99], v[94:95], v[104:105]
	s_wait_dscnt 0x0
	s_delay_alu instid0(VALU_DEP_1) | instskip(SKIP_1) | instid1(VALU_DEP_1)
	v_fmac_f64_e32 v[98:99], v[96:97], v[88:89]
	s_wait_loadcnt 0x0
	v_fmac_f64_e32 v[98:99], v[106:107], v[90:91]
	s_delay_alu instid0(VALU_DEP_1)
	v_add_f64_e64 v[2:3], v[86:87], -v[98:99]
	scratch_store_b64 off, v[2:3], off offset:272
	s_wait_xcnt 0x0
	v_cmpx_lt_u32_e32 33, v0
	s_cbranch_execz .LBB104_189
; %bb.188:
	scratch_load_b64 v[2:3], off, off offset:264
	v_mov_b64_e32 v[86:87], 0
	scratch_store_b64 off, v[86:87], off offset:264
	s_wait_loadcnt 0x0
	ds_store_b64 v1, v[2:3]
.LBB104_189:
	s_wait_xcnt 0x0
	s_or_b32 exec_lo, exec_lo, s0
	s_wait_storecnt_dscnt 0x0
	s_barrier_signal -1
	s_barrier_wait -1
	s_clause 0x3
	scratch_load_b128 v[86:89], off, off offset:264
	scratch_load_b128 v[90:93], off, off offset:280
	;; [unrolled: 1-line block ×4, first 2 shown]
	v_mov_b32_e32 v2, 0
	ds_load_b128 v[102:105], v2 offset:608
	ds_load_b128 v[106:109], v2 offset:624
	s_mov_b32 s0, exec_lo
	s_wait_loadcnt_dscnt 0x301
	v_fma_f64 v[102:103], v[88:89], v[102:103], 0
	s_wait_loadcnt 0x2
	s_delay_alu instid0(VALU_DEP_1) | instskip(SKIP_1) | instid1(VALU_DEP_1)
	v_fmac_f64_e32 v[102:103], v[90:91], v[104:105]
	s_wait_dscnt 0x0
	v_fmac_f64_e32 v[102:103], v[92:93], v[106:107]
	ds_load_b128 v[88:91], v2 offset:640
	ds_load_b64 v[92:93], v2 offset:656
	s_wait_loadcnt 0x1
	v_fmac_f64_e32 v[102:103], v[94:95], v[108:109]
	s_wait_dscnt 0x1
	s_delay_alu instid0(VALU_DEP_1) | instskip(SKIP_1) | instid1(VALU_DEP_1)
	v_fmac_f64_e32 v[102:103], v[96:97], v[88:89]
	s_wait_loadcnt 0x0
	v_fmac_f64_e32 v[102:103], v[98:99], v[90:91]
	s_wait_dscnt 0x0
	s_delay_alu instid0(VALU_DEP_1) | instskip(NEXT) | instid1(VALU_DEP_1)
	v_fmac_f64_e32 v[102:103], v[100:101], v[92:93]
	v_add_f64_e64 v[86:87], v[86:87], -v[102:103]
	scratch_store_b64 off, v[86:87], off offset:264
	s_wait_xcnt 0x0
	v_cmpx_lt_u32_e32 32, v0
	s_cbranch_execz .LBB104_191
; %bb.190:
	scratch_load_b64 v[86:87], off, off offset:256
	v_mov_b64_e32 v[88:89], 0
	scratch_store_b64 off, v[88:89], off offset:256
	s_wait_loadcnt 0x0
	ds_store_b64 v1, v[86:87]
.LBB104_191:
	s_wait_xcnt 0x0
	s_or_b32 exec_lo, exec_lo, s0
	s_wait_storecnt_dscnt 0x0
	s_barrier_signal -1
	s_barrier_wait -1
	s_clause 0x4
	scratch_load_b128 v[86:89], off, off offset:256
	scratch_load_b128 v[90:93], off, off offset:272
	;; [unrolled: 1-line block ×4, first 2 shown]
	scratch_load_b64 v[110:111], off, off offset:320
	ds_load_2addr_b64 v[102:105], v2 offset0:75 offset1:76
	ds_load_2addr_b64 v[106:109], v2 offset0:77 offset1:78
	s_mov_b32 s0, exec_lo
	s_wait_loadcnt_dscnt 0x401
	v_fma_f64 v[102:103], v[88:89], v[102:103], 0
	s_wait_loadcnt 0x3
	s_delay_alu instid0(VALU_DEP_1) | instskip(SKIP_1) | instid1(VALU_DEP_1)
	v_fmac_f64_e32 v[102:103], v[90:91], v[104:105]
	s_wait_dscnt 0x0
	v_fmac_f64_e32 v[102:103], v[92:93], v[106:107]
	s_wait_loadcnt 0x2
	s_delay_alu instid0(VALU_DEP_1)
	v_fmac_f64_e32 v[102:103], v[94:95], v[108:109]
	ds_load_2addr_b64 v[88:91], v2 offset0:79 offset1:80
	ds_load_2addr_b64 v[92:95], v2 offset0:81 offset1:82
	s_wait_dscnt 0x1
	v_fmac_f64_e32 v[102:103], v[96:97], v[88:89]
	s_wait_loadcnt 0x1
	s_delay_alu instid0(VALU_DEP_1) | instskip(SKIP_1) | instid1(VALU_DEP_1)
	v_fmac_f64_e32 v[102:103], v[98:99], v[90:91]
	s_wait_dscnt 0x0
	v_fmac_f64_e32 v[102:103], v[100:101], v[92:93]
	s_wait_loadcnt 0x0
	s_delay_alu instid0(VALU_DEP_1) | instskip(NEXT) | instid1(VALU_DEP_1)
	v_fmac_f64_e32 v[102:103], v[110:111], v[94:95]
	v_add_f64_e64 v[2:3], v[86:87], -v[102:103]
	scratch_store_b64 off, v[2:3], off offset:256
	s_wait_xcnt 0x0
	v_cmpx_lt_u32_e32 31, v0
	s_cbranch_execz .LBB104_193
; %bb.192:
	scratch_load_b64 v[2:3], off, off offset:248
	v_mov_b64_e32 v[86:87], 0
	scratch_store_b64 off, v[86:87], off offset:248
	s_wait_loadcnt 0x0
	ds_store_b64 v1, v[2:3]
.LBB104_193:
	s_wait_xcnt 0x0
	s_or_b32 exec_lo, exec_lo, s0
	s_wait_storecnt_dscnt 0x0
	s_barrier_signal -1
	s_barrier_wait -1
	s_clause 0x4
	scratch_load_b128 v[86:89], off, off offset:248
	scratch_load_b128 v[90:93], off, off offset:264
	;; [unrolled: 1-line block ×5, first 2 shown]
	v_mov_b32_e32 v2, 0
	ds_load_b128 v[106:109], v2 offset:592
	ds_load_b128 v[110:113], v2 offset:608
	s_mov_b32 s0, exec_lo
	s_wait_loadcnt_dscnt 0x401
	v_fma_f64 v[106:107], v[88:89], v[106:107], 0
	s_wait_loadcnt 0x3
	s_delay_alu instid0(VALU_DEP_1) | instskip(SKIP_1) | instid1(VALU_DEP_1)
	v_fmac_f64_e32 v[106:107], v[90:91], v[108:109]
	s_wait_dscnt 0x0
	v_fmac_f64_e32 v[106:107], v[92:93], v[110:111]
	s_wait_loadcnt 0x2
	s_delay_alu instid0(VALU_DEP_1)
	v_fmac_f64_e32 v[106:107], v[94:95], v[112:113]
	ds_load_b128 v[88:91], v2 offset:624
	ds_load_b128 v[92:95], v2 offset:640
	s_wait_dscnt 0x1
	v_fmac_f64_e32 v[106:107], v[96:97], v[88:89]
	ds_load_b64 v[88:89], v2 offset:656
	s_wait_loadcnt 0x1
	v_fmac_f64_e32 v[106:107], v[98:99], v[90:91]
	s_wait_dscnt 0x1
	s_delay_alu instid0(VALU_DEP_1) | instskip(SKIP_1) | instid1(VALU_DEP_1)
	v_fmac_f64_e32 v[106:107], v[100:101], v[92:93]
	s_wait_loadcnt 0x0
	v_fmac_f64_e32 v[106:107], v[102:103], v[94:95]
	s_wait_dscnt 0x0
	s_delay_alu instid0(VALU_DEP_1) | instskip(NEXT) | instid1(VALU_DEP_1)
	v_fmac_f64_e32 v[106:107], v[104:105], v[88:89]
	v_add_f64_e64 v[86:87], v[86:87], -v[106:107]
	scratch_store_b64 off, v[86:87], off offset:248
	s_wait_xcnt 0x0
	v_cmpx_lt_u32_e32 30, v0
	s_cbranch_execz .LBB104_195
; %bb.194:
	scratch_load_b64 v[86:87], off, off offset:240
	v_mov_b64_e32 v[88:89], 0
	scratch_store_b64 off, v[88:89], off offset:240
	s_wait_loadcnt 0x0
	ds_store_b64 v1, v[86:87]
.LBB104_195:
	s_wait_xcnt 0x0
	s_or_b32 exec_lo, exec_lo, s0
	s_wait_storecnt_dscnt 0x0
	s_barrier_signal -1
	s_barrier_wait -1
	s_clause 0x5
	scratch_load_b128 v[86:89], off, off offset:240
	scratch_load_b128 v[90:93], off, off offset:256
	;; [unrolled: 1-line block ×5, first 2 shown]
	scratch_load_b64 v[114:115], off, off offset:320
	ds_load_2addr_b64 v[106:109], v2 offset0:73 offset1:74
	ds_load_2addr_b64 v[110:113], v2 offset0:75 offset1:76
	s_mov_b32 s0, exec_lo
	s_wait_loadcnt_dscnt 0x501
	v_fma_f64 v[106:107], v[88:89], v[106:107], 0
	s_wait_loadcnt 0x4
	s_delay_alu instid0(VALU_DEP_1) | instskip(SKIP_1) | instid1(VALU_DEP_1)
	v_fmac_f64_e32 v[106:107], v[90:91], v[108:109]
	s_wait_dscnt 0x0
	v_fmac_f64_e32 v[106:107], v[92:93], v[110:111]
	s_wait_loadcnt 0x3
	s_delay_alu instid0(VALU_DEP_1)
	v_fmac_f64_e32 v[106:107], v[94:95], v[112:113]
	ds_load_2addr_b64 v[88:91], v2 offset0:77 offset1:78
	ds_load_2addr_b64 v[92:95], v2 offset0:79 offset1:80
	s_wait_dscnt 0x1
	v_fmac_f64_e32 v[106:107], v[96:97], v[88:89]
	s_wait_loadcnt 0x2
	s_delay_alu instid0(VALU_DEP_1) | instskip(SKIP_4) | instid1(VALU_DEP_1)
	v_fmac_f64_e32 v[106:107], v[98:99], v[90:91]
	ds_load_2addr_b64 v[88:91], v2 offset0:81 offset1:82
	s_wait_dscnt 0x1
	v_fmac_f64_e32 v[106:107], v[100:101], v[92:93]
	s_wait_loadcnt 0x1
	v_fmac_f64_e32 v[106:107], v[102:103], v[94:95]
	s_wait_dscnt 0x0
	s_delay_alu instid0(VALU_DEP_1) | instskip(SKIP_1) | instid1(VALU_DEP_1)
	v_fmac_f64_e32 v[106:107], v[104:105], v[88:89]
	s_wait_loadcnt 0x0
	v_fmac_f64_e32 v[106:107], v[114:115], v[90:91]
	s_delay_alu instid0(VALU_DEP_1)
	v_add_f64_e64 v[2:3], v[86:87], -v[106:107]
	scratch_store_b64 off, v[2:3], off offset:240
	s_wait_xcnt 0x0
	v_cmpx_lt_u32_e32 29, v0
	s_cbranch_execz .LBB104_197
; %bb.196:
	scratch_load_b64 v[2:3], off, off offset:232
	v_mov_b64_e32 v[86:87], 0
	scratch_store_b64 off, v[86:87], off offset:232
	s_wait_loadcnt 0x0
	ds_store_b64 v1, v[2:3]
.LBB104_197:
	s_wait_xcnt 0x0
	s_or_b32 exec_lo, exec_lo, s0
	s_wait_storecnt_dscnt 0x0
	s_barrier_signal -1
	s_barrier_wait -1
	s_clause 0x5
	scratch_load_b128 v[86:89], off, off offset:232
	scratch_load_b128 v[90:93], off, off offset:248
	;; [unrolled: 1-line block ×6, first 2 shown]
	v_mov_b32_e32 v2, 0
	ds_load_b128 v[110:113], v2 offset:576
	ds_load_b128 v[114:117], v2 offset:592
	s_mov_b32 s0, exec_lo
	s_wait_loadcnt_dscnt 0x501
	v_fma_f64 v[110:111], v[88:89], v[110:111], 0
	s_wait_loadcnt 0x4
	s_delay_alu instid0(VALU_DEP_1) | instskip(SKIP_1) | instid1(VALU_DEP_1)
	v_fmac_f64_e32 v[110:111], v[90:91], v[112:113]
	s_wait_dscnt 0x0
	v_fmac_f64_e32 v[110:111], v[92:93], v[114:115]
	s_wait_loadcnt 0x3
	s_delay_alu instid0(VALU_DEP_1)
	v_fmac_f64_e32 v[110:111], v[94:95], v[116:117]
	ds_load_b128 v[88:91], v2 offset:608
	ds_load_b128 v[92:95], v2 offset:624
	s_wait_dscnt 0x1
	v_fmac_f64_e32 v[110:111], v[96:97], v[88:89]
	s_wait_loadcnt 0x2
	s_delay_alu instid0(VALU_DEP_1) | instskip(SKIP_1) | instid1(VALU_DEP_1)
	v_fmac_f64_e32 v[110:111], v[98:99], v[90:91]
	s_wait_dscnt 0x0
	v_fmac_f64_e32 v[110:111], v[100:101], v[92:93]
	ds_load_b128 v[88:91], v2 offset:640
	ds_load_b64 v[92:93], v2 offset:656
	s_wait_loadcnt 0x1
	v_fmac_f64_e32 v[110:111], v[102:103], v[94:95]
	s_wait_dscnt 0x1
	s_delay_alu instid0(VALU_DEP_1) | instskip(SKIP_1) | instid1(VALU_DEP_1)
	v_fmac_f64_e32 v[110:111], v[104:105], v[88:89]
	s_wait_loadcnt 0x0
	v_fmac_f64_e32 v[110:111], v[106:107], v[90:91]
	s_wait_dscnt 0x0
	s_delay_alu instid0(VALU_DEP_1) | instskip(NEXT) | instid1(VALU_DEP_1)
	v_fmac_f64_e32 v[110:111], v[108:109], v[92:93]
	v_add_f64_e64 v[86:87], v[86:87], -v[110:111]
	scratch_store_b64 off, v[86:87], off offset:232
	s_wait_xcnt 0x0
	v_cmpx_lt_u32_e32 28, v0
	s_cbranch_execz .LBB104_199
; %bb.198:
	scratch_load_b64 v[86:87], off, off offset:224
	v_mov_b64_e32 v[88:89], 0
	scratch_store_b64 off, v[88:89], off offset:224
	s_wait_loadcnt 0x0
	ds_store_b64 v1, v[86:87]
.LBB104_199:
	s_wait_xcnt 0x0
	s_or_b32 exec_lo, exec_lo, s0
	s_wait_storecnt_dscnt 0x0
	s_barrier_signal -1
	s_barrier_wait -1
	s_clause 0x5
	scratch_load_b128 v[86:89], off, off offset:224
	scratch_load_b128 v[90:93], off, off offset:240
	;; [unrolled: 1-line block ×6, first 2 shown]
	ds_load_2addr_b64 v[110:113], v2 offset0:71 offset1:72
	ds_load_2addr_b64 v[114:117], v2 offset0:73 offset1:74
	s_mov_b32 s0, exec_lo
	s_wait_loadcnt_dscnt 0x501
	v_fma_f64 v[110:111], v[88:89], v[110:111], 0
	s_wait_loadcnt 0x4
	s_delay_alu instid0(VALU_DEP_1) | instskip(SKIP_4) | instid1(VALU_DEP_1)
	v_fmac_f64_e32 v[110:111], v[90:91], v[112:113]
	scratch_load_b64 v[112:113], off, off offset:320
	s_wait_dscnt 0x0
	v_fmac_f64_e32 v[110:111], v[92:93], v[114:115]
	s_wait_loadcnt 0x4
	v_fmac_f64_e32 v[110:111], v[94:95], v[116:117]
	ds_load_2addr_b64 v[88:91], v2 offset0:75 offset1:76
	ds_load_2addr_b64 v[92:95], v2 offset0:77 offset1:78
	s_wait_dscnt 0x1
	v_fmac_f64_e32 v[110:111], v[96:97], v[88:89]
	s_wait_loadcnt 0x3
	s_delay_alu instid0(VALU_DEP_1) | instskip(SKIP_1) | instid1(VALU_DEP_1)
	v_fmac_f64_e32 v[110:111], v[98:99], v[90:91]
	s_wait_dscnt 0x0
	v_fmac_f64_e32 v[110:111], v[100:101], v[92:93]
	s_wait_loadcnt 0x2
	s_delay_alu instid0(VALU_DEP_1)
	v_fmac_f64_e32 v[110:111], v[102:103], v[94:95]
	ds_load_2addr_b64 v[88:91], v2 offset0:79 offset1:80
	ds_load_2addr_b64 v[92:95], v2 offset0:81 offset1:82
	s_wait_dscnt 0x1
	v_fmac_f64_e32 v[110:111], v[104:105], v[88:89]
	s_wait_loadcnt 0x1
	s_delay_alu instid0(VALU_DEP_1) | instskip(SKIP_1) | instid1(VALU_DEP_1)
	v_fmac_f64_e32 v[110:111], v[106:107], v[90:91]
	s_wait_dscnt 0x0
	v_fmac_f64_e32 v[110:111], v[108:109], v[92:93]
	s_wait_loadcnt 0x0
	s_delay_alu instid0(VALU_DEP_1) | instskip(NEXT) | instid1(VALU_DEP_1)
	v_fmac_f64_e32 v[110:111], v[112:113], v[94:95]
	v_add_f64_e64 v[2:3], v[86:87], -v[110:111]
	scratch_store_b64 off, v[2:3], off offset:224
	s_wait_xcnt 0x0
	v_cmpx_lt_u32_e32 27, v0
	s_cbranch_execz .LBB104_201
; %bb.200:
	scratch_load_b64 v[2:3], off, off offset:216
	v_mov_b64_e32 v[86:87], 0
	scratch_store_b64 off, v[86:87], off offset:216
	s_wait_loadcnt 0x0
	ds_store_b64 v1, v[2:3]
.LBB104_201:
	s_wait_xcnt 0x0
	s_or_b32 exec_lo, exec_lo, s0
	s_wait_storecnt_dscnt 0x0
	s_barrier_signal -1
	s_barrier_wait -1
	s_clause 0x5
	scratch_load_b128 v[86:89], off, off offset:216
	scratch_load_b128 v[90:93], off, off offset:232
	;; [unrolled: 1-line block ×6, first 2 shown]
	v_mov_b32_e32 v2, 0
	ds_load_b128 v[110:113], v2 offset:560
	ds_load_b128 v[114:117], v2 offset:576
	s_mov_b32 s0, exec_lo
	s_wait_loadcnt_dscnt 0x501
	v_fma_f64 v[118:119], v[88:89], v[110:111], 0
	s_wait_loadcnt 0x4
	s_delay_alu instid0(VALU_DEP_1) | instskip(SKIP_4) | instid1(VALU_DEP_1)
	v_fmac_f64_e32 v[118:119], v[90:91], v[112:113]
	scratch_load_b128 v[88:91], off, off offset:312
	s_wait_dscnt 0x0
	v_fmac_f64_e32 v[118:119], v[92:93], v[114:115]
	s_wait_loadcnt 0x4
	v_fmac_f64_e32 v[118:119], v[94:95], v[116:117]
	ds_load_b128 v[92:95], v2 offset:592
	ds_load_b128 v[110:113], v2 offset:608
	s_wait_dscnt 0x1
	v_fmac_f64_e32 v[118:119], v[96:97], v[92:93]
	s_wait_loadcnt 0x3
	s_delay_alu instid0(VALU_DEP_1)
	v_fmac_f64_e32 v[118:119], v[98:99], v[94:95]
	ds_load_b128 v[92:95], v2 offset:624
	ds_load_b128 v[96:99], v2 offset:640
	s_wait_dscnt 0x2
	v_fmac_f64_e32 v[118:119], v[100:101], v[110:111]
	s_wait_loadcnt 0x2
	s_delay_alu instid0(VALU_DEP_1) | instskip(SKIP_1) | instid1(VALU_DEP_1)
	v_fmac_f64_e32 v[118:119], v[102:103], v[112:113]
	s_wait_dscnt 0x1
	v_fmac_f64_e32 v[118:119], v[104:105], v[92:93]
	s_wait_loadcnt 0x1
	s_delay_alu instid0(VALU_DEP_1) | instskip(SKIP_1) | instid1(VALU_DEP_1)
	v_fmac_f64_e32 v[118:119], v[106:107], v[94:95]
	s_wait_dscnt 0x0
	v_fmac_f64_e32 v[118:119], v[108:109], v[96:97]
	s_wait_loadcnt 0x0
	s_delay_alu instid0(VALU_DEP_1) | instskip(SKIP_3) | instid1(VALU_DEP_1)
	v_fmac_f64_e32 v[118:119], v[88:89], v[98:99]
	ds_load_b64 v[88:89], v2 offset:656
	s_wait_dscnt 0x0
	v_fmac_f64_e32 v[118:119], v[90:91], v[88:89]
	v_add_f64_e64 v[86:87], v[86:87], -v[118:119]
	scratch_store_b64 off, v[86:87], off offset:216
	s_wait_xcnt 0x0
	v_cmpx_lt_u32_e32 26, v0
	s_cbranch_execz .LBB104_203
; %bb.202:
	scratch_load_b64 v[86:87], off, off offset:208
	v_mov_b64_e32 v[88:89], 0
	scratch_store_b64 off, v[88:89], off offset:208
	s_wait_loadcnt 0x0
	ds_store_b64 v1, v[86:87]
.LBB104_203:
	s_wait_xcnt 0x0
	s_or_b32 exec_lo, exec_lo, s0
	s_wait_storecnt_dscnt 0x0
	s_barrier_signal -1
	s_barrier_wait -1
	s_clause 0x5
	scratch_load_b128 v[86:89], off, off offset:208
	scratch_load_b128 v[90:93], off, off offset:224
	;; [unrolled: 1-line block ×6, first 2 shown]
	ds_load_2addr_b64 v[110:113], v2 offset0:69 offset1:70
	ds_load_2addr_b64 v[114:117], v2 offset0:71 offset1:72
	s_mov_b32 s0, exec_lo
	s_wait_loadcnt_dscnt 0x501
	v_fma_f64 v[118:119], v[88:89], v[110:111], 0
	s_wait_loadcnt 0x4
	s_delay_alu instid0(VALU_DEP_1)
	v_fmac_f64_e32 v[118:119], v[90:91], v[112:113]
	scratch_load_b128 v[88:91], off, off offset:304
	s_wait_dscnt 0x0
	v_fmac_f64_e32 v[118:119], v[92:93], v[114:115]
	scratch_load_b64 v[114:115], off, off offset:320
	s_wait_loadcnt 0x5
	v_fmac_f64_e32 v[118:119], v[94:95], v[116:117]
	ds_load_2addr_b64 v[92:95], v2 offset0:73 offset1:74
	ds_load_2addr_b64 v[110:113], v2 offset0:75 offset1:76
	s_wait_dscnt 0x1
	v_fmac_f64_e32 v[118:119], v[96:97], v[92:93]
	s_wait_loadcnt 0x4
	s_delay_alu instid0(VALU_DEP_1)
	v_fmac_f64_e32 v[118:119], v[98:99], v[94:95]
	ds_load_2addr_b64 v[92:95], v2 offset0:77 offset1:78
	ds_load_2addr_b64 v[96:99], v2 offset0:79 offset1:80
	s_wait_dscnt 0x2
	v_fmac_f64_e32 v[118:119], v[100:101], v[110:111]
	s_wait_loadcnt 0x3
	s_delay_alu instid0(VALU_DEP_1) | instskip(SKIP_1) | instid1(VALU_DEP_1)
	v_fmac_f64_e32 v[118:119], v[102:103], v[112:113]
	s_wait_dscnt 0x1
	v_fmac_f64_e32 v[118:119], v[104:105], v[92:93]
	s_wait_loadcnt 0x2
	s_delay_alu instid0(VALU_DEP_1) | instskip(SKIP_4) | instid1(VALU_DEP_1)
	v_fmac_f64_e32 v[118:119], v[106:107], v[94:95]
	ds_load_2addr_b64 v[92:95], v2 offset0:81 offset1:82
	s_wait_dscnt 0x1
	v_fmac_f64_e32 v[118:119], v[108:109], v[96:97]
	s_wait_loadcnt 0x1
	v_fmac_f64_e32 v[118:119], v[88:89], v[98:99]
	s_wait_dscnt 0x0
	s_delay_alu instid0(VALU_DEP_1) | instskip(SKIP_1) | instid1(VALU_DEP_1)
	v_fmac_f64_e32 v[118:119], v[90:91], v[92:93]
	s_wait_loadcnt 0x0
	v_fmac_f64_e32 v[118:119], v[114:115], v[94:95]
	s_delay_alu instid0(VALU_DEP_1)
	v_add_f64_e64 v[2:3], v[86:87], -v[118:119]
	scratch_store_b64 off, v[2:3], off offset:208
	s_wait_xcnt 0x0
	v_cmpx_lt_u32_e32 25, v0
	s_cbranch_execz .LBB104_205
; %bb.204:
	scratch_load_b64 v[2:3], off, off offset:200
	v_mov_b64_e32 v[86:87], 0
	scratch_store_b64 off, v[86:87], off offset:200
	s_wait_loadcnt 0x0
	ds_store_b64 v1, v[2:3]
.LBB104_205:
	s_wait_xcnt 0x0
	s_or_b32 exec_lo, exec_lo, s0
	s_wait_storecnt_dscnt 0x0
	s_barrier_signal -1
	s_barrier_wait -1
	s_clause 0x5
	scratch_load_b128 v[86:89], off, off offset:200
	scratch_load_b128 v[90:93], off, off offset:216
	;; [unrolled: 1-line block ×6, first 2 shown]
	v_mov_b32_e32 v2, 0
	ds_load_b128 v[110:113], v2 offset:544
	ds_load_b128 v[114:117], v2 offset:560
	s_mov_b32 s0, exec_lo
	s_wait_loadcnt_dscnt 0x501
	v_fma_f64 v[118:119], v[88:89], v[110:111], 0
	s_wait_loadcnt 0x4
	s_delay_alu instid0(VALU_DEP_1) | instskip(SKIP_4) | instid1(VALU_DEP_1)
	v_fmac_f64_e32 v[118:119], v[90:91], v[112:113]
	scratch_load_b128 v[88:91], off, off offset:296
	s_wait_dscnt 0x0
	v_fmac_f64_e32 v[118:119], v[92:93], v[114:115]
	s_wait_loadcnt 0x4
	v_fmac_f64_e32 v[118:119], v[94:95], v[116:117]
	scratch_load_b128 v[92:95], off, off offset:312
	ds_load_b128 v[110:113], v2 offset:576
	ds_load_b128 v[114:117], v2 offset:592
	s_wait_dscnt 0x1
	v_fmac_f64_e32 v[118:119], v[96:97], v[110:111]
	s_wait_loadcnt 0x4
	s_delay_alu instid0(VALU_DEP_1) | instskip(SKIP_1) | instid1(VALU_DEP_1)
	v_fmac_f64_e32 v[118:119], v[98:99], v[112:113]
	s_wait_dscnt 0x0
	v_fmac_f64_e32 v[118:119], v[100:101], v[114:115]
	s_wait_loadcnt 0x3
	s_delay_alu instid0(VALU_DEP_1)
	v_fmac_f64_e32 v[118:119], v[102:103], v[116:117]
	ds_load_b128 v[96:99], v2 offset:608
	ds_load_b128 v[100:103], v2 offset:624
	s_wait_dscnt 0x1
	v_fmac_f64_e32 v[118:119], v[104:105], v[96:97]
	s_wait_loadcnt 0x2
	s_delay_alu instid0(VALU_DEP_1) | instskip(SKIP_1) | instid1(VALU_DEP_1)
	v_fmac_f64_e32 v[118:119], v[106:107], v[98:99]
	s_wait_dscnt 0x0
	v_fmac_f64_e32 v[118:119], v[108:109], v[100:101]
	s_wait_loadcnt 0x1
	s_delay_alu instid0(VALU_DEP_1)
	v_fmac_f64_e32 v[118:119], v[88:89], v[102:103]
	ds_load_b128 v[96:99], v2 offset:640
	ds_load_b64 v[88:89], v2 offset:656
	s_wait_dscnt 0x1
	v_fmac_f64_e32 v[118:119], v[90:91], v[96:97]
	s_wait_loadcnt 0x0
	s_delay_alu instid0(VALU_DEP_1) | instskip(SKIP_1) | instid1(VALU_DEP_1)
	v_fmac_f64_e32 v[118:119], v[92:93], v[98:99]
	s_wait_dscnt 0x0
	v_fmac_f64_e32 v[118:119], v[94:95], v[88:89]
	s_delay_alu instid0(VALU_DEP_1)
	v_add_f64_e64 v[86:87], v[86:87], -v[118:119]
	scratch_store_b64 off, v[86:87], off offset:200
	s_wait_xcnt 0x0
	v_cmpx_lt_u32_e32 24, v0
	s_cbranch_execz .LBB104_207
; %bb.206:
	scratch_load_b64 v[86:87], off, off offset:192
	v_mov_b64_e32 v[88:89], 0
	scratch_store_b64 off, v[88:89], off offset:192
	s_wait_loadcnt 0x0
	ds_store_b64 v1, v[86:87]
.LBB104_207:
	s_wait_xcnt 0x0
	s_or_b32 exec_lo, exec_lo, s0
	s_wait_storecnt_dscnt 0x0
	s_barrier_signal -1
	s_barrier_wait -1
	s_clause 0x5
	scratch_load_b128 v[86:89], off, off offset:192
	scratch_load_b128 v[90:93], off, off offset:208
	;; [unrolled: 1-line block ×6, first 2 shown]
	ds_load_2addr_b64 v[110:113], v2 offset0:67 offset1:68
	ds_load_2addr_b64 v[114:117], v2 offset0:69 offset1:70
	s_mov_b32 s0, exec_lo
	s_wait_loadcnt_dscnt 0x501
	v_fma_f64 v[118:119], v[88:89], v[110:111], 0
	s_wait_loadcnt 0x4
	s_delay_alu instid0(VALU_DEP_1) | instskip(SKIP_4) | instid1(VALU_DEP_1)
	v_fmac_f64_e32 v[118:119], v[90:91], v[112:113]
	scratch_load_b128 v[88:91], off, off offset:288
	s_wait_dscnt 0x0
	v_fmac_f64_e32 v[118:119], v[92:93], v[114:115]
	s_wait_loadcnt 0x4
	v_fmac_f64_e32 v[118:119], v[94:95], v[116:117]
	scratch_load_b128 v[92:95], off, off offset:304
	ds_load_2addr_b64 v[110:113], v2 offset0:71 offset1:72
	ds_load_2addr_b64 v[114:117], v2 offset0:73 offset1:74
	s_wait_dscnt 0x1
	v_fmac_f64_e32 v[118:119], v[96:97], v[110:111]
	scratch_load_b64 v[110:111], off, off offset:320
	s_wait_loadcnt 0x5
	v_fmac_f64_e32 v[118:119], v[98:99], v[112:113]
	s_wait_dscnt 0x0
	s_delay_alu instid0(VALU_DEP_1) | instskip(SKIP_1) | instid1(VALU_DEP_1)
	v_fmac_f64_e32 v[118:119], v[100:101], v[114:115]
	s_wait_loadcnt 0x4
	v_fmac_f64_e32 v[118:119], v[102:103], v[116:117]
	ds_load_2addr_b64 v[96:99], v2 offset0:75 offset1:76
	ds_load_2addr_b64 v[100:103], v2 offset0:77 offset1:78
	s_wait_dscnt 0x1
	v_fmac_f64_e32 v[118:119], v[104:105], v[96:97]
	s_wait_loadcnt 0x3
	s_delay_alu instid0(VALU_DEP_1) | instskip(SKIP_1) | instid1(VALU_DEP_1)
	v_fmac_f64_e32 v[118:119], v[106:107], v[98:99]
	s_wait_dscnt 0x0
	v_fmac_f64_e32 v[118:119], v[108:109], v[100:101]
	s_wait_loadcnt 0x2
	s_delay_alu instid0(VALU_DEP_1)
	v_fmac_f64_e32 v[118:119], v[88:89], v[102:103]
	ds_load_2addr_b64 v[96:99], v2 offset0:79 offset1:80
	ds_load_2addr_b64 v[100:103], v2 offset0:81 offset1:82
	s_wait_dscnt 0x1
	v_fmac_f64_e32 v[118:119], v[90:91], v[96:97]
	s_wait_loadcnt 0x1
	s_delay_alu instid0(VALU_DEP_1) | instskip(SKIP_1) | instid1(VALU_DEP_1)
	v_fmac_f64_e32 v[118:119], v[92:93], v[98:99]
	s_wait_dscnt 0x0
	v_fmac_f64_e32 v[118:119], v[94:95], v[100:101]
	s_wait_loadcnt 0x0
	s_delay_alu instid0(VALU_DEP_1) | instskip(NEXT) | instid1(VALU_DEP_1)
	v_fmac_f64_e32 v[118:119], v[110:111], v[102:103]
	v_add_f64_e64 v[2:3], v[86:87], -v[118:119]
	scratch_store_b64 off, v[2:3], off offset:192
	s_wait_xcnt 0x0
	v_cmpx_lt_u32_e32 23, v0
	s_cbranch_execz .LBB104_209
; %bb.208:
	scratch_load_b64 v[2:3], off, off offset:184
	v_mov_b64_e32 v[86:87], 0
	scratch_store_b64 off, v[86:87], off offset:184
	s_wait_loadcnt 0x0
	ds_store_b64 v1, v[2:3]
.LBB104_209:
	s_wait_xcnt 0x0
	s_or_b32 exec_lo, exec_lo, s0
	s_wait_storecnt_dscnt 0x0
	s_barrier_signal -1
	s_barrier_wait -1
	s_clause 0x5
	scratch_load_b128 v[86:89], off, off offset:184
	scratch_load_b128 v[90:93], off, off offset:200
	;; [unrolled: 1-line block ×6, first 2 shown]
	v_mov_b32_e32 v2, 0
	ds_load_b128 v[110:113], v2 offset:528
	ds_load_b128 v[114:117], v2 offset:544
	s_mov_b32 s0, exec_lo
	s_wait_loadcnt_dscnt 0x501
	v_fma_f64 v[118:119], v[88:89], v[110:111], 0
	s_wait_loadcnt 0x4
	s_delay_alu instid0(VALU_DEP_1) | instskip(SKIP_4) | instid1(VALU_DEP_1)
	v_fmac_f64_e32 v[118:119], v[90:91], v[112:113]
	scratch_load_b128 v[88:91], off, off offset:280
	s_wait_dscnt 0x0
	v_fmac_f64_e32 v[118:119], v[92:93], v[114:115]
	s_wait_loadcnt 0x4
	v_fmac_f64_e32 v[118:119], v[94:95], v[116:117]
	scratch_load_b128 v[92:95], off, off offset:296
	ds_load_b128 v[110:113], v2 offset:560
	ds_load_b128 v[114:117], v2 offset:576
	s_wait_dscnt 0x1
	v_fmac_f64_e32 v[118:119], v[96:97], v[110:111]
	s_wait_loadcnt 0x4
	s_delay_alu instid0(VALU_DEP_1) | instskip(SKIP_4) | instid1(VALU_DEP_1)
	v_fmac_f64_e32 v[118:119], v[98:99], v[112:113]
	scratch_load_b128 v[96:99], off, off offset:312
	s_wait_dscnt 0x0
	v_fmac_f64_e32 v[118:119], v[100:101], v[114:115]
	s_wait_loadcnt 0x4
	v_fmac_f64_e32 v[118:119], v[102:103], v[116:117]
	ds_load_b128 v[100:103], v2 offset:592
	ds_load_b128 v[110:113], v2 offset:608
	s_wait_dscnt 0x1
	v_fmac_f64_e32 v[118:119], v[104:105], v[100:101]
	s_wait_loadcnt 0x3
	s_delay_alu instid0(VALU_DEP_1)
	v_fmac_f64_e32 v[118:119], v[106:107], v[102:103]
	ds_load_b128 v[100:103], v2 offset:624
	ds_load_b128 v[104:107], v2 offset:640
	s_wait_dscnt 0x2
	v_fmac_f64_e32 v[118:119], v[108:109], v[110:111]
	s_wait_loadcnt 0x2
	s_delay_alu instid0(VALU_DEP_1) | instskip(SKIP_4) | instid1(VALU_DEP_1)
	v_fmac_f64_e32 v[118:119], v[88:89], v[112:113]
	ds_load_b64 v[88:89], v2 offset:656
	s_wait_dscnt 0x2
	v_fmac_f64_e32 v[118:119], v[90:91], v[100:101]
	s_wait_loadcnt 0x1
	v_fmac_f64_e32 v[118:119], v[92:93], v[102:103]
	s_wait_dscnt 0x1
	s_delay_alu instid0(VALU_DEP_1) | instskip(SKIP_1) | instid1(VALU_DEP_1)
	v_fmac_f64_e32 v[118:119], v[94:95], v[104:105]
	s_wait_loadcnt 0x0
	v_fmac_f64_e32 v[118:119], v[96:97], v[106:107]
	s_wait_dscnt 0x0
	s_delay_alu instid0(VALU_DEP_1) | instskip(NEXT) | instid1(VALU_DEP_1)
	v_fmac_f64_e32 v[118:119], v[98:99], v[88:89]
	v_add_f64_e64 v[86:87], v[86:87], -v[118:119]
	scratch_store_b64 off, v[86:87], off offset:184
	s_wait_xcnt 0x0
	v_cmpx_lt_u32_e32 22, v0
	s_cbranch_execz .LBB104_211
; %bb.210:
	scratch_load_b64 v[86:87], off, off offset:176
	v_mov_b64_e32 v[88:89], 0
	scratch_store_b64 off, v[88:89], off offset:176
	s_wait_loadcnt 0x0
	ds_store_b64 v1, v[86:87]
.LBB104_211:
	s_wait_xcnt 0x0
	s_or_b32 exec_lo, exec_lo, s0
	s_wait_storecnt_dscnt 0x0
	s_barrier_signal -1
	s_barrier_wait -1
	s_clause 0x5
	scratch_load_b128 v[86:89], off, off offset:176
	scratch_load_b128 v[90:93], off, off offset:192
	;; [unrolled: 1-line block ×6, first 2 shown]
	ds_load_2addr_b64 v[110:113], v2 offset0:65 offset1:66
	ds_load_2addr_b64 v[114:117], v2 offset0:67 offset1:68
	s_mov_b32 s0, exec_lo
	s_wait_loadcnt_dscnt 0x501
	v_fma_f64 v[118:119], v[88:89], v[110:111], 0
	s_wait_loadcnt 0x4
	s_delay_alu instid0(VALU_DEP_1) | instskip(SKIP_4) | instid1(VALU_DEP_1)
	v_fmac_f64_e32 v[118:119], v[90:91], v[112:113]
	scratch_load_b128 v[88:91], off, off offset:272
	s_wait_dscnt 0x0
	v_fmac_f64_e32 v[118:119], v[92:93], v[114:115]
	s_wait_loadcnt 0x4
	v_fmac_f64_e32 v[118:119], v[94:95], v[116:117]
	scratch_load_b128 v[92:95], off, off offset:288
	ds_load_2addr_b64 v[110:113], v2 offset0:69 offset1:70
	ds_load_2addr_b64 v[114:117], v2 offset0:71 offset1:72
	s_wait_dscnt 0x1
	v_fmac_f64_e32 v[118:119], v[96:97], v[110:111]
	s_wait_loadcnt 0x4
	s_delay_alu instid0(VALU_DEP_1)
	v_fmac_f64_e32 v[118:119], v[98:99], v[112:113]
	scratch_load_b128 v[96:99], off, off offset:304
	s_wait_dscnt 0x0
	v_fmac_f64_e32 v[118:119], v[100:101], v[114:115]
	scratch_load_b64 v[114:115], off, off offset:320
	s_wait_loadcnt 0x5
	v_fmac_f64_e32 v[118:119], v[102:103], v[116:117]
	ds_load_2addr_b64 v[100:103], v2 offset0:73 offset1:74
	ds_load_2addr_b64 v[110:113], v2 offset0:75 offset1:76
	s_wait_dscnt 0x1
	v_fmac_f64_e32 v[118:119], v[104:105], v[100:101]
	s_wait_loadcnt 0x4
	s_delay_alu instid0(VALU_DEP_1)
	v_fmac_f64_e32 v[118:119], v[106:107], v[102:103]
	ds_load_2addr_b64 v[100:103], v2 offset0:77 offset1:78
	ds_load_2addr_b64 v[104:107], v2 offset0:79 offset1:80
	s_wait_dscnt 0x2
	v_fmac_f64_e32 v[118:119], v[108:109], v[110:111]
	s_wait_loadcnt 0x3
	s_delay_alu instid0(VALU_DEP_1) | instskip(SKIP_1) | instid1(VALU_DEP_1)
	v_fmac_f64_e32 v[118:119], v[88:89], v[112:113]
	s_wait_dscnt 0x1
	v_fmac_f64_e32 v[118:119], v[90:91], v[100:101]
	ds_load_2addr_b64 v[88:91], v2 offset0:81 offset1:82
	s_wait_loadcnt 0x2
	v_fmac_f64_e32 v[118:119], v[92:93], v[102:103]
	s_wait_dscnt 0x1
	s_delay_alu instid0(VALU_DEP_1) | instskip(SKIP_1) | instid1(VALU_DEP_1)
	v_fmac_f64_e32 v[118:119], v[94:95], v[104:105]
	s_wait_loadcnt 0x1
	v_fmac_f64_e32 v[118:119], v[96:97], v[106:107]
	s_wait_dscnt 0x0
	s_delay_alu instid0(VALU_DEP_1) | instskip(SKIP_1) | instid1(VALU_DEP_1)
	v_fmac_f64_e32 v[118:119], v[98:99], v[88:89]
	s_wait_loadcnt 0x0
	v_fmac_f64_e32 v[118:119], v[114:115], v[90:91]
	s_delay_alu instid0(VALU_DEP_1)
	v_add_f64_e64 v[2:3], v[86:87], -v[118:119]
	scratch_store_b64 off, v[2:3], off offset:176
	s_wait_xcnt 0x0
	v_cmpx_lt_u32_e32 21, v0
	s_cbranch_execz .LBB104_213
; %bb.212:
	scratch_load_b64 v[2:3], off, off offset:168
	v_mov_b64_e32 v[86:87], 0
	scratch_store_b64 off, v[86:87], off offset:168
	s_wait_loadcnt 0x0
	ds_store_b64 v1, v[2:3]
.LBB104_213:
	s_wait_xcnt 0x0
	s_or_b32 exec_lo, exec_lo, s0
	s_wait_storecnt_dscnt 0x0
	s_barrier_signal -1
	s_barrier_wait -1
	s_clause 0x5
	scratch_load_b128 v[86:89], off, off offset:168
	scratch_load_b128 v[90:93], off, off offset:184
	;; [unrolled: 1-line block ×6, first 2 shown]
	v_mov_b32_e32 v2, 0
	ds_load_b128 v[110:113], v2 offset:512
	ds_load_b128 v[114:117], v2 offset:528
	s_mov_b32 s0, exec_lo
	s_wait_loadcnt_dscnt 0x501
	v_fma_f64 v[118:119], v[88:89], v[110:111], 0
	s_wait_loadcnt 0x4
	s_delay_alu instid0(VALU_DEP_1) | instskip(SKIP_4) | instid1(VALU_DEP_1)
	v_fmac_f64_e32 v[118:119], v[90:91], v[112:113]
	scratch_load_b128 v[88:91], off, off offset:264
	s_wait_dscnt 0x0
	v_fmac_f64_e32 v[118:119], v[92:93], v[114:115]
	s_wait_loadcnt 0x4
	v_fmac_f64_e32 v[118:119], v[94:95], v[116:117]
	scratch_load_b128 v[92:95], off, off offset:280
	ds_load_b128 v[110:113], v2 offset:544
	ds_load_b128 v[114:117], v2 offset:560
	s_wait_dscnt 0x1
	v_fmac_f64_e32 v[118:119], v[96:97], v[110:111]
	s_wait_loadcnt 0x4
	s_delay_alu instid0(VALU_DEP_1) | instskip(SKIP_4) | instid1(VALU_DEP_1)
	v_fmac_f64_e32 v[118:119], v[98:99], v[112:113]
	scratch_load_b128 v[96:99], off, off offset:296
	s_wait_dscnt 0x0
	v_fmac_f64_e32 v[118:119], v[100:101], v[114:115]
	s_wait_loadcnt 0x4
	v_fmac_f64_e32 v[118:119], v[102:103], v[116:117]
	scratch_load_b128 v[100:103], off, off offset:312
	ds_load_b128 v[110:113], v2 offset:576
	ds_load_b128 v[114:117], v2 offset:592
	s_wait_dscnt 0x1
	v_fmac_f64_e32 v[118:119], v[104:105], v[110:111]
	s_wait_loadcnt 0x4
	s_delay_alu instid0(VALU_DEP_1) | instskip(SKIP_1) | instid1(VALU_DEP_1)
	v_fmac_f64_e32 v[118:119], v[106:107], v[112:113]
	s_wait_dscnt 0x0
	v_fmac_f64_e32 v[118:119], v[108:109], v[114:115]
	ds_load_b128 v[104:107], v2 offset:608
	ds_load_b128 v[108:111], v2 offset:624
	s_wait_loadcnt 0x3
	v_fmac_f64_e32 v[118:119], v[88:89], v[116:117]
	s_wait_dscnt 0x1
	s_delay_alu instid0(VALU_DEP_1) | instskip(SKIP_1) | instid1(VALU_DEP_1)
	v_fmac_f64_e32 v[118:119], v[90:91], v[104:105]
	s_wait_loadcnt 0x2
	v_fmac_f64_e32 v[118:119], v[92:93], v[106:107]
	ds_load_b128 v[88:91], v2 offset:640
	ds_load_b64 v[92:93], v2 offset:656
	s_wait_dscnt 0x2
	v_fmac_f64_e32 v[118:119], v[94:95], v[108:109]
	s_wait_loadcnt 0x1
	s_delay_alu instid0(VALU_DEP_1) | instskip(SKIP_1) | instid1(VALU_DEP_1)
	v_fmac_f64_e32 v[118:119], v[96:97], v[110:111]
	s_wait_dscnt 0x1
	v_fmac_f64_e32 v[118:119], v[98:99], v[88:89]
	s_wait_loadcnt 0x0
	s_delay_alu instid0(VALU_DEP_1) | instskip(SKIP_1) | instid1(VALU_DEP_1)
	v_fmac_f64_e32 v[118:119], v[100:101], v[90:91]
	s_wait_dscnt 0x0
	v_fmac_f64_e32 v[118:119], v[102:103], v[92:93]
	s_delay_alu instid0(VALU_DEP_1)
	v_add_f64_e64 v[86:87], v[86:87], -v[118:119]
	scratch_store_b64 off, v[86:87], off offset:168
	s_wait_xcnt 0x0
	v_cmpx_lt_u32_e32 20, v0
	s_cbranch_execz .LBB104_215
; %bb.214:
	scratch_load_b64 v[86:87], off, off offset:160
	v_mov_b64_e32 v[88:89], 0
	scratch_store_b64 off, v[88:89], off offset:160
	s_wait_loadcnt 0x0
	ds_store_b64 v1, v[86:87]
.LBB104_215:
	s_wait_xcnt 0x0
	s_or_b32 exec_lo, exec_lo, s0
	s_wait_storecnt_dscnt 0x0
	s_barrier_signal -1
	s_barrier_wait -1
	s_clause 0x5
	scratch_load_b128 v[86:89], off, off offset:160
	scratch_load_b128 v[90:93], off, off offset:176
	;; [unrolled: 1-line block ×6, first 2 shown]
	ds_load_2addr_b64 v[110:113], v2 offset0:63 offset1:64
	ds_load_2addr_b64 v[114:117], v2 offset0:65 offset1:66
	s_mov_b32 s0, exec_lo
	s_wait_loadcnt_dscnt 0x501
	v_fma_f64 v[118:119], v[88:89], v[110:111], 0
	s_wait_loadcnt 0x4
	s_delay_alu instid0(VALU_DEP_1) | instskip(SKIP_4) | instid1(VALU_DEP_1)
	v_fmac_f64_e32 v[118:119], v[90:91], v[112:113]
	scratch_load_b128 v[88:91], off, off offset:256
	s_wait_dscnt 0x0
	v_fmac_f64_e32 v[118:119], v[92:93], v[114:115]
	s_wait_loadcnt 0x4
	v_fmac_f64_e32 v[118:119], v[94:95], v[116:117]
	scratch_load_b128 v[92:95], off, off offset:272
	ds_load_2addr_b64 v[110:113], v2 offset0:67 offset1:68
	ds_load_2addr_b64 v[114:117], v2 offset0:69 offset1:70
	s_wait_dscnt 0x1
	v_fmac_f64_e32 v[118:119], v[96:97], v[110:111]
	s_wait_loadcnt 0x4
	s_delay_alu instid0(VALU_DEP_1) | instskip(SKIP_4) | instid1(VALU_DEP_1)
	v_fmac_f64_e32 v[118:119], v[98:99], v[112:113]
	scratch_load_b128 v[96:99], off, off offset:288
	s_wait_dscnt 0x0
	v_fmac_f64_e32 v[118:119], v[100:101], v[114:115]
	s_wait_loadcnt 0x4
	v_fmac_f64_e32 v[118:119], v[102:103], v[116:117]
	scratch_load_b128 v[100:103], off, off offset:304
	ds_load_2addr_b64 v[110:113], v2 offset0:71 offset1:72
	ds_load_2addr_b64 v[114:117], v2 offset0:73 offset1:74
	s_wait_dscnt 0x1
	v_fmac_f64_e32 v[118:119], v[104:105], v[110:111]
	s_wait_loadcnt 0x4
	s_delay_alu instid0(VALU_DEP_1)
	v_fmac_f64_e32 v[118:119], v[106:107], v[112:113]
	scratch_load_b64 v[112:113], off, off offset:320
	s_wait_dscnt 0x0
	v_fmac_f64_e32 v[118:119], v[108:109], v[114:115]
	ds_load_2addr_b64 v[104:107], v2 offset0:75 offset1:76
	ds_load_2addr_b64 v[108:111], v2 offset0:77 offset1:78
	s_wait_loadcnt 0x4
	v_fmac_f64_e32 v[118:119], v[88:89], v[116:117]
	s_wait_dscnt 0x1
	s_delay_alu instid0(VALU_DEP_1) | instskip(SKIP_1) | instid1(VALU_DEP_1)
	v_fmac_f64_e32 v[118:119], v[90:91], v[104:105]
	s_wait_loadcnt 0x3
	v_fmac_f64_e32 v[118:119], v[92:93], v[106:107]
	s_wait_dscnt 0x0
	s_delay_alu instid0(VALU_DEP_1)
	v_fmac_f64_e32 v[118:119], v[94:95], v[108:109]
	ds_load_2addr_b64 v[88:91], v2 offset0:79 offset1:80
	ds_load_2addr_b64 v[92:95], v2 offset0:81 offset1:82
	s_wait_loadcnt 0x2
	v_fmac_f64_e32 v[118:119], v[96:97], v[110:111]
	s_wait_dscnt 0x1
	s_delay_alu instid0(VALU_DEP_1) | instskip(SKIP_1) | instid1(VALU_DEP_1)
	v_fmac_f64_e32 v[118:119], v[98:99], v[88:89]
	s_wait_loadcnt 0x1
	v_fmac_f64_e32 v[118:119], v[100:101], v[90:91]
	s_wait_dscnt 0x0
	s_delay_alu instid0(VALU_DEP_1) | instskip(SKIP_1) | instid1(VALU_DEP_1)
	v_fmac_f64_e32 v[118:119], v[102:103], v[92:93]
	s_wait_loadcnt 0x0
	v_fmac_f64_e32 v[118:119], v[112:113], v[94:95]
	s_delay_alu instid0(VALU_DEP_1)
	v_add_f64_e64 v[2:3], v[86:87], -v[118:119]
	scratch_store_b64 off, v[2:3], off offset:160
	s_wait_xcnt 0x0
	v_cmpx_lt_u32_e32 19, v0
	s_cbranch_execz .LBB104_217
; %bb.216:
	scratch_load_b64 v[2:3], off, off offset:152
	v_mov_b64_e32 v[86:87], 0
	scratch_store_b64 off, v[86:87], off offset:152
	s_wait_loadcnt 0x0
	ds_store_b64 v1, v[2:3]
.LBB104_217:
	s_wait_xcnt 0x0
	s_or_b32 exec_lo, exec_lo, s0
	s_wait_storecnt_dscnt 0x0
	s_barrier_signal -1
	s_barrier_wait -1
	s_clause 0x5
	scratch_load_b128 v[86:89], off, off offset:152
	scratch_load_b128 v[90:93], off, off offset:168
	;; [unrolled: 1-line block ×6, first 2 shown]
	v_mov_b32_e32 v2, 0
	ds_load_b128 v[110:113], v2 offset:496
	ds_load_b128 v[114:117], v2 offset:512
	s_mov_b32 s0, exec_lo
	s_wait_loadcnt_dscnt 0x501
	v_fma_f64 v[118:119], v[88:89], v[110:111], 0
	s_wait_loadcnt 0x4
	s_delay_alu instid0(VALU_DEP_1) | instskip(SKIP_4) | instid1(VALU_DEP_1)
	v_fmac_f64_e32 v[118:119], v[90:91], v[112:113]
	scratch_load_b128 v[88:91], off, off offset:248
	s_wait_dscnt 0x0
	v_fmac_f64_e32 v[118:119], v[92:93], v[114:115]
	s_wait_loadcnt 0x4
	v_fmac_f64_e32 v[118:119], v[94:95], v[116:117]
	scratch_load_b128 v[92:95], off, off offset:264
	ds_load_b128 v[110:113], v2 offset:528
	ds_load_b128 v[114:117], v2 offset:544
	s_wait_dscnt 0x1
	v_fmac_f64_e32 v[118:119], v[96:97], v[110:111]
	s_wait_loadcnt 0x4
	s_delay_alu instid0(VALU_DEP_1) | instskip(SKIP_4) | instid1(VALU_DEP_1)
	v_fmac_f64_e32 v[118:119], v[98:99], v[112:113]
	scratch_load_b128 v[96:99], off, off offset:280
	s_wait_dscnt 0x0
	v_fmac_f64_e32 v[118:119], v[100:101], v[114:115]
	s_wait_loadcnt 0x4
	v_fmac_f64_e32 v[118:119], v[102:103], v[116:117]
	scratch_load_b128 v[100:103], off, off offset:296
	ds_load_b128 v[110:113], v2 offset:560
	ds_load_b128 v[114:117], v2 offset:576
	s_wait_dscnt 0x1
	v_fmac_f64_e32 v[118:119], v[104:105], v[110:111]
	s_wait_loadcnt 0x4
	s_delay_alu instid0(VALU_DEP_1)
	v_fmac_f64_e32 v[118:119], v[106:107], v[112:113]
	scratch_load_b128 v[104:107], off, off offset:312
	s_wait_dscnt 0x0
	v_fmac_f64_e32 v[118:119], v[108:109], v[114:115]
	ds_load_b128 v[108:111], v2 offset:592
	ds_load_b128 v[112:115], v2 offset:608
	s_wait_loadcnt 0x4
	v_fmac_f64_e32 v[118:119], v[88:89], v[116:117]
	s_wait_dscnt 0x1
	s_delay_alu instid0(VALU_DEP_1) | instskip(SKIP_1) | instid1(VALU_DEP_1)
	v_fmac_f64_e32 v[118:119], v[90:91], v[108:109]
	s_wait_loadcnt 0x3
	v_fmac_f64_e32 v[118:119], v[92:93], v[110:111]
	s_wait_dscnt 0x0
	s_delay_alu instid0(VALU_DEP_1)
	v_fmac_f64_e32 v[118:119], v[94:95], v[112:113]
	ds_load_b128 v[88:91], v2 offset:624
	ds_load_b128 v[92:95], v2 offset:640
	s_wait_loadcnt 0x2
	v_fmac_f64_e32 v[118:119], v[96:97], v[114:115]
	s_wait_dscnt 0x1
	s_delay_alu instid0(VALU_DEP_1) | instskip(SKIP_4) | instid1(VALU_DEP_1)
	v_fmac_f64_e32 v[118:119], v[98:99], v[88:89]
	ds_load_b64 v[88:89], v2 offset:656
	s_wait_loadcnt 0x1
	v_fmac_f64_e32 v[118:119], v[100:101], v[90:91]
	s_wait_dscnt 0x1
	v_fmac_f64_e32 v[118:119], v[102:103], v[92:93]
	s_wait_loadcnt 0x0
	s_delay_alu instid0(VALU_DEP_1) | instskip(SKIP_1) | instid1(VALU_DEP_1)
	v_fmac_f64_e32 v[118:119], v[104:105], v[94:95]
	s_wait_dscnt 0x0
	v_fmac_f64_e32 v[118:119], v[106:107], v[88:89]
	s_delay_alu instid0(VALU_DEP_1)
	v_add_f64_e64 v[86:87], v[86:87], -v[118:119]
	scratch_store_b64 off, v[86:87], off offset:152
	s_wait_xcnt 0x0
	v_cmpx_lt_u32_e32 18, v0
	s_cbranch_execz .LBB104_219
; %bb.218:
	scratch_load_b64 v[86:87], off, off offset:144
	v_mov_b64_e32 v[88:89], 0
	scratch_store_b64 off, v[88:89], off offset:144
	s_wait_loadcnt 0x0
	ds_store_b64 v1, v[86:87]
.LBB104_219:
	s_wait_xcnt 0x0
	s_or_b32 exec_lo, exec_lo, s0
	s_wait_storecnt_dscnt 0x0
	s_barrier_signal -1
	s_barrier_wait -1
	s_clause 0x5
	scratch_load_b128 v[86:89], off, off offset:144
	scratch_load_b128 v[90:93], off, off offset:160
	;; [unrolled: 1-line block ×6, first 2 shown]
	ds_load_2addr_b64 v[110:113], v2 offset0:61 offset1:62
	ds_load_2addr_b64 v[114:117], v2 offset0:63 offset1:64
	scratch_load_b128 v[118:121], off, off offset:240
	s_mov_b32 s0, exec_lo
	s_wait_loadcnt_dscnt 0x601
	v_fma_f64 v[122:123], v[88:89], v[110:111], 0
	s_wait_loadcnt 0x5
	s_delay_alu instid0(VALU_DEP_1) | instskip(SKIP_4) | instid1(VALU_DEP_1)
	v_fmac_f64_e32 v[122:123], v[90:91], v[112:113]
	scratch_load_b128 v[88:91], off, off offset:256
	s_wait_dscnt 0x0
	v_fmac_f64_e32 v[122:123], v[92:93], v[114:115]
	s_wait_loadcnt 0x5
	v_fmac_f64_e32 v[122:123], v[94:95], v[116:117]
	ds_load_2addr_b64 v[92:95], v2 offset0:65 offset1:66
	ds_load_2addr_b64 v[110:113], v2 offset0:67 offset1:68
	s_wait_dscnt 0x1
	v_fmac_f64_e32 v[122:123], v[96:97], v[92:93]
	s_wait_loadcnt 0x4
	s_delay_alu instid0(VALU_DEP_1)
	v_fmac_f64_e32 v[122:123], v[98:99], v[94:95]
	s_clause 0x1
	scratch_load_b128 v[92:95], off, off offset:272
	scratch_load_b128 v[96:99], off, off offset:288
	s_wait_dscnt 0x0
	v_fmac_f64_e32 v[122:123], v[100:101], v[110:111]
	s_wait_loadcnt 0x5
	s_delay_alu instid0(VALU_DEP_1)
	v_fmac_f64_e32 v[122:123], v[102:103], v[112:113]
	ds_load_2addr_b64 v[100:103], v2 offset0:69 offset1:70
	ds_load_2addr_b64 v[110:113], v2 offset0:71 offset1:72
	s_wait_dscnt 0x1
	v_fmac_f64_e32 v[122:123], v[104:105], v[100:101]
	s_wait_loadcnt 0x4
	s_delay_alu instid0(VALU_DEP_1) | instskip(SKIP_4) | instid1(VALU_DEP_1)
	v_fmac_f64_e32 v[122:123], v[106:107], v[102:103]
	scratch_load_b128 v[100:103], off, off offset:304
	s_wait_dscnt 0x0
	v_fmac_f64_e32 v[122:123], v[108:109], v[110:111]
	s_wait_loadcnt 0x4
	v_fmac_f64_e32 v[122:123], v[118:119], v[112:113]
	scratch_load_b64 v[112:113], off, off offset:320
	ds_load_2addr_b64 v[104:107], v2 offset0:73 offset1:74
	ds_load_2addr_b64 v[108:111], v2 offset0:75 offset1:76
	s_wait_dscnt 0x1
	v_fmac_f64_e32 v[122:123], v[120:121], v[104:105]
	s_wait_loadcnt 0x4
	s_delay_alu instid0(VALU_DEP_1) | instskip(SKIP_1) | instid1(VALU_DEP_1)
	v_fmac_f64_e32 v[122:123], v[88:89], v[106:107]
	s_wait_dscnt 0x0
	v_fmac_f64_e32 v[122:123], v[90:91], v[108:109]
	ds_load_2addr_b64 v[88:91], v2 offset0:77 offset1:78
	ds_load_2addr_b64 v[104:107], v2 offset0:79 offset1:80
	s_wait_loadcnt 0x3
	v_fmac_f64_e32 v[122:123], v[92:93], v[110:111]
	s_wait_dscnt 0x1
	s_delay_alu instid0(VALU_DEP_1) | instskip(SKIP_1) | instid1(VALU_DEP_1)
	v_fmac_f64_e32 v[122:123], v[94:95], v[88:89]
	s_wait_loadcnt 0x2
	v_fmac_f64_e32 v[122:123], v[96:97], v[90:91]
	ds_load_2addr_b64 v[88:91], v2 offset0:81 offset1:82
	s_wait_dscnt 0x1
	v_fmac_f64_e32 v[122:123], v[98:99], v[104:105]
	s_wait_loadcnt 0x1
	s_delay_alu instid0(VALU_DEP_1) | instskip(SKIP_1) | instid1(VALU_DEP_1)
	v_fmac_f64_e32 v[122:123], v[100:101], v[106:107]
	s_wait_dscnt 0x0
	v_fmac_f64_e32 v[122:123], v[102:103], v[88:89]
	s_wait_loadcnt 0x0
	s_delay_alu instid0(VALU_DEP_1) | instskip(NEXT) | instid1(VALU_DEP_1)
	v_fmac_f64_e32 v[122:123], v[112:113], v[90:91]
	v_add_f64_e64 v[2:3], v[86:87], -v[122:123]
	scratch_store_b64 off, v[2:3], off offset:144
	s_wait_xcnt 0x0
	v_cmpx_lt_u32_e32 17, v0
	s_cbranch_execz .LBB104_221
; %bb.220:
	scratch_load_b64 v[2:3], off, off offset:136
	v_mov_b64_e32 v[86:87], 0
	scratch_store_b64 off, v[86:87], off offset:136
	s_wait_loadcnt 0x0
	ds_store_b64 v1, v[2:3]
.LBB104_221:
	s_wait_xcnt 0x0
	s_or_b32 exec_lo, exec_lo, s0
	s_wait_storecnt_dscnt 0x0
	s_barrier_signal -1
	s_barrier_wait -1
	s_clause 0x5
	scratch_load_b128 v[86:89], off, off offset:136
	scratch_load_b128 v[90:93], off, off offset:152
	;; [unrolled: 1-line block ×6, first 2 shown]
	v_mov_b32_e32 v2, 0
	ds_load_b128 v[110:113], v2 offset:480
	ds_load_b128 v[114:117], v2 offset:496
	scratch_load_b128 v[118:121], off, off offset:232
	s_mov_b32 s0, exec_lo
	s_wait_loadcnt_dscnt 0x601
	v_fma_f64 v[122:123], v[88:89], v[110:111], 0
	s_wait_loadcnt 0x5
	s_delay_alu instid0(VALU_DEP_1) | instskip(SKIP_4) | instid1(VALU_DEP_1)
	v_fmac_f64_e32 v[122:123], v[90:91], v[112:113]
	scratch_load_b128 v[88:91], off, off offset:248
	s_wait_dscnt 0x0
	v_fmac_f64_e32 v[122:123], v[92:93], v[114:115]
	s_wait_loadcnt 0x5
	v_fmac_f64_e32 v[122:123], v[94:95], v[116:117]
	ds_load_b128 v[92:95], v2 offset:512
	ds_load_b128 v[110:113], v2 offset:528
	s_wait_dscnt 0x1
	v_fmac_f64_e32 v[122:123], v[96:97], v[92:93]
	s_wait_loadcnt 0x4
	s_delay_alu instid0(VALU_DEP_1)
	v_fmac_f64_e32 v[122:123], v[98:99], v[94:95]
	s_clause 0x1
	scratch_load_b128 v[92:95], off, off offset:264
	scratch_load_b128 v[96:99], off, off offset:280
	s_wait_dscnt 0x0
	v_fmac_f64_e32 v[122:123], v[100:101], v[110:111]
	s_wait_loadcnt 0x5
	s_delay_alu instid0(VALU_DEP_1)
	v_fmac_f64_e32 v[122:123], v[102:103], v[112:113]
	ds_load_b128 v[100:103], v2 offset:544
	ds_load_b128 v[110:113], v2 offset:560
	s_wait_dscnt 0x1
	v_fmac_f64_e32 v[122:123], v[104:105], v[100:101]
	s_wait_loadcnt 0x4
	s_delay_alu instid0(VALU_DEP_1)
	v_fmac_f64_e32 v[122:123], v[106:107], v[102:103]
	s_clause 0x1
	scratch_load_b128 v[100:103], off, off offset:296
	scratch_load_b128 v[104:107], off, off offset:312
	s_wait_dscnt 0x0
	v_fmac_f64_e32 v[122:123], v[108:109], v[110:111]
	s_wait_loadcnt 0x5
	s_delay_alu instid0(VALU_DEP_1)
	v_fmac_f64_e32 v[122:123], v[118:119], v[112:113]
	ds_load_b128 v[108:111], v2 offset:576
	ds_load_b128 v[112:115], v2 offset:592
	s_wait_dscnt 0x1
	v_fmac_f64_e32 v[122:123], v[120:121], v[108:109]
	s_wait_loadcnt 0x4
	s_delay_alu instid0(VALU_DEP_1) | instskip(SKIP_1) | instid1(VALU_DEP_1)
	v_fmac_f64_e32 v[122:123], v[88:89], v[110:111]
	s_wait_dscnt 0x0
	v_fmac_f64_e32 v[122:123], v[90:91], v[112:113]
	ds_load_b128 v[88:91], v2 offset:608
	ds_load_b128 v[108:111], v2 offset:624
	s_wait_loadcnt 0x3
	v_fmac_f64_e32 v[122:123], v[92:93], v[114:115]
	s_wait_dscnt 0x1
	s_delay_alu instid0(VALU_DEP_1) | instskip(SKIP_1) | instid1(VALU_DEP_1)
	v_fmac_f64_e32 v[122:123], v[94:95], v[88:89]
	s_wait_loadcnt 0x2
	v_fmac_f64_e32 v[122:123], v[96:97], v[90:91]
	ds_load_b128 v[88:91], v2 offset:640
	ds_load_b64 v[92:93], v2 offset:656
	s_wait_dscnt 0x2
	v_fmac_f64_e32 v[122:123], v[98:99], v[108:109]
	s_wait_loadcnt 0x1
	s_delay_alu instid0(VALU_DEP_1) | instskip(SKIP_1) | instid1(VALU_DEP_1)
	v_fmac_f64_e32 v[122:123], v[100:101], v[110:111]
	s_wait_dscnt 0x1
	v_fmac_f64_e32 v[122:123], v[102:103], v[88:89]
	s_wait_loadcnt 0x0
	s_delay_alu instid0(VALU_DEP_1) | instskip(SKIP_1) | instid1(VALU_DEP_1)
	v_fmac_f64_e32 v[122:123], v[104:105], v[90:91]
	s_wait_dscnt 0x0
	v_fmac_f64_e32 v[122:123], v[106:107], v[92:93]
	s_delay_alu instid0(VALU_DEP_1)
	v_add_f64_e64 v[86:87], v[86:87], -v[122:123]
	scratch_store_b64 off, v[86:87], off offset:136
	s_wait_xcnt 0x0
	v_cmpx_lt_u32_e32 16, v0
	s_cbranch_execz .LBB104_223
; %bb.222:
	scratch_load_b64 v[86:87], off, off offset:128
	v_mov_b64_e32 v[88:89], 0
	scratch_store_b64 off, v[88:89], off offset:128
	s_wait_loadcnt 0x0
	ds_store_b64 v1, v[86:87]
.LBB104_223:
	s_wait_xcnt 0x0
	s_or_b32 exec_lo, exec_lo, s0
	s_wait_storecnt_dscnt 0x0
	s_barrier_signal -1
	s_barrier_wait -1
	s_clause 0x5
	scratch_load_b128 v[86:89], off, off offset:128
	scratch_load_b128 v[90:93], off, off offset:144
	;; [unrolled: 1-line block ×6, first 2 shown]
	ds_load_2addr_b64 v[110:113], v2 offset0:59 offset1:60
	ds_load_2addr_b64 v[114:117], v2 offset0:61 offset1:62
	scratch_load_b128 v[118:121], off, off offset:224
	s_mov_b32 s0, exec_lo
	s_wait_loadcnt_dscnt 0x601
	v_fma_f64 v[122:123], v[88:89], v[110:111], 0
	s_wait_loadcnt 0x5
	s_delay_alu instid0(VALU_DEP_1) | instskip(SKIP_4) | instid1(VALU_DEP_1)
	v_fmac_f64_e32 v[122:123], v[90:91], v[112:113]
	scratch_load_b128 v[88:91], off, off offset:240
	s_wait_dscnt 0x0
	v_fmac_f64_e32 v[122:123], v[92:93], v[114:115]
	s_wait_loadcnt 0x5
	v_fmac_f64_e32 v[122:123], v[94:95], v[116:117]
	ds_load_2addr_b64 v[92:95], v2 offset0:63 offset1:64
	ds_load_2addr_b64 v[110:113], v2 offset0:65 offset1:66
	s_wait_dscnt 0x1
	v_fmac_f64_e32 v[122:123], v[96:97], v[92:93]
	s_wait_loadcnt 0x4
	s_delay_alu instid0(VALU_DEP_1)
	v_fmac_f64_e32 v[122:123], v[98:99], v[94:95]
	s_clause 0x1
	scratch_load_b128 v[92:95], off, off offset:256
	scratch_load_b128 v[96:99], off, off offset:272
	s_wait_dscnt 0x0
	v_fmac_f64_e32 v[122:123], v[100:101], v[110:111]
	s_wait_loadcnt 0x5
	s_delay_alu instid0(VALU_DEP_1)
	v_fmac_f64_e32 v[122:123], v[102:103], v[112:113]
	ds_load_2addr_b64 v[100:103], v2 offset0:67 offset1:68
	ds_load_2addr_b64 v[110:113], v2 offset0:69 offset1:70
	s_wait_dscnt 0x1
	v_fmac_f64_e32 v[122:123], v[104:105], v[100:101]
	s_wait_loadcnt 0x4
	s_delay_alu instid0(VALU_DEP_1)
	v_fmac_f64_e32 v[122:123], v[106:107], v[102:103]
	s_clause 0x1
	scratch_load_b128 v[100:103], off, off offset:288
	scratch_load_b128 v[104:107], off, off offset:304
	s_wait_dscnt 0x0
	v_fmac_f64_e32 v[122:123], v[108:109], v[110:111]
	s_wait_loadcnt 0x5
	s_delay_alu instid0(VALU_DEP_1)
	v_fmac_f64_e32 v[122:123], v[118:119], v[112:113]
	ds_load_2addr_b64 v[108:111], v2 offset0:71 offset1:72
	ds_load_2addr_b64 v[112:115], v2 offset0:73 offset1:74
	scratch_load_b64 v[116:117], off, off offset:320
	s_wait_dscnt 0x1
	v_fmac_f64_e32 v[122:123], v[120:121], v[108:109]
	s_wait_loadcnt 0x5
	s_delay_alu instid0(VALU_DEP_1) | instskip(SKIP_1) | instid1(VALU_DEP_1)
	v_fmac_f64_e32 v[122:123], v[88:89], v[110:111]
	s_wait_dscnt 0x0
	v_fmac_f64_e32 v[122:123], v[90:91], v[112:113]
	ds_load_2addr_b64 v[88:91], v2 offset0:75 offset1:76
	ds_load_2addr_b64 v[108:111], v2 offset0:77 offset1:78
	s_wait_loadcnt 0x4
	v_fmac_f64_e32 v[122:123], v[92:93], v[114:115]
	s_wait_dscnt 0x1
	s_delay_alu instid0(VALU_DEP_1) | instskip(SKIP_1) | instid1(VALU_DEP_1)
	v_fmac_f64_e32 v[122:123], v[94:95], v[88:89]
	s_wait_loadcnt 0x3
	v_fmac_f64_e32 v[122:123], v[96:97], v[90:91]
	ds_load_2addr_b64 v[88:91], v2 offset0:79 offset1:80
	ds_load_2addr_b64 v[92:95], v2 offset0:81 offset1:82
	s_wait_dscnt 0x2
	v_fmac_f64_e32 v[122:123], v[98:99], v[108:109]
	s_wait_loadcnt 0x2
	s_delay_alu instid0(VALU_DEP_1) | instskip(SKIP_1) | instid1(VALU_DEP_1)
	v_fmac_f64_e32 v[122:123], v[100:101], v[110:111]
	s_wait_dscnt 0x1
	v_fmac_f64_e32 v[122:123], v[102:103], v[88:89]
	s_wait_loadcnt 0x1
	s_delay_alu instid0(VALU_DEP_1) | instskip(SKIP_1) | instid1(VALU_DEP_1)
	v_fmac_f64_e32 v[122:123], v[104:105], v[90:91]
	s_wait_dscnt 0x0
	v_fmac_f64_e32 v[122:123], v[106:107], v[92:93]
	s_wait_loadcnt 0x0
	s_delay_alu instid0(VALU_DEP_1) | instskip(NEXT) | instid1(VALU_DEP_1)
	v_fmac_f64_e32 v[122:123], v[116:117], v[94:95]
	v_add_f64_e64 v[2:3], v[86:87], -v[122:123]
	scratch_store_b64 off, v[2:3], off offset:128
	s_wait_xcnt 0x0
	v_cmpx_lt_u32_e32 15, v0
	s_cbranch_execz .LBB104_225
; %bb.224:
	scratch_load_b64 v[2:3], off, off offset:120
	v_mov_b64_e32 v[86:87], 0
	scratch_store_b64 off, v[86:87], off offset:120
	s_wait_loadcnt 0x0
	ds_store_b64 v1, v[2:3]
.LBB104_225:
	s_wait_xcnt 0x0
	s_or_b32 exec_lo, exec_lo, s0
	s_wait_storecnt_dscnt 0x0
	s_barrier_signal -1
	s_barrier_wait -1
	s_clause 0x5
	scratch_load_b128 v[86:89], off, off offset:120
	scratch_load_b128 v[90:93], off, off offset:136
	;; [unrolled: 1-line block ×6, first 2 shown]
	v_mov_b32_e32 v2, 0
	ds_load_b128 v[110:113], v2 offset:464
	ds_load_b128 v[114:117], v2 offset:480
	scratch_load_b128 v[118:121], off, off offset:216
	s_mov_b32 s0, exec_lo
	s_wait_loadcnt_dscnt 0x601
	v_fma_f64 v[122:123], v[88:89], v[110:111], 0
	s_wait_loadcnt 0x5
	s_delay_alu instid0(VALU_DEP_1) | instskip(SKIP_4) | instid1(VALU_DEP_1)
	v_fmac_f64_e32 v[122:123], v[90:91], v[112:113]
	scratch_load_b128 v[88:91], off, off offset:232
	s_wait_dscnt 0x0
	v_fmac_f64_e32 v[122:123], v[92:93], v[114:115]
	s_wait_loadcnt 0x5
	v_fmac_f64_e32 v[122:123], v[94:95], v[116:117]
	ds_load_b128 v[92:95], v2 offset:496
	ds_load_b128 v[110:113], v2 offset:512
	s_wait_dscnt 0x1
	v_fmac_f64_e32 v[122:123], v[96:97], v[92:93]
	s_wait_loadcnt 0x4
	s_delay_alu instid0(VALU_DEP_1)
	v_fmac_f64_e32 v[122:123], v[98:99], v[94:95]
	s_clause 0x1
	scratch_load_b128 v[92:95], off, off offset:248
	scratch_load_b128 v[96:99], off, off offset:264
	s_wait_dscnt 0x0
	v_fmac_f64_e32 v[122:123], v[100:101], v[110:111]
	s_wait_loadcnt 0x5
	s_delay_alu instid0(VALU_DEP_1)
	v_fmac_f64_e32 v[122:123], v[102:103], v[112:113]
	ds_load_b128 v[100:103], v2 offset:528
	ds_load_b128 v[110:113], v2 offset:544
	s_wait_dscnt 0x1
	v_fmac_f64_e32 v[122:123], v[104:105], v[100:101]
	s_wait_loadcnt 0x4
	s_delay_alu instid0(VALU_DEP_1)
	v_fmac_f64_e32 v[122:123], v[106:107], v[102:103]
	s_clause 0x1
	scratch_load_b128 v[100:103], off, off offset:280
	scratch_load_b128 v[104:107], off, off offset:296
	s_wait_dscnt 0x0
	v_fmac_f64_e32 v[122:123], v[108:109], v[110:111]
	s_wait_loadcnt 0x5
	s_delay_alu instid0(VALU_DEP_1)
	v_fmac_f64_e32 v[122:123], v[118:119], v[112:113]
	ds_load_b128 v[108:111], v2 offset:560
	ds_load_b128 v[112:115], v2 offset:576
	s_wait_dscnt 0x1
	v_fmac_f64_e32 v[122:123], v[120:121], v[108:109]
	s_wait_loadcnt 0x4
	s_delay_alu instid0(VALU_DEP_1) | instskip(SKIP_4) | instid1(VALU_DEP_1)
	v_fmac_f64_e32 v[122:123], v[88:89], v[110:111]
	scratch_load_b128 v[108:111], off, off offset:312
	s_wait_dscnt 0x0
	v_fmac_f64_e32 v[122:123], v[90:91], v[112:113]
	s_wait_loadcnt 0x4
	v_fmac_f64_e32 v[122:123], v[92:93], v[114:115]
	ds_load_b128 v[88:91], v2 offset:592
	ds_load_b128 v[112:115], v2 offset:608
	s_wait_dscnt 0x1
	v_fmac_f64_e32 v[122:123], v[94:95], v[88:89]
	s_wait_loadcnt 0x3
	s_delay_alu instid0(VALU_DEP_1)
	v_fmac_f64_e32 v[122:123], v[96:97], v[90:91]
	ds_load_b128 v[88:91], v2 offset:624
	ds_load_b128 v[92:95], v2 offset:640
	s_wait_dscnt 0x2
	v_fmac_f64_e32 v[122:123], v[98:99], v[112:113]
	s_wait_loadcnt 0x2
	s_delay_alu instid0(VALU_DEP_1) | instskip(SKIP_1) | instid1(VALU_DEP_1)
	v_fmac_f64_e32 v[122:123], v[100:101], v[114:115]
	s_wait_dscnt 0x1
	v_fmac_f64_e32 v[122:123], v[102:103], v[88:89]
	ds_load_b64 v[88:89], v2 offset:656
	s_wait_loadcnt 0x1
	v_fmac_f64_e32 v[122:123], v[104:105], v[90:91]
	s_wait_dscnt 0x1
	s_delay_alu instid0(VALU_DEP_1) | instskip(SKIP_1) | instid1(VALU_DEP_1)
	v_fmac_f64_e32 v[122:123], v[106:107], v[92:93]
	s_wait_loadcnt 0x0
	v_fmac_f64_e32 v[122:123], v[108:109], v[94:95]
	s_wait_dscnt 0x0
	s_delay_alu instid0(VALU_DEP_1) | instskip(NEXT) | instid1(VALU_DEP_1)
	v_fmac_f64_e32 v[122:123], v[110:111], v[88:89]
	v_add_f64_e64 v[86:87], v[86:87], -v[122:123]
	scratch_store_b64 off, v[86:87], off offset:120
	s_wait_xcnt 0x0
	v_cmpx_lt_u32_e32 14, v0
	s_cbranch_execz .LBB104_227
; %bb.226:
	scratch_load_b64 v[86:87], off, off offset:112
	v_mov_b64_e32 v[88:89], 0
	scratch_store_b64 off, v[88:89], off offset:112
	s_wait_loadcnt 0x0
	ds_store_b64 v1, v[86:87]
.LBB104_227:
	s_wait_xcnt 0x0
	s_or_b32 exec_lo, exec_lo, s0
	s_wait_storecnt_dscnt 0x0
	s_barrier_signal -1
	s_barrier_wait -1
	s_clause 0x5
	scratch_load_b128 v[86:89], off, off offset:112
	scratch_load_b128 v[90:93], off, off offset:128
	;; [unrolled: 1-line block ×6, first 2 shown]
	ds_load_2addr_b64 v[110:113], v2 offset0:57 offset1:58
	ds_load_2addr_b64 v[114:117], v2 offset0:59 offset1:60
	scratch_load_b128 v[118:121], off, off offset:208
	s_mov_b32 s0, exec_lo
	s_wait_loadcnt_dscnt 0x601
	v_fma_f64 v[122:123], v[88:89], v[110:111], 0
	s_wait_loadcnt 0x5
	s_delay_alu instid0(VALU_DEP_1) | instskip(SKIP_4) | instid1(VALU_DEP_1)
	v_fmac_f64_e32 v[122:123], v[90:91], v[112:113]
	scratch_load_b128 v[88:91], off, off offset:224
	s_wait_dscnt 0x0
	v_fmac_f64_e32 v[122:123], v[92:93], v[114:115]
	s_wait_loadcnt 0x5
	v_fmac_f64_e32 v[122:123], v[94:95], v[116:117]
	ds_load_2addr_b64 v[92:95], v2 offset0:61 offset1:62
	ds_load_2addr_b64 v[110:113], v2 offset0:63 offset1:64
	scratch_load_b128 v[114:117], off, off offset:240
	s_wait_dscnt 0x1
	v_fmac_f64_e32 v[122:123], v[96:97], v[92:93]
	s_wait_loadcnt 0x5
	s_delay_alu instid0(VALU_DEP_1) | instskip(SKIP_4) | instid1(VALU_DEP_1)
	v_fmac_f64_e32 v[122:123], v[98:99], v[94:95]
	scratch_load_b128 v[92:95], off, off offset:256
	s_wait_dscnt 0x0
	v_fmac_f64_e32 v[122:123], v[100:101], v[110:111]
	s_wait_loadcnt 0x5
	v_fmac_f64_e32 v[122:123], v[102:103], v[112:113]
	ds_load_2addr_b64 v[96:99], v2 offset0:65 offset1:66
	ds_load_2addr_b64 v[100:103], v2 offset0:67 offset1:68
	s_wait_dscnt 0x1
	v_fmac_f64_e32 v[122:123], v[104:105], v[96:97]
	s_wait_loadcnt 0x4
	s_delay_alu instid0(VALU_DEP_1) | instskip(SKIP_4) | instid1(VALU_DEP_1)
	v_fmac_f64_e32 v[122:123], v[106:107], v[98:99]
	scratch_load_b128 v[96:99], off, off offset:272
	s_wait_dscnt 0x0
	v_fmac_f64_e32 v[122:123], v[108:109], v[100:101]
	s_wait_loadcnt 0x4
	v_fmac_f64_e32 v[122:123], v[118:119], v[102:103]
	scratch_load_b128 v[100:103], off, off offset:288
	ds_load_2addr_b64 v[104:107], v2 offset0:69 offset1:70
	ds_load_2addr_b64 v[108:111], v2 offset0:71 offset1:72
	scratch_load_b64 v[112:113], off, off offset:320
	s_wait_dscnt 0x1
	v_fmac_f64_e32 v[122:123], v[120:121], v[104:105]
	s_wait_loadcnt 0x5
	s_delay_alu instid0(VALU_DEP_1) | instskip(SKIP_4) | instid1(VALU_DEP_1)
	v_fmac_f64_e32 v[122:123], v[88:89], v[106:107]
	scratch_load_b128 v[104:107], off, off offset:304
	s_wait_dscnt 0x0
	v_fmac_f64_e32 v[122:123], v[90:91], v[108:109]
	s_wait_loadcnt 0x5
	v_fmac_f64_e32 v[122:123], v[114:115], v[110:111]
	ds_load_2addr_b64 v[88:91], v2 offset0:73 offset1:74
	ds_load_2addr_b64 v[108:111], v2 offset0:75 offset1:76
	s_wait_dscnt 0x1
	v_fmac_f64_e32 v[122:123], v[116:117], v[88:89]
	s_wait_loadcnt 0x4
	s_delay_alu instid0(VALU_DEP_1) | instskip(SKIP_1) | instid1(VALU_DEP_1)
	v_fmac_f64_e32 v[122:123], v[92:93], v[90:91]
	s_wait_dscnt 0x0
	v_fmac_f64_e32 v[122:123], v[94:95], v[108:109]
	ds_load_2addr_b64 v[88:91], v2 offset0:77 offset1:78
	ds_load_2addr_b64 v[92:95], v2 offset0:79 offset1:80
	s_wait_loadcnt 0x3
	v_fmac_f64_e32 v[122:123], v[96:97], v[110:111]
	s_wait_dscnt 0x1
	s_delay_alu instid0(VALU_DEP_1) | instskip(SKIP_1) | instid1(VALU_DEP_1)
	v_fmac_f64_e32 v[122:123], v[98:99], v[88:89]
	s_wait_loadcnt 0x2
	v_fmac_f64_e32 v[122:123], v[100:101], v[90:91]
	ds_load_2addr_b64 v[88:91], v2 offset0:81 offset1:82
	s_wait_dscnt 0x1
	v_fmac_f64_e32 v[122:123], v[102:103], v[92:93]
	s_wait_loadcnt 0x0
	s_delay_alu instid0(VALU_DEP_1) | instskip(SKIP_1) | instid1(VALU_DEP_1)
	v_fmac_f64_e32 v[122:123], v[104:105], v[94:95]
	s_wait_dscnt 0x0
	v_fmac_f64_e32 v[122:123], v[106:107], v[88:89]
	s_delay_alu instid0(VALU_DEP_1) | instskip(NEXT) | instid1(VALU_DEP_1)
	v_fmac_f64_e32 v[122:123], v[112:113], v[90:91]
	v_add_f64_e64 v[2:3], v[86:87], -v[122:123]
	scratch_store_b64 off, v[2:3], off offset:112
	s_wait_xcnt 0x0
	v_cmpx_lt_u32_e32 13, v0
	s_cbranch_execz .LBB104_229
; %bb.228:
	scratch_load_b64 v[2:3], off, off offset:104
	v_mov_b64_e32 v[86:87], 0
	scratch_store_b64 off, v[86:87], off offset:104
	s_wait_loadcnt 0x0
	ds_store_b64 v1, v[2:3]
.LBB104_229:
	s_wait_xcnt 0x0
	s_or_b32 exec_lo, exec_lo, s0
	s_wait_storecnt_dscnt 0x0
	s_barrier_signal -1
	s_barrier_wait -1
	s_clause 0x5
	scratch_load_b128 v[86:89], off, off offset:104
	scratch_load_b128 v[90:93], off, off offset:120
	;; [unrolled: 1-line block ×6, first 2 shown]
	v_mov_b32_e32 v2, 0
	ds_load_b128 v[110:113], v2 offset:448
	ds_load_b128 v[114:117], v2 offset:464
	scratch_load_b128 v[118:121], off, off offset:200
	s_mov_b32 s0, exec_lo
	s_wait_loadcnt_dscnt 0x601
	v_fma_f64 v[122:123], v[88:89], v[110:111], 0
	s_wait_loadcnt 0x5
	s_delay_alu instid0(VALU_DEP_1) | instskip(SKIP_4) | instid1(VALU_DEP_1)
	v_fmac_f64_e32 v[122:123], v[90:91], v[112:113]
	scratch_load_b128 v[88:91], off, off offset:216
	s_wait_dscnt 0x0
	v_fmac_f64_e32 v[122:123], v[92:93], v[114:115]
	s_wait_loadcnt 0x5
	v_fmac_f64_e32 v[122:123], v[94:95], v[116:117]
	ds_load_b128 v[92:95], v2 offset:480
	ds_load_b128 v[110:113], v2 offset:496
	scratch_load_b128 v[114:117], off, off offset:232
	s_wait_dscnt 0x1
	v_fmac_f64_e32 v[122:123], v[96:97], v[92:93]
	s_wait_loadcnt 0x5
	s_delay_alu instid0(VALU_DEP_1) | instskip(SKIP_4) | instid1(VALU_DEP_1)
	v_fmac_f64_e32 v[122:123], v[98:99], v[94:95]
	scratch_load_b128 v[92:95], off, off offset:248
	s_wait_dscnt 0x0
	v_fmac_f64_e32 v[122:123], v[100:101], v[110:111]
	s_wait_loadcnt 0x5
	v_fmac_f64_e32 v[122:123], v[102:103], v[112:113]
	ds_load_b128 v[96:99], v2 offset:512
	ds_load_b128 v[100:103], v2 offset:528
	s_wait_dscnt 0x1
	v_fmac_f64_e32 v[122:123], v[104:105], v[96:97]
	s_wait_loadcnt 0x4
	s_delay_alu instid0(VALU_DEP_1) | instskip(SKIP_4) | instid1(VALU_DEP_1)
	v_fmac_f64_e32 v[122:123], v[106:107], v[98:99]
	scratch_load_b128 v[96:99], off, off offset:264
	s_wait_dscnt 0x0
	v_fmac_f64_e32 v[122:123], v[108:109], v[100:101]
	s_wait_loadcnt 0x4
	v_fmac_f64_e32 v[122:123], v[118:119], v[102:103]
	scratch_load_b128 v[100:103], off, off offset:280
	ds_load_b128 v[104:107], v2 offset:544
	ds_load_b128 v[108:111], v2 offset:560
	s_wait_dscnt 0x1
	v_fmac_f64_e32 v[122:123], v[120:121], v[104:105]
	s_wait_loadcnt 0x4
	s_delay_alu instid0(VALU_DEP_1)
	v_fmac_f64_e32 v[122:123], v[88:89], v[106:107]
	scratch_load_b128 v[104:107], off, off offset:296
	s_wait_dscnt 0x0
	v_fmac_f64_e32 v[122:123], v[90:91], v[108:109]
	scratch_load_b128 v[88:91], off, off offset:312
	s_wait_loadcnt 0x5
	v_fmac_f64_e32 v[122:123], v[114:115], v[110:111]
	ds_load_b128 v[108:111], v2 offset:576
	ds_load_b128 v[112:115], v2 offset:592
	s_wait_dscnt 0x1
	v_fmac_f64_e32 v[122:123], v[116:117], v[108:109]
	s_wait_loadcnt 0x4
	s_delay_alu instid0(VALU_DEP_1) | instskip(SKIP_1) | instid1(VALU_DEP_1)
	v_fmac_f64_e32 v[122:123], v[92:93], v[110:111]
	s_wait_dscnt 0x0
	v_fmac_f64_e32 v[122:123], v[94:95], v[112:113]
	ds_load_b128 v[92:95], v2 offset:608
	ds_load_b128 v[108:111], v2 offset:624
	s_wait_loadcnt 0x3
	v_fmac_f64_e32 v[122:123], v[96:97], v[114:115]
	s_wait_dscnt 0x1
	s_delay_alu instid0(VALU_DEP_1) | instskip(SKIP_1) | instid1(VALU_DEP_1)
	v_fmac_f64_e32 v[122:123], v[98:99], v[92:93]
	s_wait_loadcnt 0x2
	v_fmac_f64_e32 v[122:123], v[100:101], v[94:95]
	ds_load_b128 v[92:95], v2 offset:640
	ds_load_b64 v[96:97], v2 offset:656
	s_wait_dscnt 0x2
	v_fmac_f64_e32 v[122:123], v[102:103], v[108:109]
	s_wait_loadcnt 0x1
	s_delay_alu instid0(VALU_DEP_1) | instskip(SKIP_1) | instid1(VALU_DEP_1)
	v_fmac_f64_e32 v[122:123], v[104:105], v[110:111]
	s_wait_dscnt 0x1
	v_fmac_f64_e32 v[122:123], v[106:107], v[92:93]
	s_wait_loadcnt 0x0
	s_delay_alu instid0(VALU_DEP_1) | instskip(SKIP_1) | instid1(VALU_DEP_1)
	v_fmac_f64_e32 v[122:123], v[88:89], v[94:95]
	s_wait_dscnt 0x0
	v_fmac_f64_e32 v[122:123], v[90:91], v[96:97]
	s_delay_alu instid0(VALU_DEP_1)
	v_add_f64_e64 v[86:87], v[86:87], -v[122:123]
	scratch_store_b64 off, v[86:87], off offset:104
	s_wait_xcnt 0x0
	v_cmpx_lt_u32_e32 12, v0
	s_cbranch_execz .LBB104_231
; %bb.230:
	scratch_load_b64 v[86:87], off, off offset:96
	v_mov_b64_e32 v[88:89], 0
	scratch_store_b64 off, v[88:89], off offset:96
	s_wait_loadcnt 0x0
	ds_store_b64 v1, v[86:87]
.LBB104_231:
	s_wait_xcnt 0x0
	s_or_b32 exec_lo, exec_lo, s0
	s_wait_storecnt_dscnt 0x0
	s_barrier_signal -1
	s_barrier_wait -1
	s_clause 0x5
	scratch_load_b128 v[86:89], off, off offset:96
	scratch_load_b128 v[90:93], off, off offset:112
	scratch_load_b128 v[94:97], off, off offset:128
	scratch_load_b128 v[98:101], off, off offset:144
	scratch_load_b128 v[102:105], off, off offset:160
	scratch_load_b128 v[106:109], off, off offset:176
	ds_load_2addr_b64 v[110:113], v2 offset0:55 offset1:56
	ds_load_2addr_b64 v[114:117], v2 offset0:57 offset1:58
	scratch_load_b128 v[118:121], off, off offset:192
	s_mov_b32 s0, exec_lo
	s_wait_loadcnt_dscnt 0x601
	v_fma_f64 v[122:123], v[88:89], v[110:111], 0
	s_wait_loadcnt 0x5
	s_delay_alu instid0(VALU_DEP_1) | instskip(SKIP_4) | instid1(VALU_DEP_1)
	v_fmac_f64_e32 v[122:123], v[90:91], v[112:113]
	scratch_load_b128 v[88:91], off, off offset:208
	s_wait_dscnt 0x0
	v_fmac_f64_e32 v[122:123], v[92:93], v[114:115]
	s_wait_loadcnt 0x5
	v_fmac_f64_e32 v[122:123], v[94:95], v[116:117]
	ds_load_2addr_b64 v[92:95], v2 offset0:59 offset1:60
	ds_load_2addr_b64 v[110:113], v2 offset0:61 offset1:62
	scratch_load_b128 v[114:117], off, off offset:224
	s_wait_dscnt 0x1
	v_fmac_f64_e32 v[122:123], v[96:97], v[92:93]
	s_wait_loadcnt 0x5
	s_delay_alu instid0(VALU_DEP_1) | instskip(SKIP_4) | instid1(VALU_DEP_1)
	v_fmac_f64_e32 v[122:123], v[98:99], v[94:95]
	scratch_load_b128 v[92:95], off, off offset:240
	s_wait_dscnt 0x0
	v_fmac_f64_e32 v[122:123], v[100:101], v[110:111]
	s_wait_loadcnt 0x5
	v_fmac_f64_e32 v[122:123], v[102:103], v[112:113]
	ds_load_2addr_b64 v[96:99], v2 offset0:63 offset1:64
	ds_load_2addr_b64 v[100:103], v2 offset0:65 offset1:66
	s_wait_dscnt 0x1
	v_fmac_f64_e32 v[122:123], v[104:105], v[96:97]
	s_wait_loadcnt 0x4
	s_delay_alu instid0(VALU_DEP_1) | instskip(SKIP_4) | instid1(VALU_DEP_1)
	v_fmac_f64_e32 v[122:123], v[106:107], v[98:99]
	scratch_load_b128 v[96:99], off, off offset:256
	s_wait_dscnt 0x0
	v_fmac_f64_e32 v[122:123], v[108:109], v[100:101]
	s_wait_loadcnt 0x4
	v_fmac_f64_e32 v[122:123], v[118:119], v[102:103]
	scratch_load_b128 v[100:103], off, off offset:272
	ds_load_2addr_b64 v[104:107], v2 offset0:67 offset1:68
	ds_load_2addr_b64 v[108:111], v2 offset0:69 offset1:70
	s_wait_dscnt 0x1
	v_fmac_f64_e32 v[122:123], v[120:121], v[104:105]
	s_wait_loadcnt 0x4
	s_delay_alu instid0(VALU_DEP_1)
	v_fmac_f64_e32 v[122:123], v[88:89], v[106:107]
	scratch_load_b128 v[104:107], off, off offset:288
	s_wait_dscnt 0x0
	v_fmac_f64_e32 v[122:123], v[90:91], v[108:109]
	scratch_load_b128 v[88:91], off, off offset:304
	s_wait_loadcnt 0x5
	v_fmac_f64_e32 v[122:123], v[114:115], v[110:111]
	ds_load_2addr_b64 v[108:111], v2 offset0:71 offset1:72
	ds_load_2addr_b64 v[112:115], v2 offset0:73 offset1:74
	s_wait_dscnt 0x1
	v_fmac_f64_e32 v[122:123], v[116:117], v[108:109]
	scratch_load_b64 v[116:117], off, off offset:320
	s_wait_loadcnt 0x5
	v_fmac_f64_e32 v[122:123], v[92:93], v[110:111]
	s_wait_dscnt 0x0
	s_delay_alu instid0(VALU_DEP_1)
	v_fmac_f64_e32 v[122:123], v[94:95], v[112:113]
	ds_load_2addr_b64 v[92:95], v2 offset0:75 offset1:76
	ds_load_2addr_b64 v[108:111], v2 offset0:77 offset1:78
	s_wait_loadcnt 0x4
	v_fmac_f64_e32 v[122:123], v[96:97], v[114:115]
	s_wait_dscnt 0x1
	s_delay_alu instid0(VALU_DEP_1) | instskip(SKIP_1) | instid1(VALU_DEP_1)
	v_fmac_f64_e32 v[122:123], v[98:99], v[92:93]
	s_wait_loadcnt 0x3
	v_fmac_f64_e32 v[122:123], v[100:101], v[94:95]
	ds_load_2addr_b64 v[92:95], v2 offset0:79 offset1:80
	ds_load_2addr_b64 v[96:99], v2 offset0:81 offset1:82
	s_wait_dscnt 0x2
	v_fmac_f64_e32 v[122:123], v[102:103], v[108:109]
	s_wait_loadcnt 0x2
	s_delay_alu instid0(VALU_DEP_1) | instskip(SKIP_1) | instid1(VALU_DEP_1)
	v_fmac_f64_e32 v[122:123], v[104:105], v[110:111]
	s_wait_dscnt 0x1
	v_fmac_f64_e32 v[122:123], v[106:107], v[92:93]
	s_wait_loadcnt 0x1
	s_delay_alu instid0(VALU_DEP_1) | instskip(SKIP_1) | instid1(VALU_DEP_1)
	v_fmac_f64_e32 v[122:123], v[88:89], v[94:95]
	s_wait_dscnt 0x0
	v_fmac_f64_e32 v[122:123], v[90:91], v[96:97]
	s_wait_loadcnt 0x0
	s_delay_alu instid0(VALU_DEP_1) | instskip(NEXT) | instid1(VALU_DEP_1)
	v_fmac_f64_e32 v[122:123], v[116:117], v[98:99]
	v_add_f64_e64 v[2:3], v[86:87], -v[122:123]
	scratch_store_b64 off, v[2:3], off offset:96
	s_wait_xcnt 0x0
	v_cmpx_lt_u32_e32 11, v0
	s_cbranch_execz .LBB104_233
; %bb.232:
	scratch_load_b64 v[2:3], off, off offset:88
	v_mov_b64_e32 v[86:87], 0
	scratch_store_b64 off, v[86:87], off offset:88
	s_wait_loadcnt 0x0
	ds_store_b64 v1, v[2:3]
.LBB104_233:
	s_wait_xcnt 0x0
	s_or_b32 exec_lo, exec_lo, s0
	s_wait_storecnt_dscnt 0x0
	s_barrier_signal -1
	s_barrier_wait -1
	s_clause 0x5
	scratch_load_b128 v[86:89], off, off offset:88
	scratch_load_b128 v[90:93], off, off offset:104
	;; [unrolled: 1-line block ×6, first 2 shown]
	v_mov_b32_e32 v2, 0
	ds_load_b128 v[110:113], v2 offset:432
	ds_load_b128 v[114:117], v2 offset:448
	scratch_load_b128 v[118:121], off, off offset:184
	s_mov_b32 s0, exec_lo
	s_wait_loadcnt_dscnt 0x601
	v_fma_f64 v[122:123], v[88:89], v[110:111], 0
	s_wait_loadcnt 0x5
	s_delay_alu instid0(VALU_DEP_1) | instskip(SKIP_4) | instid1(VALU_DEP_1)
	v_fmac_f64_e32 v[122:123], v[90:91], v[112:113]
	scratch_load_b128 v[88:91], off, off offset:200
	s_wait_dscnt 0x0
	v_fmac_f64_e32 v[122:123], v[92:93], v[114:115]
	s_wait_loadcnt 0x5
	v_fmac_f64_e32 v[122:123], v[94:95], v[116:117]
	ds_load_b128 v[92:95], v2 offset:464
	ds_load_b128 v[110:113], v2 offset:480
	scratch_load_b128 v[114:117], off, off offset:216
	s_wait_dscnt 0x1
	v_fmac_f64_e32 v[122:123], v[96:97], v[92:93]
	s_wait_loadcnt 0x5
	s_delay_alu instid0(VALU_DEP_1) | instskip(SKIP_4) | instid1(VALU_DEP_1)
	v_fmac_f64_e32 v[122:123], v[98:99], v[94:95]
	scratch_load_b128 v[92:95], off, off offset:232
	s_wait_dscnt 0x0
	v_fmac_f64_e32 v[122:123], v[100:101], v[110:111]
	s_wait_loadcnt 0x5
	v_fmac_f64_e32 v[122:123], v[102:103], v[112:113]
	ds_load_b128 v[96:99], v2 offset:496
	ds_load_b128 v[100:103], v2 offset:512
	s_wait_dscnt 0x1
	v_fmac_f64_e32 v[122:123], v[104:105], v[96:97]
	s_wait_loadcnt 0x4
	s_delay_alu instid0(VALU_DEP_1) | instskip(SKIP_4) | instid1(VALU_DEP_1)
	v_fmac_f64_e32 v[122:123], v[106:107], v[98:99]
	scratch_load_b128 v[96:99], off, off offset:248
	s_wait_dscnt 0x0
	v_fmac_f64_e32 v[122:123], v[108:109], v[100:101]
	s_wait_loadcnt 0x4
	v_fmac_f64_e32 v[122:123], v[118:119], v[102:103]
	scratch_load_b128 v[100:103], off, off offset:264
	ds_load_b128 v[104:107], v2 offset:528
	ds_load_b128 v[108:111], v2 offset:544
	s_wait_dscnt 0x1
	v_fmac_f64_e32 v[122:123], v[120:121], v[104:105]
	s_wait_loadcnt 0x4
	s_delay_alu instid0(VALU_DEP_1)
	v_fmac_f64_e32 v[122:123], v[88:89], v[106:107]
	scratch_load_b128 v[104:107], off, off offset:280
	s_wait_dscnt 0x0
	v_fmac_f64_e32 v[122:123], v[90:91], v[108:109]
	scratch_load_b128 v[88:91], off, off offset:296
	s_wait_loadcnt 0x5
	v_fmac_f64_e32 v[122:123], v[114:115], v[110:111]
	ds_load_b128 v[108:111], v2 offset:560
	ds_load_b128 v[112:115], v2 offset:576
	s_wait_dscnt 0x1
	v_fmac_f64_e32 v[122:123], v[116:117], v[108:109]
	s_wait_loadcnt 0x4
	s_delay_alu instid0(VALU_DEP_1) | instskip(SKIP_4) | instid1(VALU_DEP_1)
	v_fmac_f64_e32 v[122:123], v[92:93], v[110:111]
	scratch_load_b128 v[108:111], off, off offset:312
	s_wait_dscnt 0x0
	v_fmac_f64_e32 v[122:123], v[94:95], v[112:113]
	s_wait_loadcnt 0x4
	v_fmac_f64_e32 v[122:123], v[96:97], v[114:115]
	ds_load_b128 v[92:95], v2 offset:592
	ds_load_b128 v[112:115], v2 offset:608
	s_wait_dscnt 0x1
	v_fmac_f64_e32 v[122:123], v[98:99], v[92:93]
	s_wait_loadcnt 0x3
	s_delay_alu instid0(VALU_DEP_1)
	v_fmac_f64_e32 v[122:123], v[100:101], v[94:95]
	ds_load_b128 v[92:95], v2 offset:624
	ds_load_b128 v[96:99], v2 offset:640
	s_wait_dscnt 0x2
	v_fmac_f64_e32 v[122:123], v[102:103], v[112:113]
	s_wait_loadcnt 0x2
	s_delay_alu instid0(VALU_DEP_1) | instskip(SKIP_1) | instid1(VALU_DEP_1)
	v_fmac_f64_e32 v[122:123], v[104:105], v[114:115]
	s_wait_dscnt 0x1
	v_fmac_f64_e32 v[122:123], v[106:107], v[92:93]
	s_wait_loadcnt 0x1
	s_delay_alu instid0(VALU_DEP_1) | instskip(SKIP_4) | instid1(VALU_DEP_1)
	v_fmac_f64_e32 v[122:123], v[88:89], v[94:95]
	ds_load_b64 v[88:89], v2 offset:656
	s_wait_dscnt 0x1
	v_fmac_f64_e32 v[122:123], v[90:91], v[96:97]
	s_wait_loadcnt 0x0
	v_fmac_f64_e32 v[122:123], v[108:109], v[98:99]
	s_wait_dscnt 0x0
	s_delay_alu instid0(VALU_DEP_1) | instskip(NEXT) | instid1(VALU_DEP_1)
	v_fmac_f64_e32 v[122:123], v[110:111], v[88:89]
	v_add_f64_e64 v[86:87], v[86:87], -v[122:123]
	scratch_store_b64 off, v[86:87], off offset:88
	s_wait_xcnt 0x0
	v_cmpx_lt_u32_e32 10, v0
	s_cbranch_execz .LBB104_235
; %bb.234:
	scratch_load_b64 v[86:87], off, off offset:80
	v_mov_b64_e32 v[88:89], 0
	scratch_store_b64 off, v[88:89], off offset:80
	s_wait_loadcnt 0x0
	ds_store_b64 v1, v[86:87]
.LBB104_235:
	s_wait_xcnt 0x0
	s_or_b32 exec_lo, exec_lo, s0
	s_wait_storecnt_dscnt 0x0
	s_barrier_signal -1
	s_barrier_wait -1
	s_clause 0x5
	scratch_load_b128 v[86:89], off, off offset:80
	scratch_load_b128 v[90:93], off, off offset:96
	;; [unrolled: 1-line block ×6, first 2 shown]
	ds_load_2addr_b64 v[110:113], v2 offset0:53 offset1:54
	ds_load_2addr_b64 v[114:117], v2 offset0:55 offset1:56
	scratch_load_b128 v[118:121], off, off offset:176
	s_mov_b32 s0, exec_lo
	s_wait_loadcnt_dscnt 0x601
	v_fma_f64 v[122:123], v[88:89], v[110:111], 0
	s_wait_loadcnt 0x5
	s_delay_alu instid0(VALU_DEP_1) | instskip(SKIP_4) | instid1(VALU_DEP_1)
	v_fmac_f64_e32 v[122:123], v[90:91], v[112:113]
	scratch_load_b128 v[88:91], off, off offset:192
	s_wait_dscnt 0x0
	v_fmac_f64_e32 v[122:123], v[92:93], v[114:115]
	s_wait_loadcnt 0x5
	v_fmac_f64_e32 v[122:123], v[94:95], v[116:117]
	ds_load_2addr_b64 v[92:95], v2 offset0:57 offset1:58
	ds_load_2addr_b64 v[110:113], v2 offset0:59 offset1:60
	scratch_load_b128 v[114:117], off, off offset:208
	s_wait_dscnt 0x1
	v_fmac_f64_e32 v[122:123], v[96:97], v[92:93]
	s_wait_loadcnt 0x5
	s_delay_alu instid0(VALU_DEP_1) | instskip(SKIP_4) | instid1(VALU_DEP_1)
	v_fmac_f64_e32 v[122:123], v[98:99], v[94:95]
	scratch_load_b128 v[92:95], off, off offset:224
	s_wait_dscnt 0x0
	v_fmac_f64_e32 v[122:123], v[100:101], v[110:111]
	s_wait_loadcnt 0x5
	v_fmac_f64_e32 v[122:123], v[102:103], v[112:113]
	ds_load_2addr_b64 v[96:99], v2 offset0:61 offset1:62
	ds_load_2addr_b64 v[100:103], v2 offset0:63 offset1:64
	scratch_load_b128 v[110:113], off, off offset:240
	s_wait_dscnt 0x1
	v_fmac_f64_e32 v[122:123], v[104:105], v[96:97]
	s_wait_loadcnt 0x5
	s_delay_alu instid0(VALU_DEP_1) | instskip(SKIP_4) | instid1(VALU_DEP_1)
	v_fmac_f64_e32 v[122:123], v[106:107], v[98:99]
	scratch_load_b128 v[96:99], off, off offset:256
	s_wait_dscnt 0x0
	v_fmac_f64_e32 v[122:123], v[108:109], v[100:101]
	s_wait_loadcnt 0x5
	v_fmac_f64_e32 v[122:123], v[118:119], v[102:103]
	ds_load_2addr_b64 v[100:103], v2 offset0:65 offset1:66
	ds_load_2addr_b64 v[104:107], v2 offset0:67 offset1:68
	s_wait_dscnt 0x1
	v_fmac_f64_e32 v[122:123], v[120:121], v[100:101]
	s_wait_loadcnt 0x4
	s_delay_alu instid0(VALU_DEP_1)
	v_fmac_f64_e32 v[122:123], v[88:89], v[102:103]
	scratch_load_b128 v[100:103], off, off offset:272
	s_wait_dscnt 0x0
	v_fmac_f64_e32 v[122:123], v[90:91], v[104:105]
	scratch_load_b128 v[88:91], off, off offset:288
	s_wait_loadcnt 0x5
	v_fmac_f64_e32 v[122:123], v[114:115], v[106:107]
	ds_load_2addr_b64 v[104:107], v2 offset0:69 offset1:70
	ds_load_2addr_b64 v[118:121], v2 offset0:71 offset1:72
	scratch_load_b64 v[114:115], off, off offset:320
	s_wait_dscnt 0x1
	v_fmac_f64_e32 v[122:123], v[116:117], v[104:105]
	s_wait_loadcnt 0x5
	s_delay_alu instid0(VALU_DEP_1) | instskip(SKIP_4) | instid1(VALU_DEP_1)
	v_fmac_f64_e32 v[122:123], v[92:93], v[106:107]
	scratch_load_b128 v[104:107], off, off offset:304
	s_wait_dscnt 0x0
	v_fmac_f64_e32 v[122:123], v[94:95], v[118:119]
	s_wait_loadcnt 0x5
	v_fmac_f64_e32 v[122:123], v[110:111], v[120:121]
	ds_load_2addr_b64 v[92:95], v2 offset0:73 offset1:74
	ds_load_2addr_b64 v[108:111], v2 offset0:75 offset1:76
	s_wait_dscnt 0x1
	v_fmac_f64_e32 v[122:123], v[112:113], v[92:93]
	s_wait_loadcnt 0x4
	s_delay_alu instid0(VALU_DEP_1) | instskip(SKIP_1) | instid1(VALU_DEP_1)
	v_fmac_f64_e32 v[122:123], v[96:97], v[94:95]
	s_wait_dscnt 0x0
	v_fmac_f64_e32 v[122:123], v[98:99], v[108:109]
	ds_load_2addr_b64 v[92:95], v2 offset0:77 offset1:78
	ds_load_2addr_b64 v[96:99], v2 offset0:79 offset1:80
	s_wait_loadcnt 0x3
	v_fmac_f64_e32 v[122:123], v[100:101], v[110:111]
	s_wait_dscnt 0x1
	s_delay_alu instid0(VALU_DEP_1) | instskip(SKIP_1) | instid1(VALU_DEP_1)
	v_fmac_f64_e32 v[122:123], v[102:103], v[92:93]
	s_wait_loadcnt 0x2
	v_fmac_f64_e32 v[122:123], v[88:89], v[94:95]
	s_wait_dscnt 0x0
	s_delay_alu instid0(VALU_DEP_1) | instskip(SKIP_4) | instid1(VALU_DEP_1)
	v_fmac_f64_e32 v[122:123], v[90:91], v[96:97]
	ds_load_2addr_b64 v[88:91], v2 offset0:81 offset1:82
	s_wait_loadcnt 0x0
	v_fmac_f64_e32 v[122:123], v[104:105], v[98:99]
	s_wait_dscnt 0x0
	v_fmac_f64_e32 v[122:123], v[106:107], v[88:89]
	s_delay_alu instid0(VALU_DEP_1) | instskip(NEXT) | instid1(VALU_DEP_1)
	v_fmac_f64_e32 v[122:123], v[114:115], v[90:91]
	v_add_f64_e64 v[2:3], v[86:87], -v[122:123]
	scratch_store_b64 off, v[2:3], off offset:80
	s_wait_xcnt 0x0
	v_cmpx_lt_u32_e32 9, v0
	s_cbranch_execz .LBB104_237
; %bb.236:
	scratch_load_b64 v[2:3], off, off offset:72
	v_mov_b64_e32 v[86:87], 0
	scratch_store_b64 off, v[86:87], off offset:72
	s_wait_loadcnt 0x0
	ds_store_b64 v1, v[2:3]
.LBB104_237:
	s_wait_xcnt 0x0
	s_or_b32 exec_lo, exec_lo, s0
	s_wait_storecnt_dscnt 0x0
	s_barrier_signal -1
	s_barrier_wait -1
	s_clause 0x5
	scratch_load_b128 v[86:89], off, off offset:72
	scratch_load_b128 v[90:93], off, off offset:88
	;; [unrolled: 1-line block ×6, first 2 shown]
	v_mov_b32_e32 v2, 0
	ds_load_b128 v[110:113], v2 offset:416
	ds_load_b128 v[114:117], v2 offset:432
	scratch_load_b128 v[118:121], off, off offset:168
	s_mov_b32 s0, exec_lo
	s_wait_loadcnt_dscnt 0x601
	v_fma_f64 v[122:123], v[88:89], v[110:111], 0
	s_wait_loadcnt 0x5
	s_delay_alu instid0(VALU_DEP_1) | instskip(SKIP_4) | instid1(VALU_DEP_1)
	v_fmac_f64_e32 v[122:123], v[90:91], v[112:113]
	scratch_load_b128 v[88:91], off, off offset:184
	s_wait_dscnt 0x0
	v_fmac_f64_e32 v[122:123], v[92:93], v[114:115]
	s_wait_loadcnt 0x5
	v_fmac_f64_e32 v[122:123], v[94:95], v[116:117]
	ds_load_b128 v[92:95], v2 offset:448
	ds_load_b128 v[110:113], v2 offset:464
	scratch_load_b128 v[114:117], off, off offset:200
	s_wait_dscnt 0x1
	v_fmac_f64_e32 v[122:123], v[96:97], v[92:93]
	s_wait_loadcnt 0x5
	s_delay_alu instid0(VALU_DEP_1) | instskip(SKIP_4) | instid1(VALU_DEP_1)
	v_fmac_f64_e32 v[122:123], v[98:99], v[94:95]
	scratch_load_b128 v[92:95], off, off offset:216
	s_wait_dscnt 0x0
	v_fmac_f64_e32 v[122:123], v[100:101], v[110:111]
	s_wait_loadcnt 0x5
	v_fmac_f64_e32 v[122:123], v[102:103], v[112:113]
	ds_load_b128 v[96:99], v2 offset:480
	ds_load_b128 v[100:103], v2 offset:496
	scratch_load_b128 v[110:113], off, off offset:232
	s_wait_dscnt 0x1
	v_fmac_f64_e32 v[122:123], v[104:105], v[96:97]
	s_wait_loadcnt 0x5
	s_delay_alu instid0(VALU_DEP_1) | instskip(SKIP_4) | instid1(VALU_DEP_1)
	v_fmac_f64_e32 v[122:123], v[106:107], v[98:99]
	scratch_load_b128 v[96:99], off, off offset:248
	s_wait_dscnt 0x0
	v_fmac_f64_e32 v[122:123], v[108:109], v[100:101]
	s_wait_loadcnt 0x5
	v_fmac_f64_e32 v[122:123], v[118:119], v[102:103]
	ds_load_b128 v[100:103], v2 offset:512
	ds_load_b128 v[104:107], v2 offset:528
	s_wait_dscnt 0x1
	v_fmac_f64_e32 v[122:123], v[120:121], v[100:101]
	s_wait_loadcnt 0x4
	s_delay_alu instid0(VALU_DEP_1)
	v_fmac_f64_e32 v[122:123], v[88:89], v[102:103]
	scratch_load_b128 v[100:103], off, off offset:264
	s_wait_dscnt 0x0
	v_fmac_f64_e32 v[122:123], v[90:91], v[104:105]
	scratch_load_b128 v[88:91], off, off offset:280
	s_wait_loadcnt 0x5
	v_fmac_f64_e32 v[122:123], v[114:115], v[106:107]
	ds_load_b128 v[104:107], v2 offset:544
	ds_load_b128 v[118:121], v2 offset:560
	s_wait_dscnt 0x1
	v_fmac_f64_e32 v[122:123], v[116:117], v[104:105]
	s_wait_loadcnt 0x4
	s_delay_alu instid0(VALU_DEP_1)
	v_fmac_f64_e32 v[122:123], v[92:93], v[106:107]
	scratch_load_b128 v[104:107], off, off offset:296
	s_wait_dscnt 0x0
	v_fmac_f64_e32 v[122:123], v[94:95], v[118:119]
	scratch_load_b128 v[92:95], off, off offset:312
	s_wait_loadcnt 0x5
	v_fmac_f64_e32 v[122:123], v[110:111], v[120:121]
	ds_load_b128 v[108:111], v2 offset:576
	ds_load_b128 v[114:117], v2 offset:592
	s_wait_dscnt 0x1
	v_fmac_f64_e32 v[122:123], v[112:113], v[108:109]
	s_wait_loadcnt 0x4
	s_delay_alu instid0(VALU_DEP_1) | instskip(SKIP_1) | instid1(VALU_DEP_1)
	v_fmac_f64_e32 v[122:123], v[96:97], v[110:111]
	s_wait_dscnt 0x0
	v_fmac_f64_e32 v[122:123], v[98:99], v[114:115]
	ds_load_b128 v[96:99], v2 offset:608
	ds_load_b128 v[108:111], v2 offset:624
	s_wait_loadcnt 0x3
	v_fmac_f64_e32 v[122:123], v[100:101], v[116:117]
	s_wait_dscnt 0x1
	s_delay_alu instid0(VALU_DEP_1) | instskip(SKIP_1) | instid1(VALU_DEP_1)
	v_fmac_f64_e32 v[122:123], v[102:103], v[96:97]
	s_wait_loadcnt 0x2
	v_fmac_f64_e32 v[122:123], v[88:89], v[98:99]
	s_wait_dscnt 0x0
	s_delay_alu instid0(VALU_DEP_1)
	v_fmac_f64_e32 v[122:123], v[90:91], v[108:109]
	ds_load_b128 v[88:91], v2 offset:640
	ds_load_b64 v[96:97], v2 offset:656
	s_wait_loadcnt 0x1
	v_fmac_f64_e32 v[122:123], v[104:105], v[110:111]
	s_wait_dscnt 0x1
	s_delay_alu instid0(VALU_DEP_1) | instskip(SKIP_1) | instid1(VALU_DEP_1)
	v_fmac_f64_e32 v[122:123], v[106:107], v[88:89]
	s_wait_loadcnt 0x0
	v_fmac_f64_e32 v[122:123], v[92:93], v[90:91]
	s_wait_dscnt 0x0
	s_delay_alu instid0(VALU_DEP_1) | instskip(NEXT) | instid1(VALU_DEP_1)
	v_fmac_f64_e32 v[122:123], v[94:95], v[96:97]
	v_add_f64_e64 v[86:87], v[86:87], -v[122:123]
	scratch_store_b64 off, v[86:87], off offset:72
	s_wait_xcnt 0x0
	v_cmpx_lt_u32_e32 8, v0
	s_cbranch_execz .LBB104_239
; %bb.238:
	scratch_load_b64 v[86:87], off, off offset:64
	v_mov_b64_e32 v[88:89], 0
	scratch_store_b64 off, v[88:89], off offset:64
	s_wait_loadcnt 0x0
	ds_store_b64 v1, v[86:87]
.LBB104_239:
	s_wait_xcnt 0x0
	s_or_b32 exec_lo, exec_lo, s0
	s_wait_storecnt_dscnt 0x0
	s_barrier_signal -1
	s_barrier_wait -1
	s_clause 0x5
	scratch_load_b128 v[86:89], off, off offset:64
	scratch_load_b128 v[90:93], off, off offset:80
	;; [unrolled: 1-line block ×6, first 2 shown]
	ds_load_2addr_b64 v[110:113], v2 offset0:51 offset1:52
	ds_load_2addr_b64 v[114:117], v2 offset0:53 offset1:54
	scratch_load_b128 v[118:121], off, off offset:160
	s_mov_b32 s0, exec_lo
	s_wait_loadcnt_dscnt 0x601
	v_fma_f64 v[122:123], v[88:89], v[110:111], 0
	s_wait_loadcnt 0x5
	s_delay_alu instid0(VALU_DEP_1) | instskip(SKIP_4) | instid1(VALU_DEP_1)
	v_fmac_f64_e32 v[122:123], v[90:91], v[112:113]
	scratch_load_b128 v[88:91], off, off offset:176
	s_wait_dscnt 0x0
	v_fmac_f64_e32 v[122:123], v[92:93], v[114:115]
	s_wait_loadcnt 0x5
	v_fmac_f64_e32 v[122:123], v[94:95], v[116:117]
	ds_load_2addr_b64 v[92:95], v2 offset0:55 offset1:56
	ds_load_2addr_b64 v[110:113], v2 offset0:57 offset1:58
	scratch_load_b128 v[114:117], off, off offset:192
	s_wait_dscnt 0x1
	v_fmac_f64_e32 v[122:123], v[96:97], v[92:93]
	s_wait_loadcnt 0x5
	s_delay_alu instid0(VALU_DEP_1) | instskip(SKIP_4) | instid1(VALU_DEP_1)
	v_fmac_f64_e32 v[122:123], v[98:99], v[94:95]
	scratch_load_b128 v[92:95], off, off offset:208
	s_wait_dscnt 0x0
	v_fmac_f64_e32 v[122:123], v[100:101], v[110:111]
	s_wait_loadcnt 0x5
	v_fmac_f64_e32 v[122:123], v[102:103], v[112:113]
	ds_load_2addr_b64 v[96:99], v2 offset0:59 offset1:60
	ds_load_2addr_b64 v[100:103], v2 offset0:61 offset1:62
	scratch_load_b128 v[110:113], off, off offset:224
	s_wait_dscnt 0x1
	v_fmac_f64_e32 v[122:123], v[104:105], v[96:97]
	s_wait_loadcnt 0x5
	s_delay_alu instid0(VALU_DEP_1) | instskip(SKIP_4) | instid1(VALU_DEP_1)
	v_fmac_f64_e32 v[122:123], v[106:107], v[98:99]
	scratch_load_b128 v[96:99], off, off offset:240
	s_wait_dscnt 0x0
	v_fmac_f64_e32 v[122:123], v[108:109], v[100:101]
	s_wait_loadcnt 0x5
	v_fmac_f64_e32 v[122:123], v[118:119], v[102:103]
	ds_load_2addr_b64 v[100:103], v2 offset0:63 offset1:64
	ds_load_2addr_b64 v[104:107], v2 offset0:65 offset1:66
	s_wait_dscnt 0x1
	v_fmac_f64_e32 v[122:123], v[120:121], v[100:101]
	s_wait_loadcnt 0x4
	s_delay_alu instid0(VALU_DEP_1)
	v_fmac_f64_e32 v[122:123], v[88:89], v[102:103]
	scratch_load_b128 v[100:103], off, off offset:256
	s_wait_dscnt 0x0
	v_fmac_f64_e32 v[122:123], v[90:91], v[104:105]
	scratch_load_b128 v[88:91], off, off offset:272
	s_wait_loadcnt 0x5
	v_fmac_f64_e32 v[122:123], v[114:115], v[106:107]
	ds_load_2addr_b64 v[104:107], v2 offset0:67 offset1:68
	ds_load_2addr_b64 v[118:121], v2 offset0:69 offset1:70
	s_wait_dscnt 0x1
	v_fmac_f64_e32 v[122:123], v[116:117], v[104:105]
	s_wait_loadcnt 0x4
	s_delay_alu instid0(VALU_DEP_1)
	v_fmac_f64_e32 v[122:123], v[92:93], v[106:107]
	scratch_load_b128 v[104:107], off, off offset:288
	s_wait_dscnt 0x0
	v_fmac_f64_e32 v[122:123], v[94:95], v[118:119]
	scratch_load_b128 v[92:95], off, off offset:304
	s_wait_loadcnt 0x5
	v_fmac_f64_e32 v[122:123], v[110:111], v[120:121]
	ds_load_2addr_b64 v[108:111], v2 offset0:71 offset1:72
	ds_load_2addr_b64 v[114:117], v2 offset0:73 offset1:74
	s_wait_dscnt 0x1
	v_fmac_f64_e32 v[122:123], v[112:113], v[108:109]
	scratch_load_b64 v[112:113], off, off offset:320
	s_wait_loadcnt 0x5
	v_fmac_f64_e32 v[122:123], v[96:97], v[110:111]
	s_wait_dscnt 0x0
	s_delay_alu instid0(VALU_DEP_1)
	v_fmac_f64_e32 v[122:123], v[98:99], v[114:115]
	ds_load_2addr_b64 v[96:99], v2 offset0:75 offset1:76
	ds_load_2addr_b64 v[108:111], v2 offset0:77 offset1:78
	s_wait_loadcnt 0x4
	v_fmac_f64_e32 v[122:123], v[100:101], v[116:117]
	s_wait_dscnt 0x1
	s_delay_alu instid0(VALU_DEP_1) | instskip(SKIP_1) | instid1(VALU_DEP_1)
	v_fmac_f64_e32 v[122:123], v[102:103], v[96:97]
	s_wait_loadcnt 0x3
	v_fmac_f64_e32 v[122:123], v[88:89], v[98:99]
	s_wait_dscnt 0x0
	s_delay_alu instid0(VALU_DEP_1)
	v_fmac_f64_e32 v[122:123], v[90:91], v[108:109]
	ds_load_2addr_b64 v[88:91], v2 offset0:79 offset1:80
	ds_load_2addr_b64 v[96:99], v2 offset0:81 offset1:82
	s_wait_loadcnt 0x2
	v_fmac_f64_e32 v[122:123], v[104:105], v[110:111]
	s_wait_dscnt 0x1
	s_delay_alu instid0(VALU_DEP_1) | instskip(SKIP_1) | instid1(VALU_DEP_1)
	v_fmac_f64_e32 v[122:123], v[106:107], v[88:89]
	s_wait_loadcnt 0x1
	v_fmac_f64_e32 v[122:123], v[92:93], v[90:91]
	s_wait_dscnt 0x0
	s_delay_alu instid0(VALU_DEP_1) | instskip(SKIP_1) | instid1(VALU_DEP_1)
	v_fmac_f64_e32 v[122:123], v[94:95], v[96:97]
	s_wait_loadcnt 0x0
	v_fmac_f64_e32 v[122:123], v[112:113], v[98:99]
	s_delay_alu instid0(VALU_DEP_1)
	v_add_f64_e64 v[2:3], v[86:87], -v[122:123]
	scratch_store_b64 off, v[2:3], off offset:64
	s_wait_xcnt 0x0
	v_cmpx_lt_u32_e32 7, v0
	s_cbranch_execz .LBB104_241
; %bb.240:
	scratch_load_b64 v[2:3], off, off offset:56
	v_mov_b64_e32 v[86:87], 0
	scratch_store_b64 off, v[86:87], off offset:56
	s_wait_loadcnt 0x0
	ds_store_b64 v1, v[2:3]
.LBB104_241:
	s_wait_xcnt 0x0
	s_or_b32 exec_lo, exec_lo, s0
	s_wait_storecnt_dscnt 0x0
	s_barrier_signal -1
	s_barrier_wait -1
	s_clause 0x5
	scratch_load_b128 v[86:89], off, off offset:56
	scratch_load_b128 v[90:93], off, off offset:72
	;; [unrolled: 1-line block ×6, first 2 shown]
	v_mov_b32_e32 v2, 0
	ds_load_b128 v[110:113], v2 offset:400
	ds_load_b128 v[114:117], v2 offset:416
	scratch_load_b128 v[118:121], off, off offset:152
	s_mov_b32 s0, exec_lo
	s_wait_loadcnt_dscnt 0x601
	v_fma_f64 v[122:123], v[88:89], v[110:111], 0
	s_wait_loadcnt 0x5
	s_delay_alu instid0(VALU_DEP_1) | instskip(SKIP_4) | instid1(VALU_DEP_1)
	v_fmac_f64_e32 v[122:123], v[90:91], v[112:113]
	scratch_load_b128 v[88:91], off, off offset:168
	s_wait_dscnt 0x0
	v_fmac_f64_e32 v[122:123], v[92:93], v[114:115]
	s_wait_loadcnt 0x5
	v_fmac_f64_e32 v[122:123], v[94:95], v[116:117]
	ds_load_b128 v[92:95], v2 offset:432
	ds_load_b128 v[110:113], v2 offset:448
	scratch_load_b128 v[114:117], off, off offset:184
	s_wait_dscnt 0x1
	v_fmac_f64_e32 v[122:123], v[96:97], v[92:93]
	s_wait_loadcnt 0x5
	s_delay_alu instid0(VALU_DEP_1) | instskip(SKIP_4) | instid1(VALU_DEP_1)
	v_fmac_f64_e32 v[122:123], v[98:99], v[94:95]
	scratch_load_b128 v[92:95], off, off offset:200
	s_wait_dscnt 0x0
	v_fmac_f64_e32 v[122:123], v[100:101], v[110:111]
	s_wait_loadcnt 0x5
	v_fmac_f64_e32 v[122:123], v[102:103], v[112:113]
	ds_load_b128 v[96:99], v2 offset:464
	ds_load_b128 v[100:103], v2 offset:480
	scratch_load_b128 v[110:113], off, off offset:216
	s_wait_dscnt 0x1
	v_fmac_f64_e32 v[122:123], v[104:105], v[96:97]
	s_wait_loadcnt 0x5
	s_delay_alu instid0(VALU_DEP_1) | instskip(SKIP_4) | instid1(VALU_DEP_1)
	v_fmac_f64_e32 v[122:123], v[106:107], v[98:99]
	scratch_load_b128 v[96:99], off, off offset:232
	s_wait_dscnt 0x0
	v_fmac_f64_e32 v[122:123], v[108:109], v[100:101]
	s_wait_loadcnt 0x5
	v_fmac_f64_e32 v[122:123], v[118:119], v[102:103]
	ds_load_b128 v[100:103], v2 offset:496
	ds_load_b128 v[104:107], v2 offset:512
	s_wait_dscnt 0x1
	v_fmac_f64_e32 v[122:123], v[120:121], v[100:101]
	s_wait_loadcnt 0x4
	s_delay_alu instid0(VALU_DEP_1)
	v_fmac_f64_e32 v[122:123], v[88:89], v[102:103]
	scratch_load_b128 v[100:103], off, off offset:248
	s_wait_dscnt 0x0
	v_fmac_f64_e32 v[122:123], v[90:91], v[104:105]
	scratch_load_b128 v[88:91], off, off offset:264
	s_wait_loadcnt 0x5
	v_fmac_f64_e32 v[122:123], v[114:115], v[106:107]
	ds_load_b128 v[104:107], v2 offset:528
	ds_load_b128 v[118:121], v2 offset:544
	s_wait_dscnt 0x1
	v_fmac_f64_e32 v[122:123], v[116:117], v[104:105]
	s_wait_loadcnt 0x4
	s_delay_alu instid0(VALU_DEP_1)
	v_fmac_f64_e32 v[122:123], v[92:93], v[106:107]
	scratch_load_b128 v[104:107], off, off offset:280
	s_wait_dscnt 0x0
	v_fmac_f64_e32 v[122:123], v[94:95], v[118:119]
	scratch_load_b128 v[92:95], off, off offset:296
	s_wait_loadcnt 0x5
	v_fmac_f64_e32 v[122:123], v[110:111], v[120:121]
	ds_load_b128 v[108:111], v2 offset:560
	ds_load_b128 v[114:117], v2 offset:576
	s_wait_dscnt 0x1
	v_fmac_f64_e32 v[122:123], v[112:113], v[108:109]
	s_wait_loadcnt 0x4
	s_delay_alu instid0(VALU_DEP_1)
	v_fmac_f64_e32 v[122:123], v[96:97], v[110:111]
	scratch_load_b128 v[108:111], off, off offset:312
	s_wait_dscnt 0x0
	v_fmac_f64_e32 v[122:123], v[98:99], v[114:115]
	ds_load_b128 v[96:99], v2 offset:592
	ds_load_b128 v[112:115], v2 offset:608
	s_wait_loadcnt 0x4
	v_fmac_f64_e32 v[122:123], v[100:101], v[116:117]
	s_wait_dscnt 0x1
	s_delay_alu instid0(VALU_DEP_1) | instskip(SKIP_1) | instid1(VALU_DEP_1)
	v_fmac_f64_e32 v[122:123], v[102:103], v[96:97]
	s_wait_loadcnt 0x3
	v_fmac_f64_e32 v[122:123], v[88:89], v[98:99]
	s_wait_dscnt 0x0
	s_delay_alu instid0(VALU_DEP_1)
	v_fmac_f64_e32 v[122:123], v[90:91], v[112:113]
	ds_load_b128 v[88:91], v2 offset:624
	ds_load_b128 v[96:99], v2 offset:640
	s_wait_loadcnt 0x2
	v_fmac_f64_e32 v[122:123], v[104:105], v[114:115]
	s_wait_dscnt 0x1
	s_delay_alu instid0(VALU_DEP_1) | instskip(SKIP_4) | instid1(VALU_DEP_1)
	v_fmac_f64_e32 v[122:123], v[106:107], v[88:89]
	ds_load_b64 v[88:89], v2 offset:656
	s_wait_loadcnt 0x1
	v_fmac_f64_e32 v[122:123], v[92:93], v[90:91]
	s_wait_dscnt 0x1
	v_fmac_f64_e32 v[122:123], v[94:95], v[96:97]
	s_wait_loadcnt 0x0
	s_delay_alu instid0(VALU_DEP_1) | instskip(SKIP_1) | instid1(VALU_DEP_1)
	v_fmac_f64_e32 v[122:123], v[108:109], v[98:99]
	s_wait_dscnt 0x0
	v_fmac_f64_e32 v[122:123], v[110:111], v[88:89]
	s_delay_alu instid0(VALU_DEP_1)
	v_add_f64_e64 v[86:87], v[86:87], -v[122:123]
	scratch_store_b64 off, v[86:87], off offset:56
	s_wait_xcnt 0x0
	v_cmpx_lt_u32_e32 6, v0
	s_cbranch_execz .LBB104_243
; %bb.242:
	scratch_load_b64 v[86:87], off, off offset:48
	v_mov_b64_e32 v[88:89], 0
	scratch_store_b64 off, v[88:89], off offset:48
	s_wait_loadcnt 0x0
	ds_store_b64 v1, v[86:87]
.LBB104_243:
	s_wait_xcnt 0x0
	s_or_b32 exec_lo, exec_lo, s0
	s_wait_storecnt_dscnt 0x0
	s_barrier_signal -1
	s_barrier_wait -1
	s_clause 0x5
	scratch_load_b128 v[86:89], off, off offset:48
	scratch_load_b128 v[90:93], off, off offset:64
	;; [unrolled: 1-line block ×6, first 2 shown]
	ds_load_2addr_b64 v[110:113], v2 offset0:49 offset1:50
	ds_load_2addr_b64 v[114:117], v2 offset0:51 offset1:52
	scratch_load_b128 v[118:121], off, off offset:144
	s_mov_b32 s0, exec_lo
	s_wait_loadcnt_dscnt 0x601
	v_fma_f64 v[122:123], v[88:89], v[110:111], 0
	s_wait_loadcnt 0x5
	s_delay_alu instid0(VALU_DEP_1) | instskip(SKIP_4) | instid1(VALU_DEP_1)
	v_fmac_f64_e32 v[122:123], v[90:91], v[112:113]
	scratch_load_b128 v[88:91], off, off offset:160
	s_wait_dscnt 0x0
	v_fmac_f64_e32 v[122:123], v[92:93], v[114:115]
	s_wait_loadcnt 0x5
	v_fmac_f64_e32 v[122:123], v[94:95], v[116:117]
	ds_load_2addr_b64 v[92:95], v2 offset0:53 offset1:54
	ds_load_2addr_b64 v[110:113], v2 offset0:55 offset1:56
	scratch_load_b128 v[114:117], off, off offset:176
	s_wait_dscnt 0x1
	v_fmac_f64_e32 v[122:123], v[96:97], v[92:93]
	s_wait_loadcnt 0x5
	s_delay_alu instid0(VALU_DEP_1) | instskip(SKIP_4) | instid1(VALU_DEP_1)
	v_fmac_f64_e32 v[122:123], v[98:99], v[94:95]
	scratch_load_b128 v[92:95], off, off offset:192
	s_wait_dscnt 0x0
	v_fmac_f64_e32 v[122:123], v[100:101], v[110:111]
	s_wait_loadcnt 0x5
	v_fmac_f64_e32 v[122:123], v[102:103], v[112:113]
	ds_load_2addr_b64 v[96:99], v2 offset0:57 offset1:58
	ds_load_2addr_b64 v[100:103], v2 offset0:59 offset1:60
	scratch_load_b128 v[110:113], off, off offset:208
	s_wait_dscnt 0x1
	v_fmac_f64_e32 v[122:123], v[104:105], v[96:97]
	s_wait_loadcnt 0x5
	s_delay_alu instid0(VALU_DEP_1) | instskip(SKIP_4) | instid1(VALU_DEP_1)
	v_fmac_f64_e32 v[122:123], v[106:107], v[98:99]
	scratch_load_b128 v[96:99], off, off offset:224
	s_wait_dscnt 0x0
	v_fmac_f64_e32 v[122:123], v[108:109], v[100:101]
	s_wait_loadcnt 0x5
	v_fmac_f64_e32 v[122:123], v[118:119], v[102:103]
	ds_load_2addr_b64 v[100:103], v2 offset0:61 offset1:62
	ds_load_2addr_b64 v[104:107], v2 offset0:63 offset1:64
	s_wait_dscnt 0x1
	v_fmac_f64_e32 v[122:123], v[120:121], v[100:101]
	scratch_load_b128 v[118:121], off, off offset:240
	s_wait_loadcnt 0x5
	v_fmac_f64_e32 v[122:123], v[88:89], v[102:103]
	s_wait_dscnt 0x0
	s_delay_alu instid0(VALU_DEP_1)
	v_fmac_f64_e32 v[122:123], v[90:91], v[104:105]
	scratch_load_b128 v[88:91], off, off offset:256
	s_wait_loadcnt 0x5
	v_fmac_f64_e32 v[122:123], v[114:115], v[106:107]
	ds_load_2addr_b64 v[100:103], v2 offset0:65 offset1:66
	ds_load_2addr_b64 v[104:107], v2 offset0:67 offset1:68
	s_wait_dscnt 0x1
	v_fmac_f64_e32 v[122:123], v[116:117], v[100:101]
	s_wait_loadcnt 0x4
	s_delay_alu instid0(VALU_DEP_1)
	v_fmac_f64_e32 v[122:123], v[92:93], v[102:103]
	scratch_load_b128 v[100:103], off, off offset:272
	s_wait_dscnt 0x0
	v_fmac_f64_e32 v[122:123], v[94:95], v[104:105]
	scratch_load_b128 v[92:95], off, off offset:288
	s_wait_loadcnt 0x5
	v_fmac_f64_e32 v[122:123], v[110:111], v[106:107]
	ds_load_2addr_b64 v[104:107], v2 offset0:69 offset1:70
	ds_load_2addr_b64 v[108:111], v2 offset0:71 offset1:72
	s_wait_dscnt 0x1
	v_fmac_f64_e32 v[122:123], v[112:113], v[104:105]
	scratch_load_b64 v[112:113], off, off offset:320
	s_wait_loadcnt 0x5
	v_fmac_f64_e32 v[122:123], v[96:97], v[106:107]
	scratch_load_b128 v[104:107], off, off offset:304
	s_wait_dscnt 0x0
	v_fmac_f64_e32 v[122:123], v[98:99], v[108:109]
	s_wait_loadcnt 0x5
	s_delay_alu instid0(VALU_DEP_1)
	v_fmac_f64_e32 v[122:123], v[118:119], v[110:111]
	ds_load_2addr_b64 v[96:99], v2 offset0:73 offset1:74
	ds_load_2addr_b64 v[108:111], v2 offset0:75 offset1:76
	s_wait_dscnt 0x1
	v_fmac_f64_e32 v[122:123], v[120:121], v[96:97]
	s_wait_loadcnt 0x4
	s_delay_alu instid0(VALU_DEP_1) | instskip(SKIP_1) | instid1(VALU_DEP_1)
	v_fmac_f64_e32 v[122:123], v[88:89], v[98:99]
	s_wait_dscnt 0x0
	v_fmac_f64_e32 v[122:123], v[90:91], v[108:109]
	ds_load_2addr_b64 v[88:91], v2 offset0:77 offset1:78
	ds_load_2addr_b64 v[96:99], v2 offset0:79 offset1:80
	s_wait_loadcnt 0x3
	v_fmac_f64_e32 v[122:123], v[100:101], v[110:111]
	s_wait_dscnt 0x1
	s_delay_alu instid0(VALU_DEP_1) | instskip(SKIP_1) | instid1(VALU_DEP_1)
	v_fmac_f64_e32 v[122:123], v[102:103], v[88:89]
	s_wait_loadcnt 0x2
	v_fmac_f64_e32 v[122:123], v[92:93], v[90:91]
	ds_load_2addr_b64 v[88:91], v2 offset0:81 offset1:82
	s_wait_dscnt 0x1
	v_fmac_f64_e32 v[122:123], v[94:95], v[96:97]
	s_wait_loadcnt 0x0
	s_delay_alu instid0(VALU_DEP_1) | instskip(SKIP_1) | instid1(VALU_DEP_1)
	v_fmac_f64_e32 v[122:123], v[104:105], v[98:99]
	s_wait_dscnt 0x0
	v_fmac_f64_e32 v[122:123], v[106:107], v[88:89]
	s_delay_alu instid0(VALU_DEP_1) | instskip(NEXT) | instid1(VALU_DEP_1)
	v_fmac_f64_e32 v[122:123], v[112:113], v[90:91]
	v_add_f64_e64 v[2:3], v[86:87], -v[122:123]
	scratch_store_b64 off, v[2:3], off offset:48
	s_wait_xcnt 0x0
	v_cmpx_lt_u32_e32 5, v0
	s_cbranch_execz .LBB104_245
; %bb.244:
	scratch_load_b64 v[2:3], off, off offset:40
	v_mov_b64_e32 v[86:87], 0
	scratch_store_b64 off, v[86:87], off offset:40
	s_wait_loadcnt 0x0
	ds_store_b64 v1, v[2:3]
.LBB104_245:
	s_wait_xcnt 0x0
	s_or_b32 exec_lo, exec_lo, s0
	s_wait_storecnt_dscnt 0x0
	s_barrier_signal -1
	s_barrier_wait -1
	s_clause 0x5
	scratch_load_b128 v[86:89], off, off offset:40
	scratch_load_b128 v[90:93], off, off offset:56
	;; [unrolled: 1-line block ×6, first 2 shown]
	v_mov_b32_e32 v2, 0
	ds_load_b128 v[110:113], v2 offset:384
	ds_load_b128 v[114:117], v2 offset:400
	scratch_load_b128 v[118:121], off, off offset:136
	s_mov_b32 s0, exec_lo
	s_wait_loadcnt_dscnt 0x601
	v_fma_f64 v[122:123], v[88:89], v[110:111], 0
	s_wait_loadcnt 0x5
	s_delay_alu instid0(VALU_DEP_1) | instskip(SKIP_4) | instid1(VALU_DEP_1)
	v_fmac_f64_e32 v[122:123], v[90:91], v[112:113]
	scratch_load_b128 v[88:91], off, off offset:152
	s_wait_dscnt 0x0
	v_fmac_f64_e32 v[122:123], v[92:93], v[114:115]
	s_wait_loadcnt 0x5
	v_fmac_f64_e32 v[122:123], v[94:95], v[116:117]
	ds_load_b128 v[92:95], v2 offset:416
	ds_load_b128 v[110:113], v2 offset:432
	scratch_load_b128 v[114:117], off, off offset:168
	s_wait_dscnt 0x1
	v_fmac_f64_e32 v[122:123], v[96:97], v[92:93]
	s_wait_loadcnt 0x5
	s_delay_alu instid0(VALU_DEP_1) | instskip(SKIP_4) | instid1(VALU_DEP_1)
	v_fmac_f64_e32 v[122:123], v[98:99], v[94:95]
	scratch_load_b128 v[92:95], off, off offset:184
	s_wait_dscnt 0x0
	v_fmac_f64_e32 v[122:123], v[100:101], v[110:111]
	s_wait_loadcnt 0x5
	v_fmac_f64_e32 v[122:123], v[102:103], v[112:113]
	ds_load_b128 v[96:99], v2 offset:448
	ds_load_b128 v[100:103], v2 offset:464
	scratch_load_b128 v[110:113], off, off offset:200
	s_wait_dscnt 0x1
	v_fmac_f64_e32 v[122:123], v[104:105], v[96:97]
	s_wait_loadcnt 0x5
	s_delay_alu instid0(VALU_DEP_1) | instskip(SKIP_4) | instid1(VALU_DEP_1)
	v_fmac_f64_e32 v[122:123], v[106:107], v[98:99]
	scratch_load_b128 v[96:99], off, off offset:216
	s_wait_dscnt 0x0
	v_fmac_f64_e32 v[122:123], v[108:109], v[100:101]
	s_wait_loadcnt 0x5
	v_fmac_f64_e32 v[122:123], v[118:119], v[102:103]
	ds_load_b128 v[100:103], v2 offset:480
	ds_load_b128 v[104:107], v2 offset:496
	s_wait_dscnt 0x1
	v_fmac_f64_e32 v[122:123], v[120:121], v[100:101]
	scratch_load_b128 v[118:121], off, off offset:232
	s_wait_loadcnt 0x5
	v_fmac_f64_e32 v[122:123], v[88:89], v[102:103]
	s_wait_dscnt 0x0
	s_delay_alu instid0(VALU_DEP_1)
	v_fmac_f64_e32 v[122:123], v[90:91], v[104:105]
	scratch_load_b128 v[88:91], off, off offset:248
	s_wait_loadcnt 0x5
	v_fmac_f64_e32 v[122:123], v[114:115], v[106:107]
	ds_load_b128 v[100:103], v2 offset:512
	ds_load_b128 v[104:107], v2 offset:528
	s_wait_dscnt 0x1
	v_fmac_f64_e32 v[122:123], v[116:117], v[100:101]
	s_wait_loadcnt 0x4
	s_delay_alu instid0(VALU_DEP_1)
	v_fmac_f64_e32 v[122:123], v[92:93], v[102:103]
	scratch_load_b128 v[100:103], off, off offset:264
	s_wait_dscnt 0x0
	v_fmac_f64_e32 v[122:123], v[94:95], v[104:105]
	scratch_load_b128 v[92:95], off, off offset:280
	s_wait_loadcnt 0x5
	v_fmac_f64_e32 v[122:123], v[110:111], v[106:107]
	ds_load_b128 v[104:107], v2 offset:544
	ds_load_b128 v[108:111], v2 offset:560
	s_wait_dscnt 0x1
	v_fmac_f64_e32 v[122:123], v[112:113], v[104:105]
	s_wait_loadcnt 0x4
	s_delay_alu instid0(VALU_DEP_1)
	v_fmac_f64_e32 v[122:123], v[96:97], v[106:107]
	scratch_load_b128 v[104:107], off, off offset:296
	s_wait_dscnt 0x0
	v_fmac_f64_e32 v[122:123], v[98:99], v[108:109]
	scratch_load_b128 v[96:99], off, off offset:312
	s_wait_loadcnt 0x5
	v_fmac_f64_e32 v[122:123], v[118:119], v[110:111]
	ds_load_b128 v[108:111], v2 offset:576
	ds_load_b128 v[112:115], v2 offset:592
	s_wait_dscnt 0x1
	v_fmac_f64_e32 v[122:123], v[120:121], v[108:109]
	s_wait_loadcnt 0x4
	s_delay_alu instid0(VALU_DEP_1) | instskip(SKIP_1) | instid1(VALU_DEP_1)
	v_fmac_f64_e32 v[122:123], v[88:89], v[110:111]
	s_wait_dscnt 0x0
	v_fmac_f64_e32 v[122:123], v[90:91], v[112:113]
	ds_load_b128 v[88:91], v2 offset:608
	ds_load_b128 v[108:111], v2 offset:624
	s_wait_loadcnt 0x3
	v_fmac_f64_e32 v[122:123], v[100:101], v[114:115]
	s_wait_dscnt 0x1
	s_delay_alu instid0(VALU_DEP_1) | instskip(SKIP_1) | instid1(VALU_DEP_1)
	v_fmac_f64_e32 v[122:123], v[102:103], v[88:89]
	s_wait_loadcnt 0x2
	v_fmac_f64_e32 v[122:123], v[92:93], v[90:91]
	ds_load_b128 v[88:91], v2 offset:640
	ds_load_b64 v[92:93], v2 offset:656
	s_wait_dscnt 0x2
	v_fmac_f64_e32 v[122:123], v[94:95], v[108:109]
	s_wait_loadcnt 0x1
	s_delay_alu instid0(VALU_DEP_1) | instskip(SKIP_1) | instid1(VALU_DEP_1)
	v_fmac_f64_e32 v[122:123], v[104:105], v[110:111]
	s_wait_dscnt 0x1
	v_fmac_f64_e32 v[122:123], v[106:107], v[88:89]
	s_wait_loadcnt 0x0
	s_delay_alu instid0(VALU_DEP_1) | instskip(SKIP_1) | instid1(VALU_DEP_1)
	v_fmac_f64_e32 v[122:123], v[96:97], v[90:91]
	s_wait_dscnt 0x0
	v_fmac_f64_e32 v[122:123], v[98:99], v[92:93]
	s_delay_alu instid0(VALU_DEP_1)
	v_add_f64_e64 v[86:87], v[86:87], -v[122:123]
	scratch_store_b64 off, v[86:87], off offset:40
	s_wait_xcnt 0x0
	v_cmpx_lt_u32_e32 4, v0
	s_cbranch_execz .LBB104_247
; %bb.246:
	scratch_load_b64 v[86:87], off, off offset:32
	v_mov_b64_e32 v[88:89], 0
	scratch_store_b64 off, v[88:89], off offset:32
	s_wait_loadcnt 0x0
	ds_store_b64 v1, v[86:87]
.LBB104_247:
	s_wait_xcnt 0x0
	s_or_b32 exec_lo, exec_lo, s0
	s_wait_storecnt_dscnt 0x0
	s_barrier_signal -1
	s_barrier_wait -1
	s_clause 0x5
	scratch_load_b128 v[86:89], off, off offset:32
	scratch_load_b128 v[90:93], off, off offset:48
	;; [unrolled: 1-line block ×6, first 2 shown]
	ds_load_2addr_b64 v[110:113], v2 offset0:47 offset1:48
	ds_load_2addr_b64 v[114:117], v2 offset0:49 offset1:50
	scratch_load_b128 v[118:121], off, off offset:128
	s_mov_b32 s0, exec_lo
	s_wait_loadcnt_dscnt 0x601
	v_fma_f64 v[122:123], v[88:89], v[110:111], 0
	s_wait_loadcnt 0x5
	s_delay_alu instid0(VALU_DEP_1) | instskip(SKIP_4) | instid1(VALU_DEP_1)
	v_fmac_f64_e32 v[122:123], v[90:91], v[112:113]
	scratch_load_b128 v[88:91], off, off offset:144
	s_wait_dscnt 0x0
	v_fmac_f64_e32 v[122:123], v[92:93], v[114:115]
	s_wait_loadcnt 0x5
	v_fmac_f64_e32 v[122:123], v[94:95], v[116:117]
	ds_load_2addr_b64 v[92:95], v2 offset0:51 offset1:52
	ds_load_2addr_b64 v[110:113], v2 offset0:53 offset1:54
	scratch_load_b128 v[114:117], off, off offset:160
	s_wait_dscnt 0x1
	v_fmac_f64_e32 v[122:123], v[96:97], v[92:93]
	s_wait_loadcnt 0x5
	s_delay_alu instid0(VALU_DEP_1) | instskip(SKIP_4) | instid1(VALU_DEP_1)
	v_fmac_f64_e32 v[122:123], v[98:99], v[94:95]
	scratch_load_b128 v[92:95], off, off offset:176
	s_wait_dscnt 0x0
	v_fmac_f64_e32 v[122:123], v[100:101], v[110:111]
	s_wait_loadcnt 0x5
	v_fmac_f64_e32 v[122:123], v[102:103], v[112:113]
	ds_load_2addr_b64 v[96:99], v2 offset0:55 offset1:56
	ds_load_2addr_b64 v[100:103], v2 offset0:57 offset1:58
	scratch_load_b128 v[110:113], off, off offset:192
	s_wait_dscnt 0x1
	v_fmac_f64_e32 v[122:123], v[104:105], v[96:97]
	s_wait_loadcnt 0x5
	s_delay_alu instid0(VALU_DEP_1) | instskip(SKIP_4) | instid1(VALU_DEP_1)
	v_fmac_f64_e32 v[122:123], v[106:107], v[98:99]
	scratch_load_b128 v[96:99], off, off offset:208
	s_wait_dscnt 0x0
	v_fmac_f64_e32 v[122:123], v[108:109], v[100:101]
	s_wait_loadcnt 0x5
	v_fmac_f64_e32 v[122:123], v[118:119], v[102:103]
	ds_load_2addr_b64 v[100:103], v2 offset0:59 offset1:60
	ds_load_2addr_b64 v[104:107], v2 offset0:61 offset1:62
	s_wait_dscnt 0x1
	v_fmac_f64_e32 v[122:123], v[120:121], v[100:101]
	scratch_load_b128 v[118:121], off, off offset:224
	s_wait_loadcnt 0x5
	v_fmac_f64_e32 v[122:123], v[88:89], v[102:103]
	s_wait_dscnt 0x0
	s_delay_alu instid0(VALU_DEP_1)
	v_fmac_f64_e32 v[122:123], v[90:91], v[104:105]
	scratch_load_b128 v[88:91], off, off offset:240
	s_wait_loadcnt 0x5
	v_fmac_f64_e32 v[122:123], v[114:115], v[106:107]
	ds_load_2addr_b64 v[100:103], v2 offset0:63 offset1:64
	ds_load_2addr_b64 v[104:107], v2 offset0:65 offset1:66
	s_wait_dscnt 0x1
	v_fmac_f64_e32 v[122:123], v[116:117], v[100:101]
	s_wait_loadcnt 0x4
	s_delay_alu instid0(VALU_DEP_1)
	v_fmac_f64_e32 v[122:123], v[92:93], v[102:103]
	scratch_load_b128 v[100:103], off, off offset:256
	s_wait_dscnt 0x0
	v_fmac_f64_e32 v[122:123], v[94:95], v[104:105]
	scratch_load_b128 v[92:95], off, off offset:272
	s_wait_loadcnt 0x5
	v_fmac_f64_e32 v[122:123], v[110:111], v[106:107]
	ds_load_2addr_b64 v[104:107], v2 offset0:67 offset1:68
	ds_load_2addr_b64 v[108:111], v2 offset0:69 offset1:70
	s_wait_dscnt 0x1
	v_fmac_f64_e32 v[122:123], v[112:113], v[104:105]
	s_wait_loadcnt 0x4
	s_delay_alu instid0(VALU_DEP_1)
	v_fmac_f64_e32 v[122:123], v[96:97], v[106:107]
	scratch_load_b128 v[104:107], off, off offset:288
	s_wait_dscnt 0x0
	v_fmac_f64_e32 v[122:123], v[98:99], v[108:109]
	scratch_load_b128 v[96:99], off, off offset:304
	s_wait_loadcnt 0x5
	v_fmac_f64_e32 v[122:123], v[118:119], v[110:111]
	ds_load_2addr_b64 v[108:111], v2 offset0:71 offset1:72
	ds_load_2addr_b64 v[112:115], v2 offset0:73 offset1:74
	scratch_load_b64 v[116:117], off, off offset:320
	s_wait_dscnt 0x1
	v_fmac_f64_e32 v[122:123], v[120:121], v[108:109]
	s_wait_loadcnt 0x5
	s_delay_alu instid0(VALU_DEP_1) | instskip(SKIP_1) | instid1(VALU_DEP_1)
	v_fmac_f64_e32 v[122:123], v[88:89], v[110:111]
	s_wait_dscnt 0x0
	v_fmac_f64_e32 v[122:123], v[90:91], v[112:113]
	ds_load_2addr_b64 v[88:91], v2 offset0:75 offset1:76
	ds_load_2addr_b64 v[108:111], v2 offset0:77 offset1:78
	s_wait_loadcnt 0x4
	v_fmac_f64_e32 v[122:123], v[100:101], v[114:115]
	s_wait_dscnt 0x1
	s_delay_alu instid0(VALU_DEP_1) | instskip(SKIP_1) | instid1(VALU_DEP_1)
	v_fmac_f64_e32 v[122:123], v[102:103], v[88:89]
	s_wait_loadcnt 0x3
	v_fmac_f64_e32 v[122:123], v[92:93], v[90:91]
	s_wait_dscnt 0x0
	s_delay_alu instid0(VALU_DEP_1)
	v_fmac_f64_e32 v[122:123], v[94:95], v[108:109]
	ds_load_2addr_b64 v[88:91], v2 offset0:79 offset1:80
	ds_load_2addr_b64 v[92:95], v2 offset0:81 offset1:82
	s_wait_loadcnt 0x2
	v_fmac_f64_e32 v[122:123], v[104:105], v[110:111]
	s_wait_dscnt 0x1
	s_delay_alu instid0(VALU_DEP_1) | instskip(SKIP_1) | instid1(VALU_DEP_1)
	v_fmac_f64_e32 v[122:123], v[106:107], v[88:89]
	s_wait_loadcnt 0x1
	v_fmac_f64_e32 v[122:123], v[96:97], v[90:91]
	s_wait_dscnt 0x0
	s_delay_alu instid0(VALU_DEP_1) | instskip(SKIP_1) | instid1(VALU_DEP_1)
	v_fmac_f64_e32 v[122:123], v[98:99], v[92:93]
	s_wait_loadcnt 0x0
	v_fmac_f64_e32 v[122:123], v[116:117], v[94:95]
	s_delay_alu instid0(VALU_DEP_1)
	v_add_f64_e64 v[2:3], v[86:87], -v[122:123]
	scratch_store_b64 off, v[2:3], off offset:32
	s_wait_xcnt 0x0
	v_cmpx_lt_u32_e32 3, v0
	s_cbranch_execz .LBB104_249
; %bb.248:
	scratch_load_b64 v[2:3], off, off offset:24
	v_mov_b64_e32 v[86:87], 0
	scratch_store_b64 off, v[86:87], off offset:24
	s_wait_loadcnt 0x0
	ds_store_b64 v1, v[2:3]
.LBB104_249:
	s_wait_xcnt 0x0
	s_or_b32 exec_lo, exec_lo, s0
	s_wait_storecnt_dscnt 0x0
	s_barrier_signal -1
	s_barrier_wait -1
	s_clause 0x5
	scratch_load_b128 v[86:89], off, off offset:24
	scratch_load_b128 v[90:93], off, off offset:40
	;; [unrolled: 1-line block ×6, first 2 shown]
	v_mov_b32_e32 v2, 0
	ds_load_b128 v[110:113], v2 offset:368
	ds_load_b128 v[114:117], v2 offset:384
	scratch_load_b128 v[118:121], off, off offset:120
	s_mov_b32 s0, exec_lo
	s_wait_loadcnt_dscnt 0x601
	v_fma_f64 v[122:123], v[88:89], v[110:111], 0
	s_wait_loadcnt 0x5
	s_delay_alu instid0(VALU_DEP_1) | instskip(SKIP_4) | instid1(VALU_DEP_1)
	v_fmac_f64_e32 v[122:123], v[90:91], v[112:113]
	scratch_load_b128 v[88:91], off, off offset:136
	s_wait_dscnt 0x0
	v_fmac_f64_e32 v[122:123], v[92:93], v[114:115]
	s_wait_loadcnt 0x5
	v_fmac_f64_e32 v[122:123], v[94:95], v[116:117]
	ds_load_b128 v[92:95], v2 offset:400
	ds_load_b128 v[110:113], v2 offset:416
	scratch_load_b128 v[114:117], off, off offset:152
	s_wait_dscnt 0x1
	v_fmac_f64_e32 v[122:123], v[96:97], v[92:93]
	s_wait_loadcnt 0x5
	s_delay_alu instid0(VALU_DEP_1) | instskip(SKIP_4) | instid1(VALU_DEP_1)
	v_fmac_f64_e32 v[122:123], v[98:99], v[94:95]
	scratch_load_b128 v[92:95], off, off offset:168
	s_wait_dscnt 0x0
	v_fmac_f64_e32 v[122:123], v[100:101], v[110:111]
	s_wait_loadcnt 0x5
	v_fmac_f64_e32 v[122:123], v[102:103], v[112:113]
	ds_load_b128 v[96:99], v2 offset:432
	ds_load_b128 v[100:103], v2 offset:448
	scratch_load_b128 v[110:113], off, off offset:184
	s_wait_dscnt 0x1
	v_fmac_f64_e32 v[122:123], v[104:105], v[96:97]
	s_wait_loadcnt 0x5
	s_delay_alu instid0(VALU_DEP_1) | instskip(SKIP_4) | instid1(VALU_DEP_1)
	v_fmac_f64_e32 v[122:123], v[106:107], v[98:99]
	scratch_load_b128 v[96:99], off, off offset:200
	s_wait_dscnt 0x0
	v_fmac_f64_e32 v[122:123], v[108:109], v[100:101]
	s_wait_loadcnt 0x5
	v_fmac_f64_e32 v[122:123], v[118:119], v[102:103]
	ds_load_b128 v[100:103], v2 offset:464
	ds_load_b128 v[104:107], v2 offset:480
	s_wait_dscnt 0x1
	v_fmac_f64_e32 v[122:123], v[120:121], v[100:101]
	scratch_load_b128 v[118:121], off, off offset:216
	s_wait_loadcnt 0x5
	v_fmac_f64_e32 v[122:123], v[88:89], v[102:103]
	s_wait_dscnt 0x0
	s_delay_alu instid0(VALU_DEP_1)
	v_fmac_f64_e32 v[122:123], v[90:91], v[104:105]
	scratch_load_b128 v[88:91], off, off offset:232
	s_wait_loadcnt 0x5
	v_fmac_f64_e32 v[122:123], v[114:115], v[106:107]
	ds_load_b128 v[100:103], v2 offset:496
	ds_load_b128 v[104:107], v2 offset:512
	s_wait_dscnt 0x1
	v_fmac_f64_e32 v[122:123], v[116:117], v[100:101]
	s_wait_loadcnt 0x4
	s_delay_alu instid0(VALU_DEP_1)
	v_fmac_f64_e32 v[122:123], v[92:93], v[102:103]
	scratch_load_b128 v[100:103], off, off offset:248
	s_wait_dscnt 0x0
	v_fmac_f64_e32 v[122:123], v[94:95], v[104:105]
	scratch_load_b128 v[92:95], off, off offset:264
	s_wait_loadcnt 0x5
	v_fmac_f64_e32 v[122:123], v[110:111], v[106:107]
	ds_load_b128 v[104:107], v2 offset:528
	ds_load_b128 v[108:111], v2 offset:544
	s_wait_dscnt 0x1
	v_fmac_f64_e32 v[122:123], v[112:113], v[104:105]
	s_wait_loadcnt 0x4
	s_delay_alu instid0(VALU_DEP_1)
	v_fmac_f64_e32 v[122:123], v[96:97], v[106:107]
	scratch_load_b128 v[104:107], off, off offset:280
	s_wait_dscnt 0x0
	v_fmac_f64_e32 v[122:123], v[98:99], v[108:109]
	scratch_load_b128 v[96:99], off, off offset:296
	s_wait_loadcnt 0x5
	v_fmac_f64_e32 v[122:123], v[118:119], v[110:111]
	ds_load_b128 v[108:111], v2 offset:560
	ds_load_b128 v[112:115], v2 offset:576
	s_wait_dscnt 0x1
	v_fmac_f64_e32 v[122:123], v[120:121], v[108:109]
	s_wait_loadcnt 0x4
	s_delay_alu instid0(VALU_DEP_1) | instskip(SKIP_4) | instid1(VALU_DEP_1)
	v_fmac_f64_e32 v[122:123], v[88:89], v[110:111]
	scratch_load_b128 v[108:111], off, off offset:312
	s_wait_dscnt 0x0
	v_fmac_f64_e32 v[122:123], v[90:91], v[112:113]
	s_wait_loadcnt 0x4
	v_fmac_f64_e32 v[122:123], v[100:101], v[114:115]
	ds_load_b128 v[88:91], v2 offset:592
	ds_load_b128 v[112:115], v2 offset:608
	s_wait_dscnt 0x1
	v_fmac_f64_e32 v[122:123], v[102:103], v[88:89]
	s_wait_loadcnt 0x3
	s_delay_alu instid0(VALU_DEP_1) | instskip(SKIP_1) | instid1(VALU_DEP_1)
	v_fmac_f64_e32 v[122:123], v[92:93], v[90:91]
	s_wait_dscnt 0x0
	v_fmac_f64_e32 v[122:123], v[94:95], v[112:113]
	ds_load_b128 v[88:91], v2 offset:624
	ds_load_b128 v[92:95], v2 offset:640
	s_wait_loadcnt 0x2
	v_fmac_f64_e32 v[122:123], v[104:105], v[114:115]
	s_wait_dscnt 0x1
	s_delay_alu instid0(VALU_DEP_1) | instskip(SKIP_4) | instid1(VALU_DEP_1)
	v_fmac_f64_e32 v[122:123], v[106:107], v[88:89]
	ds_load_b64 v[88:89], v2 offset:656
	s_wait_loadcnt 0x1
	v_fmac_f64_e32 v[122:123], v[96:97], v[90:91]
	s_wait_dscnt 0x1
	v_fmac_f64_e32 v[122:123], v[98:99], v[92:93]
	s_wait_loadcnt 0x0
	s_delay_alu instid0(VALU_DEP_1) | instskip(SKIP_1) | instid1(VALU_DEP_1)
	v_fmac_f64_e32 v[122:123], v[108:109], v[94:95]
	s_wait_dscnt 0x0
	v_fmac_f64_e32 v[122:123], v[110:111], v[88:89]
	s_delay_alu instid0(VALU_DEP_1)
	v_add_f64_e64 v[86:87], v[86:87], -v[122:123]
	scratch_store_b64 off, v[86:87], off offset:24
	s_wait_xcnt 0x0
	v_cmpx_lt_u32_e32 2, v0
	s_cbranch_execz .LBB104_251
; %bb.250:
	scratch_load_b64 v[86:87], off, off offset:16
	v_mov_b64_e32 v[88:89], 0
	scratch_store_b64 off, v[88:89], off offset:16
	s_wait_loadcnt 0x0
	ds_store_b64 v1, v[86:87]
.LBB104_251:
	s_wait_xcnt 0x0
	s_or_b32 exec_lo, exec_lo, s0
	s_wait_storecnt_dscnt 0x0
	s_barrier_signal -1
	s_barrier_wait -1
	s_clause 0x5
	scratch_load_b128 v[86:89], off, off offset:16
	scratch_load_b128 v[90:93], off, off offset:32
	;; [unrolled: 1-line block ×6, first 2 shown]
	ds_load_2addr_b64 v[110:113], v2 offset0:45 offset1:46
	ds_load_2addr_b64 v[114:117], v2 offset0:47 offset1:48
	scratch_load_b128 v[118:121], off, off offset:112
	s_mov_b32 s0, exec_lo
	s_wait_loadcnt_dscnt 0x601
	v_fma_f64 v[122:123], v[88:89], v[110:111], 0
	s_wait_loadcnt 0x5
	s_delay_alu instid0(VALU_DEP_1) | instskip(SKIP_4) | instid1(VALU_DEP_1)
	v_fmac_f64_e32 v[122:123], v[90:91], v[112:113]
	scratch_load_b128 v[88:91], off, off offset:128
	s_wait_dscnt 0x0
	v_fmac_f64_e32 v[122:123], v[92:93], v[114:115]
	s_wait_loadcnt 0x5
	v_fmac_f64_e32 v[122:123], v[94:95], v[116:117]
	ds_load_2addr_b64 v[92:95], v2 offset0:49 offset1:50
	ds_load_2addr_b64 v[110:113], v2 offset0:51 offset1:52
	scratch_load_b128 v[114:117], off, off offset:144
	s_wait_dscnt 0x1
	v_fmac_f64_e32 v[122:123], v[96:97], v[92:93]
	s_wait_loadcnt 0x5
	s_delay_alu instid0(VALU_DEP_1) | instskip(SKIP_4) | instid1(VALU_DEP_1)
	v_fmac_f64_e32 v[122:123], v[98:99], v[94:95]
	scratch_load_b128 v[92:95], off, off offset:160
	s_wait_dscnt 0x0
	v_fmac_f64_e32 v[122:123], v[100:101], v[110:111]
	s_wait_loadcnt 0x5
	v_fmac_f64_e32 v[122:123], v[102:103], v[112:113]
	ds_load_2addr_b64 v[96:99], v2 offset0:53 offset1:54
	ds_load_2addr_b64 v[100:103], v2 offset0:55 offset1:56
	scratch_load_b128 v[110:113], off, off offset:176
	s_wait_dscnt 0x1
	v_fmac_f64_e32 v[122:123], v[104:105], v[96:97]
	s_wait_loadcnt 0x5
	s_delay_alu instid0(VALU_DEP_1) | instskip(SKIP_4) | instid1(VALU_DEP_1)
	v_fmac_f64_e32 v[122:123], v[106:107], v[98:99]
	scratch_load_b128 v[96:99], off, off offset:192
	s_wait_dscnt 0x0
	v_fmac_f64_e32 v[122:123], v[108:109], v[100:101]
	s_wait_loadcnt 0x5
	v_fmac_f64_e32 v[122:123], v[118:119], v[102:103]
	ds_load_2addr_b64 v[100:103], v2 offset0:57 offset1:58
	ds_load_2addr_b64 v[104:107], v2 offset0:59 offset1:60
	s_wait_dscnt 0x1
	v_fmac_f64_e32 v[122:123], v[120:121], v[100:101]
	scratch_load_b128 v[118:121], off, off offset:208
	s_wait_loadcnt 0x5
	v_fmac_f64_e32 v[122:123], v[88:89], v[102:103]
	s_wait_dscnt 0x0
	s_delay_alu instid0(VALU_DEP_1)
	v_fmac_f64_e32 v[122:123], v[90:91], v[104:105]
	scratch_load_b128 v[88:91], off, off offset:224
	s_wait_loadcnt 0x5
	v_fmac_f64_e32 v[122:123], v[114:115], v[106:107]
	ds_load_2addr_b64 v[100:103], v2 offset0:61 offset1:62
	ds_load_2addr_b64 v[104:107], v2 offset0:63 offset1:64
	s_wait_dscnt 0x1
	v_fmac_f64_e32 v[122:123], v[116:117], v[100:101]
	scratch_load_b128 v[114:117], off, off offset:240
	s_wait_loadcnt 0x5
	v_fmac_f64_e32 v[122:123], v[92:93], v[102:103]
	s_wait_dscnt 0x0
	s_delay_alu instid0(VALU_DEP_1)
	v_fmac_f64_e32 v[122:123], v[94:95], v[104:105]
	scratch_load_b128 v[92:95], off, off offset:256
	s_wait_loadcnt 0x5
	v_fmac_f64_e32 v[122:123], v[110:111], v[106:107]
	ds_load_2addr_b64 v[100:103], v2 offset0:65 offset1:66
	ds_load_2addr_b64 v[104:107], v2 offset0:67 offset1:68
	s_wait_dscnt 0x1
	v_fmac_f64_e32 v[122:123], v[112:113], v[100:101]
	s_wait_loadcnt 0x4
	s_delay_alu instid0(VALU_DEP_1)
	v_fmac_f64_e32 v[122:123], v[96:97], v[102:103]
	scratch_load_b128 v[100:103], off, off offset:272
	s_wait_dscnt 0x0
	v_fmac_f64_e32 v[122:123], v[98:99], v[104:105]
	scratch_load_b128 v[96:99], off, off offset:288
	s_wait_loadcnt 0x5
	v_fmac_f64_e32 v[122:123], v[118:119], v[106:107]
	ds_load_2addr_b64 v[104:107], v2 offset0:69 offset1:70
	ds_load_2addr_b64 v[108:111], v2 offset0:71 offset1:72
	scratch_load_b64 v[112:113], off, off offset:320
	s_wait_dscnt 0x1
	v_fmac_f64_e32 v[122:123], v[120:121], v[104:105]
	s_wait_loadcnt 0x5
	s_delay_alu instid0(VALU_DEP_1) | instskip(SKIP_4) | instid1(VALU_DEP_1)
	v_fmac_f64_e32 v[122:123], v[88:89], v[106:107]
	scratch_load_b128 v[104:107], off, off offset:304
	s_wait_dscnt 0x0
	v_fmac_f64_e32 v[122:123], v[90:91], v[108:109]
	s_wait_loadcnt 0x5
	v_fmac_f64_e32 v[122:123], v[114:115], v[110:111]
	ds_load_2addr_b64 v[88:91], v2 offset0:73 offset1:74
	ds_load_2addr_b64 v[108:111], v2 offset0:75 offset1:76
	s_wait_dscnt 0x1
	v_fmac_f64_e32 v[122:123], v[116:117], v[88:89]
	s_wait_loadcnt 0x4
	s_delay_alu instid0(VALU_DEP_1) | instskip(SKIP_1) | instid1(VALU_DEP_1)
	v_fmac_f64_e32 v[122:123], v[92:93], v[90:91]
	s_wait_dscnt 0x0
	v_fmac_f64_e32 v[122:123], v[94:95], v[108:109]
	ds_load_2addr_b64 v[88:91], v2 offset0:77 offset1:78
	ds_load_2addr_b64 v[92:95], v2 offset0:79 offset1:80
	s_wait_loadcnt 0x3
	v_fmac_f64_e32 v[122:123], v[100:101], v[110:111]
	s_wait_dscnt 0x1
	s_delay_alu instid0(VALU_DEP_1) | instskip(SKIP_1) | instid1(VALU_DEP_1)
	v_fmac_f64_e32 v[122:123], v[102:103], v[88:89]
	s_wait_loadcnt 0x2
	v_fmac_f64_e32 v[122:123], v[96:97], v[90:91]
	ds_load_2addr_b64 v[88:91], v2 offset0:81 offset1:82
	s_wait_dscnt 0x1
	v_fmac_f64_e32 v[122:123], v[98:99], v[92:93]
	s_wait_loadcnt 0x0
	s_delay_alu instid0(VALU_DEP_1) | instskip(SKIP_1) | instid1(VALU_DEP_1)
	v_fmac_f64_e32 v[122:123], v[104:105], v[94:95]
	s_wait_dscnt 0x0
	v_fmac_f64_e32 v[122:123], v[106:107], v[88:89]
	s_delay_alu instid0(VALU_DEP_1) | instskip(NEXT) | instid1(VALU_DEP_1)
	v_fmac_f64_e32 v[122:123], v[112:113], v[90:91]
	v_add_f64_e64 v[2:3], v[86:87], -v[122:123]
	scratch_store_b64 off, v[2:3], off offset:16
	s_wait_xcnt 0x0
	v_cmpx_lt_u32_e32 1, v0
	s_cbranch_execz .LBB104_253
; %bb.252:
	scratch_load_b64 v[2:3], off, off offset:8
	v_mov_b64_e32 v[86:87], 0
	scratch_store_b64 off, v[86:87], off offset:8
	s_wait_loadcnt 0x0
	ds_store_b64 v1, v[2:3]
.LBB104_253:
	s_wait_xcnt 0x0
	s_or_b32 exec_lo, exec_lo, s0
	s_wait_storecnt_dscnt 0x0
	s_barrier_signal -1
	s_barrier_wait -1
	s_clause 0x5
	scratch_load_b128 v[88:91], off, off offset:8
	scratch_load_b128 v[92:95], off, off offset:24
	;; [unrolled: 1-line block ×6, first 2 shown]
	v_dual_mov_b32 v86, 0 :: v_dual_ashrrev_i32 v9, 31, v8
	ds_load_b128 v[112:115], v86 offset:352
	ds_load_b128 v[116:119], v86 offset:368
	scratch_load_b128 v[120:123], off, off offset:104
	v_dual_ashrrev_i32 v11, 31, v10 :: v_dual_ashrrev_i32 v13, 31, v12
	v_dual_ashrrev_i32 v15, 31, v14 :: v_dual_ashrrev_i32 v17, 31, v16
	;; [unrolled: 1-line block ×18, first 2 shown]
	v_ashrrev_i32_e32 v83, 31, v82
	s_mov_b32 s0, exec_lo
	v_ashrrev_i32_e32 v37, 31, v36
	s_wait_loadcnt_dscnt 0x601
	v_fma_f64 v[2:3], v[90:91], v[112:113], 0
	s_wait_loadcnt 0x5
	s_delay_alu instid0(VALU_DEP_1) | instskip(SKIP_4) | instid1(VALU_DEP_1)
	v_fmac_f64_e32 v[2:3], v[92:93], v[114:115]
	scratch_load_b128 v[90:93], off, off offset:120
	s_wait_dscnt 0x0
	v_fmac_f64_e32 v[2:3], v[94:95], v[116:117]
	s_wait_loadcnt 0x5
	v_fmac_f64_e32 v[2:3], v[96:97], v[118:119]
	ds_load_b128 v[94:97], v86 offset:384
	ds_load_b128 v[112:115], v86 offset:400
	scratch_load_b128 v[116:119], off, off offset:136
	s_wait_dscnt 0x1
	v_fmac_f64_e32 v[2:3], v[98:99], v[94:95]
	s_wait_loadcnt 0x5
	s_delay_alu instid0(VALU_DEP_1) | instskip(SKIP_4) | instid1(VALU_DEP_1)
	v_fmac_f64_e32 v[2:3], v[100:101], v[96:97]
	scratch_load_b128 v[94:97], off, off offset:152
	s_wait_dscnt 0x0
	v_fmac_f64_e32 v[2:3], v[102:103], v[112:113]
	s_wait_loadcnt 0x5
	v_fmac_f64_e32 v[2:3], v[104:105], v[114:115]
	ds_load_b128 v[98:101], v86 offset:416
	ds_load_b128 v[102:105], v86 offset:432
	scratch_load_b128 v[112:115], off, off offset:168
	s_wait_dscnt 0x1
	v_fmac_f64_e32 v[2:3], v[106:107], v[98:99]
	s_wait_loadcnt 0x5
	s_delay_alu instid0(VALU_DEP_1) | instskip(SKIP_4) | instid1(VALU_DEP_1)
	v_fmac_f64_e32 v[2:3], v[108:109], v[100:101]
	scratch_load_b128 v[98:101], off, off offset:184
	s_wait_dscnt 0x0
	v_fmac_f64_e32 v[2:3], v[110:111], v[102:103]
	s_wait_loadcnt 0x5
	v_fmac_f64_e32 v[2:3], v[120:121], v[104:105]
	ds_load_b128 v[102:105], v86 offset:448
	ds_load_b128 v[106:109], v86 offset:464
	s_wait_dscnt 0x1
	v_fmac_f64_e32 v[2:3], v[122:123], v[102:103]
	scratch_load_b128 v[120:123], off, off offset:200
	s_wait_loadcnt 0x5
	v_fmac_f64_e32 v[2:3], v[90:91], v[104:105]
	s_wait_dscnt 0x0
	s_delay_alu instid0(VALU_DEP_1)
	v_fmac_f64_e32 v[2:3], v[92:93], v[106:107]
	scratch_load_b128 v[90:93], off, off offset:216
	s_wait_loadcnt 0x5
	v_fmac_f64_e32 v[2:3], v[116:117], v[108:109]
	ds_load_b128 v[102:105], v86 offset:480
	ds_load_b128 v[106:109], v86 offset:496
	s_wait_dscnt 0x1
	v_fmac_f64_e32 v[2:3], v[118:119], v[102:103]
	scratch_load_b128 v[116:119], off, off offset:232
	s_wait_loadcnt 0x5
	v_fmac_f64_e32 v[2:3], v[94:95], v[104:105]
	s_wait_dscnt 0x0
	s_delay_alu instid0(VALU_DEP_1)
	v_fmac_f64_e32 v[2:3], v[96:97], v[106:107]
	scratch_load_b128 v[94:97], off, off offset:248
	s_wait_loadcnt 0x5
	v_fmac_f64_e32 v[2:3], v[112:113], v[108:109]
	ds_load_b128 v[102:105], v86 offset:512
	ds_load_b128 v[106:109], v86 offset:528
	s_wait_dscnt 0x1
	v_fmac_f64_e32 v[2:3], v[114:115], v[102:103]
	s_wait_loadcnt 0x4
	s_delay_alu instid0(VALU_DEP_1)
	v_fmac_f64_e32 v[2:3], v[98:99], v[104:105]
	scratch_load_b128 v[102:105], off, off offset:264
	s_wait_dscnt 0x0
	v_fmac_f64_e32 v[2:3], v[100:101], v[106:107]
	scratch_load_b128 v[98:101], off, off offset:280
	s_wait_loadcnt 0x5
	v_fmac_f64_e32 v[2:3], v[120:121], v[108:109]
	ds_load_b128 v[106:109], v86 offset:544
	ds_load_b128 v[110:113], v86 offset:560
	s_wait_dscnt 0x1
	v_fmac_f64_e32 v[2:3], v[122:123], v[106:107]
	s_wait_loadcnt 0x4
	s_delay_alu instid0(VALU_DEP_1)
	v_fmac_f64_e32 v[2:3], v[90:91], v[108:109]
	scratch_load_b128 v[106:109], off, off offset:296
	s_wait_dscnt 0x0
	v_fmac_f64_e32 v[2:3], v[92:93], v[110:111]
	scratch_load_b128 v[90:93], off, off offset:312
	s_wait_loadcnt 0x5
	v_fmac_f64_e32 v[2:3], v[116:117], v[112:113]
	ds_load_b128 v[110:113], v86 offset:576
	ds_load_b128 v[114:117], v86 offset:592
	s_wait_dscnt 0x1
	v_fmac_f64_e32 v[2:3], v[118:119], v[110:111]
	s_wait_loadcnt 0x4
	s_delay_alu instid0(VALU_DEP_1) | instskip(SKIP_1) | instid1(VALU_DEP_1)
	v_fmac_f64_e32 v[2:3], v[94:95], v[112:113]
	s_wait_dscnt 0x0
	v_fmac_f64_e32 v[2:3], v[96:97], v[114:115]
	ds_load_b128 v[94:97], v86 offset:608
	ds_load_b128 v[110:113], v86 offset:624
	s_wait_loadcnt 0x3
	v_fmac_f64_e32 v[2:3], v[102:103], v[116:117]
	s_wait_dscnt 0x1
	s_delay_alu instid0(VALU_DEP_1) | instskip(SKIP_1) | instid1(VALU_DEP_1)
	v_fmac_f64_e32 v[2:3], v[104:105], v[94:95]
	s_wait_loadcnt 0x2
	v_fmac_f64_e32 v[2:3], v[98:99], v[96:97]
	ds_load_b128 v[94:97], v86 offset:640
	s_wait_dscnt 0x1
	v_fmac_f64_e32 v[2:3], v[100:101], v[110:111]
	s_wait_loadcnt 0x1
	s_delay_alu instid0(VALU_DEP_1) | instskip(SKIP_1) | instid1(VALU_DEP_1)
	v_fmac_f64_e32 v[2:3], v[106:107], v[112:113]
	s_wait_dscnt 0x0
	v_fmac_f64_e32 v[2:3], v[108:109], v[94:95]
	s_wait_loadcnt 0x0
	s_delay_alu instid0(VALU_DEP_1) | instskip(SKIP_3) | instid1(VALU_DEP_1)
	v_fmac_f64_e32 v[2:3], v[90:91], v[96:97]
	ds_load_b64 v[90:91], v86 offset:656
	s_wait_dscnt 0x0
	v_fmac_f64_e32 v[2:3], v[92:93], v[90:91]
	v_add_f64_e64 v[2:3], v[88:89], -v[2:3]
	scratch_store_b64 off, v[2:3], off offset:8
	s_wait_xcnt 0x0
	v_cmpx_ne_u32_e32 0, v0
	s_cbranch_execz .LBB104_255
; %bb.254:
	scratch_load_b64 v[2:3], off, off
	v_mov_b64_e32 v[88:89], 0
	scratch_store_b64 off, v[88:89], off
	s_wait_loadcnt 0x0
	ds_store_b64 v1, v[2:3]
.LBB104_255:
	s_wait_xcnt 0x0
	s_or_b32 exec_lo, exec_lo, s0
	s_wait_storecnt_dscnt 0x0
	s_barrier_signal -1
	s_barrier_wait -1
	s_clause 0x5
	scratch_load_b128 v[88:91], off, off
	scratch_load_b128 v[0:3], off, off offset:16
	scratch_load_b128 v[92:95], off, off offset:32
	;; [unrolled: 1-line block ×5, first 2 shown]
	ds_load_2addr_b64 v[108:111], v86 offset0:43 offset1:44
	scratch_load_b128 v[112:115], off, off offset:96
	s_and_b32 vcc_lo, exec_lo, s12
	s_wait_loadcnt_dscnt 0x600
	v_fma_f64 v[116:117], v[90:91], v[108:109], 0
	s_wait_loadcnt 0x5
	s_delay_alu instid0(VALU_DEP_1)
	v_fmac_f64_e32 v[116:117], v[0:1], v[110:111]
	ds_load_2addr_b64 v[108:111], v86 offset0:45 offset1:46
	s_wait_dscnt 0x0
	v_fmac_f64_e32 v[116:117], v[2:3], v[108:109]
	scratch_load_b128 v[0:3], off, off offset:112
	s_wait_loadcnt 0x5
	v_fmac_f64_e32 v[116:117], v[92:93], v[110:111]
	ds_load_2addr_b64 v[90:93], v86 offset0:47 offset1:48
	scratch_load_b128 v[108:111], off, off offset:128
	s_wait_dscnt 0x0
	v_fmac_f64_e32 v[116:117], v[94:95], v[90:91]
	s_wait_loadcnt 0x5
	s_delay_alu instid0(VALU_DEP_1)
	v_fmac_f64_e32 v[116:117], v[96:97], v[92:93]
	ds_load_2addr_b64 v[90:93], v86 offset0:49 offset1:50
	scratch_load_b128 v[94:97], off, off offset:144
	s_wait_dscnt 0x0
	v_fmac_f64_e32 v[116:117], v[98:99], v[90:91]
	s_wait_loadcnt 0x5
	s_delay_alu instid0(VALU_DEP_1)
	;; [unrolled: 7-line block ×4, first 2 shown]
	v_fmac_f64_e32 v[116:117], v[112:113], v[92:93]
	ds_load_2addr_b64 v[90:93], v86 offset0:55 offset1:56
	s_wait_dscnt 0x0
	v_fmac_f64_e32 v[116:117], v[114:115], v[90:91]
	scratch_load_b128 v[112:115], off, off offset:192
	s_wait_loadcnt 0x5
	v_fmac_f64_e32 v[116:117], v[0:1], v[92:93]
	ds_load_2addr_b64 v[90:93], v86 offset0:57 offset1:58
	s_wait_dscnt 0x0
	v_fmac_f64_e32 v[116:117], v[2:3], v[90:91]
	scratch_load_b128 v[0:3], off, off offset:208
	s_wait_loadcnt 0x5
	v_fmac_f64_e32 v[116:117], v[108:109], v[92:93]
	ds_load_2addr_b64 v[90:93], v86 offset0:59 offset1:60
	scratch_load_b128 v[106:109], off, off offset:224
	s_wait_dscnt 0x0
	v_fmac_f64_e32 v[116:117], v[110:111], v[90:91]
	s_wait_loadcnt 0x5
	s_delay_alu instid0(VALU_DEP_1)
	v_fmac_f64_e32 v[116:117], v[94:95], v[92:93]
	ds_load_2addr_b64 v[90:93], v86 offset0:61 offset1:62
	s_wait_dscnt 0x0
	v_fmac_f64_e32 v[116:117], v[96:97], v[90:91]
	scratch_load_b128 v[94:97], off, off offset:240
	s_wait_loadcnt 0x5
	v_fmac_f64_e32 v[116:117], v[98:99], v[92:93]
	ds_load_2addr_b64 v[90:93], v86 offset0:63 offset1:64
	s_wait_dscnt 0x0
	v_fmac_f64_e32 v[116:117], v[100:101], v[90:91]
	scratch_load_b128 v[98:101], off, off offset:256
	s_wait_loadcnt 0x5
	;; [unrolled: 6-line block ×3, first 2 shown]
	v_fmac_f64_e32 v[116:117], v[112:113], v[92:93]
	ds_load_2addr_b64 v[90:93], v86 offset0:67 offset1:68
	scratch_load_b128 v[110:113], off, off offset:288
	s_wait_dscnt 0x0
	v_fmac_f64_e32 v[116:117], v[114:115], v[90:91]
	s_wait_loadcnt 0x5
	s_delay_alu instid0(VALU_DEP_1)
	v_fmac_f64_e32 v[116:117], v[0:1], v[92:93]
	ds_load_2addr_b64 v[90:93], v86 offset0:69 offset1:70
	s_wait_dscnt 0x0
	v_fmac_f64_e32 v[116:117], v[2:3], v[90:91]
	scratch_load_b128 v[0:3], off, off offset:304
	s_wait_loadcnt 0x5
	v_fmac_f64_e32 v[116:117], v[106:107], v[92:93]
	ds_load_2addr_b64 v[90:93], v86 offset0:71 offset1:72
	scratch_load_b64 v[106:107], off, off offset:320
	s_wait_dscnt 0x0
	v_fmac_f64_e32 v[116:117], v[108:109], v[90:91]
	s_wait_loadcnt 0x5
	s_delay_alu instid0(VALU_DEP_1) | instskip(SKIP_4) | instid1(VALU_DEP_1)
	v_fmac_f64_e32 v[116:117], v[94:95], v[92:93]
	ds_load_2addr_b64 v[90:93], v86 offset0:73 offset1:74
	s_wait_dscnt 0x0
	v_fmac_f64_e32 v[116:117], v[96:97], v[90:91]
	s_wait_loadcnt 0x4
	v_fmac_f64_e32 v[116:117], v[98:99], v[92:93]
	ds_load_2addr_b64 v[90:93], v86 offset0:75 offset1:76
	s_wait_dscnt 0x0
	v_fmac_f64_e32 v[116:117], v[100:101], v[90:91]
	s_wait_loadcnt 0x3
	s_delay_alu instid0(VALU_DEP_1) | instskip(SKIP_4) | instid1(VALU_DEP_1)
	v_fmac_f64_e32 v[116:117], v[102:103], v[92:93]
	ds_load_2addr_b64 v[90:93], v86 offset0:77 offset1:78
	s_wait_dscnt 0x0
	v_fmac_f64_e32 v[116:117], v[104:105], v[90:91]
	s_wait_loadcnt 0x2
	v_fmac_f64_e32 v[116:117], v[110:111], v[92:93]
	ds_load_2addr_b64 v[90:93], v86 offset0:79 offset1:80
	s_wait_dscnt 0x0
	v_fmac_f64_e32 v[116:117], v[112:113], v[90:91]
	s_wait_loadcnt 0x1
	s_delay_alu instid0(VALU_DEP_1) | instskip(SKIP_4) | instid1(VALU_DEP_1)
	v_fmac_f64_e32 v[116:117], v[0:1], v[92:93]
	ds_load_2addr_b64 v[90:93], v86 offset0:81 offset1:82
	s_wait_dscnt 0x0
	v_fmac_f64_e32 v[116:117], v[2:3], v[90:91]
	s_wait_loadcnt 0x0
	v_fmac_f64_e32 v[116:117], v[106:107], v[92:93]
	s_delay_alu instid0(VALU_DEP_1)
	v_add_f64_e64 v[86:87], v[88:89], -v[116:117]
	scratch_store_b64 off, v[86:87], off
	s_cbranch_vccz .LBB104_336
; %bb.256:
	v_mov_b32_e32 v0, 0
	global_load_b32 v1, v0, s[8:9] offset:156
	s_wait_loadcnt 0x0
	v_cmp_ne_u32_e32 vcc_lo, 40, v1
	s_cbranch_vccz .LBB104_258
; %bb.257:
	v_lshlrev_b32_e32 v1, 3, v1
	scratch_load_b64 v[86:87], v1, off offset:-8
	s_wait_loadcnt 0x0
	scratch_store_b64 off, v[86:87], off offset:312
	scratch_store_b64 v1, v[2:3], off offset:-8
.LBB104_258:
	global_load_b32 v0, v0, s[8:9] offset:152
	s_wait_loadcnt 0x0
	v_cmp_eq_u32_e32 vcc_lo, 39, v0
	s_cbranch_vccnz .LBB104_260
; %bb.259:
	s_wait_xcnt 0x0
	v_lshlrev_b32_e32 v0, 3, v0
	s_delay_alu instid0(VALU_DEP_1)
	v_mov_b32_e32 v86, v0
	scratch_load_b64 v[0:1], v86, off offset:-8
	scratch_load_b64 v[2:3], off, off offset:304
	s_wait_loadcnt 0x1
	scratch_store_b64 off, v[0:1], off offset:304
	s_wait_loadcnt 0x0
	scratch_store_b64 v86, v[2:3], off offset:-8
.LBB104_260:
	s_wait_xcnt 0x0
	v_mov_b32_e32 v0, 0
	global_load_b32 v1, v0, s[8:9] offset:148
	s_wait_loadcnt 0x0
	v_cmp_eq_u32_e32 vcc_lo, 38, v1
	s_cbranch_vccnz .LBB104_262
; %bb.261:
	v_lshlrev_b32_e32 v1, 3, v1
	scratch_load_b64 v[2:3], v1, off offset:-8
	scratch_load_b64 v[86:87], off, off offset:296
	s_wait_loadcnt 0x1
	scratch_store_b64 off, v[2:3], off offset:296
	s_wait_loadcnt 0x0
	scratch_store_b64 v1, v[86:87], off offset:-8
.LBB104_262:
	global_load_b32 v0, v0, s[8:9] offset:144
	s_wait_loadcnt 0x0
	v_cmp_eq_u32_e32 vcc_lo, 37, v0
	s_cbranch_vccnz .LBB104_264
; %bb.263:
	s_wait_xcnt 0x0
	v_lshlrev_b32_e32 v0, 3, v0
	s_delay_alu instid0(VALU_DEP_1)
	v_mov_b32_e32 v86, v0
	scratch_load_b64 v[0:1], v86, off offset:-8
	scratch_load_b64 v[2:3], off, off offset:288
	s_wait_loadcnt 0x1
	scratch_store_b64 off, v[0:1], off offset:288
	s_wait_loadcnt 0x0
	scratch_store_b64 v86, v[2:3], off offset:-8
.LBB104_264:
	s_wait_xcnt 0x0
	v_mov_b32_e32 v0, 0
	global_load_b32 v1, v0, s[8:9] offset:140
	s_wait_loadcnt 0x0
	v_cmp_eq_u32_e32 vcc_lo, 36, v1
	s_cbranch_vccnz .LBB104_266
; %bb.265:
	v_lshlrev_b32_e32 v1, 3, v1
	scratch_load_b64 v[2:3], v1, off offset:-8
	scratch_load_b64 v[86:87], off, off offset:280
	s_wait_loadcnt 0x1
	scratch_store_b64 off, v[2:3], off offset:280
	s_wait_loadcnt 0x0
	scratch_store_b64 v1, v[86:87], off offset:-8
.LBB104_266:
	;; [unrolled: 31-line block ×19, first 2 shown]
	global_load_b32 v0, v0, s[8:9]
	scratch_load_b64 v[86:87], off, off
	s_wait_loadcnt 0x1
	v_cmp_eq_u32_e32 vcc_lo, 1, v0
	s_cbranch_vccnz .LBB104_336
; %bb.335:
	s_wait_xcnt 0x1
	v_lshlrev_b32_e32 v0, 3, v0
	s_delay_alu instid0(VALU_DEP_1)
	v_mov_b32_e32 v2, v0
	scratch_load_b64 v[0:1], v2, off offset:-8
	s_wait_loadcnt 0x0
	scratch_store_b64 off, v[0:1], off
	scratch_store_b64 v2, v[86:87], off offset:-8
	scratch_load_b64 v[86:87], off, off
.LBB104_336:
	s_wait_loadcnt 0x0
	flat_store_b64 v[4:5], v[86:87]
	scratch_load_b64 v[4:5], off, off offset:8
	v_lshl_add_u64 v[122:123], v[8:9], 3, s[2:3]
	v_lshl_add_u64 v[120:121], v[10:11], 3, s[2:3]
	;; [unrolled: 1-line block ×39, first 2 shown]
	s_wait_loadcnt 0x0
	flat_store_b64 v[6:7], v[4:5]
	scratch_load_b64 v[4:5], off, off offset:16
	s_wait_loadcnt 0x0
	flat_store_b64 v[122:123], v[4:5]
	scratch_load_b64 v[4:5], off, off offset:24
	;; [unrolled: 3-line block ×39, first 2 shown]
	s_wait_loadcnt 0x0
	flat_store_b64 v[0:1], v[2:3]
	s_sendmsg sendmsg(MSG_DEALLOC_VGPRS)
	s_endpgm
	.section	.rodata,"a",@progbits
	.p2align	6, 0x0
	.amdhsa_kernel _ZN9rocsolver6v33100L18getri_kernel_smallILi41EdPKPdEEvT1_iilPiilS6_bb
		.amdhsa_group_segment_fixed_size 664
		.amdhsa_private_segment_fixed_size 336
		.amdhsa_kernarg_size 60
		.amdhsa_user_sgpr_count 2
		.amdhsa_user_sgpr_dispatch_ptr 0
		.amdhsa_user_sgpr_queue_ptr 0
		.amdhsa_user_sgpr_kernarg_segment_ptr 1
		.amdhsa_user_sgpr_dispatch_id 0
		.amdhsa_user_sgpr_kernarg_preload_length 0
		.amdhsa_user_sgpr_kernarg_preload_offset 0
		.amdhsa_user_sgpr_private_segment_size 0
		.amdhsa_wavefront_size32 1
		.amdhsa_uses_dynamic_stack 0
		.amdhsa_enable_private_segment 1
		.amdhsa_system_sgpr_workgroup_id_x 1
		.amdhsa_system_sgpr_workgroup_id_y 0
		.amdhsa_system_sgpr_workgroup_id_z 0
		.amdhsa_system_sgpr_workgroup_info 0
		.amdhsa_system_vgpr_workitem_id 0
		.amdhsa_next_free_vgpr 124
		.amdhsa_next_free_sgpr 19
		.amdhsa_named_barrier_count 0
		.amdhsa_reserve_vcc 1
		.amdhsa_float_round_mode_32 0
		.amdhsa_float_round_mode_16_64 0
		.amdhsa_float_denorm_mode_32 3
		.amdhsa_float_denorm_mode_16_64 3
		.amdhsa_fp16_overflow 0
		.amdhsa_memory_ordered 1
		.amdhsa_forward_progress 1
		.amdhsa_inst_pref_size 255
		.amdhsa_round_robin_scheduling 0
		.amdhsa_exception_fp_ieee_invalid_op 0
		.amdhsa_exception_fp_denorm_src 0
		.amdhsa_exception_fp_ieee_div_zero 0
		.amdhsa_exception_fp_ieee_overflow 0
		.amdhsa_exception_fp_ieee_underflow 0
		.amdhsa_exception_fp_ieee_inexact 0
		.amdhsa_exception_int_div_zero 0
	.end_amdhsa_kernel
	.section	.text._ZN9rocsolver6v33100L18getri_kernel_smallILi41EdPKPdEEvT1_iilPiilS6_bb,"axG",@progbits,_ZN9rocsolver6v33100L18getri_kernel_smallILi41EdPKPdEEvT1_iilPiilS6_bb,comdat
.Lfunc_end104:
	.size	_ZN9rocsolver6v33100L18getri_kernel_smallILi41EdPKPdEEvT1_iilPiilS6_bb, .Lfunc_end104-_ZN9rocsolver6v33100L18getri_kernel_smallILi41EdPKPdEEvT1_iilPiilS6_bb
                                        ; -- End function
	.set _ZN9rocsolver6v33100L18getri_kernel_smallILi41EdPKPdEEvT1_iilPiilS6_bb.num_vgpr, 124
	.set _ZN9rocsolver6v33100L18getri_kernel_smallILi41EdPKPdEEvT1_iilPiilS6_bb.num_agpr, 0
	.set _ZN9rocsolver6v33100L18getri_kernel_smallILi41EdPKPdEEvT1_iilPiilS6_bb.numbered_sgpr, 19
	.set _ZN9rocsolver6v33100L18getri_kernel_smallILi41EdPKPdEEvT1_iilPiilS6_bb.num_named_barrier, 0
	.set _ZN9rocsolver6v33100L18getri_kernel_smallILi41EdPKPdEEvT1_iilPiilS6_bb.private_seg_size, 336
	.set _ZN9rocsolver6v33100L18getri_kernel_smallILi41EdPKPdEEvT1_iilPiilS6_bb.uses_vcc, 1
	.set _ZN9rocsolver6v33100L18getri_kernel_smallILi41EdPKPdEEvT1_iilPiilS6_bb.uses_flat_scratch, 1
	.set _ZN9rocsolver6v33100L18getri_kernel_smallILi41EdPKPdEEvT1_iilPiilS6_bb.has_dyn_sized_stack, 0
	.set _ZN9rocsolver6v33100L18getri_kernel_smallILi41EdPKPdEEvT1_iilPiilS6_bb.has_recursion, 0
	.set _ZN9rocsolver6v33100L18getri_kernel_smallILi41EdPKPdEEvT1_iilPiilS6_bb.has_indirect_call, 0
	.section	.AMDGPU.csdata,"",@progbits
; Kernel info:
; codeLenInByte = 36160
; TotalNumSgprs: 21
; NumVgprs: 124
; ScratchSize: 336
; MemoryBound: 0
; FloatMode: 240
; IeeeMode: 1
; LDSByteSize: 664 bytes/workgroup (compile time only)
; SGPRBlocks: 0
; VGPRBlocks: 7
; NumSGPRsForWavesPerEU: 21
; NumVGPRsForWavesPerEU: 124
; NamedBarCnt: 0
; Occupancy: 8
; WaveLimiterHint : 1
; COMPUTE_PGM_RSRC2:SCRATCH_EN: 1
; COMPUTE_PGM_RSRC2:USER_SGPR: 2
; COMPUTE_PGM_RSRC2:TRAP_HANDLER: 0
; COMPUTE_PGM_RSRC2:TGID_X_EN: 1
; COMPUTE_PGM_RSRC2:TGID_Y_EN: 0
; COMPUTE_PGM_RSRC2:TGID_Z_EN: 0
; COMPUTE_PGM_RSRC2:TIDIG_COMP_CNT: 0
	.section	.text._ZN9rocsolver6v33100L18getri_kernel_smallILi42EdPKPdEEvT1_iilPiilS6_bb,"axG",@progbits,_ZN9rocsolver6v33100L18getri_kernel_smallILi42EdPKPdEEvT1_iilPiilS6_bb,comdat
	.globl	_ZN9rocsolver6v33100L18getri_kernel_smallILi42EdPKPdEEvT1_iilPiilS6_bb ; -- Begin function _ZN9rocsolver6v33100L18getri_kernel_smallILi42EdPKPdEEvT1_iilPiilS6_bb
	.p2align	8
	.type	_ZN9rocsolver6v33100L18getri_kernel_smallILi42EdPKPdEEvT1_iilPiilS6_bb,@function
_ZN9rocsolver6v33100L18getri_kernel_smallILi42EdPKPdEEvT1_iilPiilS6_bb: ; @_ZN9rocsolver6v33100L18getri_kernel_smallILi42EdPKPdEEvT1_iilPiilS6_bb
; %bb.0:
	s_mov_b32 s2, exec_lo
	v_cmpx_gt_u32_e32 42, v0
	s_cbranch_execz .LBB105_178
; %bb.1:
	s_clause 0x1
	s_load_b32 s13, s[0:1], 0x38
	s_load_b64 s[2:3], s[0:1], 0x0
	s_getreg_b32 s6, hwreg(HW_REG_IB_STS2, 6, 4)
	s_wait_kmcnt 0x0
	s_bitcmp1_b32 s13, 8
	s_cselect_b32 s12, -1, 0
	s_bfe_u32 s4, ttmp6, 0x4000c
	s_and_b32 s5, ttmp6, 15
	s_add_co_i32 s4, s4, 1
	s_delay_alu instid0(SALU_CYCLE_1) | instskip(NEXT) | instid1(SALU_CYCLE_1)
	s_mul_i32 s4, ttmp9, s4
	s_add_co_i32 s5, s5, s4
	s_cmp_eq_u32 s6, 0
	s_cselect_b32 s10, ttmp9, s5
	s_load_b128 s[4:7], s[0:1], 0x28
	s_ashr_i32 s11, s10, 31
	s_delay_alu instid0(SALU_CYCLE_1) | instskip(NEXT) | instid1(SALU_CYCLE_1)
	s_lshl_b64 s[8:9], s[10:11], 3
	s_add_nc_u64 s[2:3], s[2:3], s[8:9]
	s_bfe_u32 s8, s13, 0x10008
	s_load_b64 s[2:3], s[2:3], 0x0
	s_cmp_eq_u32 s8, 0
                                        ; implicit-def: $sgpr8_sgpr9
	s_cbranch_scc1 .LBB105_3
; %bb.2:
	s_load_b96 s[16:18], s[0:1], 0x18
	s_wait_kmcnt 0x0
	s_mul_u64 s[4:5], s[4:5], s[10:11]
	s_delay_alu instid0(SALU_CYCLE_1) | instskip(SKIP_4) | instid1(SALU_CYCLE_1)
	s_lshl_b64 s[4:5], s[4:5], 2
	s_ashr_i32 s9, s18, 31
	s_mov_b32 s8, s18
	s_add_nc_u64 s[4:5], s[16:17], s[4:5]
	s_lshl_b64 s[8:9], s[8:9], 2
	s_add_nc_u64 s[8:9], s[4:5], s[8:9]
.LBB105_3:
	s_wait_kmcnt 0x0
	s_clause 0x1
	s_load_b64 s[4:5], s[0:1], 0x8
	s_load_b32 s13, s[0:1], 0x38
	v_dual_mov_b32 v3, 0 :: v_dual_lshlrev_b32 v2, 3, v0
	s_wait_kmcnt 0x0
	s_ashr_i32 s1, s4, 31
	s_mov_b32 s0, s4
	s_delay_alu instid0(SALU_CYCLE_1) | instskip(NEXT) | instid1(SALU_CYCLE_1)
	s_lshl_b64 s[0:1], s[0:1], 3
	s_add_nc_u64 s[2:3], s[2:3], s[0:1]
	s_ashr_i32 s1, s5, 31
	flat_load_b64 v[8:9], v0, s[2:3] scale_offset
	v_add_nc_u64_e32 v[4:5], s[2:3], v[2:3]
	s_mov_b32 s0, s5
	s_bitcmp0_b32 s13, 0
	s_delay_alu instid0(VALU_DEP_1)
	v_lshl_add_u64 v[6:7], s[0:1], 3, v[4:5]
	s_mov_b32 s1, -1
	s_wait_loadcnt_dscnt 0x0
	scratch_store_b64 off, v[8:9], off
	flat_load_b64 v[10:11], v[6:7]
	s_wait_xcnt 0x1
	v_add3_u32 v8, s5, s5, v0
	s_wait_loadcnt_dscnt 0x0
	scratch_store_b64 off, v[10:11], off offset:8
	flat_load_b64 v[12:13], v8, s[2:3] scale_offset
	s_wait_xcnt 0x1
	v_add_nc_u32_e32 v10, s5, v8
	s_wait_loadcnt_dscnt 0x0
	scratch_store_b64 off, v[12:13], off offset:16
	flat_load_b64 v[14:15], v10, s[2:3] scale_offset
	s_wait_xcnt 0x1
	v_add_nc_u32_e32 v12, s5, v10
	;; [unrolled: 5-line block ×39, first 2 shown]
	s_wait_loadcnt_dscnt 0x0
	scratch_store_b64 off, v[88:89], off offset:320
	flat_load_b64 v[88:89], v86, s[2:3] scale_offset
	s_wait_loadcnt_dscnt 0x0
	scratch_store_b64 off, v[88:89], off offset:328
	s_cbranch_scc1 .LBB105_176
; %bb.4:
	v_cmp_eq_u32_e64 s0, 0, v0
	s_wait_xcnt 0x0
	s_and_saveexec_b32 s1, s0
; %bb.5:
	v_mov_b32_e32 v1, 0
	ds_store_b32 v1, v1 offset:672
; %bb.6:
	s_or_b32 exec_lo, exec_lo, s1
	s_wait_storecnt_dscnt 0x0
	s_barrier_signal -1
	s_barrier_wait -1
	scratch_load_b64 v[88:89], v0, off scale_offset
	s_mov_b32 s4, exec_lo
	s_wait_loadcnt 0x0
	v_cmpx_eq_f64_e32 0, v[88:89]
	s_cbranch_execz .LBB105_10
; %bb.7:
	v_mov_b32_e32 v1, 0
	s_mov_b32 s5, 0
	ds_load_b32 v3, v1 offset:672
	s_wait_dscnt 0x0
	v_readfirstlane_b32 s1, v3
	v_add_nc_u32_e32 v3, 1, v0
	s_cmp_eq_u32 s1, 0
	s_delay_alu instid0(VALU_DEP_1) | instskip(SKIP_1) | instid1(SALU_CYCLE_1)
	v_cmp_gt_i32_e32 vcc_lo, s1, v3
	s_cselect_b32 s13, -1, 0
	s_or_b32 s13, s13, vcc_lo
	s_delay_alu instid0(SALU_CYCLE_1)
	s_and_b32 exec_lo, exec_lo, s13
	s_cbranch_execz .LBB105_10
; %bb.8:
	v_mov_b32_e32 v9, s1
.LBB105_9:                              ; =>This Inner Loop Header: Depth=1
	ds_cmpstore_rtn_b32 v9, v1, v3, v9 offset:672
	s_wait_dscnt 0x0
	v_cmp_ne_u32_e32 vcc_lo, 0, v9
	v_cmp_le_i32_e64 s1, v9, v3
	s_and_b32 s1, vcc_lo, s1
	s_delay_alu instid0(SALU_CYCLE_1) | instskip(NEXT) | instid1(SALU_CYCLE_1)
	s_and_b32 s1, exec_lo, s1
	s_or_b32 s5, s1, s5
	s_delay_alu instid0(SALU_CYCLE_1)
	s_and_not1_b32 exec_lo, exec_lo, s5
	s_cbranch_execnz .LBB105_9
.LBB105_10:
	s_or_b32 exec_lo, exec_lo, s4
	v_mov_b32_e32 v1, 0
	s_barrier_signal -1
	s_barrier_wait -1
	ds_load_b32 v3, v1 offset:672
	s_and_saveexec_b32 s1, s0
	s_cbranch_execz .LBB105_12
; %bb.11:
	s_lshl_b64 s[4:5], s[10:11], 2
	s_delay_alu instid0(SALU_CYCLE_1)
	s_add_nc_u64 s[4:5], s[6:7], s[4:5]
	s_wait_dscnt 0x0
	global_store_b32 v1, v3, s[4:5]
.LBB105_12:
	s_wait_xcnt 0x0
	s_or_b32 exec_lo, exec_lo, s1
	s_wait_dscnt 0x0
	v_cmp_ne_u32_e32 vcc_lo, 0, v3
	s_mov_b32 s1, 0
	s_cbranch_vccnz .LBB105_176
; %bb.13:
	v_lshl_add_u32 v3, v0, 3, 0
	v_add_nc_u32_e32 v1, 0x150, v2
	scratch_load_b64 v[88:89], v3, off
	s_wait_loadcnt 0x0
	v_div_scale_f64 v[90:91], null, v[88:89], v[88:89], 1.0
	v_div_scale_f64 v[96:97], vcc_lo, 1.0, v[88:89], 1.0
	s_delay_alu instid0(VALU_DEP_2) | instskip(SKIP_1) | instid1(TRANS32_DEP_1)
	v_rcp_f64_e32 v[92:93], v[90:91]
	v_nop
	v_fma_f64 v[94:95], -v[90:91], v[92:93], 1.0
	s_delay_alu instid0(VALU_DEP_1) | instskip(NEXT) | instid1(VALU_DEP_1)
	v_fmac_f64_e32 v[92:93], v[92:93], v[94:95]
	v_fma_f64 v[94:95], -v[90:91], v[92:93], 1.0
	s_delay_alu instid0(VALU_DEP_1) | instskip(NEXT) | instid1(VALU_DEP_1)
	v_fmac_f64_e32 v[92:93], v[92:93], v[94:95]
	v_mul_f64_e32 v[94:95], v[96:97], v[92:93]
	s_delay_alu instid0(VALU_DEP_1) | instskip(NEXT) | instid1(VALU_DEP_1)
	v_fma_f64 v[90:91], -v[90:91], v[94:95], v[96:97]
	v_div_fmas_f64 v[90:91], v[90:91], v[92:93], v[94:95]
	s_delay_alu instid0(VALU_DEP_1)
	v_div_fixup_f64 v[88:89], v[90:91], v[88:89], 1.0
	scratch_store_b64 v3, v[88:89], off
	scratch_load_b64 v[90:91], off, off offset:8
	s_wait_xcnt 0x1
	v_xor_b32_e32 v89, 0x80000000, v89
	s_wait_loadcnt 0x0
	ds_store_2addr_b64 v2, v[88:89], v[90:91] offset1:42
	s_wait_storecnt_dscnt 0x0
	s_barrier_signal -1
	s_barrier_wait -1
	s_wait_xcnt 0x0
	s_and_saveexec_b32 s1, s0
	s_cbranch_execz .LBB105_15
; %bb.14:
	scratch_load_b64 v[88:89], v3, off
	ds_load_b64 v[90:91], v1
	s_wait_loadcnt_dscnt 0x0
	v_fma_f64 v[88:89], v[88:89], v[90:91], 0
	v_mov_b32_e32 v9, 0
	ds_load_b64 v[92:93], v9 offset:8
	s_wait_dscnt 0x0
	v_mul_f64_e32 v[88:89], v[88:89], v[92:93]
	scratch_store_b64 off, v[88:89], off offset:8
.LBB105_15:
	s_wait_xcnt 0x0
	s_or_b32 exec_lo, exec_lo, s1
	s_wait_storecnt 0x0
	s_barrier_signal -1
	s_barrier_wait -1
	scratch_load_b64 v[88:89], off, off offset:16
	s_mov_b32 s1, exec_lo
	s_wait_loadcnt 0x0
	ds_store_b64 v1, v[88:89]
	s_wait_dscnt 0x0
	s_barrier_signal -1
	s_barrier_wait -1
	v_cmpx_gt_u32_e32 2, v0
	s_cbranch_execz .LBB105_19
; %bb.16:
	scratch_load_b64 v[88:89], v3, off
	ds_load_b64 v[90:91], v1
	s_wait_loadcnt_dscnt 0x0
	v_fma_f64 v[88:89], v[88:89], v[90:91], 0
	s_and_saveexec_b32 s4, s0
	s_cbranch_execz .LBB105_18
; %bb.17:
	scratch_load_b64 v[90:91], off, off offset:8
	v_mov_b32_e32 v3, 0
	ds_load_b64 v[92:93], v3 offset:344
	s_wait_loadcnt_dscnt 0x0
	v_fmac_f64_e32 v[88:89], v[90:91], v[92:93]
.LBB105_18:
	s_or_b32 exec_lo, exec_lo, s4
	v_mov_b32_e32 v3, 0
	ds_load_b64 v[90:91], v3 offset:16
	s_wait_dscnt 0x0
	v_mul_f64_e32 v[88:89], v[88:89], v[90:91]
	scratch_store_b64 off, v[88:89], off offset:16
.LBB105_19:
	s_wait_xcnt 0x0
	s_or_b32 exec_lo, exec_lo, s1
	s_wait_storecnt 0x0
	s_barrier_signal -1
	s_barrier_wait -1
	scratch_load_b64 v[88:89], off, off offset:24
	v_add_nc_u32_e32 v3, -1, v0
	s_mov_b32 s0, exec_lo
	s_wait_loadcnt 0x0
	ds_store_b64 v1, v[88:89]
	s_wait_dscnt 0x0
	s_barrier_signal -1
	s_barrier_wait -1
	v_cmpx_gt_u32_e32 3, v0
	s_cbranch_execz .LBB105_23
; %bb.20:
	v_mov_b64_e32 v[88:89], 0
	v_dual_add_nc_u32 v9, -1, v0 :: v_dual_mov_b32 v13, v2
	v_add_nc_u32_e32 v11, 0x150, v2
	s_mov_b32 s1, 0
.LBB105_21:                             ; =>This Inner Loop Header: Depth=1
	scratch_load_b64 v[90:91], v13, off
	ds_load_b64 v[92:93], v11
	v_dual_add_nc_u32 v9, 1, v9 :: v_dual_add_nc_u32 v11, 8, v11
	s_wait_xcnt 0x0
	v_add_nc_u32_e32 v13, 8, v13
	s_delay_alu instid0(VALU_DEP_2)
	v_cmp_lt_u32_e32 vcc_lo, 1, v9
	s_or_b32 s1, vcc_lo, s1
	s_wait_loadcnt_dscnt 0x0
	v_fmac_f64_e32 v[88:89], v[90:91], v[92:93]
	s_and_not1_b32 exec_lo, exec_lo, s1
	s_cbranch_execnz .LBB105_21
; %bb.22:
	s_or_b32 exec_lo, exec_lo, s1
	v_mov_b32_e32 v9, 0
	ds_load_b64 v[90:91], v9 offset:24
	s_wait_dscnt 0x0
	v_mul_f64_e32 v[88:89], v[88:89], v[90:91]
	scratch_store_b64 off, v[88:89], off offset:24
.LBB105_23:
	s_wait_xcnt 0x0
	s_or_b32 exec_lo, exec_lo, s0
	s_wait_storecnt 0x0
	s_barrier_signal -1
	s_barrier_wait -1
	scratch_load_b64 v[88:89], off, off offset:32
	s_mov_b32 s0, exec_lo
	s_wait_loadcnt 0x0
	ds_store_b64 v1, v[88:89]
	s_wait_dscnt 0x0
	s_barrier_signal -1
	s_barrier_wait -1
	v_cmpx_gt_u32_e32 4, v0
	s_cbranch_execz .LBB105_27
; %bb.24:
	v_mov_b64_e32 v[88:89], 0
	v_dual_add_nc_u32 v9, -1, v0 :: v_dual_mov_b32 v13, v2
	v_add_nc_u32_e32 v11, 0x150, v2
	s_mov_b32 s1, 0
.LBB105_25:                             ; =>This Inner Loop Header: Depth=1
	scratch_load_b64 v[90:91], v13, off
	ds_load_b64 v[92:93], v11
	v_dual_add_nc_u32 v9, 1, v9 :: v_dual_add_nc_u32 v11, 8, v11
	s_wait_xcnt 0x0
	v_add_nc_u32_e32 v13, 8, v13
	s_delay_alu instid0(VALU_DEP_2)
	v_cmp_lt_u32_e32 vcc_lo, 2, v9
	s_or_b32 s1, vcc_lo, s1
	s_wait_loadcnt_dscnt 0x0
	v_fmac_f64_e32 v[88:89], v[90:91], v[92:93]
	s_and_not1_b32 exec_lo, exec_lo, s1
	s_cbranch_execnz .LBB105_25
; %bb.26:
	s_or_b32 exec_lo, exec_lo, s1
	v_mov_b32_e32 v9, 0
	ds_load_b64 v[90:91], v9 offset:32
	s_wait_dscnt 0x0
	v_mul_f64_e32 v[88:89], v[88:89], v[90:91]
	scratch_store_b64 off, v[88:89], off offset:32
.LBB105_27:
	s_wait_xcnt 0x0
	s_or_b32 exec_lo, exec_lo, s0
	s_wait_storecnt 0x0
	s_barrier_signal -1
	s_barrier_wait -1
	scratch_load_b64 v[88:89], off, off offset:40
	;; [unrolled: 40-line block ×20, first 2 shown]
	s_mov_b32 s0, exec_lo
	s_wait_loadcnt 0x0
	ds_store_b64 v1, v[88:89]
	s_wait_dscnt 0x0
	s_barrier_signal -1
	s_barrier_wait -1
	v_cmpx_gt_u32_e32 23, v0
	s_cbranch_execz .LBB105_103
; %bb.100:
	v_mov_b64_e32 v[88:89], 0
	v_dual_add_nc_u32 v9, -1, v0 :: v_dual_mov_b32 v13, v2
	v_add_nc_u32_e32 v11, 0x150, v2
	s_mov_b32 s1, 0
.LBB105_101:                            ; =>This Inner Loop Header: Depth=1
	scratch_load_b64 v[90:91], v13, off
	ds_load_b64 v[92:93], v11
	v_dual_add_nc_u32 v9, 1, v9 :: v_dual_add_nc_u32 v11, 8, v11
	s_wait_xcnt 0x0
	v_add_nc_u32_e32 v13, 8, v13
	s_delay_alu instid0(VALU_DEP_2)
	v_cmp_lt_u32_e32 vcc_lo, 21, v9
	s_or_b32 s1, vcc_lo, s1
	s_wait_loadcnt_dscnt 0x0
	v_fmac_f64_e32 v[88:89], v[90:91], v[92:93]
	s_and_not1_b32 exec_lo, exec_lo, s1
	s_cbranch_execnz .LBB105_101
; %bb.102:
	s_or_b32 exec_lo, exec_lo, s1
	v_mov_b32_e32 v9, 0
	ds_load_b64 v[90:91], v9 offset:184
	s_wait_dscnt 0x0
	v_mul_f64_e32 v[88:89], v[88:89], v[90:91]
	scratch_store_b64 off, v[88:89], off offset:184
.LBB105_103:
	s_wait_xcnt 0x0
	s_or_b32 exec_lo, exec_lo, s0
	s_wait_storecnt 0x0
	s_barrier_signal -1
	s_barrier_wait -1
	scratch_load_b64 v[88:89], off, off offset:192
	s_mov_b32 s0, exec_lo
	s_wait_loadcnt 0x0
	ds_store_b64 v1, v[88:89]
	s_wait_dscnt 0x0
	s_barrier_signal -1
	s_barrier_wait -1
	v_cmpx_gt_u32_e32 24, v0
	s_cbranch_execz .LBB105_107
; %bb.104:
	v_mov_b64_e32 v[88:89], 0
	v_dual_add_nc_u32 v9, -1, v0 :: v_dual_mov_b32 v13, v2
	v_add_nc_u32_e32 v11, 0x150, v2
	s_mov_b32 s1, 0
.LBB105_105:                            ; =>This Inner Loop Header: Depth=1
	scratch_load_b64 v[90:91], v13, off
	ds_load_b64 v[92:93], v11
	v_dual_add_nc_u32 v9, 1, v9 :: v_dual_add_nc_u32 v11, 8, v11
	s_wait_xcnt 0x0
	v_add_nc_u32_e32 v13, 8, v13
	s_delay_alu instid0(VALU_DEP_2)
	v_cmp_lt_u32_e32 vcc_lo, 22, v9
	s_or_b32 s1, vcc_lo, s1
	s_wait_loadcnt_dscnt 0x0
	v_fmac_f64_e32 v[88:89], v[90:91], v[92:93]
	s_and_not1_b32 exec_lo, exec_lo, s1
	s_cbranch_execnz .LBB105_105
; %bb.106:
	s_or_b32 exec_lo, exec_lo, s1
	v_mov_b32_e32 v9, 0
	ds_load_b64 v[90:91], v9 offset:192
	s_wait_dscnt 0x0
	v_mul_f64_e32 v[88:89], v[88:89], v[90:91]
	scratch_store_b64 off, v[88:89], off offset:192
.LBB105_107:
	s_wait_xcnt 0x0
	s_or_b32 exec_lo, exec_lo, s0
	s_wait_storecnt 0x0
	s_barrier_signal -1
	s_barrier_wait -1
	scratch_load_b64 v[88:89], off, off offset:200
	;; [unrolled: 40-line block ×18, first 2 shown]
	s_mov_b32 s0, exec_lo
	s_wait_loadcnt 0x0
	ds_store_b64 v1, v[88:89]
	s_wait_dscnt 0x0
	s_barrier_signal -1
	s_barrier_wait -1
	v_cmpx_ne_u32_e32 41, v0
	s_cbranch_execz .LBB105_175
; %bb.172:
	v_mov_b64_e32 v[88:89], 0
	s_mov_b32 s1, 0
.LBB105_173:                            ; =>This Inner Loop Header: Depth=1
	scratch_load_b64 v[90:91], v2, off
	ds_load_b64 v[92:93], v1
	v_dual_add_nc_u32 v3, 1, v3 :: v_dual_add_nc_u32 v1, 8, v1
	s_wait_xcnt 0x0
	v_add_nc_u32_e32 v2, 8, v2
	s_delay_alu instid0(VALU_DEP_2)
	v_cmp_lt_u32_e32 vcc_lo, 39, v3
	s_or_b32 s1, vcc_lo, s1
	s_wait_loadcnt_dscnt 0x0
	v_fmac_f64_e32 v[88:89], v[90:91], v[92:93]
	s_and_not1_b32 exec_lo, exec_lo, s1
	s_cbranch_execnz .LBB105_173
; %bb.174:
	s_or_b32 exec_lo, exec_lo, s1
	v_mov_b32_e32 v1, 0
	ds_load_b64 v[2:3], v1 offset:328
	s_wait_dscnt 0x0
	v_mul_f64_e32 v[2:3], v[88:89], v[2:3]
	scratch_store_b64 off, v[2:3], off offset:328
.LBB105_175:
	s_wait_xcnt 0x0
	s_or_b32 exec_lo, exec_lo, s0
	s_mov_b32 s1, -1
	s_wait_storecnt 0x0
	s_barrier_signal -1
	s_barrier_wait -1
.LBB105_176:
	s_and_b32 vcc_lo, exec_lo, s1
	s_cbranch_vccz .LBB105_178
; %bb.177:
	v_mov_b32_e32 v1, 0
	s_lshl_b64 s[0:1], s[10:11], 2
	s_delay_alu instid0(SALU_CYCLE_1)
	s_add_nc_u64 s[0:1], s[6:7], s[0:1]
	global_load_b32 v1, v1, s[0:1]
	s_wait_loadcnt 0x0
	v_cmp_ne_u32_e32 vcc_lo, 0, v1
	s_cbranch_vccz .LBB105_179
.LBB105_178:
	s_sendmsg sendmsg(MSG_DEALLOC_VGPRS)
	s_endpgm
.LBB105_179:
	s_wait_xcnt 0x0
	v_lshl_add_u32 v1, v0, 3, 0x150
	s_mov_b32 s0, exec_lo
	v_cmpx_eq_u32_e32 41, v0
	s_cbranch_execz .LBB105_181
; %bb.180:
	scratch_load_b64 v[2:3], off, off offset:320
	v_mov_b64_e32 v[88:89], 0
	scratch_store_b64 off, v[88:89], off offset:320
	s_wait_loadcnt 0x0
	ds_store_b64 v1, v[2:3]
.LBB105_181:
	s_wait_xcnt 0x0
	s_or_b32 exec_lo, exec_lo, s0
	s_wait_storecnt_dscnt 0x0
	s_barrier_signal -1
	s_barrier_wait -1
	scratch_load_b128 v[88:91], off, off offset:320
	v_mov_b32_e32 v2, 0
	s_mov_b32 s0, exec_lo
	ds_load_b64 v[92:93], v2 offset:664
	s_wait_loadcnt_dscnt 0x0
	v_fma_f64 v[90:91], v[90:91], v[92:93], 0
	s_delay_alu instid0(VALU_DEP_1)
	v_add_f64_e64 v[88:89], v[88:89], -v[90:91]
	scratch_store_b64 off, v[88:89], off offset:320
	s_wait_xcnt 0x0
	v_cmpx_lt_u32_e32 39, v0
	s_cbranch_execz .LBB105_183
; %bb.182:
	scratch_load_b64 v[88:89], off, off offset:312
	v_mov_b64_e32 v[90:91], 0
	scratch_store_b64 off, v[90:91], off offset:312
	s_wait_loadcnt 0x0
	ds_store_b64 v1, v[88:89]
.LBB105_183:
	s_wait_xcnt 0x0
	s_or_b32 exec_lo, exec_lo, s0
	s_wait_storecnt_dscnt 0x0
	s_barrier_signal -1
	s_barrier_wait -1
	s_clause 0x1
	scratch_load_b128 v[88:91], off, off offset:312
	scratch_load_b64 v[96:97], off, off offset:328
	ds_load_b128 v[92:95], v2 offset:656
	s_mov_b32 s0, exec_lo
	s_wait_loadcnt_dscnt 0x100
	v_fma_f64 v[2:3], v[90:91], v[92:93], 0
	s_wait_loadcnt 0x0
	s_delay_alu instid0(VALU_DEP_1) | instskip(NEXT) | instid1(VALU_DEP_1)
	v_fmac_f64_e32 v[2:3], v[96:97], v[94:95]
	v_add_f64_e64 v[2:3], v[88:89], -v[2:3]
	scratch_store_b64 off, v[2:3], off offset:312
	s_wait_xcnt 0x0
	v_cmpx_lt_u32_e32 38, v0
	s_cbranch_execz .LBB105_185
; %bb.184:
	scratch_load_b64 v[2:3], off, off offset:304
	v_mov_b64_e32 v[88:89], 0
	scratch_store_b64 off, v[88:89], off offset:304
	s_wait_loadcnt 0x0
	ds_store_b64 v1, v[2:3]
.LBB105_185:
	s_wait_xcnt 0x0
	s_or_b32 exec_lo, exec_lo, s0
	s_wait_storecnt_dscnt 0x0
	s_barrier_signal -1
	s_barrier_wait -1
	s_clause 0x1
	scratch_load_b128 v[88:91], off, off offset:304
	scratch_load_b128 v[92:95], off, off offset:320
	v_mov_b32_e32 v2, 0
	ds_load_2addr_b64 v[96:99], v2 offset0:81 offset1:82
	ds_load_b64 v[100:101], v2 offset:664
	s_mov_b32 s0, exec_lo
	s_wait_loadcnt_dscnt 0x101
	v_fma_f64 v[90:91], v[90:91], v[96:97], 0
	s_wait_loadcnt 0x0
	s_delay_alu instid0(VALU_DEP_1) | instskip(SKIP_1) | instid1(VALU_DEP_1)
	v_fmac_f64_e32 v[90:91], v[92:93], v[98:99]
	s_wait_dscnt 0x0
	v_fmac_f64_e32 v[90:91], v[94:95], v[100:101]
	s_delay_alu instid0(VALU_DEP_1)
	v_add_f64_e64 v[88:89], v[88:89], -v[90:91]
	scratch_store_b64 off, v[88:89], off offset:304
	s_wait_xcnt 0x0
	v_cmpx_lt_u32_e32 37, v0
	s_cbranch_execz .LBB105_187
; %bb.186:
	scratch_load_b64 v[88:89], off, off offset:296
	v_mov_b64_e32 v[90:91], 0
	scratch_store_b64 off, v[90:91], off offset:296
	s_wait_loadcnt 0x0
	ds_store_b64 v1, v[88:89]
.LBB105_187:
	s_wait_xcnt 0x0
	s_or_b32 exec_lo, exec_lo, s0
	s_wait_storecnt_dscnt 0x0
	s_barrier_signal -1
	s_barrier_wait -1
	s_clause 0x2
	scratch_load_b128 v[88:91], off, off offset:296
	scratch_load_b128 v[92:95], off, off offset:312
	scratch_load_b64 v[104:105], off, off offset:328
	ds_load_b128 v[96:99], v2 offset:640
	ds_load_b128 v[100:103], v2 offset:656
	s_mov_b32 s0, exec_lo
	s_wait_loadcnt_dscnt 0x201
	v_fma_f64 v[2:3], v[90:91], v[96:97], 0
	s_wait_loadcnt 0x1
	s_delay_alu instid0(VALU_DEP_1) | instskip(SKIP_1) | instid1(VALU_DEP_1)
	v_fmac_f64_e32 v[2:3], v[92:93], v[98:99]
	s_wait_dscnt 0x0
	v_fmac_f64_e32 v[2:3], v[94:95], v[100:101]
	s_wait_loadcnt 0x0
	s_delay_alu instid0(VALU_DEP_1) | instskip(NEXT) | instid1(VALU_DEP_1)
	v_fmac_f64_e32 v[2:3], v[104:105], v[102:103]
	v_add_f64_e64 v[2:3], v[88:89], -v[2:3]
	scratch_store_b64 off, v[2:3], off offset:296
	s_wait_xcnt 0x0
	v_cmpx_lt_u32_e32 36, v0
	s_cbranch_execz .LBB105_189
; %bb.188:
	scratch_load_b64 v[2:3], off, off offset:288
	v_mov_b64_e32 v[88:89], 0
	scratch_store_b64 off, v[88:89], off offset:288
	s_wait_loadcnt 0x0
	ds_store_b64 v1, v[2:3]
.LBB105_189:
	s_wait_xcnt 0x0
	s_or_b32 exec_lo, exec_lo, s0
	s_wait_storecnt_dscnt 0x0
	s_barrier_signal -1
	s_barrier_wait -1
	s_clause 0x2
	scratch_load_b128 v[88:91], off, off offset:288
	scratch_load_b128 v[92:95], off, off offset:304
	;; [unrolled: 1-line block ×3, first 2 shown]
	v_mov_b32_e32 v2, 0
	ds_load_2addr_b64 v[100:103], v2 offset0:79 offset1:80
	ds_load_2addr_b64 v[104:107], v2 offset0:81 offset1:82
	s_mov_b32 s0, exec_lo
	s_wait_loadcnt_dscnt 0x201
	v_fma_f64 v[90:91], v[90:91], v[100:101], 0
	s_wait_loadcnt 0x1
	s_delay_alu instid0(VALU_DEP_1) | instskip(SKIP_4) | instid1(VALU_DEP_1)
	v_fmac_f64_e32 v[90:91], v[92:93], v[102:103]
	ds_load_b64 v[92:93], v2 offset:664
	s_wait_dscnt 0x1
	v_fmac_f64_e32 v[90:91], v[94:95], v[104:105]
	s_wait_loadcnt 0x0
	v_fmac_f64_e32 v[90:91], v[96:97], v[106:107]
	s_wait_dscnt 0x0
	s_delay_alu instid0(VALU_DEP_1) | instskip(NEXT) | instid1(VALU_DEP_1)
	v_fmac_f64_e32 v[90:91], v[98:99], v[92:93]
	v_add_f64_e64 v[88:89], v[88:89], -v[90:91]
	scratch_store_b64 off, v[88:89], off offset:288
	s_wait_xcnt 0x0
	v_cmpx_lt_u32_e32 35, v0
	s_cbranch_execz .LBB105_191
; %bb.190:
	scratch_load_b64 v[88:89], off, off offset:280
	v_mov_b64_e32 v[90:91], 0
	scratch_store_b64 off, v[90:91], off offset:280
	s_wait_loadcnt 0x0
	ds_store_b64 v1, v[88:89]
.LBB105_191:
	s_wait_xcnt 0x0
	s_or_b32 exec_lo, exec_lo, s0
	s_wait_storecnt_dscnt 0x0
	s_barrier_signal -1
	s_barrier_wait -1
	s_clause 0x3
	scratch_load_b128 v[88:91], off, off offset:280
	scratch_load_b128 v[92:95], off, off offset:296
	;; [unrolled: 1-line block ×3, first 2 shown]
	scratch_load_b64 v[108:109], off, off offset:328
	ds_load_b128 v[100:103], v2 offset:624
	ds_load_b128 v[104:107], v2 offset:640
	s_mov_b32 s0, exec_lo
	s_wait_loadcnt_dscnt 0x301
	v_fma_f64 v[100:101], v[90:91], v[100:101], 0
	s_wait_loadcnt 0x2
	s_delay_alu instid0(VALU_DEP_1) | instskip(SKIP_4) | instid1(VALU_DEP_1)
	v_fmac_f64_e32 v[100:101], v[92:93], v[102:103]
	ds_load_b128 v[90:93], v2 offset:656
	s_wait_dscnt 0x1
	v_fmac_f64_e32 v[100:101], v[94:95], v[104:105]
	s_wait_loadcnt 0x1
	v_fmac_f64_e32 v[100:101], v[96:97], v[106:107]
	s_wait_dscnt 0x0
	s_delay_alu instid0(VALU_DEP_1) | instskip(SKIP_1) | instid1(VALU_DEP_1)
	v_fmac_f64_e32 v[100:101], v[98:99], v[90:91]
	s_wait_loadcnt 0x0
	v_fmac_f64_e32 v[100:101], v[108:109], v[92:93]
	s_delay_alu instid0(VALU_DEP_1)
	v_add_f64_e64 v[2:3], v[88:89], -v[100:101]
	scratch_store_b64 off, v[2:3], off offset:280
	s_wait_xcnt 0x0
	v_cmpx_lt_u32_e32 34, v0
	s_cbranch_execz .LBB105_193
; %bb.192:
	scratch_load_b64 v[2:3], off, off offset:272
	v_mov_b64_e32 v[88:89], 0
	scratch_store_b64 off, v[88:89], off offset:272
	s_wait_loadcnt 0x0
	ds_store_b64 v1, v[2:3]
.LBB105_193:
	s_wait_xcnt 0x0
	s_or_b32 exec_lo, exec_lo, s0
	s_wait_storecnt_dscnt 0x0
	s_barrier_signal -1
	s_barrier_wait -1
	s_clause 0x3
	scratch_load_b128 v[88:91], off, off offset:272
	scratch_load_b128 v[92:95], off, off offset:288
	;; [unrolled: 1-line block ×4, first 2 shown]
	v_mov_b32_e32 v2, 0
	ds_load_2addr_b64 v[104:107], v2 offset0:77 offset1:78
	ds_load_2addr_b64 v[108:111], v2 offset0:79 offset1:80
	s_mov_b32 s0, exec_lo
	s_wait_loadcnt_dscnt 0x301
	v_fma_f64 v[104:105], v[90:91], v[104:105], 0
	s_wait_loadcnt 0x2
	s_delay_alu instid0(VALU_DEP_1) | instskip(SKIP_1) | instid1(VALU_DEP_1)
	v_fmac_f64_e32 v[104:105], v[92:93], v[106:107]
	s_wait_dscnt 0x0
	v_fmac_f64_e32 v[104:105], v[94:95], v[108:109]
	ds_load_2addr_b64 v[90:93], v2 offset0:81 offset1:82
	ds_load_b64 v[94:95], v2 offset:664
	s_wait_loadcnt 0x1
	v_fmac_f64_e32 v[104:105], v[96:97], v[110:111]
	s_wait_dscnt 0x1
	s_delay_alu instid0(VALU_DEP_1) | instskip(SKIP_1) | instid1(VALU_DEP_1)
	v_fmac_f64_e32 v[104:105], v[98:99], v[90:91]
	s_wait_loadcnt 0x0
	v_fmac_f64_e32 v[104:105], v[100:101], v[92:93]
	s_wait_dscnt 0x0
	s_delay_alu instid0(VALU_DEP_1) | instskip(NEXT) | instid1(VALU_DEP_1)
	v_fmac_f64_e32 v[104:105], v[102:103], v[94:95]
	v_add_f64_e64 v[88:89], v[88:89], -v[104:105]
	scratch_store_b64 off, v[88:89], off offset:272
	s_wait_xcnt 0x0
	v_cmpx_lt_u32_e32 33, v0
	s_cbranch_execz .LBB105_195
; %bb.194:
	scratch_load_b64 v[88:89], off, off offset:264
	v_mov_b64_e32 v[90:91], 0
	scratch_store_b64 off, v[90:91], off offset:264
	s_wait_loadcnt 0x0
	ds_store_b64 v1, v[88:89]
.LBB105_195:
	s_wait_xcnt 0x0
	s_or_b32 exec_lo, exec_lo, s0
	s_wait_storecnt_dscnt 0x0
	s_barrier_signal -1
	s_barrier_wait -1
	s_clause 0x4
	scratch_load_b128 v[88:91], off, off offset:264
	scratch_load_b128 v[92:95], off, off offset:280
	scratch_load_b128 v[96:99], off, off offset:296
	scratch_load_b128 v[100:103], off, off offset:312
	scratch_load_b64 v[112:113], off, off offset:328
	ds_load_b128 v[104:107], v2 offset:608
	ds_load_b128 v[108:111], v2 offset:624
	s_mov_b32 s0, exec_lo
	s_wait_loadcnt_dscnt 0x401
	v_fma_f64 v[104:105], v[90:91], v[104:105], 0
	s_wait_loadcnt 0x3
	s_delay_alu instid0(VALU_DEP_1) | instskip(SKIP_1) | instid1(VALU_DEP_1)
	v_fmac_f64_e32 v[104:105], v[92:93], v[106:107]
	s_wait_dscnt 0x0
	v_fmac_f64_e32 v[104:105], v[94:95], v[108:109]
	s_wait_loadcnt 0x2
	s_delay_alu instid0(VALU_DEP_1)
	v_fmac_f64_e32 v[104:105], v[96:97], v[110:111]
	ds_load_b128 v[90:93], v2 offset:640
	ds_load_b128 v[94:97], v2 offset:656
	s_wait_dscnt 0x1
	v_fmac_f64_e32 v[104:105], v[98:99], v[90:91]
	s_wait_loadcnt 0x1
	s_delay_alu instid0(VALU_DEP_1) | instskip(SKIP_1) | instid1(VALU_DEP_1)
	v_fmac_f64_e32 v[104:105], v[100:101], v[92:93]
	s_wait_dscnt 0x0
	v_fmac_f64_e32 v[104:105], v[102:103], v[94:95]
	s_wait_loadcnt 0x0
	s_delay_alu instid0(VALU_DEP_1) | instskip(NEXT) | instid1(VALU_DEP_1)
	v_fmac_f64_e32 v[104:105], v[112:113], v[96:97]
	v_add_f64_e64 v[2:3], v[88:89], -v[104:105]
	scratch_store_b64 off, v[2:3], off offset:264
	s_wait_xcnt 0x0
	v_cmpx_lt_u32_e32 32, v0
	s_cbranch_execz .LBB105_197
; %bb.196:
	scratch_load_b64 v[2:3], off, off offset:256
	v_mov_b64_e32 v[88:89], 0
	scratch_store_b64 off, v[88:89], off offset:256
	s_wait_loadcnt 0x0
	ds_store_b64 v1, v[2:3]
.LBB105_197:
	s_wait_xcnt 0x0
	s_or_b32 exec_lo, exec_lo, s0
	s_wait_storecnt_dscnt 0x0
	s_barrier_signal -1
	s_barrier_wait -1
	s_clause 0x4
	scratch_load_b128 v[88:91], off, off offset:256
	scratch_load_b128 v[92:95], off, off offset:272
	;; [unrolled: 1-line block ×5, first 2 shown]
	v_mov_b32_e32 v2, 0
	ds_load_2addr_b64 v[108:111], v2 offset0:75 offset1:76
	ds_load_2addr_b64 v[112:115], v2 offset0:77 offset1:78
	s_mov_b32 s0, exec_lo
	s_wait_loadcnt_dscnt 0x401
	v_fma_f64 v[108:109], v[90:91], v[108:109], 0
	s_wait_loadcnt 0x3
	s_delay_alu instid0(VALU_DEP_1) | instskip(SKIP_1) | instid1(VALU_DEP_1)
	v_fmac_f64_e32 v[108:109], v[92:93], v[110:111]
	s_wait_dscnt 0x0
	v_fmac_f64_e32 v[108:109], v[94:95], v[112:113]
	s_wait_loadcnt 0x2
	s_delay_alu instid0(VALU_DEP_1)
	v_fmac_f64_e32 v[108:109], v[96:97], v[114:115]
	ds_load_2addr_b64 v[90:93], v2 offset0:79 offset1:80
	ds_load_2addr_b64 v[94:97], v2 offset0:81 offset1:82
	s_wait_dscnt 0x1
	v_fmac_f64_e32 v[108:109], v[98:99], v[90:91]
	ds_load_b64 v[90:91], v2 offset:664
	s_wait_loadcnt 0x1
	v_fmac_f64_e32 v[108:109], v[100:101], v[92:93]
	s_wait_dscnt 0x1
	s_delay_alu instid0(VALU_DEP_1) | instskip(SKIP_1) | instid1(VALU_DEP_1)
	v_fmac_f64_e32 v[108:109], v[102:103], v[94:95]
	s_wait_loadcnt 0x0
	v_fmac_f64_e32 v[108:109], v[104:105], v[96:97]
	s_wait_dscnt 0x0
	s_delay_alu instid0(VALU_DEP_1) | instskip(NEXT) | instid1(VALU_DEP_1)
	v_fmac_f64_e32 v[108:109], v[106:107], v[90:91]
	v_add_f64_e64 v[88:89], v[88:89], -v[108:109]
	scratch_store_b64 off, v[88:89], off offset:256
	s_wait_xcnt 0x0
	v_cmpx_lt_u32_e32 31, v0
	s_cbranch_execz .LBB105_199
; %bb.198:
	scratch_load_b64 v[88:89], off, off offset:248
	v_mov_b64_e32 v[90:91], 0
	scratch_store_b64 off, v[90:91], off offset:248
	s_wait_loadcnt 0x0
	ds_store_b64 v1, v[88:89]
.LBB105_199:
	s_wait_xcnt 0x0
	s_or_b32 exec_lo, exec_lo, s0
	s_wait_storecnt_dscnt 0x0
	s_barrier_signal -1
	s_barrier_wait -1
	s_clause 0x5
	scratch_load_b128 v[88:91], off, off offset:248
	scratch_load_b128 v[92:95], off, off offset:264
	;; [unrolled: 1-line block ×5, first 2 shown]
	scratch_load_b64 v[116:117], off, off offset:328
	ds_load_b128 v[108:111], v2 offset:592
	ds_load_b128 v[112:115], v2 offset:608
	s_mov_b32 s0, exec_lo
	s_wait_loadcnt_dscnt 0x501
	v_fma_f64 v[108:109], v[90:91], v[108:109], 0
	s_wait_loadcnt 0x4
	s_delay_alu instid0(VALU_DEP_1) | instskip(SKIP_1) | instid1(VALU_DEP_1)
	v_fmac_f64_e32 v[108:109], v[92:93], v[110:111]
	s_wait_dscnt 0x0
	v_fmac_f64_e32 v[108:109], v[94:95], v[112:113]
	s_wait_loadcnt 0x3
	s_delay_alu instid0(VALU_DEP_1)
	v_fmac_f64_e32 v[108:109], v[96:97], v[114:115]
	ds_load_b128 v[90:93], v2 offset:624
	ds_load_b128 v[94:97], v2 offset:640
	s_wait_dscnt 0x1
	v_fmac_f64_e32 v[108:109], v[98:99], v[90:91]
	s_wait_loadcnt 0x2
	s_delay_alu instid0(VALU_DEP_1) | instskip(SKIP_4) | instid1(VALU_DEP_1)
	v_fmac_f64_e32 v[108:109], v[100:101], v[92:93]
	ds_load_b128 v[90:93], v2 offset:656
	s_wait_dscnt 0x1
	v_fmac_f64_e32 v[108:109], v[102:103], v[94:95]
	s_wait_loadcnt 0x1
	v_fmac_f64_e32 v[108:109], v[104:105], v[96:97]
	s_wait_dscnt 0x0
	s_delay_alu instid0(VALU_DEP_1) | instskip(SKIP_1) | instid1(VALU_DEP_1)
	v_fmac_f64_e32 v[108:109], v[106:107], v[90:91]
	s_wait_loadcnt 0x0
	v_fmac_f64_e32 v[108:109], v[116:117], v[92:93]
	s_delay_alu instid0(VALU_DEP_1)
	v_add_f64_e64 v[2:3], v[88:89], -v[108:109]
	scratch_store_b64 off, v[2:3], off offset:248
	s_wait_xcnt 0x0
	v_cmpx_lt_u32_e32 30, v0
	s_cbranch_execz .LBB105_201
; %bb.200:
	scratch_load_b64 v[2:3], off, off offset:240
	v_mov_b64_e32 v[88:89], 0
	scratch_store_b64 off, v[88:89], off offset:240
	s_wait_loadcnt 0x0
	ds_store_b64 v1, v[2:3]
.LBB105_201:
	s_wait_xcnt 0x0
	s_or_b32 exec_lo, exec_lo, s0
	s_wait_storecnt_dscnt 0x0
	s_barrier_signal -1
	s_barrier_wait -1
	s_clause 0x5
	scratch_load_b128 v[88:91], off, off offset:240
	scratch_load_b128 v[92:95], off, off offset:256
	scratch_load_b128 v[96:99], off, off offset:272
	scratch_load_b128 v[100:103], off, off offset:288
	scratch_load_b128 v[104:107], off, off offset:304
	scratch_load_b128 v[108:111], off, off offset:320
	v_mov_b32_e32 v2, 0
	ds_load_2addr_b64 v[112:115], v2 offset0:73 offset1:74
	ds_load_2addr_b64 v[116:119], v2 offset0:75 offset1:76
	s_mov_b32 s0, exec_lo
	s_wait_loadcnt_dscnt 0x501
	v_fma_f64 v[112:113], v[90:91], v[112:113], 0
	s_wait_loadcnt 0x4
	s_delay_alu instid0(VALU_DEP_1) | instskip(SKIP_1) | instid1(VALU_DEP_1)
	v_fmac_f64_e32 v[112:113], v[92:93], v[114:115]
	s_wait_dscnt 0x0
	v_fmac_f64_e32 v[112:113], v[94:95], v[116:117]
	s_wait_loadcnt 0x3
	s_delay_alu instid0(VALU_DEP_1)
	v_fmac_f64_e32 v[112:113], v[96:97], v[118:119]
	ds_load_2addr_b64 v[90:93], v2 offset0:77 offset1:78
	ds_load_2addr_b64 v[94:97], v2 offset0:79 offset1:80
	s_wait_dscnt 0x1
	v_fmac_f64_e32 v[112:113], v[98:99], v[90:91]
	s_wait_loadcnt 0x2
	s_delay_alu instid0(VALU_DEP_1) | instskip(SKIP_1) | instid1(VALU_DEP_1)
	v_fmac_f64_e32 v[112:113], v[100:101], v[92:93]
	s_wait_dscnt 0x0
	v_fmac_f64_e32 v[112:113], v[102:103], v[94:95]
	ds_load_2addr_b64 v[90:93], v2 offset0:81 offset1:82
	ds_load_b64 v[94:95], v2 offset:664
	s_wait_loadcnt 0x1
	v_fmac_f64_e32 v[112:113], v[104:105], v[96:97]
	s_wait_dscnt 0x1
	s_delay_alu instid0(VALU_DEP_1) | instskip(SKIP_1) | instid1(VALU_DEP_1)
	v_fmac_f64_e32 v[112:113], v[106:107], v[90:91]
	s_wait_loadcnt 0x0
	v_fmac_f64_e32 v[112:113], v[108:109], v[92:93]
	s_wait_dscnt 0x0
	s_delay_alu instid0(VALU_DEP_1) | instskip(NEXT) | instid1(VALU_DEP_1)
	v_fmac_f64_e32 v[112:113], v[110:111], v[94:95]
	v_add_f64_e64 v[88:89], v[88:89], -v[112:113]
	scratch_store_b64 off, v[88:89], off offset:240
	s_wait_xcnt 0x0
	v_cmpx_lt_u32_e32 29, v0
	s_cbranch_execz .LBB105_203
; %bb.202:
	scratch_load_b64 v[88:89], off, off offset:232
	v_mov_b64_e32 v[90:91], 0
	scratch_store_b64 off, v[90:91], off offset:232
	s_wait_loadcnt 0x0
	ds_store_b64 v1, v[88:89]
.LBB105_203:
	s_wait_xcnt 0x0
	s_or_b32 exec_lo, exec_lo, s0
	s_wait_storecnt_dscnt 0x0
	s_barrier_signal -1
	s_barrier_wait -1
	s_clause 0x5
	scratch_load_b128 v[88:91], off, off offset:232
	scratch_load_b128 v[92:95], off, off offset:248
	scratch_load_b128 v[96:99], off, off offset:264
	scratch_load_b128 v[100:103], off, off offset:280
	scratch_load_b128 v[104:107], off, off offset:296
	scratch_load_b128 v[108:111], off, off offset:312
	ds_load_b128 v[112:115], v2 offset:576
	ds_load_b128 v[116:119], v2 offset:592
	s_mov_b32 s0, exec_lo
	s_wait_loadcnt_dscnt 0x501
	v_fma_f64 v[112:113], v[90:91], v[112:113], 0
	s_wait_loadcnt 0x4
	s_delay_alu instid0(VALU_DEP_1) | instskip(SKIP_4) | instid1(VALU_DEP_1)
	v_fmac_f64_e32 v[112:113], v[92:93], v[114:115]
	scratch_load_b64 v[114:115], off, off offset:328
	s_wait_dscnt 0x0
	v_fmac_f64_e32 v[112:113], v[94:95], v[116:117]
	s_wait_loadcnt 0x4
	v_fmac_f64_e32 v[112:113], v[96:97], v[118:119]
	ds_load_b128 v[90:93], v2 offset:608
	ds_load_b128 v[94:97], v2 offset:624
	s_wait_dscnt 0x1
	v_fmac_f64_e32 v[112:113], v[98:99], v[90:91]
	s_wait_loadcnt 0x3
	s_delay_alu instid0(VALU_DEP_1) | instskip(SKIP_1) | instid1(VALU_DEP_1)
	v_fmac_f64_e32 v[112:113], v[100:101], v[92:93]
	s_wait_dscnt 0x0
	v_fmac_f64_e32 v[112:113], v[102:103], v[94:95]
	s_wait_loadcnt 0x2
	s_delay_alu instid0(VALU_DEP_1)
	v_fmac_f64_e32 v[112:113], v[104:105], v[96:97]
	ds_load_b128 v[90:93], v2 offset:640
	ds_load_b128 v[94:97], v2 offset:656
	s_wait_dscnt 0x1
	v_fmac_f64_e32 v[112:113], v[106:107], v[90:91]
	s_wait_loadcnt 0x1
	s_delay_alu instid0(VALU_DEP_1) | instskip(SKIP_1) | instid1(VALU_DEP_1)
	v_fmac_f64_e32 v[112:113], v[108:109], v[92:93]
	s_wait_dscnt 0x0
	v_fmac_f64_e32 v[112:113], v[110:111], v[94:95]
	s_wait_loadcnt 0x0
	s_delay_alu instid0(VALU_DEP_1) | instskip(NEXT) | instid1(VALU_DEP_1)
	v_fmac_f64_e32 v[112:113], v[114:115], v[96:97]
	v_add_f64_e64 v[2:3], v[88:89], -v[112:113]
	scratch_store_b64 off, v[2:3], off offset:232
	s_wait_xcnt 0x0
	v_cmpx_lt_u32_e32 28, v0
	s_cbranch_execz .LBB105_205
; %bb.204:
	scratch_load_b64 v[2:3], off, off offset:224
	v_mov_b64_e32 v[88:89], 0
	scratch_store_b64 off, v[88:89], off offset:224
	s_wait_loadcnt 0x0
	ds_store_b64 v1, v[2:3]
.LBB105_205:
	s_wait_xcnt 0x0
	s_or_b32 exec_lo, exec_lo, s0
	s_wait_storecnt_dscnt 0x0
	s_barrier_signal -1
	s_barrier_wait -1
	s_clause 0x5
	scratch_load_b128 v[88:91], off, off offset:224
	scratch_load_b128 v[92:95], off, off offset:240
	;; [unrolled: 1-line block ×6, first 2 shown]
	v_mov_b32_e32 v2, 0
	ds_load_2addr_b64 v[112:115], v2 offset0:71 offset1:72
	ds_load_2addr_b64 v[116:119], v2 offset0:73 offset1:74
	s_mov_b32 s0, exec_lo
	s_wait_loadcnt_dscnt 0x501
	v_fma_f64 v[120:121], v[90:91], v[112:113], 0
	s_wait_loadcnt 0x4
	s_delay_alu instid0(VALU_DEP_1) | instskip(SKIP_4) | instid1(VALU_DEP_1)
	v_fmac_f64_e32 v[120:121], v[92:93], v[114:115]
	scratch_load_b128 v[90:93], off, off offset:320
	s_wait_dscnt 0x0
	v_fmac_f64_e32 v[120:121], v[94:95], v[116:117]
	s_wait_loadcnt 0x4
	v_fmac_f64_e32 v[120:121], v[96:97], v[118:119]
	ds_load_2addr_b64 v[94:97], v2 offset0:75 offset1:76
	ds_load_2addr_b64 v[112:115], v2 offset0:77 offset1:78
	s_wait_dscnt 0x1
	v_fmac_f64_e32 v[120:121], v[98:99], v[94:95]
	s_wait_loadcnt 0x3
	s_delay_alu instid0(VALU_DEP_1)
	v_fmac_f64_e32 v[120:121], v[100:101], v[96:97]
	ds_load_2addr_b64 v[94:97], v2 offset0:79 offset1:80
	ds_load_2addr_b64 v[98:101], v2 offset0:81 offset1:82
	s_wait_dscnt 0x2
	v_fmac_f64_e32 v[120:121], v[102:103], v[112:113]
	s_wait_loadcnt 0x2
	s_delay_alu instid0(VALU_DEP_1) | instskip(SKIP_1) | instid1(VALU_DEP_1)
	v_fmac_f64_e32 v[120:121], v[104:105], v[114:115]
	s_wait_dscnt 0x1
	v_fmac_f64_e32 v[120:121], v[106:107], v[94:95]
	s_wait_loadcnt 0x1
	s_delay_alu instid0(VALU_DEP_1) | instskip(SKIP_1) | instid1(VALU_DEP_1)
	v_fmac_f64_e32 v[120:121], v[108:109], v[96:97]
	s_wait_dscnt 0x0
	v_fmac_f64_e32 v[120:121], v[110:111], v[98:99]
	s_wait_loadcnt 0x0
	s_delay_alu instid0(VALU_DEP_1) | instskip(SKIP_3) | instid1(VALU_DEP_1)
	v_fmac_f64_e32 v[120:121], v[90:91], v[100:101]
	ds_load_b64 v[90:91], v2 offset:664
	s_wait_dscnt 0x0
	v_fmac_f64_e32 v[120:121], v[92:93], v[90:91]
	v_add_f64_e64 v[88:89], v[88:89], -v[120:121]
	scratch_store_b64 off, v[88:89], off offset:224
	s_wait_xcnt 0x0
	v_cmpx_lt_u32_e32 27, v0
	s_cbranch_execz .LBB105_207
; %bb.206:
	scratch_load_b64 v[88:89], off, off offset:216
	v_mov_b64_e32 v[90:91], 0
	scratch_store_b64 off, v[90:91], off offset:216
	s_wait_loadcnt 0x0
	ds_store_b64 v1, v[88:89]
.LBB105_207:
	s_wait_xcnt 0x0
	s_or_b32 exec_lo, exec_lo, s0
	s_wait_storecnt_dscnt 0x0
	s_barrier_signal -1
	s_barrier_wait -1
	s_clause 0x5
	scratch_load_b128 v[88:91], off, off offset:216
	scratch_load_b128 v[92:95], off, off offset:232
	scratch_load_b128 v[96:99], off, off offset:248
	scratch_load_b128 v[100:103], off, off offset:264
	scratch_load_b128 v[104:107], off, off offset:280
	scratch_load_b128 v[108:111], off, off offset:296
	ds_load_b128 v[112:115], v2 offset:560
	ds_load_b128 v[116:119], v2 offset:576
	s_mov_b32 s0, exec_lo
	s_wait_loadcnt_dscnt 0x501
	v_fma_f64 v[120:121], v[90:91], v[112:113], 0
	s_wait_loadcnt 0x4
	s_delay_alu instid0(VALU_DEP_1)
	v_fmac_f64_e32 v[120:121], v[92:93], v[114:115]
	scratch_load_b128 v[90:93], off, off offset:312
	s_wait_dscnt 0x0
	v_fmac_f64_e32 v[120:121], v[94:95], v[116:117]
	scratch_load_b64 v[116:117], off, off offset:328
	s_wait_loadcnt 0x5
	v_fmac_f64_e32 v[120:121], v[96:97], v[118:119]
	ds_load_b128 v[94:97], v2 offset:592
	ds_load_b128 v[112:115], v2 offset:608
	s_wait_dscnt 0x1
	v_fmac_f64_e32 v[120:121], v[98:99], v[94:95]
	s_wait_loadcnt 0x4
	s_delay_alu instid0(VALU_DEP_1)
	v_fmac_f64_e32 v[120:121], v[100:101], v[96:97]
	ds_load_b128 v[94:97], v2 offset:624
	ds_load_b128 v[98:101], v2 offset:640
	s_wait_dscnt 0x2
	v_fmac_f64_e32 v[120:121], v[102:103], v[112:113]
	s_wait_loadcnt 0x3
	s_delay_alu instid0(VALU_DEP_1) | instskip(SKIP_1) | instid1(VALU_DEP_1)
	v_fmac_f64_e32 v[120:121], v[104:105], v[114:115]
	s_wait_dscnt 0x1
	v_fmac_f64_e32 v[120:121], v[106:107], v[94:95]
	s_wait_loadcnt 0x2
	s_delay_alu instid0(VALU_DEP_1) | instskip(SKIP_4) | instid1(VALU_DEP_1)
	v_fmac_f64_e32 v[120:121], v[108:109], v[96:97]
	ds_load_b128 v[94:97], v2 offset:656
	s_wait_dscnt 0x1
	v_fmac_f64_e32 v[120:121], v[110:111], v[98:99]
	s_wait_loadcnt 0x1
	v_fmac_f64_e32 v[120:121], v[90:91], v[100:101]
	s_wait_dscnt 0x0
	s_delay_alu instid0(VALU_DEP_1) | instskip(SKIP_1) | instid1(VALU_DEP_1)
	v_fmac_f64_e32 v[120:121], v[92:93], v[94:95]
	s_wait_loadcnt 0x0
	v_fmac_f64_e32 v[120:121], v[116:117], v[96:97]
	s_delay_alu instid0(VALU_DEP_1)
	v_add_f64_e64 v[2:3], v[88:89], -v[120:121]
	scratch_store_b64 off, v[2:3], off offset:216
	s_wait_xcnt 0x0
	v_cmpx_lt_u32_e32 26, v0
	s_cbranch_execz .LBB105_209
; %bb.208:
	scratch_load_b64 v[2:3], off, off offset:208
	v_mov_b64_e32 v[88:89], 0
	scratch_store_b64 off, v[88:89], off offset:208
	s_wait_loadcnt 0x0
	ds_store_b64 v1, v[2:3]
.LBB105_209:
	s_wait_xcnt 0x0
	s_or_b32 exec_lo, exec_lo, s0
	s_wait_storecnt_dscnt 0x0
	s_barrier_signal -1
	s_barrier_wait -1
	s_clause 0x5
	scratch_load_b128 v[88:91], off, off offset:208
	scratch_load_b128 v[92:95], off, off offset:224
	;; [unrolled: 1-line block ×6, first 2 shown]
	v_mov_b32_e32 v2, 0
	ds_load_2addr_b64 v[112:115], v2 offset0:69 offset1:70
	ds_load_2addr_b64 v[116:119], v2 offset0:71 offset1:72
	s_mov_b32 s0, exec_lo
	s_wait_loadcnt_dscnt 0x501
	v_fma_f64 v[120:121], v[90:91], v[112:113], 0
	s_wait_loadcnt 0x4
	s_delay_alu instid0(VALU_DEP_1) | instskip(SKIP_4) | instid1(VALU_DEP_1)
	v_fmac_f64_e32 v[120:121], v[92:93], v[114:115]
	scratch_load_b128 v[90:93], off, off offset:304
	s_wait_dscnt 0x0
	v_fmac_f64_e32 v[120:121], v[94:95], v[116:117]
	s_wait_loadcnt 0x4
	v_fmac_f64_e32 v[120:121], v[96:97], v[118:119]
	scratch_load_b128 v[94:97], off, off offset:320
	ds_load_2addr_b64 v[112:115], v2 offset0:73 offset1:74
	ds_load_2addr_b64 v[116:119], v2 offset0:75 offset1:76
	s_wait_dscnt 0x1
	v_fmac_f64_e32 v[120:121], v[98:99], v[112:113]
	s_wait_loadcnt 0x4
	s_delay_alu instid0(VALU_DEP_1) | instskip(SKIP_1) | instid1(VALU_DEP_1)
	v_fmac_f64_e32 v[120:121], v[100:101], v[114:115]
	s_wait_dscnt 0x0
	v_fmac_f64_e32 v[120:121], v[102:103], v[116:117]
	s_wait_loadcnt 0x3
	s_delay_alu instid0(VALU_DEP_1)
	v_fmac_f64_e32 v[120:121], v[104:105], v[118:119]
	ds_load_2addr_b64 v[98:101], v2 offset0:77 offset1:78
	ds_load_2addr_b64 v[102:105], v2 offset0:79 offset1:80
	s_wait_dscnt 0x1
	v_fmac_f64_e32 v[120:121], v[106:107], v[98:99]
	s_wait_loadcnt 0x2
	s_delay_alu instid0(VALU_DEP_1) | instskip(SKIP_1) | instid1(VALU_DEP_1)
	v_fmac_f64_e32 v[120:121], v[108:109], v[100:101]
	s_wait_dscnt 0x0
	v_fmac_f64_e32 v[120:121], v[110:111], v[102:103]
	s_wait_loadcnt 0x1
	s_delay_alu instid0(VALU_DEP_1)
	v_fmac_f64_e32 v[120:121], v[90:91], v[104:105]
	ds_load_2addr_b64 v[98:101], v2 offset0:81 offset1:82
	ds_load_b64 v[90:91], v2 offset:664
	s_wait_dscnt 0x1
	v_fmac_f64_e32 v[120:121], v[92:93], v[98:99]
	s_wait_loadcnt 0x0
	s_delay_alu instid0(VALU_DEP_1) | instskip(SKIP_1) | instid1(VALU_DEP_1)
	v_fmac_f64_e32 v[120:121], v[94:95], v[100:101]
	s_wait_dscnt 0x0
	v_fmac_f64_e32 v[120:121], v[96:97], v[90:91]
	s_delay_alu instid0(VALU_DEP_1)
	v_add_f64_e64 v[88:89], v[88:89], -v[120:121]
	scratch_store_b64 off, v[88:89], off offset:208
	s_wait_xcnt 0x0
	v_cmpx_lt_u32_e32 25, v0
	s_cbranch_execz .LBB105_211
; %bb.210:
	scratch_load_b64 v[88:89], off, off offset:200
	v_mov_b64_e32 v[90:91], 0
	scratch_store_b64 off, v[90:91], off offset:200
	s_wait_loadcnt 0x0
	ds_store_b64 v1, v[88:89]
.LBB105_211:
	s_wait_xcnt 0x0
	s_or_b32 exec_lo, exec_lo, s0
	s_wait_storecnt_dscnt 0x0
	s_barrier_signal -1
	s_barrier_wait -1
	s_clause 0x5
	scratch_load_b128 v[88:91], off, off offset:200
	scratch_load_b128 v[92:95], off, off offset:216
	;; [unrolled: 1-line block ×6, first 2 shown]
	ds_load_b128 v[112:115], v2 offset:544
	ds_load_b128 v[116:119], v2 offset:560
	s_mov_b32 s0, exec_lo
	s_wait_loadcnt_dscnt 0x501
	v_fma_f64 v[120:121], v[90:91], v[112:113], 0
	s_wait_loadcnt 0x4
	s_delay_alu instid0(VALU_DEP_1) | instskip(SKIP_4) | instid1(VALU_DEP_1)
	v_fmac_f64_e32 v[120:121], v[92:93], v[114:115]
	scratch_load_b128 v[90:93], off, off offset:296
	s_wait_dscnt 0x0
	v_fmac_f64_e32 v[120:121], v[94:95], v[116:117]
	s_wait_loadcnt 0x4
	v_fmac_f64_e32 v[120:121], v[96:97], v[118:119]
	scratch_load_b128 v[94:97], off, off offset:312
	ds_load_b128 v[112:115], v2 offset:576
	ds_load_b128 v[116:119], v2 offset:592
	s_wait_dscnt 0x1
	v_fmac_f64_e32 v[120:121], v[98:99], v[112:113]
	scratch_load_b64 v[112:113], off, off offset:328
	s_wait_loadcnt 0x5
	v_fmac_f64_e32 v[120:121], v[100:101], v[114:115]
	s_wait_dscnt 0x0
	s_delay_alu instid0(VALU_DEP_1) | instskip(SKIP_1) | instid1(VALU_DEP_1)
	v_fmac_f64_e32 v[120:121], v[102:103], v[116:117]
	s_wait_loadcnt 0x4
	v_fmac_f64_e32 v[120:121], v[104:105], v[118:119]
	ds_load_b128 v[98:101], v2 offset:608
	ds_load_b128 v[102:105], v2 offset:624
	s_wait_dscnt 0x1
	v_fmac_f64_e32 v[120:121], v[106:107], v[98:99]
	s_wait_loadcnt 0x3
	s_delay_alu instid0(VALU_DEP_1) | instskip(SKIP_1) | instid1(VALU_DEP_1)
	v_fmac_f64_e32 v[120:121], v[108:109], v[100:101]
	s_wait_dscnt 0x0
	v_fmac_f64_e32 v[120:121], v[110:111], v[102:103]
	s_wait_loadcnt 0x2
	s_delay_alu instid0(VALU_DEP_1)
	v_fmac_f64_e32 v[120:121], v[90:91], v[104:105]
	ds_load_b128 v[98:101], v2 offset:640
	ds_load_b128 v[102:105], v2 offset:656
	s_wait_dscnt 0x1
	v_fmac_f64_e32 v[120:121], v[92:93], v[98:99]
	s_wait_loadcnt 0x1
	s_delay_alu instid0(VALU_DEP_1) | instskip(SKIP_1) | instid1(VALU_DEP_1)
	v_fmac_f64_e32 v[120:121], v[94:95], v[100:101]
	s_wait_dscnt 0x0
	v_fmac_f64_e32 v[120:121], v[96:97], v[102:103]
	s_wait_loadcnt 0x0
	s_delay_alu instid0(VALU_DEP_1) | instskip(NEXT) | instid1(VALU_DEP_1)
	v_fmac_f64_e32 v[120:121], v[112:113], v[104:105]
	v_add_f64_e64 v[2:3], v[88:89], -v[120:121]
	scratch_store_b64 off, v[2:3], off offset:200
	s_wait_xcnt 0x0
	v_cmpx_lt_u32_e32 24, v0
	s_cbranch_execz .LBB105_213
; %bb.212:
	scratch_load_b64 v[2:3], off, off offset:192
	v_mov_b64_e32 v[88:89], 0
	scratch_store_b64 off, v[88:89], off offset:192
	s_wait_loadcnt 0x0
	ds_store_b64 v1, v[2:3]
.LBB105_213:
	s_wait_xcnt 0x0
	s_or_b32 exec_lo, exec_lo, s0
	s_wait_storecnt_dscnt 0x0
	s_barrier_signal -1
	s_barrier_wait -1
	s_clause 0x5
	scratch_load_b128 v[88:91], off, off offset:192
	scratch_load_b128 v[92:95], off, off offset:208
	;; [unrolled: 1-line block ×6, first 2 shown]
	v_mov_b32_e32 v2, 0
	ds_load_2addr_b64 v[112:115], v2 offset0:67 offset1:68
	ds_load_2addr_b64 v[116:119], v2 offset0:69 offset1:70
	s_mov_b32 s0, exec_lo
	s_wait_loadcnt_dscnt 0x501
	v_fma_f64 v[120:121], v[90:91], v[112:113], 0
	s_wait_loadcnt 0x4
	s_delay_alu instid0(VALU_DEP_1) | instskip(SKIP_4) | instid1(VALU_DEP_1)
	v_fmac_f64_e32 v[120:121], v[92:93], v[114:115]
	scratch_load_b128 v[90:93], off, off offset:288
	s_wait_dscnt 0x0
	v_fmac_f64_e32 v[120:121], v[94:95], v[116:117]
	s_wait_loadcnt 0x4
	v_fmac_f64_e32 v[120:121], v[96:97], v[118:119]
	scratch_load_b128 v[94:97], off, off offset:304
	ds_load_2addr_b64 v[112:115], v2 offset0:71 offset1:72
	ds_load_2addr_b64 v[116:119], v2 offset0:73 offset1:74
	s_wait_dscnt 0x1
	v_fmac_f64_e32 v[120:121], v[98:99], v[112:113]
	s_wait_loadcnt 0x4
	s_delay_alu instid0(VALU_DEP_1) | instskip(SKIP_4) | instid1(VALU_DEP_1)
	v_fmac_f64_e32 v[120:121], v[100:101], v[114:115]
	scratch_load_b128 v[98:101], off, off offset:320
	s_wait_dscnt 0x0
	v_fmac_f64_e32 v[120:121], v[102:103], v[116:117]
	s_wait_loadcnt 0x4
	v_fmac_f64_e32 v[120:121], v[104:105], v[118:119]
	ds_load_2addr_b64 v[102:105], v2 offset0:75 offset1:76
	ds_load_2addr_b64 v[112:115], v2 offset0:77 offset1:78
	s_wait_dscnt 0x1
	v_fmac_f64_e32 v[120:121], v[106:107], v[102:103]
	s_wait_loadcnt 0x3
	s_delay_alu instid0(VALU_DEP_1)
	v_fmac_f64_e32 v[120:121], v[108:109], v[104:105]
	ds_load_2addr_b64 v[102:105], v2 offset0:79 offset1:80
	ds_load_2addr_b64 v[106:109], v2 offset0:81 offset1:82
	s_wait_dscnt 0x2
	v_fmac_f64_e32 v[120:121], v[110:111], v[112:113]
	s_wait_loadcnt 0x2
	s_delay_alu instid0(VALU_DEP_1) | instskip(SKIP_4) | instid1(VALU_DEP_1)
	v_fmac_f64_e32 v[120:121], v[90:91], v[114:115]
	ds_load_b64 v[90:91], v2 offset:664
	s_wait_dscnt 0x2
	v_fmac_f64_e32 v[120:121], v[92:93], v[102:103]
	s_wait_loadcnt 0x1
	v_fmac_f64_e32 v[120:121], v[94:95], v[104:105]
	s_wait_dscnt 0x1
	s_delay_alu instid0(VALU_DEP_1) | instskip(SKIP_1) | instid1(VALU_DEP_1)
	v_fmac_f64_e32 v[120:121], v[96:97], v[106:107]
	s_wait_loadcnt 0x0
	v_fmac_f64_e32 v[120:121], v[98:99], v[108:109]
	s_wait_dscnt 0x0
	s_delay_alu instid0(VALU_DEP_1) | instskip(NEXT) | instid1(VALU_DEP_1)
	v_fmac_f64_e32 v[120:121], v[100:101], v[90:91]
	v_add_f64_e64 v[88:89], v[88:89], -v[120:121]
	scratch_store_b64 off, v[88:89], off offset:192
	s_wait_xcnt 0x0
	v_cmpx_lt_u32_e32 23, v0
	s_cbranch_execz .LBB105_215
; %bb.214:
	scratch_load_b64 v[88:89], off, off offset:184
	v_mov_b64_e32 v[90:91], 0
	scratch_store_b64 off, v[90:91], off offset:184
	s_wait_loadcnt 0x0
	ds_store_b64 v1, v[88:89]
.LBB105_215:
	s_wait_xcnt 0x0
	s_or_b32 exec_lo, exec_lo, s0
	s_wait_storecnt_dscnt 0x0
	s_barrier_signal -1
	s_barrier_wait -1
	s_clause 0x5
	scratch_load_b128 v[88:91], off, off offset:184
	scratch_load_b128 v[92:95], off, off offset:200
	scratch_load_b128 v[96:99], off, off offset:216
	scratch_load_b128 v[100:103], off, off offset:232
	scratch_load_b128 v[104:107], off, off offset:248
	scratch_load_b128 v[108:111], off, off offset:264
	ds_load_b128 v[112:115], v2 offset:528
	ds_load_b128 v[116:119], v2 offset:544
	s_mov_b32 s0, exec_lo
	s_wait_loadcnt_dscnt 0x501
	v_fma_f64 v[120:121], v[90:91], v[112:113], 0
	s_wait_loadcnt 0x4
	s_delay_alu instid0(VALU_DEP_1) | instskip(SKIP_4) | instid1(VALU_DEP_1)
	v_fmac_f64_e32 v[120:121], v[92:93], v[114:115]
	scratch_load_b128 v[90:93], off, off offset:280
	s_wait_dscnt 0x0
	v_fmac_f64_e32 v[120:121], v[94:95], v[116:117]
	s_wait_loadcnt 0x4
	v_fmac_f64_e32 v[120:121], v[96:97], v[118:119]
	scratch_load_b128 v[94:97], off, off offset:296
	ds_load_b128 v[112:115], v2 offset:560
	ds_load_b128 v[116:119], v2 offset:576
	s_wait_dscnt 0x1
	v_fmac_f64_e32 v[120:121], v[98:99], v[112:113]
	s_wait_loadcnt 0x4
	s_delay_alu instid0(VALU_DEP_1)
	v_fmac_f64_e32 v[120:121], v[100:101], v[114:115]
	scratch_load_b128 v[98:101], off, off offset:312
	s_wait_dscnt 0x0
	v_fmac_f64_e32 v[120:121], v[102:103], v[116:117]
	scratch_load_b64 v[116:117], off, off offset:328
	s_wait_loadcnt 0x5
	v_fmac_f64_e32 v[120:121], v[104:105], v[118:119]
	ds_load_b128 v[102:105], v2 offset:592
	ds_load_b128 v[112:115], v2 offset:608
	s_wait_dscnt 0x1
	v_fmac_f64_e32 v[120:121], v[106:107], v[102:103]
	s_wait_loadcnt 0x4
	s_delay_alu instid0(VALU_DEP_1)
	v_fmac_f64_e32 v[120:121], v[108:109], v[104:105]
	ds_load_b128 v[102:105], v2 offset:624
	ds_load_b128 v[106:109], v2 offset:640
	s_wait_dscnt 0x2
	v_fmac_f64_e32 v[120:121], v[110:111], v[112:113]
	s_wait_loadcnt 0x3
	s_delay_alu instid0(VALU_DEP_1) | instskip(SKIP_1) | instid1(VALU_DEP_1)
	v_fmac_f64_e32 v[120:121], v[90:91], v[114:115]
	s_wait_dscnt 0x1
	v_fmac_f64_e32 v[120:121], v[92:93], v[102:103]
	ds_load_b128 v[90:93], v2 offset:656
	s_wait_loadcnt 0x2
	v_fmac_f64_e32 v[120:121], v[94:95], v[104:105]
	s_wait_dscnt 0x1
	s_delay_alu instid0(VALU_DEP_1) | instskip(SKIP_1) | instid1(VALU_DEP_1)
	v_fmac_f64_e32 v[120:121], v[96:97], v[106:107]
	s_wait_loadcnt 0x1
	v_fmac_f64_e32 v[120:121], v[98:99], v[108:109]
	s_wait_dscnt 0x0
	s_delay_alu instid0(VALU_DEP_1) | instskip(SKIP_1) | instid1(VALU_DEP_1)
	v_fmac_f64_e32 v[120:121], v[100:101], v[90:91]
	s_wait_loadcnt 0x0
	v_fmac_f64_e32 v[120:121], v[116:117], v[92:93]
	s_delay_alu instid0(VALU_DEP_1)
	v_add_f64_e64 v[2:3], v[88:89], -v[120:121]
	scratch_store_b64 off, v[2:3], off offset:184
	s_wait_xcnt 0x0
	v_cmpx_lt_u32_e32 22, v0
	s_cbranch_execz .LBB105_217
; %bb.216:
	scratch_load_b64 v[2:3], off, off offset:176
	v_mov_b64_e32 v[88:89], 0
	scratch_store_b64 off, v[88:89], off offset:176
	s_wait_loadcnt 0x0
	ds_store_b64 v1, v[2:3]
.LBB105_217:
	s_wait_xcnt 0x0
	s_or_b32 exec_lo, exec_lo, s0
	s_wait_storecnt_dscnt 0x0
	s_barrier_signal -1
	s_barrier_wait -1
	s_clause 0x5
	scratch_load_b128 v[88:91], off, off offset:176
	scratch_load_b128 v[92:95], off, off offset:192
	;; [unrolled: 1-line block ×6, first 2 shown]
	v_mov_b32_e32 v2, 0
	ds_load_2addr_b64 v[112:115], v2 offset0:65 offset1:66
	ds_load_2addr_b64 v[116:119], v2 offset0:67 offset1:68
	s_mov_b32 s0, exec_lo
	s_wait_loadcnt_dscnt 0x501
	v_fma_f64 v[120:121], v[90:91], v[112:113], 0
	s_wait_loadcnt 0x4
	s_delay_alu instid0(VALU_DEP_1) | instskip(SKIP_4) | instid1(VALU_DEP_1)
	v_fmac_f64_e32 v[120:121], v[92:93], v[114:115]
	scratch_load_b128 v[90:93], off, off offset:272
	s_wait_dscnt 0x0
	v_fmac_f64_e32 v[120:121], v[94:95], v[116:117]
	s_wait_loadcnt 0x4
	v_fmac_f64_e32 v[120:121], v[96:97], v[118:119]
	scratch_load_b128 v[94:97], off, off offset:288
	ds_load_2addr_b64 v[112:115], v2 offset0:69 offset1:70
	ds_load_2addr_b64 v[116:119], v2 offset0:71 offset1:72
	s_wait_dscnt 0x1
	v_fmac_f64_e32 v[120:121], v[98:99], v[112:113]
	s_wait_loadcnt 0x4
	s_delay_alu instid0(VALU_DEP_1) | instskip(SKIP_4) | instid1(VALU_DEP_1)
	v_fmac_f64_e32 v[120:121], v[100:101], v[114:115]
	scratch_load_b128 v[98:101], off, off offset:304
	s_wait_dscnt 0x0
	v_fmac_f64_e32 v[120:121], v[102:103], v[116:117]
	s_wait_loadcnt 0x4
	v_fmac_f64_e32 v[120:121], v[104:105], v[118:119]
	scratch_load_b128 v[102:105], off, off offset:320
	ds_load_2addr_b64 v[112:115], v2 offset0:73 offset1:74
	ds_load_2addr_b64 v[116:119], v2 offset0:75 offset1:76
	s_wait_dscnt 0x1
	v_fmac_f64_e32 v[120:121], v[106:107], v[112:113]
	s_wait_loadcnt 0x4
	s_delay_alu instid0(VALU_DEP_1) | instskip(SKIP_1) | instid1(VALU_DEP_1)
	v_fmac_f64_e32 v[120:121], v[108:109], v[114:115]
	s_wait_dscnt 0x0
	v_fmac_f64_e32 v[120:121], v[110:111], v[116:117]
	ds_load_2addr_b64 v[106:109], v2 offset0:77 offset1:78
	ds_load_2addr_b64 v[110:113], v2 offset0:79 offset1:80
	s_wait_loadcnt 0x3
	v_fmac_f64_e32 v[120:121], v[90:91], v[118:119]
	s_wait_dscnt 0x1
	s_delay_alu instid0(VALU_DEP_1) | instskip(SKIP_1) | instid1(VALU_DEP_1)
	v_fmac_f64_e32 v[120:121], v[92:93], v[106:107]
	s_wait_loadcnt 0x2
	v_fmac_f64_e32 v[120:121], v[94:95], v[108:109]
	ds_load_2addr_b64 v[90:93], v2 offset0:81 offset1:82
	ds_load_b64 v[94:95], v2 offset:664
	s_wait_dscnt 0x2
	v_fmac_f64_e32 v[120:121], v[96:97], v[110:111]
	s_wait_loadcnt 0x1
	s_delay_alu instid0(VALU_DEP_1) | instskip(SKIP_1) | instid1(VALU_DEP_1)
	v_fmac_f64_e32 v[120:121], v[98:99], v[112:113]
	s_wait_dscnt 0x1
	v_fmac_f64_e32 v[120:121], v[100:101], v[90:91]
	s_wait_loadcnt 0x0
	s_delay_alu instid0(VALU_DEP_1) | instskip(SKIP_1) | instid1(VALU_DEP_1)
	v_fmac_f64_e32 v[120:121], v[102:103], v[92:93]
	s_wait_dscnt 0x0
	v_fmac_f64_e32 v[120:121], v[104:105], v[94:95]
	s_delay_alu instid0(VALU_DEP_1)
	v_add_f64_e64 v[88:89], v[88:89], -v[120:121]
	scratch_store_b64 off, v[88:89], off offset:176
	s_wait_xcnt 0x0
	v_cmpx_lt_u32_e32 21, v0
	s_cbranch_execz .LBB105_219
; %bb.218:
	scratch_load_b64 v[88:89], off, off offset:168
	v_mov_b64_e32 v[90:91], 0
	scratch_store_b64 off, v[90:91], off offset:168
	s_wait_loadcnt 0x0
	ds_store_b64 v1, v[88:89]
.LBB105_219:
	s_wait_xcnt 0x0
	s_or_b32 exec_lo, exec_lo, s0
	s_wait_storecnt_dscnt 0x0
	s_barrier_signal -1
	s_barrier_wait -1
	s_clause 0x5
	scratch_load_b128 v[88:91], off, off offset:168
	scratch_load_b128 v[92:95], off, off offset:184
	;; [unrolled: 1-line block ×6, first 2 shown]
	ds_load_b128 v[112:115], v2 offset:512
	ds_load_b128 v[116:119], v2 offset:528
	s_mov_b32 s0, exec_lo
	s_wait_loadcnt_dscnt 0x501
	v_fma_f64 v[120:121], v[90:91], v[112:113], 0
	s_wait_loadcnt 0x4
	s_delay_alu instid0(VALU_DEP_1) | instskip(SKIP_4) | instid1(VALU_DEP_1)
	v_fmac_f64_e32 v[120:121], v[92:93], v[114:115]
	scratch_load_b128 v[90:93], off, off offset:264
	s_wait_dscnt 0x0
	v_fmac_f64_e32 v[120:121], v[94:95], v[116:117]
	s_wait_loadcnt 0x4
	v_fmac_f64_e32 v[120:121], v[96:97], v[118:119]
	scratch_load_b128 v[94:97], off, off offset:280
	ds_load_b128 v[112:115], v2 offset:544
	ds_load_b128 v[116:119], v2 offset:560
	s_wait_dscnt 0x1
	v_fmac_f64_e32 v[120:121], v[98:99], v[112:113]
	s_wait_loadcnt 0x4
	s_delay_alu instid0(VALU_DEP_1) | instskip(SKIP_4) | instid1(VALU_DEP_1)
	v_fmac_f64_e32 v[120:121], v[100:101], v[114:115]
	scratch_load_b128 v[98:101], off, off offset:296
	s_wait_dscnt 0x0
	v_fmac_f64_e32 v[120:121], v[102:103], v[116:117]
	s_wait_loadcnt 0x4
	v_fmac_f64_e32 v[120:121], v[104:105], v[118:119]
	scratch_load_b128 v[102:105], off, off offset:312
	ds_load_b128 v[112:115], v2 offset:576
	ds_load_b128 v[116:119], v2 offset:592
	s_wait_dscnt 0x1
	v_fmac_f64_e32 v[120:121], v[106:107], v[112:113]
	s_wait_loadcnt 0x4
	s_delay_alu instid0(VALU_DEP_1)
	v_fmac_f64_e32 v[120:121], v[108:109], v[114:115]
	scratch_load_b64 v[114:115], off, off offset:328
	s_wait_dscnt 0x0
	v_fmac_f64_e32 v[120:121], v[110:111], v[116:117]
	ds_load_b128 v[106:109], v2 offset:608
	ds_load_b128 v[110:113], v2 offset:624
	s_wait_loadcnt 0x4
	v_fmac_f64_e32 v[120:121], v[90:91], v[118:119]
	s_wait_dscnt 0x1
	s_delay_alu instid0(VALU_DEP_1) | instskip(SKIP_1) | instid1(VALU_DEP_1)
	v_fmac_f64_e32 v[120:121], v[92:93], v[106:107]
	s_wait_loadcnt 0x3
	v_fmac_f64_e32 v[120:121], v[94:95], v[108:109]
	s_wait_dscnt 0x0
	s_delay_alu instid0(VALU_DEP_1)
	v_fmac_f64_e32 v[120:121], v[96:97], v[110:111]
	ds_load_b128 v[90:93], v2 offset:640
	ds_load_b128 v[94:97], v2 offset:656
	s_wait_loadcnt 0x2
	v_fmac_f64_e32 v[120:121], v[98:99], v[112:113]
	s_wait_dscnt 0x1
	s_delay_alu instid0(VALU_DEP_1) | instskip(SKIP_1) | instid1(VALU_DEP_1)
	v_fmac_f64_e32 v[120:121], v[100:101], v[90:91]
	s_wait_loadcnt 0x1
	v_fmac_f64_e32 v[120:121], v[102:103], v[92:93]
	s_wait_dscnt 0x0
	s_delay_alu instid0(VALU_DEP_1) | instskip(SKIP_1) | instid1(VALU_DEP_1)
	v_fmac_f64_e32 v[120:121], v[104:105], v[94:95]
	s_wait_loadcnt 0x0
	v_fmac_f64_e32 v[120:121], v[114:115], v[96:97]
	s_delay_alu instid0(VALU_DEP_1)
	v_add_f64_e64 v[2:3], v[88:89], -v[120:121]
	scratch_store_b64 off, v[2:3], off offset:168
	s_wait_xcnt 0x0
	v_cmpx_lt_u32_e32 20, v0
	s_cbranch_execz .LBB105_221
; %bb.220:
	scratch_load_b64 v[2:3], off, off offset:160
	v_mov_b64_e32 v[88:89], 0
	scratch_store_b64 off, v[88:89], off offset:160
	s_wait_loadcnt 0x0
	ds_store_b64 v1, v[2:3]
.LBB105_221:
	s_wait_xcnt 0x0
	s_or_b32 exec_lo, exec_lo, s0
	s_wait_storecnt_dscnt 0x0
	s_barrier_signal -1
	s_barrier_wait -1
	s_clause 0x5
	scratch_load_b128 v[88:91], off, off offset:160
	scratch_load_b128 v[92:95], off, off offset:176
	;; [unrolled: 1-line block ×6, first 2 shown]
	v_mov_b32_e32 v2, 0
	ds_load_2addr_b64 v[112:115], v2 offset0:63 offset1:64
	ds_load_2addr_b64 v[116:119], v2 offset0:65 offset1:66
	s_mov_b32 s0, exec_lo
	s_wait_loadcnt_dscnt 0x501
	v_fma_f64 v[120:121], v[90:91], v[112:113], 0
	s_wait_loadcnt 0x4
	s_delay_alu instid0(VALU_DEP_1) | instskip(SKIP_4) | instid1(VALU_DEP_1)
	v_fmac_f64_e32 v[120:121], v[92:93], v[114:115]
	scratch_load_b128 v[90:93], off, off offset:256
	s_wait_dscnt 0x0
	v_fmac_f64_e32 v[120:121], v[94:95], v[116:117]
	s_wait_loadcnt 0x4
	v_fmac_f64_e32 v[120:121], v[96:97], v[118:119]
	scratch_load_b128 v[94:97], off, off offset:272
	ds_load_2addr_b64 v[112:115], v2 offset0:67 offset1:68
	ds_load_2addr_b64 v[116:119], v2 offset0:69 offset1:70
	s_wait_dscnt 0x1
	v_fmac_f64_e32 v[120:121], v[98:99], v[112:113]
	s_wait_loadcnt 0x4
	s_delay_alu instid0(VALU_DEP_1) | instskip(SKIP_4) | instid1(VALU_DEP_1)
	v_fmac_f64_e32 v[120:121], v[100:101], v[114:115]
	scratch_load_b128 v[98:101], off, off offset:288
	s_wait_dscnt 0x0
	v_fmac_f64_e32 v[120:121], v[102:103], v[116:117]
	s_wait_loadcnt 0x4
	v_fmac_f64_e32 v[120:121], v[104:105], v[118:119]
	scratch_load_b128 v[102:105], off, off offset:304
	ds_load_2addr_b64 v[112:115], v2 offset0:71 offset1:72
	ds_load_2addr_b64 v[116:119], v2 offset0:73 offset1:74
	s_wait_dscnt 0x1
	v_fmac_f64_e32 v[120:121], v[106:107], v[112:113]
	s_wait_loadcnt 0x4
	s_delay_alu instid0(VALU_DEP_1)
	v_fmac_f64_e32 v[120:121], v[108:109], v[114:115]
	scratch_load_b128 v[106:109], off, off offset:320
	s_wait_dscnt 0x0
	v_fmac_f64_e32 v[120:121], v[110:111], v[116:117]
	ds_load_2addr_b64 v[110:113], v2 offset0:75 offset1:76
	ds_load_2addr_b64 v[114:117], v2 offset0:77 offset1:78
	s_wait_loadcnt 0x4
	v_fmac_f64_e32 v[120:121], v[90:91], v[118:119]
	s_wait_dscnt 0x1
	s_delay_alu instid0(VALU_DEP_1) | instskip(SKIP_1) | instid1(VALU_DEP_1)
	v_fmac_f64_e32 v[120:121], v[92:93], v[110:111]
	s_wait_loadcnt 0x3
	v_fmac_f64_e32 v[120:121], v[94:95], v[112:113]
	s_wait_dscnt 0x0
	s_delay_alu instid0(VALU_DEP_1)
	v_fmac_f64_e32 v[120:121], v[96:97], v[114:115]
	ds_load_2addr_b64 v[90:93], v2 offset0:79 offset1:80
	ds_load_2addr_b64 v[94:97], v2 offset0:81 offset1:82
	s_wait_loadcnt 0x2
	v_fmac_f64_e32 v[120:121], v[98:99], v[116:117]
	s_wait_dscnt 0x1
	s_delay_alu instid0(VALU_DEP_1) | instskip(SKIP_4) | instid1(VALU_DEP_1)
	v_fmac_f64_e32 v[120:121], v[100:101], v[90:91]
	ds_load_b64 v[90:91], v2 offset:664
	s_wait_loadcnt 0x1
	v_fmac_f64_e32 v[120:121], v[102:103], v[92:93]
	s_wait_dscnt 0x1
	v_fmac_f64_e32 v[120:121], v[104:105], v[94:95]
	s_wait_loadcnt 0x0
	s_delay_alu instid0(VALU_DEP_1) | instskip(SKIP_1) | instid1(VALU_DEP_1)
	v_fmac_f64_e32 v[120:121], v[106:107], v[96:97]
	s_wait_dscnt 0x0
	v_fmac_f64_e32 v[120:121], v[108:109], v[90:91]
	s_delay_alu instid0(VALU_DEP_1)
	v_add_f64_e64 v[88:89], v[88:89], -v[120:121]
	scratch_store_b64 off, v[88:89], off offset:160
	s_wait_xcnt 0x0
	v_cmpx_lt_u32_e32 19, v0
	s_cbranch_execz .LBB105_223
; %bb.222:
	scratch_load_b64 v[88:89], off, off offset:152
	v_mov_b64_e32 v[90:91], 0
	scratch_store_b64 off, v[90:91], off offset:152
	s_wait_loadcnt 0x0
	ds_store_b64 v1, v[88:89]
.LBB105_223:
	s_wait_xcnt 0x0
	s_or_b32 exec_lo, exec_lo, s0
	s_wait_storecnt_dscnt 0x0
	s_barrier_signal -1
	s_barrier_wait -1
	s_clause 0x5
	scratch_load_b128 v[88:91], off, off offset:152
	scratch_load_b128 v[92:95], off, off offset:168
	scratch_load_b128 v[96:99], off, off offset:184
	scratch_load_b128 v[100:103], off, off offset:200
	scratch_load_b128 v[104:107], off, off offset:216
	scratch_load_b128 v[108:111], off, off offset:232
	ds_load_b128 v[112:115], v2 offset:496
	ds_load_b128 v[116:119], v2 offset:512
	scratch_load_b128 v[120:123], off, off offset:248
	s_mov_b32 s0, exec_lo
	s_wait_loadcnt_dscnt 0x601
	v_fma_f64 v[124:125], v[90:91], v[112:113], 0
	s_wait_loadcnt 0x5
	s_delay_alu instid0(VALU_DEP_1) | instskip(SKIP_4) | instid1(VALU_DEP_1)
	v_fmac_f64_e32 v[124:125], v[92:93], v[114:115]
	scratch_load_b128 v[90:93], off, off offset:264
	s_wait_dscnt 0x0
	v_fmac_f64_e32 v[124:125], v[94:95], v[116:117]
	s_wait_loadcnt 0x5
	v_fmac_f64_e32 v[124:125], v[96:97], v[118:119]
	ds_load_b128 v[94:97], v2 offset:528
	ds_load_b128 v[112:115], v2 offset:544
	s_wait_dscnt 0x1
	v_fmac_f64_e32 v[124:125], v[98:99], v[94:95]
	s_wait_loadcnt 0x4
	s_delay_alu instid0(VALU_DEP_1)
	v_fmac_f64_e32 v[124:125], v[100:101], v[96:97]
	s_clause 0x1
	scratch_load_b128 v[94:97], off, off offset:280
	scratch_load_b128 v[98:101], off, off offset:296
	s_wait_dscnt 0x0
	v_fmac_f64_e32 v[124:125], v[102:103], v[112:113]
	s_wait_loadcnt 0x5
	s_delay_alu instid0(VALU_DEP_1)
	v_fmac_f64_e32 v[124:125], v[104:105], v[114:115]
	ds_load_b128 v[102:105], v2 offset:560
	ds_load_b128 v[112:115], v2 offset:576
	s_wait_dscnt 0x1
	v_fmac_f64_e32 v[124:125], v[106:107], v[102:103]
	s_wait_loadcnt 0x4
	s_delay_alu instid0(VALU_DEP_1) | instskip(SKIP_4) | instid1(VALU_DEP_1)
	v_fmac_f64_e32 v[124:125], v[108:109], v[104:105]
	scratch_load_b128 v[102:105], off, off offset:312
	s_wait_dscnt 0x0
	v_fmac_f64_e32 v[124:125], v[110:111], v[112:113]
	s_wait_loadcnt 0x4
	v_fmac_f64_e32 v[124:125], v[120:121], v[114:115]
	scratch_load_b64 v[114:115], off, off offset:328
	ds_load_b128 v[106:109], v2 offset:592
	ds_load_b128 v[110:113], v2 offset:608
	s_wait_dscnt 0x1
	v_fmac_f64_e32 v[124:125], v[122:123], v[106:107]
	s_wait_loadcnt 0x4
	s_delay_alu instid0(VALU_DEP_1) | instskip(SKIP_1) | instid1(VALU_DEP_1)
	v_fmac_f64_e32 v[124:125], v[90:91], v[108:109]
	s_wait_dscnt 0x0
	v_fmac_f64_e32 v[124:125], v[92:93], v[110:111]
	ds_load_b128 v[90:93], v2 offset:624
	ds_load_b128 v[106:109], v2 offset:640
	s_wait_loadcnt 0x3
	v_fmac_f64_e32 v[124:125], v[94:95], v[112:113]
	s_wait_dscnt 0x1
	s_delay_alu instid0(VALU_DEP_1) | instskip(SKIP_1) | instid1(VALU_DEP_1)
	v_fmac_f64_e32 v[124:125], v[96:97], v[90:91]
	s_wait_loadcnt 0x2
	v_fmac_f64_e32 v[124:125], v[98:99], v[92:93]
	ds_load_b128 v[90:93], v2 offset:656
	s_wait_dscnt 0x1
	v_fmac_f64_e32 v[124:125], v[100:101], v[106:107]
	s_wait_loadcnt 0x1
	s_delay_alu instid0(VALU_DEP_1) | instskip(SKIP_1) | instid1(VALU_DEP_1)
	v_fmac_f64_e32 v[124:125], v[102:103], v[108:109]
	s_wait_dscnt 0x0
	v_fmac_f64_e32 v[124:125], v[104:105], v[90:91]
	s_wait_loadcnt 0x0
	s_delay_alu instid0(VALU_DEP_1) | instskip(NEXT) | instid1(VALU_DEP_1)
	v_fmac_f64_e32 v[124:125], v[114:115], v[92:93]
	v_add_f64_e64 v[2:3], v[88:89], -v[124:125]
	scratch_store_b64 off, v[2:3], off offset:152
	s_wait_xcnt 0x0
	v_cmpx_lt_u32_e32 18, v0
	s_cbranch_execz .LBB105_225
; %bb.224:
	scratch_load_b64 v[2:3], off, off offset:144
	v_mov_b64_e32 v[88:89], 0
	scratch_store_b64 off, v[88:89], off offset:144
	s_wait_loadcnt 0x0
	ds_store_b64 v1, v[2:3]
.LBB105_225:
	s_wait_xcnt 0x0
	s_or_b32 exec_lo, exec_lo, s0
	s_wait_storecnt_dscnt 0x0
	s_barrier_signal -1
	s_barrier_wait -1
	s_clause 0x5
	scratch_load_b128 v[88:91], off, off offset:144
	scratch_load_b128 v[92:95], off, off offset:160
	scratch_load_b128 v[96:99], off, off offset:176
	scratch_load_b128 v[100:103], off, off offset:192
	scratch_load_b128 v[104:107], off, off offset:208
	scratch_load_b128 v[108:111], off, off offset:224
	v_mov_b32_e32 v2, 0
	ds_load_2addr_b64 v[112:115], v2 offset0:61 offset1:62
	ds_load_2addr_b64 v[116:119], v2 offset0:63 offset1:64
	scratch_load_b128 v[120:123], off, off offset:240
	s_mov_b32 s0, exec_lo
	s_wait_loadcnt_dscnt 0x601
	v_fma_f64 v[124:125], v[90:91], v[112:113], 0
	s_wait_loadcnt 0x5
	s_delay_alu instid0(VALU_DEP_1) | instskip(SKIP_4) | instid1(VALU_DEP_1)
	v_fmac_f64_e32 v[124:125], v[92:93], v[114:115]
	scratch_load_b128 v[90:93], off, off offset:256
	s_wait_dscnt 0x0
	v_fmac_f64_e32 v[124:125], v[94:95], v[116:117]
	s_wait_loadcnt 0x5
	v_fmac_f64_e32 v[124:125], v[96:97], v[118:119]
	ds_load_2addr_b64 v[94:97], v2 offset0:65 offset1:66
	ds_load_2addr_b64 v[112:115], v2 offset0:67 offset1:68
	s_wait_dscnt 0x1
	v_fmac_f64_e32 v[124:125], v[98:99], v[94:95]
	s_wait_loadcnt 0x4
	s_delay_alu instid0(VALU_DEP_1)
	v_fmac_f64_e32 v[124:125], v[100:101], v[96:97]
	s_clause 0x1
	scratch_load_b128 v[94:97], off, off offset:272
	scratch_load_b128 v[98:101], off, off offset:288
	s_wait_dscnt 0x0
	v_fmac_f64_e32 v[124:125], v[102:103], v[112:113]
	s_wait_loadcnt 0x5
	s_delay_alu instid0(VALU_DEP_1)
	v_fmac_f64_e32 v[124:125], v[104:105], v[114:115]
	ds_load_2addr_b64 v[102:105], v2 offset0:69 offset1:70
	ds_load_2addr_b64 v[112:115], v2 offset0:71 offset1:72
	s_wait_dscnt 0x1
	v_fmac_f64_e32 v[124:125], v[106:107], v[102:103]
	s_wait_loadcnt 0x4
	s_delay_alu instid0(VALU_DEP_1)
	v_fmac_f64_e32 v[124:125], v[108:109], v[104:105]
	s_clause 0x1
	scratch_load_b128 v[102:105], off, off offset:304
	scratch_load_b128 v[106:109], off, off offset:320
	s_wait_dscnt 0x0
	v_fmac_f64_e32 v[124:125], v[110:111], v[112:113]
	s_wait_loadcnt 0x5
	s_delay_alu instid0(VALU_DEP_1)
	v_fmac_f64_e32 v[124:125], v[120:121], v[114:115]
	ds_load_2addr_b64 v[110:113], v2 offset0:73 offset1:74
	ds_load_2addr_b64 v[114:117], v2 offset0:75 offset1:76
	s_wait_dscnt 0x1
	v_fmac_f64_e32 v[124:125], v[122:123], v[110:111]
	s_wait_loadcnt 0x4
	s_delay_alu instid0(VALU_DEP_1) | instskip(SKIP_1) | instid1(VALU_DEP_1)
	v_fmac_f64_e32 v[124:125], v[90:91], v[112:113]
	s_wait_dscnt 0x0
	v_fmac_f64_e32 v[124:125], v[92:93], v[114:115]
	ds_load_2addr_b64 v[90:93], v2 offset0:77 offset1:78
	ds_load_2addr_b64 v[110:113], v2 offset0:79 offset1:80
	s_wait_loadcnt 0x3
	v_fmac_f64_e32 v[124:125], v[94:95], v[116:117]
	s_wait_dscnt 0x1
	s_delay_alu instid0(VALU_DEP_1) | instskip(SKIP_1) | instid1(VALU_DEP_1)
	v_fmac_f64_e32 v[124:125], v[96:97], v[90:91]
	s_wait_loadcnt 0x2
	v_fmac_f64_e32 v[124:125], v[98:99], v[92:93]
	ds_load_2addr_b64 v[90:93], v2 offset0:81 offset1:82
	ds_load_b64 v[94:95], v2 offset:664
	s_wait_dscnt 0x2
	v_fmac_f64_e32 v[124:125], v[100:101], v[110:111]
	s_wait_loadcnt 0x1
	s_delay_alu instid0(VALU_DEP_1) | instskip(SKIP_1) | instid1(VALU_DEP_1)
	v_fmac_f64_e32 v[124:125], v[102:103], v[112:113]
	s_wait_dscnt 0x1
	v_fmac_f64_e32 v[124:125], v[104:105], v[90:91]
	s_wait_loadcnt 0x0
	s_delay_alu instid0(VALU_DEP_1) | instskip(SKIP_1) | instid1(VALU_DEP_1)
	v_fmac_f64_e32 v[124:125], v[106:107], v[92:93]
	s_wait_dscnt 0x0
	v_fmac_f64_e32 v[124:125], v[108:109], v[94:95]
	s_delay_alu instid0(VALU_DEP_1)
	v_add_f64_e64 v[88:89], v[88:89], -v[124:125]
	scratch_store_b64 off, v[88:89], off offset:144
	s_wait_xcnt 0x0
	v_cmpx_lt_u32_e32 17, v0
	s_cbranch_execz .LBB105_227
; %bb.226:
	scratch_load_b64 v[88:89], off, off offset:136
	v_mov_b64_e32 v[90:91], 0
	scratch_store_b64 off, v[90:91], off offset:136
	s_wait_loadcnt 0x0
	ds_store_b64 v1, v[88:89]
.LBB105_227:
	s_wait_xcnt 0x0
	s_or_b32 exec_lo, exec_lo, s0
	s_wait_storecnt_dscnt 0x0
	s_barrier_signal -1
	s_barrier_wait -1
	s_clause 0x5
	scratch_load_b128 v[88:91], off, off offset:136
	scratch_load_b128 v[92:95], off, off offset:152
	;; [unrolled: 1-line block ×6, first 2 shown]
	ds_load_b128 v[112:115], v2 offset:480
	ds_load_b128 v[116:119], v2 offset:496
	scratch_load_b128 v[120:123], off, off offset:232
	s_mov_b32 s0, exec_lo
	s_wait_loadcnt_dscnt 0x601
	v_fma_f64 v[124:125], v[90:91], v[112:113], 0
	s_wait_loadcnt 0x5
	s_delay_alu instid0(VALU_DEP_1) | instskip(SKIP_4) | instid1(VALU_DEP_1)
	v_fmac_f64_e32 v[124:125], v[92:93], v[114:115]
	scratch_load_b128 v[90:93], off, off offset:248
	s_wait_dscnt 0x0
	v_fmac_f64_e32 v[124:125], v[94:95], v[116:117]
	s_wait_loadcnt 0x5
	v_fmac_f64_e32 v[124:125], v[96:97], v[118:119]
	ds_load_b128 v[94:97], v2 offset:512
	ds_load_b128 v[112:115], v2 offset:528
	s_wait_dscnt 0x1
	v_fmac_f64_e32 v[124:125], v[98:99], v[94:95]
	s_wait_loadcnt 0x4
	s_delay_alu instid0(VALU_DEP_1)
	v_fmac_f64_e32 v[124:125], v[100:101], v[96:97]
	s_clause 0x1
	scratch_load_b128 v[94:97], off, off offset:264
	scratch_load_b128 v[98:101], off, off offset:280
	s_wait_dscnt 0x0
	v_fmac_f64_e32 v[124:125], v[102:103], v[112:113]
	s_wait_loadcnt 0x5
	s_delay_alu instid0(VALU_DEP_1)
	v_fmac_f64_e32 v[124:125], v[104:105], v[114:115]
	ds_load_b128 v[102:105], v2 offset:544
	ds_load_b128 v[112:115], v2 offset:560
	s_wait_dscnt 0x1
	v_fmac_f64_e32 v[124:125], v[106:107], v[102:103]
	s_wait_loadcnt 0x4
	s_delay_alu instid0(VALU_DEP_1)
	v_fmac_f64_e32 v[124:125], v[108:109], v[104:105]
	s_clause 0x1
	scratch_load_b128 v[102:105], off, off offset:296
	scratch_load_b128 v[106:109], off, off offset:312
	s_wait_dscnt 0x0
	v_fmac_f64_e32 v[124:125], v[110:111], v[112:113]
	s_wait_loadcnt 0x5
	s_delay_alu instid0(VALU_DEP_1)
	v_fmac_f64_e32 v[124:125], v[120:121], v[114:115]
	ds_load_b128 v[110:113], v2 offset:576
	ds_load_b128 v[114:117], v2 offset:592
	scratch_load_b64 v[118:119], off, off offset:328
	s_wait_dscnt 0x1
	v_fmac_f64_e32 v[124:125], v[122:123], v[110:111]
	s_wait_loadcnt 0x5
	s_delay_alu instid0(VALU_DEP_1) | instskip(SKIP_1) | instid1(VALU_DEP_1)
	v_fmac_f64_e32 v[124:125], v[90:91], v[112:113]
	s_wait_dscnt 0x0
	v_fmac_f64_e32 v[124:125], v[92:93], v[114:115]
	ds_load_b128 v[90:93], v2 offset:608
	ds_load_b128 v[110:113], v2 offset:624
	s_wait_loadcnt 0x4
	v_fmac_f64_e32 v[124:125], v[94:95], v[116:117]
	s_wait_dscnt 0x1
	s_delay_alu instid0(VALU_DEP_1) | instskip(SKIP_1) | instid1(VALU_DEP_1)
	v_fmac_f64_e32 v[124:125], v[96:97], v[90:91]
	s_wait_loadcnt 0x3
	v_fmac_f64_e32 v[124:125], v[98:99], v[92:93]
	ds_load_b128 v[90:93], v2 offset:640
	ds_load_b128 v[94:97], v2 offset:656
	s_wait_dscnt 0x2
	v_fmac_f64_e32 v[124:125], v[100:101], v[110:111]
	s_wait_loadcnt 0x2
	s_delay_alu instid0(VALU_DEP_1) | instskip(SKIP_1) | instid1(VALU_DEP_1)
	v_fmac_f64_e32 v[124:125], v[102:103], v[112:113]
	s_wait_dscnt 0x1
	v_fmac_f64_e32 v[124:125], v[104:105], v[90:91]
	s_wait_loadcnt 0x1
	s_delay_alu instid0(VALU_DEP_1) | instskip(SKIP_1) | instid1(VALU_DEP_1)
	v_fmac_f64_e32 v[124:125], v[106:107], v[92:93]
	s_wait_dscnt 0x0
	v_fmac_f64_e32 v[124:125], v[108:109], v[94:95]
	s_wait_loadcnt 0x0
	s_delay_alu instid0(VALU_DEP_1) | instskip(NEXT) | instid1(VALU_DEP_1)
	v_fmac_f64_e32 v[124:125], v[118:119], v[96:97]
	v_add_f64_e64 v[2:3], v[88:89], -v[124:125]
	scratch_store_b64 off, v[2:3], off offset:136
	s_wait_xcnt 0x0
	v_cmpx_lt_u32_e32 16, v0
	s_cbranch_execz .LBB105_229
; %bb.228:
	scratch_load_b64 v[2:3], off, off offset:128
	v_mov_b64_e32 v[88:89], 0
	scratch_store_b64 off, v[88:89], off offset:128
	s_wait_loadcnt 0x0
	ds_store_b64 v1, v[2:3]
.LBB105_229:
	s_wait_xcnt 0x0
	s_or_b32 exec_lo, exec_lo, s0
	s_wait_storecnt_dscnt 0x0
	s_barrier_signal -1
	s_barrier_wait -1
	s_clause 0x5
	scratch_load_b128 v[88:91], off, off offset:128
	scratch_load_b128 v[92:95], off, off offset:144
	;; [unrolled: 1-line block ×6, first 2 shown]
	v_mov_b32_e32 v2, 0
	ds_load_2addr_b64 v[112:115], v2 offset0:59 offset1:60
	ds_load_2addr_b64 v[116:119], v2 offset0:61 offset1:62
	scratch_load_b128 v[120:123], off, off offset:224
	s_mov_b32 s0, exec_lo
	s_wait_loadcnt_dscnt 0x601
	v_fma_f64 v[124:125], v[90:91], v[112:113], 0
	s_wait_loadcnt 0x5
	s_delay_alu instid0(VALU_DEP_1) | instskip(SKIP_4) | instid1(VALU_DEP_1)
	v_fmac_f64_e32 v[124:125], v[92:93], v[114:115]
	scratch_load_b128 v[90:93], off, off offset:240
	s_wait_dscnt 0x0
	v_fmac_f64_e32 v[124:125], v[94:95], v[116:117]
	s_wait_loadcnt 0x5
	v_fmac_f64_e32 v[124:125], v[96:97], v[118:119]
	ds_load_2addr_b64 v[94:97], v2 offset0:63 offset1:64
	ds_load_2addr_b64 v[112:115], v2 offset0:65 offset1:66
	s_wait_dscnt 0x1
	v_fmac_f64_e32 v[124:125], v[98:99], v[94:95]
	s_wait_loadcnt 0x4
	s_delay_alu instid0(VALU_DEP_1)
	v_fmac_f64_e32 v[124:125], v[100:101], v[96:97]
	s_clause 0x1
	scratch_load_b128 v[94:97], off, off offset:256
	scratch_load_b128 v[98:101], off, off offset:272
	s_wait_dscnt 0x0
	v_fmac_f64_e32 v[124:125], v[102:103], v[112:113]
	s_wait_loadcnt 0x5
	s_delay_alu instid0(VALU_DEP_1)
	v_fmac_f64_e32 v[124:125], v[104:105], v[114:115]
	ds_load_2addr_b64 v[102:105], v2 offset0:67 offset1:68
	ds_load_2addr_b64 v[112:115], v2 offset0:69 offset1:70
	s_wait_dscnt 0x1
	v_fmac_f64_e32 v[124:125], v[106:107], v[102:103]
	s_wait_loadcnt 0x4
	s_delay_alu instid0(VALU_DEP_1)
	v_fmac_f64_e32 v[124:125], v[108:109], v[104:105]
	s_clause 0x1
	scratch_load_b128 v[102:105], off, off offset:288
	scratch_load_b128 v[106:109], off, off offset:304
	s_wait_dscnt 0x0
	v_fmac_f64_e32 v[124:125], v[110:111], v[112:113]
	s_wait_loadcnt 0x5
	s_delay_alu instid0(VALU_DEP_1)
	v_fmac_f64_e32 v[124:125], v[120:121], v[114:115]
	ds_load_2addr_b64 v[110:113], v2 offset0:71 offset1:72
	ds_load_2addr_b64 v[114:117], v2 offset0:73 offset1:74
	s_wait_dscnt 0x1
	v_fmac_f64_e32 v[124:125], v[122:123], v[110:111]
	s_wait_loadcnt 0x4
	s_delay_alu instid0(VALU_DEP_1) | instskip(SKIP_4) | instid1(VALU_DEP_1)
	v_fmac_f64_e32 v[124:125], v[90:91], v[112:113]
	scratch_load_b128 v[110:113], off, off offset:320
	s_wait_dscnt 0x0
	v_fmac_f64_e32 v[124:125], v[92:93], v[114:115]
	s_wait_loadcnt 0x4
	v_fmac_f64_e32 v[124:125], v[94:95], v[116:117]
	ds_load_2addr_b64 v[90:93], v2 offset0:75 offset1:76
	ds_load_2addr_b64 v[114:117], v2 offset0:77 offset1:78
	s_wait_dscnt 0x1
	v_fmac_f64_e32 v[124:125], v[96:97], v[90:91]
	s_wait_loadcnt 0x3
	s_delay_alu instid0(VALU_DEP_1)
	v_fmac_f64_e32 v[124:125], v[98:99], v[92:93]
	ds_load_2addr_b64 v[90:93], v2 offset0:79 offset1:80
	ds_load_2addr_b64 v[94:97], v2 offset0:81 offset1:82
	s_wait_dscnt 0x2
	v_fmac_f64_e32 v[124:125], v[100:101], v[114:115]
	s_wait_loadcnt 0x2
	s_delay_alu instid0(VALU_DEP_1) | instskip(SKIP_1) | instid1(VALU_DEP_1)
	v_fmac_f64_e32 v[124:125], v[102:103], v[116:117]
	s_wait_dscnt 0x1
	v_fmac_f64_e32 v[124:125], v[104:105], v[90:91]
	ds_load_b64 v[90:91], v2 offset:664
	s_wait_loadcnt 0x1
	v_fmac_f64_e32 v[124:125], v[106:107], v[92:93]
	s_wait_dscnt 0x1
	s_delay_alu instid0(VALU_DEP_1) | instskip(SKIP_1) | instid1(VALU_DEP_1)
	v_fmac_f64_e32 v[124:125], v[108:109], v[94:95]
	s_wait_loadcnt 0x0
	v_fmac_f64_e32 v[124:125], v[110:111], v[96:97]
	s_wait_dscnt 0x0
	s_delay_alu instid0(VALU_DEP_1) | instskip(NEXT) | instid1(VALU_DEP_1)
	v_fmac_f64_e32 v[124:125], v[112:113], v[90:91]
	v_add_f64_e64 v[88:89], v[88:89], -v[124:125]
	scratch_store_b64 off, v[88:89], off offset:128
	s_wait_xcnt 0x0
	v_cmpx_lt_u32_e32 15, v0
	s_cbranch_execz .LBB105_231
; %bb.230:
	scratch_load_b64 v[88:89], off, off offset:120
	v_mov_b64_e32 v[90:91], 0
	scratch_store_b64 off, v[90:91], off offset:120
	s_wait_loadcnt 0x0
	ds_store_b64 v1, v[88:89]
.LBB105_231:
	s_wait_xcnt 0x0
	s_or_b32 exec_lo, exec_lo, s0
	s_wait_storecnt_dscnt 0x0
	s_barrier_signal -1
	s_barrier_wait -1
	s_clause 0x5
	scratch_load_b128 v[88:91], off, off offset:120
	scratch_load_b128 v[92:95], off, off offset:136
	;; [unrolled: 1-line block ×6, first 2 shown]
	ds_load_b128 v[112:115], v2 offset:464
	ds_load_b128 v[116:119], v2 offset:480
	scratch_load_b128 v[120:123], off, off offset:216
	s_mov_b32 s0, exec_lo
	s_wait_loadcnt_dscnt 0x601
	v_fma_f64 v[124:125], v[90:91], v[112:113], 0
	s_wait_loadcnt 0x5
	s_delay_alu instid0(VALU_DEP_1) | instskip(SKIP_4) | instid1(VALU_DEP_1)
	v_fmac_f64_e32 v[124:125], v[92:93], v[114:115]
	scratch_load_b128 v[90:93], off, off offset:232
	s_wait_dscnt 0x0
	v_fmac_f64_e32 v[124:125], v[94:95], v[116:117]
	s_wait_loadcnt 0x5
	v_fmac_f64_e32 v[124:125], v[96:97], v[118:119]
	ds_load_b128 v[94:97], v2 offset:496
	ds_load_b128 v[112:115], v2 offset:512
	scratch_load_b128 v[116:119], off, off offset:248
	s_wait_dscnt 0x1
	v_fmac_f64_e32 v[124:125], v[98:99], v[94:95]
	s_wait_loadcnt 0x5
	s_delay_alu instid0(VALU_DEP_1) | instskip(SKIP_4) | instid1(VALU_DEP_1)
	v_fmac_f64_e32 v[124:125], v[100:101], v[96:97]
	scratch_load_b128 v[94:97], off, off offset:264
	s_wait_dscnt 0x0
	v_fmac_f64_e32 v[124:125], v[102:103], v[112:113]
	s_wait_loadcnt 0x5
	v_fmac_f64_e32 v[124:125], v[104:105], v[114:115]
	ds_load_b128 v[98:101], v2 offset:528
	ds_load_b128 v[102:105], v2 offset:544
	s_wait_dscnt 0x1
	v_fmac_f64_e32 v[124:125], v[106:107], v[98:99]
	s_wait_loadcnt 0x4
	s_delay_alu instid0(VALU_DEP_1) | instskip(SKIP_4) | instid1(VALU_DEP_1)
	v_fmac_f64_e32 v[124:125], v[108:109], v[100:101]
	scratch_load_b128 v[98:101], off, off offset:280
	s_wait_dscnt 0x0
	v_fmac_f64_e32 v[124:125], v[110:111], v[102:103]
	s_wait_loadcnt 0x4
	v_fmac_f64_e32 v[124:125], v[120:121], v[104:105]
	scratch_load_b128 v[102:105], off, off offset:296
	ds_load_b128 v[106:109], v2 offset:560
	ds_load_b128 v[110:113], v2 offset:576
	scratch_load_b64 v[114:115], off, off offset:328
	s_wait_dscnt 0x1
	v_fmac_f64_e32 v[124:125], v[122:123], v[106:107]
	s_wait_loadcnt 0x5
	s_delay_alu instid0(VALU_DEP_1) | instskip(SKIP_4) | instid1(VALU_DEP_1)
	v_fmac_f64_e32 v[124:125], v[90:91], v[108:109]
	scratch_load_b128 v[106:109], off, off offset:312
	s_wait_dscnt 0x0
	v_fmac_f64_e32 v[124:125], v[92:93], v[110:111]
	s_wait_loadcnt 0x5
	v_fmac_f64_e32 v[124:125], v[116:117], v[112:113]
	ds_load_b128 v[90:93], v2 offset:592
	ds_load_b128 v[110:113], v2 offset:608
	s_wait_dscnt 0x1
	v_fmac_f64_e32 v[124:125], v[118:119], v[90:91]
	s_wait_loadcnt 0x4
	s_delay_alu instid0(VALU_DEP_1) | instskip(SKIP_1) | instid1(VALU_DEP_1)
	v_fmac_f64_e32 v[124:125], v[94:95], v[92:93]
	s_wait_dscnt 0x0
	v_fmac_f64_e32 v[124:125], v[96:97], v[110:111]
	ds_load_b128 v[90:93], v2 offset:624
	ds_load_b128 v[94:97], v2 offset:640
	s_wait_loadcnt 0x3
	v_fmac_f64_e32 v[124:125], v[98:99], v[112:113]
	s_wait_dscnt 0x1
	s_delay_alu instid0(VALU_DEP_1) | instskip(SKIP_1) | instid1(VALU_DEP_1)
	v_fmac_f64_e32 v[124:125], v[100:101], v[90:91]
	s_wait_loadcnt 0x2
	v_fmac_f64_e32 v[124:125], v[102:103], v[92:93]
	ds_load_b128 v[90:93], v2 offset:656
	s_wait_dscnt 0x1
	v_fmac_f64_e32 v[124:125], v[104:105], v[94:95]
	s_wait_loadcnt 0x0
	s_delay_alu instid0(VALU_DEP_1) | instskip(SKIP_1) | instid1(VALU_DEP_1)
	v_fmac_f64_e32 v[124:125], v[106:107], v[96:97]
	s_wait_dscnt 0x0
	v_fmac_f64_e32 v[124:125], v[108:109], v[90:91]
	s_delay_alu instid0(VALU_DEP_1) | instskip(NEXT) | instid1(VALU_DEP_1)
	v_fmac_f64_e32 v[124:125], v[114:115], v[92:93]
	v_add_f64_e64 v[2:3], v[88:89], -v[124:125]
	scratch_store_b64 off, v[2:3], off offset:120
	s_wait_xcnt 0x0
	v_cmpx_lt_u32_e32 14, v0
	s_cbranch_execz .LBB105_233
; %bb.232:
	scratch_load_b64 v[2:3], off, off offset:112
	v_mov_b64_e32 v[88:89], 0
	scratch_store_b64 off, v[88:89], off offset:112
	s_wait_loadcnt 0x0
	ds_store_b64 v1, v[2:3]
.LBB105_233:
	s_wait_xcnt 0x0
	s_or_b32 exec_lo, exec_lo, s0
	s_wait_storecnt_dscnt 0x0
	s_barrier_signal -1
	s_barrier_wait -1
	s_clause 0x5
	scratch_load_b128 v[88:91], off, off offset:112
	scratch_load_b128 v[92:95], off, off offset:128
	scratch_load_b128 v[96:99], off, off offset:144
	scratch_load_b128 v[100:103], off, off offset:160
	scratch_load_b128 v[104:107], off, off offset:176
	scratch_load_b128 v[108:111], off, off offset:192
	v_mov_b32_e32 v2, 0
	ds_load_2addr_b64 v[112:115], v2 offset0:57 offset1:58
	ds_load_2addr_b64 v[116:119], v2 offset0:59 offset1:60
	scratch_load_b128 v[120:123], off, off offset:208
	s_mov_b32 s0, exec_lo
	s_wait_loadcnt_dscnt 0x601
	v_fma_f64 v[124:125], v[90:91], v[112:113], 0
	s_wait_loadcnt 0x5
	s_delay_alu instid0(VALU_DEP_1) | instskip(SKIP_4) | instid1(VALU_DEP_1)
	v_fmac_f64_e32 v[124:125], v[92:93], v[114:115]
	scratch_load_b128 v[90:93], off, off offset:224
	s_wait_dscnt 0x0
	v_fmac_f64_e32 v[124:125], v[94:95], v[116:117]
	s_wait_loadcnt 0x5
	v_fmac_f64_e32 v[124:125], v[96:97], v[118:119]
	ds_load_2addr_b64 v[94:97], v2 offset0:61 offset1:62
	ds_load_2addr_b64 v[112:115], v2 offset0:63 offset1:64
	scratch_load_b128 v[116:119], off, off offset:240
	s_wait_dscnt 0x1
	v_fmac_f64_e32 v[124:125], v[98:99], v[94:95]
	s_wait_loadcnt 0x5
	s_delay_alu instid0(VALU_DEP_1) | instskip(SKIP_4) | instid1(VALU_DEP_1)
	v_fmac_f64_e32 v[124:125], v[100:101], v[96:97]
	scratch_load_b128 v[94:97], off, off offset:256
	s_wait_dscnt 0x0
	v_fmac_f64_e32 v[124:125], v[102:103], v[112:113]
	s_wait_loadcnt 0x5
	v_fmac_f64_e32 v[124:125], v[104:105], v[114:115]
	ds_load_2addr_b64 v[98:101], v2 offset0:65 offset1:66
	ds_load_2addr_b64 v[102:105], v2 offset0:67 offset1:68
	s_wait_dscnt 0x1
	v_fmac_f64_e32 v[124:125], v[106:107], v[98:99]
	s_wait_loadcnt 0x4
	s_delay_alu instid0(VALU_DEP_1) | instskip(SKIP_4) | instid1(VALU_DEP_1)
	v_fmac_f64_e32 v[124:125], v[108:109], v[100:101]
	scratch_load_b128 v[98:101], off, off offset:272
	s_wait_dscnt 0x0
	v_fmac_f64_e32 v[124:125], v[110:111], v[102:103]
	s_wait_loadcnt 0x4
	v_fmac_f64_e32 v[124:125], v[120:121], v[104:105]
	scratch_load_b128 v[102:105], off, off offset:288
	ds_load_2addr_b64 v[106:109], v2 offset0:69 offset1:70
	ds_load_2addr_b64 v[110:113], v2 offset0:71 offset1:72
	s_wait_dscnt 0x1
	v_fmac_f64_e32 v[124:125], v[122:123], v[106:107]
	s_wait_loadcnt 0x4
	s_delay_alu instid0(VALU_DEP_1)
	v_fmac_f64_e32 v[124:125], v[90:91], v[108:109]
	scratch_load_b128 v[106:109], off, off offset:304
	s_wait_dscnt 0x0
	v_fmac_f64_e32 v[124:125], v[92:93], v[110:111]
	scratch_load_b128 v[90:93], off, off offset:320
	s_wait_loadcnt 0x5
	v_fmac_f64_e32 v[124:125], v[116:117], v[112:113]
	ds_load_2addr_b64 v[110:113], v2 offset0:73 offset1:74
	ds_load_2addr_b64 v[114:117], v2 offset0:75 offset1:76
	s_wait_dscnt 0x1
	v_fmac_f64_e32 v[124:125], v[118:119], v[110:111]
	s_wait_loadcnt 0x4
	s_delay_alu instid0(VALU_DEP_1) | instskip(SKIP_1) | instid1(VALU_DEP_1)
	v_fmac_f64_e32 v[124:125], v[94:95], v[112:113]
	s_wait_dscnt 0x0
	v_fmac_f64_e32 v[124:125], v[96:97], v[114:115]
	ds_load_2addr_b64 v[94:97], v2 offset0:77 offset1:78
	ds_load_2addr_b64 v[110:113], v2 offset0:79 offset1:80
	s_wait_loadcnt 0x3
	v_fmac_f64_e32 v[124:125], v[98:99], v[116:117]
	s_wait_dscnt 0x1
	s_delay_alu instid0(VALU_DEP_1) | instskip(SKIP_1) | instid1(VALU_DEP_1)
	v_fmac_f64_e32 v[124:125], v[100:101], v[94:95]
	s_wait_loadcnt 0x2
	v_fmac_f64_e32 v[124:125], v[102:103], v[96:97]
	ds_load_2addr_b64 v[94:97], v2 offset0:81 offset1:82
	ds_load_b64 v[98:99], v2 offset:664
	s_wait_dscnt 0x2
	v_fmac_f64_e32 v[124:125], v[104:105], v[110:111]
	s_wait_loadcnt 0x1
	s_delay_alu instid0(VALU_DEP_1) | instskip(SKIP_1) | instid1(VALU_DEP_1)
	v_fmac_f64_e32 v[124:125], v[106:107], v[112:113]
	s_wait_dscnt 0x1
	v_fmac_f64_e32 v[124:125], v[108:109], v[94:95]
	s_wait_loadcnt 0x0
	s_delay_alu instid0(VALU_DEP_1) | instskip(SKIP_1) | instid1(VALU_DEP_1)
	v_fmac_f64_e32 v[124:125], v[90:91], v[96:97]
	s_wait_dscnt 0x0
	v_fmac_f64_e32 v[124:125], v[92:93], v[98:99]
	s_delay_alu instid0(VALU_DEP_1)
	v_add_f64_e64 v[88:89], v[88:89], -v[124:125]
	scratch_store_b64 off, v[88:89], off offset:112
	s_wait_xcnt 0x0
	v_cmpx_lt_u32_e32 13, v0
	s_cbranch_execz .LBB105_235
; %bb.234:
	scratch_load_b64 v[88:89], off, off offset:104
	v_mov_b64_e32 v[90:91], 0
	scratch_store_b64 off, v[90:91], off offset:104
	s_wait_loadcnt 0x0
	ds_store_b64 v1, v[88:89]
.LBB105_235:
	s_wait_xcnt 0x0
	s_or_b32 exec_lo, exec_lo, s0
	s_wait_storecnt_dscnt 0x0
	s_barrier_signal -1
	s_barrier_wait -1
	s_clause 0x5
	scratch_load_b128 v[88:91], off, off offset:104
	scratch_load_b128 v[92:95], off, off offset:120
	;; [unrolled: 1-line block ×6, first 2 shown]
	ds_load_b128 v[112:115], v2 offset:448
	ds_load_b128 v[116:119], v2 offset:464
	scratch_load_b128 v[120:123], off, off offset:200
	s_mov_b32 s0, exec_lo
	s_wait_loadcnt_dscnt 0x601
	v_fma_f64 v[124:125], v[90:91], v[112:113], 0
	s_wait_loadcnt 0x5
	s_delay_alu instid0(VALU_DEP_1) | instskip(SKIP_4) | instid1(VALU_DEP_1)
	v_fmac_f64_e32 v[124:125], v[92:93], v[114:115]
	scratch_load_b128 v[90:93], off, off offset:216
	s_wait_dscnt 0x0
	v_fmac_f64_e32 v[124:125], v[94:95], v[116:117]
	s_wait_loadcnt 0x5
	v_fmac_f64_e32 v[124:125], v[96:97], v[118:119]
	ds_load_b128 v[94:97], v2 offset:480
	ds_load_b128 v[112:115], v2 offset:496
	scratch_load_b128 v[116:119], off, off offset:232
	s_wait_dscnt 0x1
	v_fmac_f64_e32 v[124:125], v[98:99], v[94:95]
	s_wait_loadcnt 0x5
	s_delay_alu instid0(VALU_DEP_1) | instskip(SKIP_4) | instid1(VALU_DEP_1)
	v_fmac_f64_e32 v[124:125], v[100:101], v[96:97]
	scratch_load_b128 v[94:97], off, off offset:248
	s_wait_dscnt 0x0
	v_fmac_f64_e32 v[124:125], v[102:103], v[112:113]
	s_wait_loadcnt 0x5
	v_fmac_f64_e32 v[124:125], v[104:105], v[114:115]
	ds_load_b128 v[98:101], v2 offset:512
	ds_load_b128 v[102:105], v2 offset:528
	s_wait_dscnt 0x1
	v_fmac_f64_e32 v[124:125], v[106:107], v[98:99]
	s_wait_loadcnt 0x4
	s_delay_alu instid0(VALU_DEP_1) | instskip(SKIP_4) | instid1(VALU_DEP_1)
	v_fmac_f64_e32 v[124:125], v[108:109], v[100:101]
	scratch_load_b128 v[98:101], off, off offset:264
	s_wait_dscnt 0x0
	v_fmac_f64_e32 v[124:125], v[110:111], v[102:103]
	s_wait_loadcnt 0x4
	v_fmac_f64_e32 v[124:125], v[120:121], v[104:105]
	scratch_load_b128 v[102:105], off, off offset:280
	ds_load_b128 v[106:109], v2 offset:544
	ds_load_b128 v[110:113], v2 offset:560
	s_wait_dscnt 0x1
	v_fmac_f64_e32 v[124:125], v[122:123], v[106:107]
	s_wait_loadcnt 0x4
	s_delay_alu instid0(VALU_DEP_1)
	v_fmac_f64_e32 v[124:125], v[90:91], v[108:109]
	scratch_load_b128 v[106:109], off, off offset:296
	s_wait_dscnt 0x0
	v_fmac_f64_e32 v[124:125], v[92:93], v[110:111]
	scratch_load_b128 v[90:93], off, off offset:312
	s_wait_loadcnt 0x5
	v_fmac_f64_e32 v[124:125], v[116:117], v[112:113]
	ds_load_b128 v[110:113], v2 offset:576
	ds_load_b128 v[114:117], v2 offset:592
	s_wait_dscnt 0x1
	v_fmac_f64_e32 v[124:125], v[118:119], v[110:111]
	scratch_load_b64 v[118:119], off, off offset:328
	s_wait_loadcnt 0x5
	v_fmac_f64_e32 v[124:125], v[94:95], v[112:113]
	s_wait_dscnt 0x0
	s_delay_alu instid0(VALU_DEP_1)
	v_fmac_f64_e32 v[124:125], v[96:97], v[114:115]
	ds_load_b128 v[94:97], v2 offset:608
	ds_load_b128 v[110:113], v2 offset:624
	s_wait_loadcnt 0x4
	v_fmac_f64_e32 v[124:125], v[98:99], v[116:117]
	s_wait_dscnt 0x1
	s_delay_alu instid0(VALU_DEP_1) | instskip(SKIP_1) | instid1(VALU_DEP_1)
	v_fmac_f64_e32 v[124:125], v[100:101], v[94:95]
	s_wait_loadcnt 0x3
	v_fmac_f64_e32 v[124:125], v[102:103], v[96:97]
	ds_load_b128 v[94:97], v2 offset:640
	ds_load_b128 v[98:101], v2 offset:656
	s_wait_dscnt 0x2
	v_fmac_f64_e32 v[124:125], v[104:105], v[110:111]
	s_wait_loadcnt 0x2
	s_delay_alu instid0(VALU_DEP_1) | instskip(SKIP_1) | instid1(VALU_DEP_1)
	v_fmac_f64_e32 v[124:125], v[106:107], v[112:113]
	s_wait_dscnt 0x1
	v_fmac_f64_e32 v[124:125], v[108:109], v[94:95]
	s_wait_loadcnt 0x1
	s_delay_alu instid0(VALU_DEP_1) | instskip(SKIP_1) | instid1(VALU_DEP_1)
	v_fmac_f64_e32 v[124:125], v[90:91], v[96:97]
	s_wait_dscnt 0x0
	v_fmac_f64_e32 v[124:125], v[92:93], v[98:99]
	s_wait_loadcnt 0x0
	s_delay_alu instid0(VALU_DEP_1) | instskip(NEXT) | instid1(VALU_DEP_1)
	v_fmac_f64_e32 v[124:125], v[118:119], v[100:101]
	v_add_f64_e64 v[2:3], v[88:89], -v[124:125]
	scratch_store_b64 off, v[2:3], off offset:104
	s_wait_xcnt 0x0
	v_cmpx_lt_u32_e32 12, v0
	s_cbranch_execz .LBB105_237
; %bb.236:
	scratch_load_b64 v[2:3], off, off offset:96
	v_mov_b64_e32 v[88:89], 0
	scratch_store_b64 off, v[88:89], off offset:96
	s_wait_loadcnt 0x0
	ds_store_b64 v1, v[2:3]
.LBB105_237:
	s_wait_xcnt 0x0
	s_or_b32 exec_lo, exec_lo, s0
	s_wait_storecnt_dscnt 0x0
	s_barrier_signal -1
	s_barrier_wait -1
	s_clause 0x5
	scratch_load_b128 v[88:91], off, off offset:96
	scratch_load_b128 v[92:95], off, off offset:112
	;; [unrolled: 1-line block ×6, first 2 shown]
	v_mov_b32_e32 v2, 0
	ds_load_2addr_b64 v[112:115], v2 offset0:55 offset1:56
	ds_load_2addr_b64 v[116:119], v2 offset0:57 offset1:58
	scratch_load_b128 v[120:123], off, off offset:192
	s_mov_b32 s0, exec_lo
	s_wait_loadcnt_dscnt 0x601
	v_fma_f64 v[124:125], v[90:91], v[112:113], 0
	s_wait_loadcnt 0x5
	s_delay_alu instid0(VALU_DEP_1) | instskip(SKIP_4) | instid1(VALU_DEP_1)
	v_fmac_f64_e32 v[124:125], v[92:93], v[114:115]
	scratch_load_b128 v[90:93], off, off offset:208
	s_wait_dscnt 0x0
	v_fmac_f64_e32 v[124:125], v[94:95], v[116:117]
	s_wait_loadcnt 0x5
	v_fmac_f64_e32 v[124:125], v[96:97], v[118:119]
	ds_load_2addr_b64 v[94:97], v2 offset0:59 offset1:60
	ds_load_2addr_b64 v[112:115], v2 offset0:61 offset1:62
	scratch_load_b128 v[116:119], off, off offset:224
	s_wait_dscnt 0x1
	v_fmac_f64_e32 v[124:125], v[98:99], v[94:95]
	s_wait_loadcnt 0x5
	s_delay_alu instid0(VALU_DEP_1) | instskip(SKIP_4) | instid1(VALU_DEP_1)
	v_fmac_f64_e32 v[124:125], v[100:101], v[96:97]
	scratch_load_b128 v[94:97], off, off offset:240
	s_wait_dscnt 0x0
	v_fmac_f64_e32 v[124:125], v[102:103], v[112:113]
	s_wait_loadcnt 0x5
	v_fmac_f64_e32 v[124:125], v[104:105], v[114:115]
	ds_load_2addr_b64 v[98:101], v2 offset0:63 offset1:64
	ds_load_2addr_b64 v[102:105], v2 offset0:65 offset1:66
	s_wait_dscnt 0x1
	v_fmac_f64_e32 v[124:125], v[106:107], v[98:99]
	s_wait_loadcnt 0x4
	s_delay_alu instid0(VALU_DEP_1) | instskip(SKIP_4) | instid1(VALU_DEP_1)
	v_fmac_f64_e32 v[124:125], v[108:109], v[100:101]
	scratch_load_b128 v[98:101], off, off offset:256
	s_wait_dscnt 0x0
	v_fmac_f64_e32 v[124:125], v[110:111], v[102:103]
	s_wait_loadcnt 0x4
	v_fmac_f64_e32 v[124:125], v[120:121], v[104:105]
	scratch_load_b128 v[102:105], off, off offset:272
	ds_load_2addr_b64 v[106:109], v2 offset0:67 offset1:68
	ds_load_2addr_b64 v[110:113], v2 offset0:69 offset1:70
	s_wait_dscnt 0x1
	v_fmac_f64_e32 v[124:125], v[122:123], v[106:107]
	s_wait_loadcnt 0x4
	s_delay_alu instid0(VALU_DEP_1)
	v_fmac_f64_e32 v[124:125], v[90:91], v[108:109]
	scratch_load_b128 v[106:109], off, off offset:288
	s_wait_dscnt 0x0
	v_fmac_f64_e32 v[124:125], v[92:93], v[110:111]
	scratch_load_b128 v[90:93], off, off offset:304
	s_wait_loadcnt 0x5
	v_fmac_f64_e32 v[124:125], v[116:117], v[112:113]
	ds_load_2addr_b64 v[110:113], v2 offset0:71 offset1:72
	ds_load_2addr_b64 v[114:117], v2 offset0:73 offset1:74
	s_wait_dscnt 0x1
	v_fmac_f64_e32 v[124:125], v[118:119], v[110:111]
	s_wait_loadcnt 0x4
	s_delay_alu instid0(VALU_DEP_1) | instskip(SKIP_4) | instid1(VALU_DEP_1)
	v_fmac_f64_e32 v[124:125], v[94:95], v[112:113]
	scratch_load_b128 v[110:113], off, off offset:320
	s_wait_dscnt 0x0
	v_fmac_f64_e32 v[124:125], v[96:97], v[114:115]
	s_wait_loadcnt 0x4
	v_fmac_f64_e32 v[124:125], v[98:99], v[116:117]
	ds_load_2addr_b64 v[94:97], v2 offset0:75 offset1:76
	ds_load_2addr_b64 v[114:117], v2 offset0:77 offset1:78
	s_wait_dscnt 0x1
	v_fmac_f64_e32 v[124:125], v[100:101], v[94:95]
	s_wait_loadcnt 0x3
	s_delay_alu instid0(VALU_DEP_1)
	v_fmac_f64_e32 v[124:125], v[102:103], v[96:97]
	ds_load_2addr_b64 v[94:97], v2 offset0:79 offset1:80
	ds_load_2addr_b64 v[98:101], v2 offset0:81 offset1:82
	s_wait_dscnt 0x2
	v_fmac_f64_e32 v[124:125], v[104:105], v[114:115]
	s_wait_loadcnt 0x2
	s_delay_alu instid0(VALU_DEP_1) | instskip(SKIP_1) | instid1(VALU_DEP_1)
	v_fmac_f64_e32 v[124:125], v[106:107], v[116:117]
	s_wait_dscnt 0x1
	v_fmac_f64_e32 v[124:125], v[108:109], v[94:95]
	s_wait_loadcnt 0x1
	s_delay_alu instid0(VALU_DEP_1) | instskip(SKIP_4) | instid1(VALU_DEP_1)
	v_fmac_f64_e32 v[124:125], v[90:91], v[96:97]
	ds_load_b64 v[90:91], v2 offset:664
	s_wait_dscnt 0x1
	v_fmac_f64_e32 v[124:125], v[92:93], v[98:99]
	s_wait_loadcnt 0x0
	v_fmac_f64_e32 v[124:125], v[110:111], v[100:101]
	s_wait_dscnt 0x0
	s_delay_alu instid0(VALU_DEP_1) | instskip(NEXT) | instid1(VALU_DEP_1)
	v_fmac_f64_e32 v[124:125], v[112:113], v[90:91]
	v_add_f64_e64 v[88:89], v[88:89], -v[124:125]
	scratch_store_b64 off, v[88:89], off offset:96
	s_wait_xcnt 0x0
	v_cmpx_lt_u32_e32 11, v0
	s_cbranch_execz .LBB105_239
; %bb.238:
	scratch_load_b64 v[88:89], off, off offset:88
	v_mov_b64_e32 v[90:91], 0
	scratch_store_b64 off, v[90:91], off offset:88
	s_wait_loadcnt 0x0
	ds_store_b64 v1, v[88:89]
.LBB105_239:
	s_wait_xcnt 0x0
	s_or_b32 exec_lo, exec_lo, s0
	s_wait_storecnt_dscnt 0x0
	s_barrier_signal -1
	s_barrier_wait -1
	s_clause 0x5
	scratch_load_b128 v[88:91], off, off offset:88
	scratch_load_b128 v[92:95], off, off offset:104
	;; [unrolled: 1-line block ×6, first 2 shown]
	ds_load_b128 v[112:115], v2 offset:432
	ds_load_b128 v[116:119], v2 offset:448
	scratch_load_b128 v[120:123], off, off offset:184
	s_mov_b32 s0, exec_lo
	s_wait_loadcnt_dscnt 0x601
	v_fma_f64 v[124:125], v[90:91], v[112:113], 0
	s_wait_loadcnt 0x5
	s_delay_alu instid0(VALU_DEP_1) | instskip(SKIP_4) | instid1(VALU_DEP_1)
	v_fmac_f64_e32 v[124:125], v[92:93], v[114:115]
	scratch_load_b128 v[90:93], off, off offset:200
	s_wait_dscnt 0x0
	v_fmac_f64_e32 v[124:125], v[94:95], v[116:117]
	s_wait_loadcnt 0x5
	v_fmac_f64_e32 v[124:125], v[96:97], v[118:119]
	ds_load_b128 v[94:97], v2 offset:464
	ds_load_b128 v[112:115], v2 offset:480
	scratch_load_b128 v[116:119], off, off offset:216
	s_wait_dscnt 0x1
	v_fmac_f64_e32 v[124:125], v[98:99], v[94:95]
	s_wait_loadcnt 0x5
	s_delay_alu instid0(VALU_DEP_1) | instskip(SKIP_4) | instid1(VALU_DEP_1)
	v_fmac_f64_e32 v[124:125], v[100:101], v[96:97]
	scratch_load_b128 v[94:97], off, off offset:232
	s_wait_dscnt 0x0
	v_fmac_f64_e32 v[124:125], v[102:103], v[112:113]
	s_wait_loadcnt 0x5
	v_fmac_f64_e32 v[124:125], v[104:105], v[114:115]
	ds_load_b128 v[98:101], v2 offset:496
	ds_load_b128 v[102:105], v2 offset:512
	scratch_load_b128 v[112:115], off, off offset:248
	s_wait_dscnt 0x1
	v_fmac_f64_e32 v[124:125], v[106:107], v[98:99]
	s_wait_loadcnt 0x5
	s_delay_alu instid0(VALU_DEP_1) | instskip(SKIP_4) | instid1(VALU_DEP_1)
	v_fmac_f64_e32 v[124:125], v[108:109], v[100:101]
	scratch_load_b128 v[98:101], off, off offset:264
	s_wait_dscnt 0x0
	v_fmac_f64_e32 v[124:125], v[110:111], v[102:103]
	s_wait_loadcnt 0x5
	v_fmac_f64_e32 v[124:125], v[120:121], v[104:105]
	ds_load_b128 v[102:105], v2 offset:528
	ds_load_b128 v[106:109], v2 offset:544
	s_wait_dscnt 0x1
	v_fmac_f64_e32 v[124:125], v[122:123], v[102:103]
	s_wait_loadcnt 0x4
	s_delay_alu instid0(VALU_DEP_1)
	v_fmac_f64_e32 v[124:125], v[90:91], v[104:105]
	scratch_load_b128 v[102:105], off, off offset:280
	s_wait_dscnt 0x0
	v_fmac_f64_e32 v[124:125], v[92:93], v[106:107]
	scratch_load_b128 v[90:93], off, off offset:296
	s_wait_loadcnt 0x5
	v_fmac_f64_e32 v[124:125], v[116:117], v[108:109]
	ds_load_b128 v[106:109], v2 offset:560
	ds_load_b128 v[120:123], v2 offset:576
	scratch_load_b64 v[116:117], off, off offset:328
	s_wait_dscnt 0x1
	v_fmac_f64_e32 v[124:125], v[118:119], v[106:107]
	s_wait_loadcnt 0x5
	s_delay_alu instid0(VALU_DEP_1) | instskip(SKIP_4) | instid1(VALU_DEP_1)
	v_fmac_f64_e32 v[124:125], v[94:95], v[108:109]
	scratch_load_b128 v[106:109], off, off offset:312
	s_wait_dscnt 0x0
	v_fmac_f64_e32 v[124:125], v[96:97], v[120:121]
	s_wait_loadcnt 0x5
	v_fmac_f64_e32 v[124:125], v[112:113], v[122:123]
	ds_load_b128 v[94:97], v2 offset:592
	ds_load_b128 v[110:113], v2 offset:608
	s_wait_dscnt 0x1
	v_fmac_f64_e32 v[124:125], v[114:115], v[94:95]
	s_wait_loadcnt 0x4
	s_delay_alu instid0(VALU_DEP_1) | instskip(SKIP_1) | instid1(VALU_DEP_1)
	v_fmac_f64_e32 v[124:125], v[98:99], v[96:97]
	s_wait_dscnt 0x0
	v_fmac_f64_e32 v[124:125], v[100:101], v[110:111]
	ds_load_b128 v[94:97], v2 offset:624
	ds_load_b128 v[98:101], v2 offset:640
	s_wait_loadcnt 0x3
	v_fmac_f64_e32 v[124:125], v[102:103], v[112:113]
	s_wait_dscnt 0x1
	s_delay_alu instid0(VALU_DEP_1) | instskip(SKIP_1) | instid1(VALU_DEP_1)
	v_fmac_f64_e32 v[124:125], v[104:105], v[94:95]
	s_wait_loadcnt 0x2
	v_fmac_f64_e32 v[124:125], v[90:91], v[96:97]
	s_wait_dscnt 0x0
	s_delay_alu instid0(VALU_DEP_1) | instskip(SKIP_4) | instid1(VALU_DEP_1)
	v_fmac_f64_e32 v[124:125], v[92:93], v[98:99]
	ds_load_b128 v[90:93], v2 offset:656
	s_wait_loadcnt 0x0
	v_fmac_f64_e32 v[124:125], v[106:107], v[100:101]
	s_wait_dscnt 0x0
	v_fmac_f64_e32 v[124:125], v[108:109], v[90:91]
	s_delay_alu instid0(VALU_DEP_1) | instskip(NEXT) | instid1(VALU_DEP_1)
	v_fmac_f64_e32 v[124:125], v[116:117], v[92:93]
	v_add_f64_e64 v[2:3], v[88:89], -v[124:125]
	scratch_store_b64 off, v[2:3], off offset:88
	s_wait_xcnt 0x0
	v_cmpx_lt_u32_e32 10, v0
	s_cbranch_execz .LBB105_241
; %bb.240:
	scratch_load_b64 v[2:3], off, off offset:80
	v_mov_b64_e32 v[88:89], 0
	scratch_store_b64 off, v[88:89], off offset:80
	s_wait_loadcnt 0x0
	ds_store_b64 v1, v[2:3]
.LBB105_241:
	s_wait_xcnt 0x0
	s_or_b32 exec_lo, exec_lo, s0
	s_wait_storecnt_dscnt 0x0
	s_barrier_signal -1
	s_barrier_wait -1
	s_clause 0x5
	scratch_load_b128 v[88:91], off, off offset:80
	scratch_load_b128 v[92:95], off, off offset:96
	;; [unrolled: 1-line block ×6, first 2 shown]
	v_mov_b32_e32 v2, 0
	ds_load_2addr_b64 v[112:115], v2 offset0:53 offset1:54
	ds_load_2addr_b64 v[116:119], v2 offset0:55 offset1:56
	scratch_load_b128 v[120:123], off, off offset:176
	s_mov_b32 s0, exec_lo
	s_wait_loadcnt_dscnt 0x601
	v_fma_f64 v[124:125], v[90:91], v[112:113], 0
	s_wait_loadcnt 0x5
	s_delay_alu instid0(VALU_DEP_1) | instskip(SKIP_4) | instid1(VALU_DEP_1)
	v_fmac_f64_e32 v[124:125], v[92:93], v[114:115]
	scratch_load_b128 v[90:93], off, off offset:192
	s_wait_dscnt 0x0
	v_fmac_f64_e32 v[124:125], v[94:95], v[116:117]
	s_wait_loadcnt 0x5
	v_fmac_f64_e32 v[124:125], v[96:97], v[118:119]
	ds_load_2addr_b64 v[94:97], v2 offset0:57 offset1:58
	ds_load_2addr_b64 v[112:115], v2 offset0:59 offset1:60
	scratch_load_b128 v[116:119], off, off offset:208
	s_wait_dscnt 0x1
	v_fmac_f64_e32 v[124:125], v[98:99], v[94:95]
	s_wait_loadcnt 0x5
	s_delay_alu instid0(VALU_DEP_1) | instskip(SKIP_4) | instid1(VALU_DEP_1)
	v_fmac_f64_e32 v[124:125], v[100:101], v[96:97]
	scratch_load_b128 v[94:97], off, off offset:224
	s_wait_dscnt 0x0
	v_fmac_f64_e32 v[124:125], v[102:103], v[112:113]
	s_wait_loadcnt 0x5
	v_fmac_f64_e32 v[124:125], v[104:105], v[114:115]
	ds_load_2addr_b64 v[98:101], v2 offset0:61 offset1:62
	ds_load_2addr_b64 v[102:105], v2 offset0:63 offset1:64
	scratch_load_b128 v[112:115], off, off offset:240
	s_wait_dscnt 0x1
	v_fmac_f64_e32 v[124:125], v[106:107], v[98:99]
	s_wait_loadcnt 0x5
	s_delay_alu instid0(VALU_DEP_1) | instskip(SKIP_4) | instid1(VALU_DEP_1)
	v_fmac_f64_e32 v[124:125], v[108:109], v[100:101]
	scratch_load_b128 v[98:101], off, off offset:256
	s_wait_dscnt 0x0
	v_fmac_f64_e32 v[124:125], v[110:111], v[102:103]
	s_wait_loadcnt 0x5
	v_fmac_f64_e32 v[124:125], v[120:121], v[104:105]
	ds_load_2addr_b64 v[102:105], v2 offset0:65 offset1:66
	ds_load_2addr_b64 v[106:109], v2 offset0:67 offset1:68
	s_wait_dscnt 0x1
	v_fmac_f64_e32 v[124:125], v[122:123], v[102:103]
	s_wait_loadcnt 0x4
	s_delay_alu instid0(VALU_DEP_1)
	v_fmac_f64_e32 v[124:125], v[90:91], v[104:105]
	scratch_load_b128 v[102:105], off, off offset:272
	s_wait_dscnt 0x0
	v_fmac_f64_e32 v[124:125], v[92:93], v[106:107]
	scratch_load_b128 v[90:93], off, off offset:288
	s_wait_loadcnt 0x5
	v_fmac_f64_e32 v[124:125], v[116:117], v[108:109]
	ds_load_2addr_b64 v[106:109], v2 offset0:69 offset1:70
	ds_load_2addr_b64 v[120:123], v2 offset0:71 offset1:72
	s_wait_dscnt 0x1
	v_fmac_f64_e32 v[124:125], v[118:119], v[106:107]
	s_wait_loadcnt 0x4
	s_delay_alu instid0(VALU_DEP_1)
	v_fmac_f64_e32 v[124:125], v[94:95], v[108:109]
	scratch_load_b128 v[106:109], off, off offset:304
	s_wait_dscnt 0x0
	v_fmac_f64_e32 v[124:125], v[96:97], v[120:121]
	scratch_load_b128 v[94:97], off, off offset:320
	s_wait_loadcnt 0x5
	v_fmac_f64_e32 v[124:125], v[112:113], v[122:123]
	ds_load_2addr_b64 v[110:113], v2 offset0:73 offset1:74
	ds_load_2addr_b64 v[116:119], v2 offset0:75 offset1:76
	s_wait_dscnt 0x1
	v_fmac_f64_e32 v[124:125], v[114:115], v[110:111]
	s_wait_loadcnt 0x4
	s_delay_alu instid0(VALU_DEP_1) | instskip(SKIP_1) | instid1(VALU_DEP_1)
	v_fmac_f64_e32 v[124:125], v[98:99], v[112:113]
	s_wait_dscnt 0x0
	v_fmac_f64_e32 v[124:125], v[100:101], v[116:117]
	ds_load_2addr_b64 v[98:101], v2 offset0:77 offset1:78
	ds_load_2addr_b64 v[110:113], v2 offset0:79 offset1:80
	s_wait_loadcnt 0x3
	v_fmac_f64_e32 v[124:125], v[102:103], v[118:119]
	s_wait_dscnt 0x1
	s_delay_alu instid0(VALU_DEP_1) | instskip(SKIP_1) | instid1(VALU_DEP_1)
	v_fmac_f64_e32 v[124:125], v[104:105], v[98:99]
	s_wait_loadcnt 0x2
	v_fmac_f64_e32 v[124:125], v[90:91], v[100:101]
	s_wait_dscnt 0x0
	s_delay_alu instid0(VALU_DEP_1)
	v_fmac_f64_e32 v[124:125], v[92:93], v[110:111]
	ds_load_2addr_b64 v[90:93], v2 offset0:81 offset1:82
	ds_load_b64 v[98:99], v2 offset:664
	s_wait_loadcnt 0x1
	v_fmac_f64_e32 v[124:125], v[106:107], v[112:113]
	s_wait_dscnt 0x1
	s_delay_alu instid0(VALU_DEP_1) | instskip(SKIP_1) | instid1(VALU_DEP_1)
	v_fmac_f64_e32 v[124:125], v[108:109], v[90:91]
	s_wait_loadcnt 0x0
	v_fmac_f64_e32 v[124:125], v[94:95], v[92:93]
	s_wait_dscnt 0x0
	s_delay_alu instid0(VALU_DEP_1) | instskip(NEXT) | instid1(VALU_DEP_1)
	v_fmac_f64_e32 v[124:125], v[96:97], v[98:99]
	v_add_f64_e64 v[88:89], v[88:89], -v[124:125]
	scratch_store_b64 off, v[88:89], off offset:80
	s_wait_xcnt 0x0
	v_cmpx_lt_u32_e32 9, v0
	s_cbranch_execz .LBB105_243
; %bb.242:
	scratch_load_b64 v[88:89], off, off offset:72
	v_mov_b64_e32 v[90:91], 0
	scratch_store_b64 off, v[90:91], off offset:72
	s_wait_loadcnt 0x0
	ds_store_b64 v1, v[88:89]
.LBB105_243:
	s_wait_xcnt 0x0
	s_or_b32 exec_lo, exec_lo, s0
	s_wait_storecnt_dscnt 0x0
	s_barrier_signal -1
	s_barrier_wait -1
	s_clause 0x5
	scratch_load_b128 v[88:91], off, off offset:72
	scratch_load_b128 v[92:95], off, off offset:88
	;; [unrolled: 1-line block ×6, first 2 shown]
	ds_load_b128 v[112:115], v2 offset:416
	ds_load_b128 v[116:119], v2 offset:432
	scratch_load_b128 v[120:123], off, off offset:168
	s_mov_b32 s0, exec_lo
	s_wait_loadcnt_dscnt 0x601
	v_fma_f64 v[124:125], v[90:91], v[112:113], 0
	s_wait_loadcnt 0x5
	s_delay_alu instid0(VALU_DEP_1) | instskip(SKIP_4) | instid1(VALU_DEP_1)
	v_fmac_f64_e32 v[124:125], v[92:93], v[114:115]
	scratch_load_b128 v[90:93], off, off offset:184
	s_wait_dscnt 0x0
	v_fmac_f64_e32 v[124:125], v[94:95], v[116:117]
	s_wait_loadcnt 0x5
	v_fmac_f64_e32 v[124:125], v[96:97], v[118:119]
	ds_load_b128 v[94:97], v2 offset:448
	ds_load_b128 v[112:115], v2 offset:464
	scratch_load_b128 v[116:119], off, off offset:200
	s_wait_dscnt 0x1
	v_fmac_f64_e32 v[124:125], v[98:99], v[94:95]
	s_wait_loadcnt 0x5
	s_delay_alu instid0(VALU_DEP_1) | instskip(SKIP_4) | instid1(VALU_DEP_1)
	v_fmac_f64_e32 v[124:125], v[100:101], v[96:97]
	scratch_load_b128 v[94:97], off, off offset:216
	s_wait_dscnt 0x0
	v_fmac_f64_e32 v[124:125], v[102:103], v[112:113]
	s_wait_loadcnt 0x5
	v_fmac_f64_e32 v[124:125], v[104:105], v[114:115]
	ds_load_b128 v[98:101], v2 offset:480
	ds_load_b128 v[102:105], v2 offset:496
	scratch_load_b128 v[112:115], off, off offset:232
	s_wait_dscnt 0x1
	v_fmac_f64_e32 v[124:125], v[106:107], v[98:99]
	s_wait_loadcnt 0x5
	s_delay_alu instid0(VALU_DEP_1) | instskip(SKIP_4) | instid1(VALU_DEP_1)
	v_fmac_f64_e32 v[124:125], v[108:109], v[100:101]
	scratch_load_b128 v[98:101], off, off offset:248
	s_wait_dscnt 0x0
	v_fmac_f64_e32 v[124:125], v[110:111], v[102:103]
	s_wait_loadcnt 0x5
	v_fmac_f64_e32 v[124:125], v[120:121], v[104:105]
	ds_load_b128 v[102:105], v2 offset:512
	ds_load_b128 v[106:109], v2 offset:528
	s_wait_dscnt 0x1
	v_fmac_f64_e32 v[124:125], v[122:123], v[102:103]
	s_wait_loadcnt 0x4
	s_delay_alu instid0(VALU_DEP_1)
	v_fmac_f64_e32 v[124:125], v[90:91], v[104:105]
	scratch_load_b128 v[102:105], off, off offset:264
	s_wait_dscnt 0x0
	v_fmac_f64_e32 v[124:125], v[92:93], v[106:107]
	scratch_load_b128 v[90:93], off, off offset:280
	s_wait_loadcnt 0x5
	v_fmac_f64_e32 v[124:125], v[116:117], v[108:109]
	ds_load_b128 v[106:109], v2 offset:544
	ds_load_b128 v[120:123], v2 offset:560
	s_wait_dscnt 0x1
	v_fmac_f64_e32 v[124:125], v[118:119], v[106:107]
	s_wait_loadcnt 0x4
	s_delay_alu instid0(VALU_DEP_1)
	v_fmac_f64_e32 v[124:125], v[94:95], v[108:109]
	scratch_load_b128 v[106:109], off, off offset:296
	s_wait_dscnt 0x0
	v_fmac_f64_e32 v[124:125], v[96:97], v[120:121]
	scratch_load_b128 v[94:97], off, off offset:312
	s_wait_loadcnt 0x5
	v_fmac_f64_e32 v[124:125], v[112:113], v[122:123]
	ds_load_b128 v[110:113], v2 offset:576
	ds_load_b128 v[116:119], v2 offset:592
	s_wait_dscnt 0x1
	v_fmac_f64_e32 v[124:125], v[114:115], v[110:111]
	scratch_load_b64 v[114:115], off, off offset:328
	s_wait_loadcnt 0x5
	v_fmac_f64_e32 v[124:125], v[98:99], v[112:113]
	s_wait_dscnt 0x0
	s_delay_alu instid0(VALU_DEP_1)
	v_fmac_f64_e32 v[124:125], v[100:101], v[116:117]
	ds_load_b128 v[98:101], v2 offset:608
	ds_load_b128 v[110:113], v2 offset:624
	s_wait_loadcnt 0x4
	v_fmac_f64_e32 v[124:125], v[102:103], v[118:119]
	s_wait_dscnt 0x1
	s_delay_alu instid0(VALU_DEP_1) | instskip(SKIP_1) | instid1(VALU_DEP_1)
	v_fmac_f64_e32 v[124:125], v[104:105], v[98:99]
	s_wait_loadcnt 0x3
	v_fmac_f64_e32 v[124:125], v[90:91], v[100:101]
	s_wait_dscnt 0x0
	s_delay_alu instid0(VALU_DEP_1)
	v_fmac_f64_e32 v[124:125], v[92:93], v[110:111]
	ds_load_b128 v[90:93], v2 offset:640
	ds_load_b128 v[98:101], v2 offset:656
	s_wait_loadcnt 0x2
	v_fmac_f64_e32 v[124:125], v[106:107], v[112:113]
	s_wait_dscnt 0x1
	s_delay_alu instid0(VALU_DEP_1) | instskip(SKIP_1) | instid1(VALU_DEP_1)
	v_fmac_f64_e32 v[124:125], v[108:109], v[90:91]
	s_wait_loadcnt 0x1
	v_fmac_f64_e32 v[124:125], v[94:95], v[92:93]
	s_wait_dscnt 0x0
	s_delay_alu instid0(VALU_DEP_1) | instskip(SKIP_1) | instid1(VALU_DEP_1)
	v_fmac_f64_e32 v[124:125], v[96:97], v[98:99]
	s_wait_loadcnt 0x0
	v_fmac_f64_e32 v[124:125], v[114:115], v[100:101]
	s_delay_alu instid0(VALU_DEP_1)
	v_add_f64_e64 v[2:3], v[88:89], -v[124:125]
	scratch_store_b64 off, v[2:3], off offset:72
	s_wait_xcnt 0x0
	v_cmpx_lt_u32_e32 8, v0
	s_cbranch_execz .LBB105_245
; %bb.244:
	scratch_load_b64 v[2:3], off, off offset:64
	v_mov_b64_e32 v[88:89], 0
	scratch_store_b64 off, v[88:89], off offset:64
	s_wait_loadcnt 0x0
	ds_store_b64 v1, v[2:3]
.LBB105_245:
	s_wait_xcnt 0x0
	s_or_b32 exec_lo, exec_lo, s0
	s_wait_storecnt_dscnt 0x0
	s_barrier_signal -1
	s_barrier_wait -1
	s_clause 0x5
	scratch_load_b128 v[88:91], off, off offset:64
	scratch_load_b128 v[92:95], off, off offset:80
	;; [unrolled: 1-line block ×6, first 2 shown]
	v_mov_b32_e32 v2, 0
	ds_load_2addr_b64 v[112:115], v2 offset0:51 offset1:52
	ds_load_2addr_b64 v[116:119], v2 offset0:53 offset1:54
	scratch_load_b128 v[120:123], off, off offset:160
	s_mov_b32 s0, exec_lo
	s_wait_loadcnt_dscnt 0x601
	v_fma_f64 v[124:125], v[90:91], v[112:113], 0
	s_wait_loadcnt 0x5
	s_delay_alu instid0(VALU_DEP_1) | instskip(SKIP_4) | instid1(VALU_DEP_1)
	v_fmac_f64_e32 v[124:125], v[92:93], v[114:115]
	scratch_load_b128 v[90:93], off, off offset:176
	s_wait_dscnt 0x0
	v_fmac_f64_e32 v[124:125], v[94:95], v[116:117]
	s_wait_loadcnt 0x5
	v_fmac_f64_e32 v[124:125], v[96:97], v[118:119]
	ds_load_2addr_b64 v[94:97], v2 offset0:55 offset1:56
	ds_load_2addr_b64 v[112:115], v2 offset0:57 offset1:58
	scratch_load_b128 v[116:119], off, off offset:192
	s_wait_dscnt 0x1
	v_fmac_f64_e32 v[124:125], v[98:99], v[94:95]
	s_wait_loadcnt 0x5
	s_delay_alu instid0(VALU_DEP_1) | instskip(SKIP_4) | instid1(VALU_DEP_1)
	v_fmac_f64_e32 v[124:125], v[100:101], v[96:97]
	scratch_load_b128 v[94:97], off, off offset:208
	s_wait_dscnt 0x0
	v_fmac_f64_e32 v[124:125], v[102:103], v[112:113]
	s_wait_loadcnt 0x5
	v_fmac_f64_e32 v[124:125], v[104:105], v[114:115]
	ds_load_2addr_b64 v[98:101], v2 offset0:59 offset1:60
	ds_load_2addr_b64 v[102:105], v2 offset0:61 offset1:62
	scratch_load_b128 v[112:115], off, off offset:224
	s_wait_dscnt 0x1
	v_fmac_f64_e32 v[124:125], v[106:107], v[98:99]
	s_wait_loadcnt 0x5
	s_delay_alu instid0(VALU_DEP_1) | instskip(SKIP_4) | instid1(VALU_DEP_1)
	v_fmac_f64_e32 v[124:125], v[108:109], v[100:101]
	scratch_load_b128 v[98:101], off, off offset:240
	s_wait_dscnt 0x0
	v_fmac_f64_e32 v[124:125], v[110:111], v[102:103]
	s_wait_loadcnt 0x5
	v_fmac_f64_e32 v[124:125], v[120:121], v[104:105]
	ds_load_2addr_b64 v[102:105], v2 offset0:63 offset1:64
	ds_load_2addr_b64 v[106:109], v2 offset0:65 offset1:66
	s_wait_dscnt 0x1
	v_fmac_f64_e32 v[124:125], v[122:123], v[102:103]
	s_wait_loadcnt 0x4
	s_delay_alu instid0(VALU_DEP_1)
	v_fmac_f64_e32 v[124:125], v[90:91], v[104:105]
	scratch_load_b128 v[102:105], off, off offset:256
	s_wait_dscnt 0x0
	v_fmac_f64_e32 v[124:125], v[92:93], v[106:107]
	scratch_load_b128 v[90:93], off, off offset:272
	s_wait_loadcnt 0x5
	v_fmac_f64_e32 v[124:125], v[116:117], v[108:109]
	ds_load_2addr_b64 v[106:109], v2 offset0:67 offset1:68
	ds_load_2addr_b64 v[120:123], v2 offset0:69 offset1:70
	s_wait_dscnt 0x1
	v_fmac_f64_e32 v[124:125], v[118:119], v[106:107]
	s_wait_loadcnt 0x4
	s_delay_alu instid0(VALU_DEP_1)
	v_fmac_f64_e32 v[124:125], v[94:95], v[108:109]
	scratch_load_b128 v[106:109], off, off offset:288
	s_wait_dscnt 0x0
	v_fmac_f64_e32 v[124:125], v[96:97], v[120:121]
	scratch_load_b128 v[94:97], off, off offset:304
	s_wait_loadcnt 0x5
	v_fmac_f64_e32 v[124:125], v[112:113], v[122:123]
	ds_load_2addr_b64 v[110:113], v2 offset0:71 offset1:72
	ds_load_2addr_b64 v[116:119], v2 offset0:73 offset1:74
	s_wait_dscnt 0x1
	v_fmac_f64_e32 v[124:125], v[114:115], v[110:111]
	s_wait_loadcnt 0x4
	s_delay_alu instid0(VALU_DEP_1)
	v_fmac_f64_e32 v[124:125], v[98:99], v[112:113]
	scratch_load_b128 v[110:113], off, off offset:320
	s_wait_dscnt 0x0
	v_fmac_f64_e32 v[124:125], v[100:101], v[116:117]
	ds_load_2addr_b64 v[98:101], v2 offset0:75 offset1:76
	ds_load_2addr_b64 v[114:117], v2 offset0:77 offset1:78
	s_wait_loadcnt 0x4
	v_fmac_f64_e32 v[124:125], v[102:103], v[118:119]
	s_wait_dscnt 0x1
	s_delay_alu instid0(VALU_DEP_1) | instskip(SKIP_1) | instid1(VALU_DEP_1)
	v_fmac_f64_e32 v[124:125], v[104:105], v[98:99]
	s_wait_loadcnt 0x3
	v_fmac_f64_e32 v[124:125], v[90:91], v[100:101]
	s_wait_dscnt 0x0
	s_delay_alu instid0(VALU_DEP_1)
	v_fmac_f64_e32 v[124:125], v[92:93], v[114:115]
	ds_load_2addr_b64 v[90:93], v2 offset0:79 offset1:80
	ds_load_2addr_b64 v[98:101], v2 offset0:81 offset1:82
	s_wait_loadcnt 0x2
	v_fmac_f64_e32 v[124:125], v[106:107], v[116:117]
	s_wait_dscnt 0x1
	s_delay_alu instid0(VALU_DEP_1) | instskip(SKIP_4) | instid1(VALU_DEP_1)
	v_fmac_f64_e32 v[124:125], v[108:109], v[90:91]
	ds_load_b64 v[90:91], v2 offset:664
	s_wait_loadcnt 0x1
	v_fmac_f64_e32 v[124:125], v[94:95], v[92:93]
	s_wait_dscnt 0x1
	v_fmac_f64_e32 v[124:125], v[96:97], v[98:99]
	s_wait_loadcnt 0x0
	s_delay_alu instid0(VALU_DEP_1) | instskip(SKIP_1) | instid1(VALU_DEP_1)
	v_fmac_f64_e32 v[124:125], v[110:111], v[100:101]
	s_wait_dscnt 0x0
	v_fmac_f64_e32 v[124:125], v[112:113], v[90:91]
	s_delay_alu instid0(VALU_DEP_1)
	v_add_f64_e64 v[88:89], v[88:89], -v[124:125]
	scratch_store_b64 off, v[88:89], off offset:64
	s_wait_xcnt 0x0
	v_cmpx_lt_u32_e32 7, v0
	s_cbranch_execz .LBB105_247
; %bb.246:
	scratch_load_b64 v[88:89], off, off offset:56
	v_mov_b64_e32 v[90:91], 0
	scratch_store_b64 off, v[90:91], off offset:56
	s_wait_loadcnt 0x0
	ds_store_b64 v1, v[88:89]
.LBB105_247:
	s_wait_xcnt 0x0
	s_or_b32 exec_lo, exec_lo, s0
	s_wait_storecnt_dscnt 0x0
	s_barrier_signal -1
	s_barrier_wait -1
	s_clause 0x5
	scratch_load_b128 v[88:91], off, off offset:56
	scratch_load_b128 v[92:95], off, off offset:72
	;; [unrolled: 1-line block ×6, first 2 shown]
	ds_load_b128 v[112:115], v2 offset:400
	ds_load_b128 v[116:119], v2 offset:416
	scratch_load_b128 v[120:123], off, off offset:152
	s_mov_b32 s0, exec_lo
	s_wait_loadcnt_dscnt 0x601
	v_fma_f64 v[124:125], v[90:91], v[112:113], 0
	s_wait_loadcnt 0x5
	s_delay_alu instid0(VALU_DEP_1) | instskip(SKIP_4) | instid1(VALU_DEP_1)
	v_fmac_f64_e32 v[124:125], v[92:93], v[114:115]
	scratch_load_b128 v[90:93], off, off offset:168
	s_wait_dscnt 0x0
	v_fmac_f64_e32 v[124:125], v[94:95], v[116:117]
	s_wait_loadcnt 0x5
	v_fmac_f64_e32 v[124:125], v[96:97], v[118:119]
	ds_load_b128 v[94:97], v2 offset:432
	ds_load_b128 v[112:115], v2 offset:448
	scratch_load_b128 v[116:119], off, off offset:184
	s_wait_dscnt 0x1
	v_fmac_f64_e32 v[124:125], v[98:99], v[94:95]
	s_wait_loadcnt 0x5
	s_delay_alu instid0(VALU_DEP_1) | instskip(SKIP_4) | instid1(VALU_DEP_1)
	v_fmac_f64_e32 v[124:125], v[100:101], v[96:97]
	scratch_load_b128 v[94:97], off, off offset:200
	s_wait_dscnt 0x0
	v_fmac_f64_e32 v[124:125], v[102:103], v[112:113]
	s_wait_loadcnt 0x5
	v_fmac_f64_e32 v[124:125], v[104:105], v[114:115]
	ds_load_b128 v[98:101], v2 offset:464
	ds_load_b128 v[102:105], v2 offset:480
	scratch_load_b128 v[112:115], off, off offset:216
	s_wait_dscnt 0x1
	v_fmac_f64_e32 v[124:125], v[106:107], v[98:99]
	s_wait_loadcnt 0x5
	s_delay_alu instid0(VALU_DEP_1) | instskip(SKIP_4) | instid1(VALU_DEP_1)
	v_fmac_f64_e32 v[124:125], v[108:109], v[100:101]
	scratch_load_b128 v[98:101], off, off offset:232
	s_wait_dscnt 0x0
	v_fmac_f64_e32 v[124:125], v[110:111], v[102:103]
	s_wait_loadcnt 0x5
	v_fmac_f64_e32 v[124:125], v[120:121], v[104:105]
	ds_load_b128 v[102:105], v2 offset:496
	ds_load_b128 v[106:109], v2 offset:512
	s_wait_dscnt 0x1
	v_fmac_f64_e32 v[124:125], v[122:123], v[102:103]
	scratch_load_b128 v[120:123], off, off offset:248
	s_wait_loadcnt 0x5
	v_fmac_f64_e32 v[124:125], v[90:91], v[104:105]
	s_wait_dscnt 0x0
	s_delay_alu instid0(VALU_DEP_1)
	v_fmac_f64_e32 v[124:125], v[92:93], v[106:107]
	scratch_load_b128 v[90:93], off, off offset:264
	s_wait_loadcnt 0x5
	v_fmac_f64_e32 v[124:125], v[116:117], v[108:109]
	ds_load_b128 v[102:105], v2 offset:528
	ds_load_b128 v[106:109], v2 offset:544
	s_wait_dscnt 0x1
	v_fmac_f64_e32 v[124:125], v[118:119], v[102:103]
	s_wait_loadcnt 0x4
	s_delay_alu instid0(VALU_DEP_1)
	v_fmac_f64_e32 v[124:125], v[94:95], v[104:105]
	scratch_load_b128 v[102:105], off, off offset:280
	s_wait_dscnt 0x0
	v_fmac_f64_e32 v[124:125], v[96:97], v[106:107]
	scratch_load_b128 v[94:97], off, off offset:296
	s_wait_loadcnt 0x5
	v_fmac_f64_e32 v[124:125], v[112:113], v[108:109]
	ds_load_b128 v[106:109], v2 offset:560
	ds_load_b128 v[110:113], v2 offset:576
	s_wait_dscnt 0x1
	v_fmac_f64_e32 v[124:125], v[114:115], v[106:107]
	scratch_load_b64 v[114:115], off, off offset:328
	s_wait_loadcnt 0x5
	v_fmac_f64_e32 v[124:125], v[98:99], v[108:109]
	scratch_load_b128 v[106:109], off, off offset:312
	s_wait_dscnt 0x0
	v_fmac_f64_e32 v[124:125], v[100:101], v[110:111]
	s_wait_loadcnt 0x5
	s_delay_alu instid0(VALU_DEP_1)
	v_fmac_f64_e32 v[124:125], v[120:121], v[112:113]
	ds_load_b128 v[98:101], v2 offset:592
	ds_load_b128 v[110:113], v2 offset:608
	s_wait_dscnt 0x1
	v_fmac_f64_e32 v[124:125], v[122:123], v[98:99]
	s_wait_loadcnt 0x4
	s_delay_alu instid0(VALU_DEP_1) | instskip(SKIP_1) | instid1(VALU_DEP_1)
	v_fmac_f64_e32 v[124:125], v[90:91], v[100:101]
	s_wait_dscnt 0x0
	v_fmac_f64_e32 v[124:125], v[92:93], v[110:111]
	ds_load_b128 v[90:93], v2 offset:624
	ds_load_b128 v[98:101], v2 offset:640
	s_wait_loadcnt 0x3
	v_fmac_f64_e32 v[124:125], v[102:103], v[112:113]
	s_wait_dscnt 0x1
	s_delay_alu instid0(VALU_DEP_1) | instskip(SKIP_1) | instid1(VALU_DEP_1)
	v_fmac_f64_e32 v[124:125], v[104:105], v[90:91]
	s_wait_loadcnt 0x2
	v_fmac_f64_e32 v[124:125], v[94:95], v[92:93]
	ds_load_b128 v[90:93], v2 offset:656
	s_wait_dscnt 0x1
	v_fmac_f64_e32 v[124:125], v[96:97], v[98:99]
	s_wait_loadcnt 0x0
	s_delay_alu instid0(VALU_DEP_1) | instskip(SKIP_1) | instid1(VALU_DEP_1)
	v_fmac_f64_e32 v[124:125], v[106:107], v[100:101]
	s_wait_dscnt 0x0
	v_fmac_f64_e32 v[124:125], v[108:109], v[90:91]
	s_delay_alu instid0(VALU_DEP_1) | instskip(NEXT) | instid1(VALU_DEP_1)
	v_fmac_f64_e32 v[124:125], v[114:115], v[92:93]
	v_add_f64_e64 v[2:3], v[88:89], -v[124:125]
	scratch_store_b64 off, v[2:3], off offset:56
	s_wait_xcnt 0x0
	v_cmpx_lt_u32_e32 6, v0
	s_cbranch_execz .LBB105_249
; %bb.248:
	scratch_load_b64 v[2:3], off, off offset:48
	v_mov_b64_e32 v[88:89], 0
	scratch_store_b64 off, v[88:89], off offset:48
	s_wait_loadcnt 0x0
	ds_store_b64 v1, v[2:3]
.LBB105_249:
	s_wait_xcnt 0x0
	s_or_b32 exec_lo, exec_lo, s0
	s_wait_storecnt_dscnt 0x0
	s_barrier_signal -1
	s_barrier_wait -1
	s_clause 0x5
	scratch_load_b128 v[88:91], off, off offset:48
	scratch_load_b128 v[92:95], off, off offset:64
	;; [unrolled: 1-line block ×6, first 2 shown]
	v_mov_b32_e32 v2, 0
	ds_load_2addr_b64 v[112:115], v2 offset0:49 offset1:50
	ds_load_2addr_b64 v[116:119], v2 offset0:51 offset1:52
	scratch_load_b128 v[120:123], off, off offset:144
	s_mov_b32 s0, exec_lo
	s_wait_loadcnt_dscnt 0x601
	v_fma_f64 v[124:125], v[90:91], v[112:113], 0
	s_wait_loadcnt 0x5
	s_delay_alu instid0(VALU_DEP_1) | instskip(SKIP_4) | instid1(VALU_DEP_1)
	v_fmac_f64_e32 v[124:125], v[92:93], v[114:115]
	scratch_load_b128 v[90:93], off, off offset:160
	s_wait_dscnt 0x0
	v_fmac_f64_e32 v[124:125], v[94:95], v[116:117]
	s_wait_loadcnt 0x5
	v_fmac_f64_e32 v[124:125], v[96:97], v[118:119]
	ds_load_2addr_b64 v[94:97], v2 offset0:53 offset1:54
	ds_load_2addr_b64 v[112:115], v2 offset0:55 offset1:56
	scratch_load_b128 v[116:119], off, off offset:176
	s_wait_dscnt 0x1
	v_fmac_f64_e32 v[124:125], v[98:99], v[94:95]
	s_wait_loadcnt 0x5
	s_delay_alu instid0(VALU_DEP_1) | instskip(SKIP_4) | instid1(VALU_DEP_1)
	v_fmac_f64_e32 v[124:125], v[100:101], v[96:97]
	scratch_load_b128 v[94:97], off, off offset:192
	s_wait_dscnt 0x0
	v_fmac_f64_e32 v[124:125], v[102:103], v[112:113]
	s_wait_loadcnt 0x5
	v_fmac_f64_e32 v[124:125], v[104:105], v[114:115]
	ds_load_2addr_b64 v[98:101], v2 offset0:57 offset1:58
	ds_load_2addr_b64 v[102:105], v2 offset0:59 offset1:60
	scratch_load_b128 v[112:115], off, off offset:208
	s_wait_dscnt 0x1
	v_fmac_f64_e32 v[124:125], v[106:107], v[98:99]
	s_wait_loadcnt 0x5
	s_delay_alu instid0(VALU_DEP_1) | instskip(SKIP_4) | instid1(VALU_DEP_1)
	v_fmac_f64_e32 v[124:125], v[108:109], v[100:101]
	scratch_load_b128 v[98:101], off, off offset:224
	s_wait_dscnt 0x0
	v_fmac_f64_e32 v[124:125], v[110:111], v[102:103]
	s_wait_loadcnt 0x5
	v_fmac_f64_e32 v[124:125], v[120:121], v[104:105]
	ds_load_2addr_b64 v[102:105], v2 offset0:61 offset1:62
	ds_load_2addr_b64 v[106:109], v2 offset0:63 offset1:64
	s_wait_dscnt 0x1
	v_fmac_f64_e32 v[124:125], v[122:123], v[102:103]
	scratch_load_b128 v[120:123], off, off offset:240
	s_wait_loadcnt 0x5
	v_fmac_f64_e32 v[124:125], v[90:91], v[104:105]
	s_wait_dscnt 0x0
	s_delay_alu instid0(VALU_DEP_1)
	v_fmac_f64_e32 v[124:125], v[92:93], v[106:107]
	scratch_load_b128 v[90:93], off, off offset:256
	s_wait_loadcnt 0x5
	v_fmac_f64_e32 v[124:125], v[116:117], v[108:109]
	ds_load_2addr_b64 v[102:105], v2 offset0:65 offset1:66
	ds_load_2addr_b64 v[106:109], v2 offset0:67 offset1:68
	s_wait_dscnt 0x1
	v_fmac_f64_e32 v[124:125], v[118:119], v[102:103]
	s_wait_loadcnt 0x4
	s_delay_alu instid0(VALU_DEP_1)
	v_fmac_f64_e32 v[124:125], v[94:95], v[104:105]
	scratch_load_b128 v[102:105], off, off offset:272
	s_wait_dscnt 0x0
	v_fmac_f64_e32 v[124:125], v[96:97], v[106:107]
	scratch_load_b128 v[94:97], off, off offset:288
	s_wait_loadcnt 0x5
	v_fmac_f64_e32 v[124:125], v[112:113], v[108:109]
	ds_load_2addr_b64 v[106:109], v2 offset0:69 offset1:70
	ds_load_2addr_b64 v[110:113], v2 offset0:71 offset1:72
	s_wait_dscnt 0x1
	v_fmac_f64_e32 v[124:125], v[114:115], v[106:107]
	s_wait_loadcnt 0x4
	s_delay_alu instid0(VALU_DEP_1)
	v_fmac_f64_e32 v[124:125], v[98:99], v[108:109]
	scratch_load_b128 v[106:109], off, off offset:304
	s_wait_dscnt 0x0
	v_fmac_f64_e32 v[124:125], v[100:101], v[110:111]
	scratch_load_b128 v[98:101], off, off offset:320
	s_wait_loadcnt 0x5
	v_fmac_f64_e32 v[124:125], v[120:121], v[112:113]
	ds_load_2addr_b64 v[110:113], v2 offset0:73 offset1:74
	ds_load_2addr_b64 v[114:117], v2 offset0:75 offset1:76
	s_wait_dscnt 0x1
	v_fmac_f64_e32 v[124:125], v[122:123], v[110:111]
	s_wait_loadcnt 0x4
	s_delay_alu instid0(VALU_DEP_1) | instskip(SKIP_1) | instid1(VALU_DEP_1)
	v_fmac_f64_e32 v[124:125], v[90:91], v[112:113]
	s_wait_dscnt 0x0
	v_fmac_f64_e32 v[124:125], v[92:93], v[114:115]
	ds_load_2addr_b64 v[90:93], v2 offset0:77 offset1:78
	ds_load_2addr_b64 v[110:113], v2 offset0:79 offset1:80
	s_wait_loadcnt 0x3
	v_fmac_f64_e32 v[124:125], v[102:103], v[116:117]
	s_wait_dscnt 0x1
	s_delay_alu instid0(VALU_DEP_1) | instskip(SKIP_1) | instid1(VALU_DEP_1)
	v_fmac_f64_e32 v[124:125], v[104:105], v[90:91]
	s_wait_loadcnt 0x2
	v_fmac_f64_e32 v[124:125], v[94:95], v[92:93]
	ds_load_2addr_b64 v[90:93], v2 offset0:81 offset1:82
	ds_load_b64 v[94:95], v2 offset:664
	s_wait_dscnt 0x2
	v_fmac_f64_e32 v[124:125], v[96:97], v[110:111]
	s_wait_loadcnt 0x1
	s_delay_alu instid0(VALU_DEP_1) | instskip(SKIP_1) | instid1(VALU_DEP_1)
	v_fmac_f64_e32 v[124:125], v[106:107], v[112:113]
	s_wait_dscnt 0x1
	v_fmac_f64_e32 v[124:125], v[108:109], v[90:91]
	s_wait_loadcnt 0x0
	s_delay_alu instid0(VALU_DEP_1) | instskip(SKIP_1) | instid1(VALU_DEP_1)
	v_fmac_f64_e32 v[124:125], v[98:99], v[92:93]
	s_wait_dscnt 0x0
	v_fmac_f64_e32 v[124:125], v[100:101], v[94:95]
	s_delay_alu instid0(VALU_DEP_1)
	v_add_f64_e64 v[88:89], v[88:89], -v[124:125]
	scratch_store_b64 off, v[88:89], off offset:48
	s_wait_xcnt 0x0
	v_cmpx_lt_u32_e32 5, v0
	s_cbranch_execz .LBB105_251
; %bb.250:
	scratch_load_b64 v[88:89], off, off offset:40
	v_mov_b64_e32 v[90:91], 0
	scratch_store_b64 off, v[90:91], off offset:40
	s_wait_loadcnt 0x0
	ds_store_b64 v1, v[88:89]
.LBB105_251:
	s_wait_xcnt 0x0
	s_or_b32 exec_lo, exec_lo, s0
	s_wait_storecnt_dscnt 0x0
	s_barrier_signal -1
	s_barrier_wait -1
	s_clause 0x5
	scratch_load_b128 v[88:91], off, off offset:40
	scratch_load_b128 v[92:95], off, off offset:56
	;; [unrolled: 1-line block ×6, first 2 shown]
	ds_load_b128 v[112:115], v2 offset:384
	ds_load_b128 v[116:119], v2 offset:400
	scratch_load_b128 v[120:123], off, off offset:136
	s_mov_b32 s0, exec_lo
	s_wait_loadcnt_dscnt 0x601
	v_fma_f64 v[124:125], v[90:91], v[112:113], 0
	s_wait_loadcnt 0x5
	s_delay_alu instid0(VALU_DEP_1) | instskip(SKIP_4) | instid1(VALU_DEP_1)
	v_fmac_f64_e32 v[124:125], v[92:93], v[114:115]
	scratch_load_b128 v[90:93], off, off offset:152
	s_wait_dscnt 0x0
	v_fmac_f64_e32 v[124:125], v[94:95], v[116:117]
	s_wait_loadcnt 0x5
	v_fmac_f64_e32 v[124:125], v[96:97], v[118:119]
	ds_load_b128 v[94:97], v2 offset:416
	ds_load_b128 v[112:115], v2 offset:432
	scratch_load_b128 v[116:119], off, off offset:168
	s_wait_dscnt 0x1
	v_fmac_f64_e32 v[124:125], v[98:99], v[94:95]
	s_wait_loadcnt 0x5
	s_delay_alu instid0(VALU_DEP_1) | instskip(SKIP_4) | instid1(VALU_DEP_1)
	v_fmac_f64_e32 v[124:125], v[100:101], v[96:97]
	scratch_load_b128 v[94:97], off, off offset:184
	s_wait_dscnt 0x0
	v_fmac_f64_e32 v[124:125], v[102:103], v[112:113]
	s_wait_loadcnt 0x5
	v_fmac_f64_e32 v[124:125], v[104:105], v[114:115]
	ds_load_b128 v[98:101], v2 offset:448
	ds_load_b128 v[102:105], v2 offset:464
	scratch_load_b128 v[112:115], off, off offset:200
	s_wait_dscnt 0x1
	v_fmac_f64_e32 v[124:125], v[106:107], v[98:99]
	s_wait_loadcnt 0x5
	s_delay_alu instid0(VALU_DEP_1) | instskip(SKIP_4) | instid1(VALU_DEP_1)
	v_fmac_f64_e32 v[124:125], v[108:109], v[100:101]
	scratch_load_b128 v[98:101], off, off offset:216
	s_wait_dscnt 0x0
	v_fmac_f64_e32 v[124:125], v[110:111], v[102:103]
	s_wait_loadcnt 0x5
	v_fmac_f64_e32 v[124:125], v[120:121], v[104:105]
	ds_load_b128 v[102:105], v2 offset:480
	ds_load_b128 v[106:109], v2 offset:496
	s_wait_dscnt 0x1
	v_fmac_f64_e32 v[124:125], v[122:123], v[102:103]
	scratch_load_b128 v[120:123], off, off offset:232
	s_wait_loadcnt 0x5
	v_fmac_f64_e32 v[124:125], v[90:91], v[104:105]
	s_wait_dscnt 0x0
	s_delay_alu instid0(VALU_DEP_1)
	v_fmac_f64_e32 v[124:125], v[92:93], v[106:107]
	scratch_load_b128 v[90:93], off, off offset:248
	s_wait_loadcnt 0x5
	v_fmac_f64_e32 v[124:125], v[116:117], v[108:109]
	ds_load_b128 v[102:105], v2 offset:512
	ds_load_b128 v[106:109], v2 offset:528
	s_wait_dscnt 0x1
	v_fmac_f64_e32 v[124:125], v[118:119], v[102:103]
	s_wait_loadcnt 0x4
	s_delay_alu instid0(VALU_DEP_1)
	v_fmac_f64_e32 v[124:125], v[94:95], v[104:105]
	scratch_load_b128 v[102:105], off, off offset:264
	s_wait_dscnt 0x0
	v_fmac_f64_e32 v[124:125], v[96:97], v[106:107]
	scratch_load_b128 v[94:97], off, off offset:280
	s_wait_loadcnt 0x5
	v_fmac_f64_e32 v[124:125], v[112:113], v[108:109]
	ds_load_b128 v[106:109], v2 offset:544
	ds_load_b128 v[110:113], v2 offset:560
	s_wait_dscnt 0x1
	v_fmac_f64_e32 v[124:125], v[114:115], v[106:107]
	s_wait_loadcnt 0x4
	s_delay_alu instid0(VALU_DEP_1)
	v_fmac_f64_e32 v[124:125], v[98:99], v[108:109]
	scratch_load_b128 v[106:109], off, off offset:296
	s_wait_dscnt 0x0
	v_fmac_f64_e32 v[124:125], v[100:101], v[110:111]
	scratch_load_b128 v[98:101], off, off offset:312
	s_wait_loadcnt 0x5
	v_fmac_f64_e32 v[124:125], v[120:121], v[112:113]
	ds_load_b128 v[110:113], v2 offset:576
	ds_load_b128 v[114:117], v2 offset:592
	scratch_load_b64 v[118:119], off, off offset:328
	s_wait_dscnt 0x1
	v_fmac_f64_e32 v[124:125], v[122:123], v[110:111]
	s_wait_loadcnt 0x5
	s_delay_alu instid0(VALU_DEP_1) | instskip(SKIP_1) | instid1(VALU_DEP_1)
	v_fmac_f64_e32 v[124:125], v[90:91], v[112:113]
	s_wait_dscnt 0x0
	v_fmac_f64_e32 v[124:125], v[92:93], v[114:115]
	ds_load_b128 v[90:93], v2 offset:608
	ds_load_b128 v[110:113], v2 offset:624
	s_wait_loadcnt 0x4
	v_fmac_f64_e32 v[124:125], v[102:103], v[116:117]
	s_wait_dscnt 0x1
	s_delay_alu instid0(VALU_DEP_1) | instskip(SKIP_1) | instid1(VALU_DEP_1)
	v_fmac_f64_e32 v[124:125], v[104:105], v[90:91]
	s_wait_loadcnt 0x3
	v_fmac_f64_e32 v[124:125], v[94:95], v[92:93]
	s_wait_dscnt 0x0
	s_delay_alu instid0(VALU_DEP_1)
	v_fmac_f64_e32 v[124:125], v[96:97], v[110:111]
	ds_load_b128 v[90:93], v2 offset:640
	ds_load_b128 v[94:97], v2 offset:656
	s_wait_loadcnt 0x2
	v_fmac_f64_e32 v[124:125], v[106:107], v[112:113]
	s_wait_dscnt 0x1
	s_delay_alu instid0(VALU_DEP_1) | instskip(SKIP_1) | instid1(VALU_DEP_1)
	v_fmac_f64_e32 v[124:125], v[108:109], v[90:91]
	s_wait_loadcnt 0x1
	v_fmac_f64_e32 v[124:125], v[98:99], v[92:93]
	s_wait_dscnt 0x0
	s_delay_alu instid0(VALU_DEP_1) | instskip(SKIP_1) | instid1(VALU_DEP_1)
	v_fmac_f64_e32 v[124:125], v[100:101], v[94:95]
	s_wait_loadcnt 0x0
	v_fmac_f64_e32 v[124:125], v[118:119], v[96:97]
	s_delay_alu instid0(VALU_DEP_1)
	v_add_f64_e64 v[2:3], v[88:89], -v[124:125]
	scratch_store_b64 off, v[2:3], off offset:40
	s_wait_xcnt 0x0
	v_cmpx_lt_u32_e32 4, v0
	s_cbranch_execz .LBB105_253
; %bb.252:
	scratch_load_b64 v[2:3], off, off offset:32
	v_mov_b64_e32 v[88:89], 0
	scratch_store_b64 off, v[88:89], off offset:32
	s_wait_loadcnt 0x0
	ds_store_b64 v1, v[2:3]
.LBB105_253:
	s_wait_xcnt 0x0
	s_or_b32 exec_lo, exec_lo, s0
	s_wait_storecnt_dscnt 0x0
	s_barrier_signal -1
	s_barrier_wait -1
	s_clause 0x5
	scratch_load_b128 v[88:91], off, off offset:32
	scratch_load_b128 v[92:95], off, off offset:48
	;; [unrolled: 1-line block ×6, first 2 shown]
	v_mov_b32_e32 v2, 0
	ds_load_2addr_b64 v[112:115], v2 offset0:47 offset1:48
	ds_load_2addr_b64 v[116:119], v2 offset0:49 offset1:50
	scratch_load_b128 v[120:123], off, off offset:128
	s_mov_b32 s0, exec_lo
	s_wait_loadcnt_dscnt 0x601
	v_fma_f64 v[124:125], v[90:91], v[112:113], 0
	s_wait_loadcnt 0x5
	s_delay_alu instid0(VALU_DEP_1) | instskip(SKIP_4) | instid1(VALU_DEP_1)
	v_fmac_f64_e32 v[124:125], v[92:93], v[114:115]
	scratch_load_b128 v[90:93], off, off offset:144
	s_wait_dscnt 0x0
	v_fmac_f64_e32 v[124:125], v[94:95], v[116:117]
	s_wait_loadcnt 0x5
	v_fmac_f64_e32 v[124:125], v[96:97], v[118:119]
	ds_load_2addr_b64 v[94:97], v2 offset0:51 offset1:52
	ds_load_2addr_b64 v[112:115], v2 offset0:53 offset1:54
	scratch_load_b128 v[116:119], off, off offset:160
	s_wait_dscnt 0x1
	v_fmac_f64_e32 v[124:125], v[98:99], v[94:95]
	s_wait_loadcnt 0x5
	s_delay_alu instid0(VALU_DEP_1) | instskip(SKIP_4) | instid1(VALU_DEP_1)
	v_fmac_f64_e32 v[124:125], v[100:101], v[96:97]
	scratch_load_b128 v[94:97], off, off offset:176
	s_wait_dscnt 0x0
	v_fmac_f64_e32 v[124:125], v[102:103], v[112:113]
	s_wait_loadcnt 0x5
	v_fmac_f64_e32 v[124:125], v[104:105], v[114:115]
	ds_load_2addr_b64 v[98:101], v2 offset0:55 offset1:56
	ds_load_2addr_b64 v[102:105], v2 offset0:57 offset1:58
	scratch_load_b128 v[112:115], off, off offset:192
	s_wait_dscnt 0x1
	v_fmac_f64_e32 v[124:125], v[106:107], v[98:99]
	s_wait_loadcnt 0x5
	s_delay_alu instid0(VALU_DEP_1) | instskip(SKIP_4) | instid1(VALU_DEP_1)
	v_fmac_f64_e32 v[124:125], v[108:109], v[100:101]
	scratch_load_b128 v[98:101], off, off offset:208
	s_wait_dscnt 0x0
	v_fmac_f64_e32 v[124:125], v[110:111], v[102:103]
	s_wait_loadcnt 0x5
	v_fmac_f64_e32 v[124:125], v[120:121], v[104:105]
	ds_load_2addr_b64 v[102:105], v2 offset0:59 offset1:60
	ds_load_2addr_b64 v[106:109], v2 offset0:61 offset1:62
	s_wait_dscnt 0x1
	v_fmac_f64_e32 v[124:125], v[122:123], v[102:103]
	scratch_load_b128 v[120:123], off, off offset:224
	s_wait_loadcnt 0x5
	v_fmac_f64_e32 v[124:125], v[90:91], v[104:105]
	s_wait_dscnt 0x0
	s_delay_alu instid0(VALU_DEP_1)
	v_fmac_f64_e32 v[124:125], v[92:93], v[106:107]
	scratch_load_b128 v[90:93], off, off offset:240
	s_wait_loadcnt 0x5
	v_fmac_f64_e32 v[124:125], v[116:117], v[108:109]
	ds_load_2addr_b64 v[102:105], v2 offset0:63 offset1:64
	ds_load_2addr_b64 v[106:109], v2 offset0:65 offset1:66
	s_wait_dscnt 0x1
	v_fmac_f64_e32 v[124:125], v[118:119], v[102:103]
	s_wait_loadcnt 0x4
	s_delay_alu instid0(VALU_DEP_1)
	v_fmac_f64_e32 v[124:125], v[94:95], v[104:105]
	scratch_load_b128 v[102:105], off, off offset:256
	s_wait_dscnt 0x0
	v_fmac_f64_e32 v[124:125], v[96:97], v[106:107]
	scratch_load_b128 v[94:97], off, off offset:272
	s_wait_loadcnt 0x5
	v_fmac_f64_e32 v[124:125], v[112:113], v[108:109]
	ds_load_2addr_b64 v[106:109], v2 offset0:67 offset1:68
	ds_load_2addr_b64 v[110:113], v2 offset0:69 offset1:70
	s_wait_dscnt 0x1
	v_fmac_f64_e32 v[124:125], v[114:115], v[106:107]
	s_wait_loadcnt 0x4
	s_delay_alu instid0(VALU_DEP_1)
	v_fmac_f64_e32 v[124:125], v[98:99], v[108:109]
	scratch_load_b128 v[106:109], off, off offset:288
	s_wait_dscnt 0x0
	v_fmac_f64_e32 v[124:125], v[100:101], v[110:111]
	scratch_load_b128 v[98:101], off, off offset:304
	s_wait_loadcnt 0x5
	v_fmac_f64_e32 v[124:125], v[120:121], v[112:113]
	ds_load_2addr_b64 v[110:113], v2 offset0:71 offset1:72
	ds_load_2addr_b64 v[114:117], v2 offset0:73 offset1:74
	s_wait_dscnt 0x1
	v_fmac_f64_e32 v[124:125], v[122:123], v[110:111]
	s_wait_loadcnt 0x4
	s_delay_alu instid0(VALU_DEP_1) | instskip(SKIP_4) | instid1(VALU_DEP_1)
	v_fmac_f64_e32 v[124:125], v[90:91], v[112:113]
	scratch_load_b128 v[110:113], off, off offset:320
	s_wait_dscnt 0x0
	v_fmac_f64_e32 v[124:125], v[92:93], v[114:115]
	s_wait_loadcnt 0x4
	v_fmac_f64_e32 v[124:125], v[102:103], v[116:117]
	ds_load_2addr_b64 v[90:93], v2 offset0:75 offset1:76
	ds_load_2addr_b64 v[114:117], v2 offset0:77 offset1:78
	s_wait_dscnt 0x1
	v_fmac_f64_e32 v[124:125], v[104:105], v[90:91]
	s_wait_loadcnt 0x3
	s_delay_alu instid0(VALU_DEP_1) | instskip(SKIP_1) | instid1(VALU_DEP_1)
	v_fmac_f64_e32 v[124:125], v[94:95], v[92:93]
	s_wait_dscnt 0x0
	v_fmac_f64_e32 v[124:125], v[96:97], v[114:115]
	ds_load_2addr_b64 v[90:93], v2 offset0:79 offset1:80
	ds_load_2addr_b64 v[94:97], v2 offset0:81 offset1:82
	s_wait_loadcnt 0x2
	v_fmac_f64_e32 v[124:125], v[106:107], v[116:117]
	s_wait_dscnt 0x1
	s_delay_alu instid0(VALU_DEP_1) | instskip(SKIP_4) | instid1(VALU_DEP_1)
	v_fmac_f64_e32 v[124:125], v[108:109], v[90:91]
	ds_load_b64 v[90:91], v2 offset:664
	s_wait_loadcnt 0x1
	v_fmac_f64_e32 v[124:125], v[98:99], v[92:93]
	s_wait_dscnt 0x1
	v_fmac_f64_e32 v[124:125], v[100:101], v[94:95]
	s_wait_loadcnt 0x0
	s_delay_alu instid0(VALU_DEP_1) | instskip(SKIP_1) | instid1(VALU_DEP_1)
	v_fmac_f64_e32 v[124:125], v[110:111], v[96:97]
	s_wait_dscnt 0x0
	v_fmac_f64_e32 v[124:125], v[112:113], v[90:91]
	s_delay_alu instid0(VALU_DEP_1)
	v_add_f64_e64 v[88:89], v[88:89], -v[124:125]
	scratch_store_b64 off, v[88:89], off offset:32
	s_wait_xcnt 0x0
	v_cmpx_lt_u32_e32 3, v0
	s_cbranch_execz .LBB105_255
; %bb.254:
	scratch_load_b64 v[88:89], off, off offset:24
	v_mov_b64_e32 v[90:91], 0
	scratch_store_b64 off, v[90:91], off offset:24
	s_wait_loadcnt 0x0
	ds_store_b64 v1, v[88:89]
.LBB105_255:
	s_wait_xcnt 0x0
	s_or_b32 exec_lo, exec_lo, s0
	s_wait_storecnt_dscnt 0x0
	s_barrier_signal -1
	s_barrier_wait -1
	s_clause 0x5
	scratch_load_b128 v[88:91], off, off offset:24
	scratch_load_b128 v[92:95], off, off offset:40
	;; [unrolled: 1-line block ×6, first 2 shown]
	ds_load_b128 v[112:115], v2 offset:368
	ds_load_b128 v[116:119], v2 offset:384
	scratch_load_b128 v[120:123], off, off offset:120
	s_mov_b32 s0, exec_lo
	s_wait_loadcnt_dscnt 0x601
	v_fma_f64 v[124:125], v[90:91], v[112:113], 0
	s_wait_loadcnt 0x5
	s_delay_alu instid0(VALU_DEP_1) | instskip(SKIP_4) | instid1(VALU_DEP_1)
	v_fmac_f64_e32 v[124:125], v[92:93], v[114:115]
	scratch_load_b128 v[90:93], off, off offset:136
	s_wait_dscnt 0x0
	v_fmac_f64_e32 v[124:125], v[94:95], v[116:117]
	s_wait_loadcnt 0x5
	v_fmac_f64_e32 v[124:125], v[96:97], v[118:119]
	ds_load_b128 v[94:97], v2 offset:400
	ds_load_b128 v[112:115], v2 offset:416
	scratch_load_b128 v[116:119], off, off offset:152
	s_wait_dscnt 0x1
	v_fmac_f64_e32 v[124:125], v[98:99], v[94:95]
	s_wait_loadcnt 0x5
	s_delay_alu instid0(VALU_DEP_1) | instskip(SKIP_4) | instid1(VALU_DEP_1)
	v_fmac_f64_e32 v[124:125], v[100:101], v[96:97]
	scratch_load_b128 v[94:97], off, off offset:168
	s_wait_dscnt 0x0
	v_fmac_f64_e32 v[124:125], v[102:103], v[112:113]
	s_wait_loadcnt 0x5
	v_fmac_f64_e32 v[124:125], v[104:105], v[114:115]
	ds_load_b128 v[98:101], v2 offset:432
	ds_load_b128 v[102:105], v2 offset:448
	scratch_load_b128 v[112:115], off, off offset:184
	s_wait_dscnt 0x1
	v_fmac_f64_e32 v[124:125], v[106:107], v[98:99]
	s_wait_loadcnt 0x5
	s_delay_alu instid0(VALU_DEP_1) | instskip(SKIP_4) | instid1(VALU_DEP_1)
	v_fmac_f64_e32 v[124:125], v[108:109], v[100:101]
	scratch_load_b128 v[98:101], off, off offset:200
	s_wait_dscnt 0x0
	v_fmac_f64_e32 v[124:125], v[110:111], v[102:103]
	s_wait_loadcnt 0x5
	v_fmac_f64_e32 v[124:125], v[120:121], v[104:105]
	ds_load_b128 v[102:105], v2 offset:464
	ds_load_b128 v[106:109], v2 offset:480
	s_wait_dscnt 0x1
	v_fmac_f64_e32 v[124:125], v[122:123], v[102:103]
	scratch_load_b128 v[120:123], off, off offset:216
	s_wait_loadcnt 0x5
	v_fmac_f64_e32 v[124:125], v[90:91], v[104:105]
	s_wait_dscnt 0x0
	s_delay_alu instid0(VALU_DEP_1)
	v_fmac_f64_e32 v[124:125], v[92:93], v[106:107]
	scratch_load_b128 v[90:93], off, off offset:232
	s_wait_loadcnt 0x5
	v_fmac_f64_e32 v[124:125], v[116:117], v[108:109]
	ds_load_b128 v[102:105], v2 offset:496
	ds_load_b128 v[106:109], v2 offset:512
	s_wait_dscnt 0x1
	v_fmac_f64_e32 v[124:125], v[118:119], v[102:103]
	scratch_load_b128 v[116:119], off, off offset:248
	s_wait_loadcnt 0x5
	v_fmac_f64_e32 v[124:125], v[94:95], v[104:105]
	s_wait_dscnt 0x0
	s_delay_alu instid0(VALU_DEP_1)
	v_fmac_f64_e32 v[124:125], v[96:97], v[106:107]
	scratch_load_b128 v[94:97], off, off offset:264
	s_wait_loadcnt 0x5
	v_fmac_f64_e32 v[124:125], v[112:113], v[108:109]
	ds_load_b128 v[102:105], v2 offset:528
	ds_load_b128 v[106:109], v2 offset:544
	s_wait_dscnt 0x1
	v_fmac_f64_e32 v[124:125], v[114:115], v[102:103]
	s_wait_loadcnt 0x4
	s_delay_alu instid0(VALU_DEP_1)
	v_fmac_f64_e32 v[124:125], v[98:99], v[104:105]
	scratch_load_b128 v[102:105], off, off offset:280
	s_wait_dscnt 0x0
	v_fmac_f64_e32 v[124:125], v[100:101], v[106:107]
	scratch_load_b128 v[98:101], off, off offset:296
	s_wait_loadcnt 0x5
	v_fmac_f64_e32 v[124:125], v[120:121], v[108:109]
	ds_load_b128 v[106:109], v2 offset:560
	ds_load_b128 v[110:113], v2 offset:576
	scratch_load_b64 v[114:115], off, off offset:328
	s_wait_dscnt 0x1
	v_fmac_f64_e32 v[124:125], v[122:123], v[106:107]
	s_wait_loadcnt 0x5
	s_delay_alu instid0(VALU_DEP_1) | instskip(SKIP_4) | instid1(VALU_DEP_1)
	v_fmac_f64_e32 v[124:125], v[90:91], v[108:109]
	scratch_load_b128 v[106:109], off, off offset:312
	s_wait_dscnt 0x0
	v_fmac_f64_e32 v[124:125], v[92:93], v[110:111]
	s_wait_loadcnt 0x5
	v_fmac_f64_e32 v[124:125], v[116:117], v[112:113]
	ds_load_b128 v[90:93], v2 offset:592
	ds_load_b128 v[110:113], v2 offset:608
	s_wait_dscnt 0x1
	v_fmac_f64_e32 v[124:125], v[118:119], v[90:91]
	s_wait_loadcnt 0x4
	s_delay_alu instid0(VALU_DEP_1) | instskip(SKIP_1) | instid1(VALU_DEP_1)
	v_fmac_f64_e32 v[124:125], v[94:95], v[92:93]
	s_wait_dscnt 0x0
	v_fmac_f64_e32 v[124:125], v[96:97], v[110:111]
	ds_load_b128 v[90:93], v2 offset:624
	ds_load_b128 v[94:97], v2 offset:640
	s_wait_loadcnt 0x3
	v_fmac_f64_e32 v[124:125], v[102:103], v[112:113]
	s_wait_dscnt 0x1
	s_delay_alu instid0(VALU_DEP_1) | instskip(SKIP_1) | instid1(VALU_DEP_1)
	v_fmac_f64_e32 v[124:125], v[104:105], v[90:91]
	s_wait_loadcnt 0x2
	v_fmac_f64_e32 v[124:125], v[98:99], v[92:93]
	ds_load_b128 v[90:93], v2 offset:656
	s_wait_dscnt 0x1
	v_fmac_f64_e32 v[124:125], v[100:101], v[94:95]
	s_wait_loadcnt 0x0
	s_delay_alu instid0(VALU_DEP_1) | instskip(SKIP_1) | instid1(VALU_DEP_1)
	v_fmac_f64_e32 v[124:125], v[106:107], v[96:97]
	s_wait_dscnt 0x0
	v_fmac_f64_e32 v[124:125], v[108:109], v[90:91]
	s_delay_alu instid0(VALU_DEP_1) | instskip(NEXT) | instid1(VALU_DEP_1)
	v_fmac_f64_e32 v[124:125], v[114:115], v[92:93]
	v_add_f64_e64 v[2:3], v[88:89], -v[124:125]
	scratch_store_b64 off, v[2:3], off offset:24
	s_wait_xcnt 0x0
	v_cmpx_lt_u32_e32 2, v0
	s_cbranch_execz .LBB105_257
; %bb.256:
	scratch_load_b64 v[2:3], off, off offset:16
	v_mov_b64_e32 v[88:89], 0
	scratch_store_b64 off, v[88:89], off offset:16
	s_wait_loadcnt 0x0
	ds_store_b64 v1, v[2:3]
.LBB105_257:
	s_wait_xcnt 0x0
	s_or_b32 exec_lo, exec_lo, s0
	s_wait_storecnt_dscnt 0x0
	s_barrier_signal -1
	s_barrier_wait -1
	s_clause 0x5
	scratch_load_b128 v[88:91], off, off offset:16
	scratch_load_b128 v[92:95], off, off offset:32
	;; [unrolled: 1-line block ×6, first 2 shown]
	v_mov_b32_e32 v2, 0
	ds_load_2addr_b64 v[112:115], v2 offset0:45 offset1:46
	ds_load_2addr_b64 v[116:119], v2 offset0:47 offset1:48
	scratch_load_b128 v[120:123], off, off offset:112
	s_mov_b32 s0, exec_lo
	s_wait_loadcnt_dscnt 0x601
	v_fma_f64 v[124:125], v[90:91], v[112:113], 0
	s_wait_loadcnt 0x5
	s_delay_alu instid0(VALU_DEP_1) | instskip(SKIP_4) | instid1(VALU_DEP_1)
	v_fmac_f64_e32 v[124:125], v[92:93], v[114:115]
	scratch_load_b128 v[90:93], off, off offset:128
	s_wait_dscnt 0x0
	v_fmac_f64_e32 v[124:125], v[94:95], v[116:117]
	s_wait_loadcnt 0x5
	v_fmac_f64_e32 v[124:125], v[96:97], v[118:119]
	ds_load_2addr_b64 v[94:97], v2 offset0:49 offset1:50
	ds_load_2addr_b64 v[112:115], v2 offset0:51 offset1:52
	scratch_load_b128 v[116:119], off, off offset:144
	s_wait_dscnt 0x1
	v_fmac_f64_e32 v[124:125], v[98:99], v[94:95]
	s_wait_loadcnt 0x5
	s_delay_alu instid0(VALU_DEP_1) | instskip(SKIP_4) | instid1(VALU_DEP_1)
	v_fmac_f64_e32 v[124:125], v[100:101], v[96:97]
	scratch_load_b128 v[94:97], off, off offset:160
	s_wait_dscnt 0x0
	v_fmac_f64_e32 v[124:125], v[102:103], v[112:113]
	s_wait_loadcnt 0x5
	v_fmac_f64_e32 v[124:125], v[104:105], v[114:115]
	ds_load_2addr_b64 v[98:101], v2 offset0:53 offset1:54
	ds_load_2addr_b64 v[102:105], v2 offset0:55 offset1:56
	scratch_load_b128 v[112:115], off, off offset:176
	s_wait_dscnt 0x1
	v_fmac_f64_e32 v[124:125], v[106:107], v[98:99]
	s_wait_loadcnt 0x5
	s_delay_alu instid0(VALU_DEP_1) | instskip(SKIP_4) | instid1(VALU_DEP_1)
	v_fmac_f64_e32 v[124:125], v[108:109], v[100:101]
	scratch_load_b128 v[98:101], off, off offset:192
	s_wait_dscnt 0x0
	v_fmac_f64_e32 v[124:125], v[110:111], v[102:103]
	s_wait_loadcnt 0x5
	v_fmac_f64_e32 v[124:125], v[120:121], v[104:105]
	ds_load_2addr_b64 v[102:105], v2 offset0:57 offset1:58
	ds_load_2addr_b64 v[106:109], v2 offset0:59 offset1:60
	s_wait_dscnt 0x1
	v_fmac_f64_e32 v[124:125], v[122:123], v[102:103]
	scratch_load_b128 v[120:123], off, off offset:208
	s_wait_loadcnt 0x5
	v_fmac_f64_e32 v[124:125], v[90:91], v[104:105]
	s_wait_dscnt 0x0
	s_delay_alu instid0(VALU_DEP_1)
	v_fmac_f64_e32 v[124:125], v[92:93], v[106:107]
	scratch_load_b128 v[90:93], off, off offset:224
	s_wait_loadcnt 0x5
	v_fmac_f64_e32 v[124:125], v[116:117], v[108:109]
	ds_load_2addr_b64 v[102:105], v2 offset0:61 offset1:62
	ds_load_2addr_b64 v[106:109], v2 offset0:63 offset1:64
	s_wait_dscnt 0x1
	v_fmac_f64_e32 v[124:125], v[118:119], v[102:103]
	scratch_load_b128 v[116:119], off, off offset:240
	s_wait_loadcnt 0x5
	v_fmac_f64_e32 v[124:125], v[94:95], v[104:105]
	s_wait_dscnt 0x0
	s_delay_alu instid0(VALU_DEP_1)
	v_fmac_f64_e32 v[124:125], v[96:97], v[106:107]
	scratch_load_b128 v[94:97], off, off offset:256
	s_wait_loadcnt 0x5
	v_fmac_f64_e32 v[124:125], v[112:113], v[108:109]
	ds_load_2addr_b64 v[102:105], v2 offset0:65 offset1:66
	ds_load_2addr_b64 v[106:109], v2 offset0:67 offset1:68
	s_wait_dscnt 0x1
	v_fmac_f64_e32 v[124:125], v[114:115], v[102:103]
	s_wait_loadcnt 0x4
	s_delay_alu instid0(VALU_DEP_1)
	v_fmac_f64_e32 v[124:125], v[98:99], v[104:105]
	scratch_load_b128 v[102:105], off, off offset:272
	s_wait_dscnt 0x0
	v_fmac_f64_e32 v[124:125], v[100:101], v[106:107]
	scratch_load_b128 v[98:101], off, off offset:288
	s_wait_loadcnt 0x5
	v_fmac_f64_e32 v[124:125], v[120:121], v[108:109]
	ds_load_2addr_b64 v[106:109], v2 offset0:69 offset1:70
	ds_load_2addr_b64 v[110:113], v2 offset0:71 offset1:72
	s_wait_dscnt 0x1
	v_fmac_f64_e32 v[124:125], v[122:123], v[106:107]
	s_wait_loadcnt 0x4
	s_delay_alu instid0(VALU_DEP_1)
	v_fmac_f64_e32 v[124:125], v[90:91], v[108:109]
	scratch_load_b128 v[106:109], off, off offset:304
	s_wait_dscnt 0x0
	v_fmac_f64_e32 v[124:125], v[92:93], v[110:111]
	scratch_load_b128 v[90:93], off, off offset:320
	s_wait_loadcnt 0x5
	v_fmac_f64_e32 v[124:125], v[116:117], v[112:113]
	ds_load_2addr_b64 v[110:113], v2 offset0:73 offset1:74
	ds_load_2addr_b64 v[114:117], v2 offset0:75 offset1:76
	s_wait_dscnt 0x1
	v_fmac_f64_e32 v[124:125], v[118:119], v[110:111]
	s_wait_loadcnt 0x4
	s_delay_alu instid0(VALU_DEP_1) | instskip(SKIP_1) | instid1(VALU_DEP_1)
	v_fmac_f64_e32 v[124:125], v[94:95], v[112:113]
	s_wait_dscnt 0x0
	v_fmac_f64_e32 v[124:125], v[96:97], v[114:115]
	ds_load_2addr_b64 v[94:97], v2 offset0:77 offset1:78
	ds_load_2addr_b64 v[110:113], v2 offset0:79 offset1:80
	s_wait_loadcnt 0x3
	v_fmac_f64_e32 v[124:125], v[102:103], v[116:117]
	s_wait_dscnt 0x1
	s_delay_alu instid0(VALU_DEP_1) | instskip(SKIP_1) | instid1(VALU_DEP_1)
	v_fmac_f64_e32 v[124:125], v[104:105], v[94:95]
	s_wait_loadcnt 0x2
	v_fmac_f64_e32 v[124:125], v[98:99], v[96:97]
	ds_load_2addr_b64 v[94:97], v2 offset0:81 offset1:82
	ds_load_b64 v[98:99], v2 offset:664
	s_wait_dscnt 0x2
	v_fmac_f64_e32 v[124:125], v[100:101], v[110:111]
	s_wait_loadcnt 0x1
	s_delay_alu instid0(VALU_DEP_1) | instskip(SKIP_1) | instid1(VALU_DEP_1)
	v_fmac_f64_e32 v[124:125], v[106:107], v[112:113]
	s_wait_dscnt 0x1
	v_fmac_f64_e32 v[124:125], v[108:109], v[94:95]
	s_wait_loadcnt 0x0
	s_delay_alu instid0(VALU_DEP_1) | instskip(SKIP_1) | instid1(VALU_DEP_1)
	v_fmac_f64_e32 v[124:125], v[90:91], v[96:97]
	s_wait_dscnt 0x0
	v_fmac_f64_e32 v[124:125], v[92:93], v[98:99]
	s_delay_alu instid0(VALU_DEP_1)
	v_add_f64_e64 v[88:89], v[88:89], -v[124:125]
	scratch_store_b64 off, v[88:89], off offset:16
	s_wait_xcnt 0x0
	v_cmpx_lt_u32_e32 1, v0
	s_cbranch_execz .LBB105_259
; %bb.258:
	scratch_load_b64 v[88:89], off, off offset:8
	v_mov_b64_e32 v[90:91], 0
	scratch_store_b64 off, v[90:91], off offset:8
	s_wait_loadcnt 0x0
	ds_store_b64 v1, v[88:89]
.LBB105_259:
	s_wait_xcnt 0x0
	s_or_b32 exec_lo, exec_lo, s0
	s_wait_storecnt_dscnt 0x0
	s_barrier_signal -1
	s_barrier_wait -1
	s_clause 0x5
	scratch_load_b128 v[88:91], off, off offset:8
	scratch_load_b128 v[92:95], off, off offset:24
	;; [unrolled: 1-line block ×6, first 2 shown]
	ds_load_b128 v[112:115], v2 offset:352
	ds_load_b128 v[116:119], v2 offset:368
	scratch_load_b128 v[120:123], off, off offset:104
	v_dual_ashrrev_i32 v9, 31, v8 :: v_dual_ashrrev_i32 v11, 31, v10
	v_dual_ashrrev_i32 v13, 31, v12 :: v_dual_ashrrev_i32 v15, 31, v14
	v_dual_ashrrev_i32 v17, 31, v16 :: v_dual_ashrrev_i32 v19, 31, v18
	v_dual_ashrrev_i32 v21, 31, v20 :: v_dual_ashrrev_i32 v23, 31, v22
	v_dual_ashrrev_i32 v25, 31, v24 :: v_dual_ashrrev_i32 v27, 31, v26
	v_dual_ashrrev_i32 v29, 31, v28 :: v_dual_ashrrev_i32 v31, 31, v30
	v_dual_ashrrev_i32 v33, 31, v32 :: v_dual_ashrrev_i32 v35, 31, v34
	v_dual_ashrrev_i32 v37, 31, v36 :: v_dual_ashrrev_i32 v43, 31, v42
	v_dual_ashrrev_i32 v41, 31, v40 :: v_dual_ashrrev_i32 v47, 31, v46
	v_dual_ashrrev_i32 v45, 31, v44 :: v_dual_ashrrev_i32 v51, 31, v50
	v_dual_ashrrev_i32 v49, 31, v48 :: v_dual_ashrrev_i32 v55, 31, v54
	v_dual_ashrrev_i32 v53, 31, v52 :: v_dual_ashrrev_i32 v59, 31, v58
	v_dual_ashrrev_i32 v57, 31, v56 :: v_dual_ashrrev_i32 v63, 31, v62
	v_dual_ashrrev_i32 v61, 31, v60 :: v_dual_ashrrev_i32 v67, 31, v66
	v_dual_ashrrev_i32 v65, 31, v64 :: v_dual_ashrrev_i32 v71, 31, v70
	v_dual_ashrrev_i32 v69, 31, v68 :: v_dual_ashrrev_i32 v75, 31, v74
	v_dual_ashrrev_i32 v73, 31, v72 :: v_dual_ashrrev_i32 v79, 31, v78
	v_dual_ashrrev_i32 v77, 31, v76 :: v_dual_ashrrev_i32 v83, 31, v82
	v_dual_ashrrev_i32 v81, 31, v80 :: v_dual_ashrrev_i32 v87, 31, v86
	v_ashrrev_i32_e32 v85, 31, v84
	s_mov_b32 s0, exec_lo
	v_ashrrev_i32_e32 v39, 31, v38
	s_wait_loadcnt_dscnt 0x601
	v_fma_f64 v[124:125], v[90:91], v[112:113], 0
	s_wait_loadcnt 0x5
	s_delay_alu instid0(VALU_DEP_1) | instskip(SKIP_4) | instid1(VALU_DEP_1)
	v_fmac_f64_e32 v[124:125], v[92:93], v[114:115]
	scratch_load_b128 v[90:93], off, off offset:120
	s_wait_dscnt 0x0
	v_fmac_f64_e32 v[124:125], v[94:95], v[116:117]
	s_wait_loadcnt 0x5
	v_fmac_f64_e32 v[124:125], v[96:97], v[118:119]
	ds_load_b128 v[94:97], v2 offset:384
	ds_load_b128 v[112:115], v2 offset:400
	scratch_load_b128 v[116:119], off, off offset:136
	s_wait_dscnt 0x1
	v_fmac_f64_e32 v[124:125], v[98:99], v[94:95]
	s_wait_loadcnt 0x5
	s_delay_alu instid0(VALU_DEP_1) | instskip(SKIP_4) | instid1(VALU_DEP_1)
	v_fmac_f64_e32 v[124:125], v[100:101], v[96:97]
	scratch_load_b128 v[94:97], off, off offset:152
	s_wait_dscnt 0x0
	v_fmac_f64_e32 v[124:125], v[102:103], v[112:113]
	s_wait_loadcnt 0x5
	v_fmac_f64_e32 v[124:125], v[104:105], v[114:115]
	ds_load_b128 v[98:101], v2 offset:416
	ds_load_b128 v[102:105], v2 offset:432
	scratch_load_b128 v[112:115], off, off offset:168
	s_wait_dscnt 0x1
	v_fmac_f64_e32 v[124:125], v[106:107], v[98:99]
	s_wait_loadcnt 0x5
	s_delay_alu instid0(VALU_DEP_1) | instskip(SKIP_4) | instid1(VALU_DEP_1)
	v_fmac_f64_e32 v[124:125], v[108:109], v[100:101]
	scratch_load_b128 v[98:101], off, off offset:184
	s_wait_dscnt 0x0
	v_fmac_f64_e32 v[124:125], v[110:111], v[102:103]
	s_wait_loadcnt 0x5
	v_fmac_f64_e32 v[124:125], v[120:121], v[104:105]
	ds_load_b128 v[102:105], v2 offset:448
	ds_load_b128 v[106:109], v2 offset:464
	s_wait_dscnt 0x1
	v_fmac_f64_e32 v[124:125], v[122:123], v[102:103]
	scratch_load_b128 v[120:123], off, off offset:200
	s_wait_loadcnt 0x5
	v_fmac_f64_e32 v[124:125], v[90:91], v[104:105]
	s_wait_dscnt 0x0
	s_delay_alu instid0(VALU_DEP_1)
	v_fmac_f64_e32 v[124:125], v[92:93], v[106:107]
	scratch_load_b128 v[90:93], off, off offset:216
	s_wait_loadcnt 0x5
	v_fmac_f64_e32 v[124:125], v[116:117], v[108:109]
	ds_load_b128 v[102:105], v2 offset:480
	ds_load_b128 v[106:109], v2 offset:496
	s_wait_dscnt 0x1
	v_fmac_f64_e32 v[124:125], v[118:119], v[102:103]
	scratch_load_b128 v[116:119], off, off offset:232
	s_wait_loadcnt 0x5
	v_fmac_f64_e32 v[124:125], v[94:95], v[104:105]
	s_wait_dscnt 0x0
	s_delay_alu instid0(VALU_DEP_1)
	v_fmac_f64_e32 v[124:125], v[96:97], v[106:107]
	scratch_load_b128 v[94:97], off, off offset:248
	s_wait_loadcnt 0x5
	v_fmac_f64_e32 v[124:125], v[112:113], v[108:109]
	ds_load_b128 v[102:105], v2 offset:512
	ds_load_b128 v[106:109], v2 offset:528
	s_wait_dscnt 0x1
	v_fmac_f64_e32 v[124:125], v[114:115], v[102:103]
	s_wait_loadcnt 0x4
	s_delay_alu instid0(VALU_DEP_1)
	v_fmac_f64_e32 v[124:125], v[98:99], v[104:105]
	scratch_load_b128 v[102:105], off, off offset:264
	s_wait_dscnt 0x0
	v_fmac_f64_e32 v[124:125], v[100:101], v[106:107]
	scratch_load_b128 v[98:101], off, off offset:280
	s_wait_loadcnt 0x5
	v_fmac_f64_e32 v[124:125], v[120:121], v[108:109]
	ds_load_b128 v[106:109], v2 offset:544
	ds_load_b128 v[110:113], v2 offset:560
	s_wait_dscnt 0x1
	v_fmac_f64_e32 v[124:125], v[122:123], v[106:107]
	s_wait_loadcnt 0x4
	s_delay_alu instid0(VALU_DEP_1)
	v_fmac_f64_e32 v[124:125], v[90:91], v[108:109]
	scratch_load_b128 v[106:109], off, off offset:296
	s_wait_dscnt 0x0
	v_fmac_f64_e32 v[124:125], v[92:93], v[110:111]
	scratch_load_b128 v[90:93], off, off offset:312
	s_wait_loadcnt 0x5
	v_fmac_f64_e32 v[124:125], v[116:117], v[112:113]
	ds_load_b128 v[110:113], v2 offset:576
	ds_load_b128 v[114:117], v2 offset:592
	s_wait_dscnt 0x1
	v_fmac_f64_e32 v[124:125], v[118:119], v[110:111]
	scratch_load_b64 v[118:119], off, off offset:328
	s_wait_loadcnt 0x5
	v_fmac_f64_e32 v[124:125], v[94:95], v[112:113]
	s_wait_dscnt 0x0
	s_delay_alu instid0(VALU_DEP_1)
	v_fmac_f64_e32 v[124:125], v[96:97], v[114:115]
	ds_load_b128 v[94:97], v2 offset:608
	ds_load_b128 v[110:113], v2 offset:624
	s_wait_loadcnt 0x4
	v_fmac_f64_e32 v[124:125], v[102:103], v[116:117]
	s_wait_dscnt 0x1
	s_delay_alu instid0(VALU_DEP_1) | instskip(SKIP_1) | instid1(VALU_DEP_1)
	v_fmac_f64_e32 v[124:125], v[104:105], v[94:95]
	s_wait_loadcnt 0x3
	v_fmac_f64_e32 v[124:125], v[98:99], v[96:97]
	s_wait_dscnt 0x0
	s_delay_alu instid0(VALU_DEP_1)
	v_fmac_f64_e32 v[124:125], v[100:101], v[110:111]
	ds_load_b128 v[94:97], v2 offset:640
	ds_load_b128 v[98:101], v2 offset:656
	s_wait_loadcnt 0x2
	v_fmac_f64_e32 v[124:125], v[106:107], v[112:113]
	s_wait_dscnt 0x1
	s_delay_alu instid0(VALU_DEP_1) | instskip(SKIP_1) | instid1(VALU_DEP_1)
	v_fmac_f64_e32 v[124:125], v[108:109], v[94:95]
	s_wait_loadcnt 0x1
	v_fmac_f64_e32 v[124:125], v[90:91], v[96:97]
	s_wait_dscnt 0x0
	s_delay_alu instid0(VALU_DEP_1) | instskip(SKIP_1) | instid1(VALU_DEP_1)
	v_fmac_f64_e32 v[124:125], v[92:93], v[98:99]
	s_wait_loadcnt 0x0
	v_fmac_f64_e32 v[124:125], v[118:119], v[100:101]
	s_delay_alu instid0(VALU_DEP_1)
	v_add_f64_e64 v[2:3], v[88:89], -v[124:125]
	scratch_store_b64 off, v[2:3], off offset:8
	s_wait_xcnt 0x0
	v_cmpx_ne_u32_e32 0, v0
	s_cbranch_execz .LBB105_261
; %bb.260:
	scratch_load_b64 v[2:3], off, off
	v_mov_b64_e32 v[88:89], 0
	scratch_store_b64 off, v[88:89], off
	s_wait_loadcnt 0x0
	ds_store_b64 v1, v[2:3]
.LBB105_261:
	s_wait_xcnt 0x0
	s_or_b32 exec_lo, exec_lo, s0
	s_wait_storecnt_dscnt 0x0
	s_barrier_signal -1
	s_barrier_wait -1
	s_clause 0x5
	scratch_load_b128 v[92:95], off, off
	scratch_load_b128 v[0:3], off, off offset:16
	scratch_load_b128 v[96:99], off, off offset:32
	;; [unrolled: 1-line block ×5, first 2 shown]
	v_mov_b32_e32 v90, 0
	scratch_load_b128 v[116:119], off, off offset:96
	s_and_b32 vcc_lo, exec_lo, s12
	ds_load_2addr_b64 v[112:115], v90 offset0:43 offset1:44
	s_wait_loadcnt_dscnt 0x600
	v_fma_f64 v[88:89], v[94:95], v[112:113], 0
	s_wait_loadcnt 0x5
	s_delay_alu instid0(VALU_DEP_1)
	v_fmac_f64_e32 v[88:89], v[0:1], v[114:115]
	ds_load_2addr_b64 v[112:115], v90 offset0:45 offset1:46
	s_wait_dscnt 0x0
	v_fmac_f64_e32 v[88:89], v[2:3], v[112:113]
	scratch_load_b128 v[0:3], off, off offset:112
	s_wait_loadcnt 0x5
	v_fmac_f64_e32 v[88:89], v[96:97], v[114:115]
	ds_load_2addr_b64 v[94:97], v90 offset0:47 offset1:48
	scratch_load_b128 v[112:115], off, off offset:128
	s_wait_dscnt 0x0
	v_fmac_f64_e32 v[88:89], v[98:99], v[94:95]
	s_wait_loadcnt 0x5
	s_delay_alu instid0(VALU_DEP_1)
	v_fmac_f64_e32 v[88:89], v[100:101], v[96:97]
	ds_load_2addr_b64 v[94:97], v90 offset0:49 offset1:50
	scratch_load_b128 v[98:101], off, off offset:144
	s_wait_dscnt 0x0
	v_fmac_f64_e32 v[88:89], v[102:103], v[94:95]
	s_wait_loadcnt 0x5
	s_delay_alu instid0(VALU_DEP_1)
	v_fmac_f64_e32 v[88:89], v[104:105], v[96:97]
	ds_load_2addr_b64 v[94:97], v90 offset0:51 offset1:52
	scratch_load_b128 v[102:105], off, off offset:160
	s_wait_dscnt 0x0
	v_fmac_f64_e32 v[88:89], v[106:107], v[94:95]
	s_wait_loadcnt 0x5
	s_delay_alu instid0(VALU_DEP_1)
	v_fmac_f64_e32 v[88:89], v[108:109], v[96:97]
	ds_load_2addr_b64 v[94:97], v90 offset0:53 offset1:54
	scratch_load_b128 v[106:109], off, off offset:176
	s_wait_dscnt 0x0
	v_fmac_f64_e32 v[88:89], v[110:111], v[94:95]
	s_wait_loadcnt 0x5
	s_delay_alu instid0(VALU_DEP_1)
	v_fmac_f64_e32 v[88:89], v[116:117], v[96:97]
	ds_load_2addr_b64 v[94:97], v90 offset0:55 offset1:56
	s_wait_dscnt 0x0
	v_fmac_f64_e32 v[88:89], v[118:119], v[94:95]
	scratch_load_b128 v[116:119], off, off offset:192
	s_wait_loadcnt 0x5
	v_fmac_f64_e32 v[88:89], v[0:1], v[96:97]
	ds_load_2addr_b64 v[94:97], v90 offset0:57 offset1:58
	s_wait_dscnt 0x0
	v_fmac_f64_e32 v[88:89], v[2:3], v[94:95]
	scratch_load_b128 v[0:3], off, off offset:208
	s_wait_loadcnt 0x5
	v_fmac_f64_e32 v[88:89], v[112:113], v[96:97]
	ds_load_2addr_b64 v[94:97], v90 offset0:59 offset1:60
	scratch_load_b128 v[110:113], off, off offset:224
	s_wait_dscnt 0x0
	v_fmac_f64_e32 v[88:89], v[114:115], v[94:95]
	s_wait_loadcnt 0x5
	s_delay_alu instid0(VALU_DEP_1)
	v_fmac_f64_e32 v[88:89], v[98:99], v[96:97]
	ds_load_2addr_b64 v[94:97], v90 offset0:61 offset1:62
	s_wait_dscnt 0x0
	v_fmac_f64_e32 v[88:89], v[100:101], v[94:95]
	scratch_load_b128 v[98:101], off, off offset:240
	s_wait_loadcnt 0x5
	v_fmac_f64_e32 v[88:89], v[102:103], v[96:97]
	ds_load_2addr_b64 v[94:97], v90 offset0:63 offset1:64
	s_wait_dscnt 0x0
	v_fmac_f64_e32 v[88:89], v[104:105], v[94:95]
	scratch_load_b128 v[102:105], off, off offset:256
	s_wait_loadcnt 0x5
	;; [unrolled: 6-line block ×3, first 2 shown]
	v_fmac_f64_e32 v[88:89], v[116:117], v[96:97]
	ds_load_2addr_b64 v[94:97], v90 offset0:67 offset1:68
	scratch_load_b128 v[114:117], off, off offset:288
	s_wait_dscnt 0x0
	v_fmac_f64_e32 v[88:89], v[118:119], v[94:95]
	scratch_load_b128 v[118:121], off, off offset:304
	s_wait_loadcnt 0x6
	v_fmac_f64_e32 v[88:89], v[0:1], v[96:97]
	ds_load_2addr_b64 v[94:97], v90 offset0:69 offset1:70
	s_wait_dscnt 0x0
	v_fmac_f64_e32 v[88:89], v[2:3], v[94:95]
	scratch_load_b128 v[0:3], off, off offset:320
	s_wait_loadcnt 0x6
	v_fmac_f64_e32 v[88:89], v[110:111], v[96:97]
	ds_load_2addr_b64 v[94:97], v90 offset0:71 offset1:72
	s_wait_dscnt 0x0
	v_fmac_f64_e32 v[88:89], v[112:113], v[94:95]
	s_wait_loadcnt 0x5
	s_delay_alu instid0(VALU_DEP_1) | instskip(SKIP_4) | instid1(VALU_DEP_1)
	v_fmac_f64_e32 v[88:89], v[98:99], v[96:97]
	ds_load_2addr_b64 v[94:97], v90 offset0:73 offset1:74
	s_wait_dscnt 0x0
	v_fmac_f64_e32 v[88:89], v[100:101], v[94:95]
	s_wait_loadcnt 0x4
	v_fmac_f64_e32 v[88:89], v[102:103], v[96:97]
	ds_load_2addr_b64 v[94:97], v90 offset0:75 offset1:76
	s_wait_dscnt 0x0
	v_fmac_f64_e32 v[88:89], v[104:105], v[94:95]
	s_wait_loadcnt 0x3
	s_delay_alu instid0(VALU_DEP_1) | instskip(SKIP_4) | instid1(VALU_DEP_1)
	v_fmac_f64_e32 v[88:89], v[106:107], v[96:97]
	ds_load_2addr_b64 v[94:97], v90 offset0:77 offset1:78
	s_wait_dscnt 0x0
	v_fmac_f64_e32 v[88:89], v[108:109], v[94:95]
	s_wait_loadcnt 0x2
	v_fmac_f64_e32 v[88:89], v[114:115], v[96:97]
	ds_load_2addr_b64 v[94:97], v90 offset0:79 offset1:80
	s_wait_dscnt 0x0
	v_fmac_f64_e32 v[88:89], v[116:117], v[94:95]
	s_wait_loadcnt 0x1
	s_delay_alu instid0(VALU_DEP_1)
	v_fmac_f64_e32 v[88:89], v[118:119], v[96:97]
	ds_load_2addr_b64 v[94:97], v90 offset0:81 offset1:82
	s_wait_dscnt 0x0
	v_fmac_f64_e32 v[88:89], v[120:121], v[94:95]
	ds_load_b64 v[94:95], v90 offset:664
	s_wait_loadcnt 0x0
	v_fmac_f64_e32 v[88:89], v[0:1], v[96:97]
	s_wait_dscnt 0x0
	s_delay_alu instid0(VALU_DEP_1) | instskip(NEXT) | instid1(VALU_DEP_1)
	v_fmac_f64_e32 v[88:89], v[2:3], v[94:95]
	v_add_f64_e64 v[88:89], v[92:93], -v[88:89]
	scratch_store_b64 off, v[88:89], off
	s_cbranch_vccz .LBB105_344
; %bb.262:
	global_load_b32 v2, v90, s[8:9] offset:160
	s_wait_loadcnt 0x0
	v_cmp_ne_u32_e32 vcc_lo, 41, v2
	s_cbranch_vccz .LBB105_264
; %bb.263:
	v_lshlrev_b32_e32 v2, 3, v2
	s_wait_xcnt 0x1
	s_delay_alu instid0(VALU_DEP_1)
	v_mov_b32_e32 v88, v2
	scratch_load_b64 v[2:3], v88, off offset:-8
	s_wait_loadcnt 0x0
	scratch_store_b64 off, v[2:3], off offset:320
	scratch_store_b64 v88, v[0:1], off offset:-8
.LBB105_264:
	s_wait_xcnt 0x0
	v_mov_b32_e32 v0, 0
	global_load_b32 v1, v0, s[8:9] offset:156
	s_wait_loadcnt 0x0
	v_cmp_eq_u32_e32 vcc_lo, 40, v1
	s_cbranch_vccnz .LBB105_266
; %bb.265:
	v_lshlrev_b32_e32 v1, 3, v1
	scratch_load_b64 v[2:3], v1, off offset:-8
	scratch_load_b64 v[88:89], off, off offset:312
	s_wait_loadcnt 0x1
	scratch_store_b64 off, v[2:3], off offset:312
	s_wait_loadcnt 0x0
	scratch_store_b64 v1, v[88:89], off offset:-8
.LBB105_266:
	global_load_b32 v0, v0, s[8:9] offset:152
	s_wait_loadcnt 0x0
	v_cmp_eq_u32_e32 vcc_lo, 39, v0
	s_cbranch_vccnz .LBB105_268
; %bb.267:
	s_wait_xcnt 0x0
	v_lshlrev_b32_e32 v0, 3, v0
	s_delay_alu instid0(VALU_DEP_1)
	v_mov_b32_e32 v88, v0
	scratch_load_b64 v[0:1], v88, off offset:-8
	scratch_load_b64 v[2:3], off, off offset:304
	s_wait_loadcnt 0x1
	scratch_store_b64 off, v[0:1], off offset:304
	s_wait_loadcnt 0x0
	scratch_store_b64 v88, v[2:3], off offset:-8
.LBB105_268:
	s_wait_xcnt 0x0
	v_mov_b32_e32 v0, 0
	global_load_b32 v1, v0, s[8:9] offset:148
	s_wait_loadcnt 0x0
	v_cmp_eq_u32_e32 vcc_lo, 38, v1
	s_cbranch_vccnz .LBB105_270
; %bb.269:
	v_lshlrev_b32_e32 v1, 3, v1
	scratch_load_b64 v[2:3], v1, off offset:-8
	scratch_load_b64 v[88:89], off, off offset:296
	s_wait_loadcnt 0x1
	scratch_store_b64 off, v[2:3], off offset:296
	s_wait_loadcnt 0x0
	scratch_store_b64 v1, v[88:89], off offset:-8
.LBB105_270:
	global_load_b32 v0, v0, s[8:9] offset:144
	s_wait_loadcnt 0x0
	v_cmp_eq_u32_e32 vcc_lo, 37, v0
	s_cbranch_vccnz .LBB105_272
; %bb.271:
	s_wait_xcnt 0x0
	v_lshlrev_b32_e32 v0, 3, v0
	s_delay_alu instid0(VALU_DEP_1)
	v_mov_b32_e32 v88, v0
	scratch_load_b64 v[0:1], v88, off offset:-8
	scratch_load_b64 v[2:3], off, off offset:288
	s_wait_loadcnt 0x1
	scratch_store_b64 off, v[0:1], off offset:288
	s_wait_loadcnt 0x0
	scratch_store_b64 v88, v[2:3], off offset:-8
.LBB105_272:
	;; [unrolled: 31-line block ×19, first 2 shown]
	s_wait_xcnt 0x0
	v_mov_b32_e32 v0, 0
	global_load_b32 v1, v0, s[8:9] offset:4
	s_wait_loadcnt 0x0
	v_cmp_eq_u32_e32 vcc_lo, 2, v1
	s_cbranch_vccnz .LBB105_342
; %bb.341:
	v_lshlrev_b32_e32 v1, 3, v1
	scratch_load_b64 v[2:3], v1, off offset:-8
	scratch_load_b64 v[88:89], off, off offset:8
	s_wait_loadcnt 0x1
	scratch_store_b64 off, v[2:3], off offset:8
	s_wait_loadcnt 0x0
	scratch_store_b64 v1, v[88:89], off offset:-8
.LBB105_342:
	global_load_b32 v0, v0, s[8:9]
	scratch_load_b64 v[88:89], off, off
	s_wait_loadcnt 0x1
	v_cmp_eq_u32_e32 vcc_lo, 1, v0
	s_cbranch_vccnz .LBB105_344
; %bb.343:
	s_wait_xcnt 0x1
	v_lshlrev_b32_e32 v0, 3, v0
	s_delay_alu instid0(VALU_DEP_1)
	v_mov_b32_e32 v2, v0
	scratch_load_b64 v[0:1], v2, off offset:-8
	s_wait_loadcnt 0x0
	scratch_store_b64 off, v[0:1], off
	scratch_store_b64 v2, v[88:89], off offset:-8
	scratch_load_b64 v[88:89], off, off
.LBB105_344:
	s_wait_loadcnt 0x0
	flat_store_b64 v[4:5], v[88:89]
	scratch_load_b64 v[4:5], off, off offset:8
	v_lshl_add_u64 v[126:127], v[8:9], 3, s[2:3]
	v_lshl_add_u64 v[124:125], v[10:11], 3, s[2:3]
	;; [unrolled: 1-line block ×40, first 2 shown]
	s_wait_loadcnt 0x0
	flat_store_b64 v[6:7], v[4:5]
	scratch_load_b64 v[4:5], off, off offset:16
	s_wait_loadcnt 0x0
	flat_store_b64 v[126:127], v[4:5]
	scratch_load_b64 v[4:5], off, off offset:24
	s_wait_loadcnt 0x0
	flat_store_b64 v[124:125], v[4:5]
	scratch_load_b64 v[4:5], off, off offset:32
	s_wait_loadcnt 0x0
	flat_store_b64 v[122:123], v[4:5]
	scratch_load_b64 v[4:5], off, off offset:40
	s_wait_loadcnt 0x0
	flat_store_b64 v[120:121], v[4:5]
	scratch_load_b64 v[4:5], off, off offset:48
	s_wait_loadcnt 0x0
	flat_store_b64 v[118:119], v[4:5]
	scratch_load_b64 v[4:5], off, off offset:56
	s_wait_loadcnt 0x0
	flat_store_b64 v[116:117], v[4:5]
	scratch_load_b64 v[4:5], off, off offset:64
	s_wait_loadcnt 0x0
	flat_store_b64 v[114:115], v[4:5]
	scratch_load_b64 v[4:5], off, off offset:72
	s_wait_loadcnt 0x0
	flat_store_b64 v[112:113], v[4:5]
	scratch_load_b64 v[4:5], off, off offset:80
	s_wait_loadcnt 0x0
	flat_store_b64 v[110:111], v[4:5]
	scratch_load_b64 v[4:5], off, off offset:88
	s_wait_loadcnt 0x0
	flat_store_b64 v[108:109], v[4:5]
	scratch_load_b64 v[4:5], off, off offset:96
	s_wait_loadcnt 0x0
	flat_store_b64 v[106:107], v[4:5]
	scratch_load_b64 v[4:5], off, off offset:104
	s_wait_loadcnt 0x0
	flat_store_b64 v[104:105], v[4:5]
	scratch_load_b64 v[4:5], off, off offset:112
	s_wait_loadcnt 0x0
	flat_store_b64 v[102:103], v[4:5]
	scratch_load_b64 v[4:5], off, off offset:120
	s_wait_loadcnt 0x0
	flat_store_b64 v[100:101], v[4:5]
	scratch_load_b64 v[4:5], off, off offset:128
	s_wait_loadcnt 0x0
	flat_store_b64 v[98:99], v[4:5]
	scratch_load_b64 v[4:5], off, off offset:136
	s_wait_loadcnt 0x0
	flat_store_b64 v[96:97], v[4:5]
	scratch_load_b64 v[4:5], off, off offset:144
	s_wait_loadcnt 0x0
	flat_store_b64 v[94:95], v[4:5]
	scratch_load_b64 v[4:5], off, off offset:152
	s_wait_loadcnt 0x0
	flat_store_b64 v[92:93], v[4:5]
	scratch_load_b64 v[4:5], off, off offset:160
	s_wait_loadcnt 0x0
	flat_store_b64 v[90:91], v[4:5]
	scratch_load_b64 v[4:5], off, off offset:168
	s_wait_loadcnt 0x0
	flat_store_b64 v[44:45], v[4:5]
	scratch_load_b64 v[4:5], off, off offset:176
	s_wait_loadcnt 0x0
	flat_store_b64 v[42:43], v[4:5]
	scratch_load_b64 v[4:5], off, off offset:184
	s_wait_loadcnt 0x0
	flat_store_b64 v[40:41], v[4:5]
	scratch_load_b64 v[4:5], off, off offset:192
	s_wait_loadcnt 0x0
	flat_store_b64 v[38:39], v[4:5]
	scratch_load_b64 v[4:5], off, off offset:200
	s_wait_loadcnt 0x0
	flat_store_b64 v[36:37], v[4:5]
	scratch_load_b64 v[4:5], off, off offset:208
	s_wait_loadcnt 0x0
	flat_store_b64 v[34:35], v[4:5]
	scratch_load_b64 v[4:5], off, off offset:216
	s_wait_loadcnt 0x0
	flat_store_b64 v[32:33], v[4:5]
	scratch_load_b64 v[4:5], off, off offset:224
	s_wait_loadcnt 0x0
	flat_store_b64 v[30:31], v[4:5]
	scratch_load_b64 v[4:5], off, off offset:232
	s_wait_loadcnt 0x0
	flat_store_b64 v[28:29], v[4:5]
	scratch_load_b64 v[4:5], off, off offset:240
	s_wait_loadcnt 0x0
	flat_store_b64 v[26:27], v[4:5]
	scratch_load_b64 v[4:5], off, off offset:248
	s_wait_loadcnt 0x0
	flat_store_b64 v[24:25], v[4:5]
	scratch_load_b64 v[4:5], off, off offset:256
	s_wait_loadcnt 0x0
	flat_store_b64 v[22:23], v[4:5]
	scratch_load_b64 v[4:5], off, off offset:264
	s_wait_loadcnt 0x0
	flat_store_b64 v[20:21], v[4:5]
	scratch_load_b64 v[4:5], off, off offset:272
	s_wait_loadcnt 0x0
	flat_store_b64 v[18:19], v[4:5]
	scratch_load_b64 v[4:5], off, off offset:280
	s_wait_loadcnt 0x0
	flat_store_b64 v[16:17], v[4:5]
	scratch_load_b64 v[4:5], off, off offset:288
	s_wait_loadcnt 0x0
	flat_store_b64 v[14:15], v[4:5]
	scratch_load_b64 v[4:5], off, off offset:296
	s_wait_loadcnt 0x0
	flat_store_b64 v[12:13], v[4:5]
	scratch_load_b64 v[4:5], off, off offset:304
	s_wait_loadcnt 0x0
	flat_store_b64 v[10:11], v[4:5]
	scratch_load_b64 v[4:5], off, off offset:312
	s_wait_loadcnt 0x0
	flat_store_b64 v[8:9], v[4:5]
	scratch_load_b64 v[4:5], off, off offset:320
	s_wait_loadcnt 0x0
	flat_store_b64 v[2:3], v[4:5]
	scratch_load_b64 v[2:3], off, off offset:328
	s_wait_loadcnt 0x0
	flat_store_b64 v[0:1], v[2:3]
	s_sendmsg sendmsg(MSG_DEALLOC_VGPRS)
	s_endpgm
	.section	.rodata,"a",@progbits
	.p2align	6, 0x0
	.amdhsa_kernel _ZN9rocsolver6v33100L18getri_kernel_smallILi42EdPKPdEEvT1_iilPiilS6_bb
		.amdhsa_group_segment_fixed_size 680
		.amdhsa_private_segment_fixed_size 352
		.amdhsa_kernarg_size 60
		.amdhsa_user_sgpr_count 2
		.amdhsa_user_sgpr_dispatch_ptr 0
		.amdhsa_user_sgpr_queue_ptr 0
		.amdhsa_user_sgpr_kernarg_segment_ptr 1
		.amdhsa_user_sgpr_dispatch_id 0
		.amdhsa_user_sgpr_kernarg_preload_length 0
		.amdhsa_user_sgpr_kernarg_preload_offset 0
		.amdhsa_user_sgpr_private_segment_size 0
		.amdhsa_wavefront_size32 1
		.amdhsa_uses_dynamic_stack 0
		.amdhsa_enable_private_segment 1
		.amdhsa_system_sgpr_workgroup_id_x 1
		.amdhsa_system_sgpr_workgroup_id_y 0
		.amdhsa_system_sgpr_workgroup_id_z 0
		.amdhsa_system_sgpr_workgroup_info 0
		.amdhsa_system_vgpr_workitem_id 0
		.amdhsa_next_free_vgpr 128
		.amdhsa_next_free_sgpr 19
		.amdhsa_named_barrier_count 0
		.amdhsa_reserve_vcc 1
		.amdhsa_float_round_mode_32 0
		.amdhsa_float_round_mode_16_64 0
		.amdhsa_float_denorm_mode_32 3
		.amdhsa_float_denorm_mode_16_64 3
		.amdhsa_fp16_overflow 0
		.amdhsa_memory_ordered 1
		.amdhsa_forward_progress 1
		.amdhsa_inst_pref_size 255
		.amdhsa_round_robin_scheduling 0
		.amdhsa_exception_fp_ieee_invalid_op 0
		.amdhsa_exception_fp_denorm_src 0
		.amdhsa_exception_fp_ieee_div_zero 0
		.amdhsa_exception_fp_ieee_overflow 0
		.amdhsa_exception_fp_ieee_underflow 0
		.amdhsa_exception_fp_ieee_inexact 0
		.amdhsa_exception_int_div_zero 0
	.end_amdhsa_kernel
	.section	.text._ZN9rocsolver6v33100L18getri_kernel_smallILi42EdPKPdEEvT1_iilPiilS6_bb,"axG",@progbits,_ZN9rocsolver6v33100L18getri_kernel_smallILi42EdPKPdEEvT1_iilPiilS6_bb,comdat
.Lfunc_end105:
	.size	_ZN9rocsolver6v33100L18getri_kernel_smallILi42EdPKPdEEvT1_iilPiilS6_bb, .Lfunc_end105-_ZN9rocsolver6v33100L18getri_kernel_smallILi42EdPKPdEEvT1_iilPiilS6_bb
                                        ; -- End function
	.set _ZN9rocsolver6v33100L18getri_kernel_smallILi42EdPKPdEEvT1_iilPiilS6_bb.num_vgpr, 128
	.set _ZN9rocsolver6v33100L18getri_kernel_smallILi42EdPKPdEEvT1_iilPiilS6_bb.num_agpr, 0
	.set _ZN9rocsolver6v33100L18getri_kernel_smallILi42EdPKPdEEvT1_iilPiilS6_bb.numbered_sgpr, 19
	.set _ZN9rocsolver6v33100L18getri_kernel_smallILi42EdPKPdEEvT1_iilPiilS6_bb.num_named_barrier, 0
	.set _ZN9rocsolver6v33100L18getri_kernel_smallILi42EdPKPdEEvT1_iilPiilS6_bb.private_seg_size, 352
	.set _ZN9rocsolver6v33100L18getri_kernel_smallILi42EdPKPdEEvT1_iilPiilS6_bb.uses_vcc, 1
	.set _ZN9rocsolver6v33100L18getri_kernel_smallILi42EdPKPdEEvT1_iilPiilS6_bb.uses_flat_scratch, 1
	.set _ZN9rocsolver6v33100L18getri_kernel_smallILi42EdPKPdEEvT1_iilPiilS6_bb.has_dyn_sized_stack, 0
	.set _ZN9rocsolver6v33100L18getri_kernel_smallILi42EdPKPdEEvT1_iilPiilS6_bb.has_recursion, 0
	.set _ZN9rocsolver6v33100L18getri_kernel_smallILi42EdPKPdEEvT1_iilPiilS6_bb.has_indirect_call, 0
	.section	.AMDGPU.csdata,"",@progbits
; Kernel info:
; codeLenInByte = 37448
; TotalNumSgprs: 21
; NumVgprs: 128
; ScratchSize: 352
; MemoryBound: 0
; FloatMode: 240
; IeeeMode: 1
; LDSByteSize: 680 bytes/workgroup (compile time only)
; SGPRBlocks: 0
; VGPRBlocks: 7
; NumSGPRsForWavesPerEU: 21
; NumVGPRsForWavesPerEU: 128
; NamedBarCnt: 0
; Occupancy: 8
; WaveLimiterHint : 1
; COMPUTE_PGM_RSRC2:SCRATCH_EN: 1
; COMPUTE_PGM_RSRC2:USER_SGPR: 2
; COMPUTE_PGM_RSRC2:TRAP_HANDLER: 0
; COMPUTE_PGM_RSRC2:TGID_X_EN: 1
; COMPUTE_PGM_RSRC2:TGID_Y_EN: 0
; COMPUTE_PGM_RSRC2:TGID_Z_EN: 0
; COMPUTE_PGM_RSRC2:TIDIG_COMP_CNT: 0
	.section	.text._ZN9rocsolver6v33100L18getri_kernel_smallILi43EdPKPdEEvT1_iilPiilS6_bb,"axG",@progbits,_ZN9rocsolver6v33100L18getri_kernel_smallILi43EdPKPdEEvT1_iilPiilS6_bb,comdat
	.globl	_ZN9rocsolver6v33100L18getri_kernel_smallILi43EdPKPdEEvT1_iilPiilS6_bb ; -- Begin function _ZN9rocsolver6v33100L18getri_kernel_smallILi43EdPKPdEEvT1_iilPiilS6_bb
	.p2align	8
	.type	_ZN9rocsolver6v33100L18getri_kernel_smallILi43EdPKPdEEvT1_iilPiilS6_bb,@function
_ZN9rocsolver6v33100L18getri_kernel_smallILi43EdPKPdEEvT1_iilPiilS6_bb: ; @_ZN9rocsolver6v33100L18getri_kernel_smallILi43EdPKPdEEvT1_iilPiilS6_bb
; %bb.0:
	s_mov_b32 s2, exec_lo
	v_cmpx_gt_u32_e32 43, v0
	s_cbranch_execz .LBB106_182
; %bb.1:
	s_clause 0x1
	s_load_b32 s13, s[0:1], 0x38
	s_load_b64 s[2:3], s[0:1], 0x0
	s_getreg_b32 s6, hwreg(HW_REG_IB_STS2, 6, 4)
	s_wait_kmcnt 0x0
	s_bitcmp1_b32 s13, 8
	s_cselect_b32 s12, -1, 0
	s_bfe_u32 s4, ttmp6, 0x4000c
	s_and_b32 s5, ttmp6, 15
	s_add_co_i32 s4, s4, 1
	s_delay_alu instid0(SALU_CYCLE_1) | instskip(NEXT) | instid1(SALU_CYCLE_1)
	s_mul_i32 s4, ttmp9, s4
	s_add_co_i32 s5, s5, s4
	s_cmp_eq_u32 s6, 0
	s_cselect_b32 s10, ttmp9, s5
	s_load_b128 s[4:7], s[0:1], 0x28
	s_ashr_i32 s11, s10, 31
	s_delay_alu instid0(SALU_CYCLE_1) | instskip(NEXT) | instid1(SALU_CYCLE_1)
	s_lshl_b64 s[8:9], s[10:11], 3
	s_add_nc_u64 s[2:3], s[2:3], s[8:9]
	s_bfe_u32 s8, s13, 0x10008
	s_load_b64 s[2:3], s[2:3], 0x0
	s_cmp_eq_u32 s8, 0
                                        ; implicit-def: $sgpr8_sgpr9
	s_cbranch_scc1 .LBB106_3
; %bb.2:
	s_load_b96 s[16:18], s[0:1], 0x18
	s_wait_kmcnt 0x0
	s_mul_u64 s[4:5], s[4:5], s[10:11]
	s_delay_alu instid0(SALU_CYCLE_1) | instskip(SKIP_4) | instid1(SALU_CYCLE_1)
	s_lshl_b64 s[4:5], s[4:5], 2
	s_ashr_i32 s9, s18, 31
	s_mov_b32 s8, s18
	s_add_nc_u64 s[4:5], s[16:17], s[4:5]
	s_lshl_b64 s[8:9], s[8:9], 2
	s_add_nc_u64 s[8:9], s[4:5], s[8:9]
.LBB106_3:
	s_wait_kmcnt 0x0
	s_clause 0x1
	s_load_b64 s[4:5], s[0:1], 0x8
	s_load_b32 s13, s[0:1], 0x38
	v_dual_mov_b32 v3, 0 :: v_dual_lshlrev_b32 v2, 3, v0
	s_wait_kmcnt 0x0
	s_ashr_i32 s1, s4, 31
	s_mov_b32 s0, s4
	s_delay_alu instid0(SALU_CYCLE_1) | instskip(NEXT) | instid1(SALU_CYCLE_1)
	s_lshl_b64 s[0:1], s[0:1], 3
	s_add_nc_u64 s[2:3], s[2:3], s[0:1]
	s_ashr_i32 s1, s5, 31
	flat_load_b64 v[8:9], v0, s[2:3] scale_offset
	v_add_nc_u64_e32 v[4:5], s[2:3], v[2:3]
	s_mov_b32 s0, s5
	s_bitcmp0_b32 s13, 0
	s_delay_alu instid0(VALU_DEP_1)
	v_lshl_add_u64 v[6:7], s[0:1], 3, v[4:5]
	s_mov_b32 s1, -1
	s_wait_loadcnt_dscnt 0x0
	scratch_store_b64 off, v[8:9], off
	flat_load_b64 v[10:11], v[6:7]
	s_wait_xcnt 0x1
	v_add3_u32 v8, s5, s5, v0
	s_wait_loadcnt_dscnt 0x0
	scratch_store_b64 off, v[10:11], off offset:8
	flat_load_b64 v[12:13], v8, s[2:3] scale_offset
	s_wait_xcnt 0x1
	v_add_nc_u32_e32 v10, s5, v8
	s_wait_loadcnt_dscnt 0x0
	scratch_store_b64 off, v[12:13], off offset:16
	flat_load_b64 v[14:15], v10, s[2:3] scale_offset
	s_wait_xcnt 0x1
	v_add_nc_u32_e32 v12, s5, v10
	;; [unrolled: 5-line block ×40, first 2 shown]
	s_wait_loadcnt_dscnt 0x0
	scratch_store_b64 off, v[90:91], off offset:328
	flat_load_b64 v[90:91], v88, s[2:3] scale_offset
	s_wait_loadcnt_dscnt 0x0
	scratch_store_b64 off, v[90:91], off offset:336
	s_cbranch_scc1 .LBB106_180
; %bb.4:
	v_cmp_eq_u32_e64 s0, 0, v0
	s_wait_xcnt 0x0
	s_and_saveexec_b32 s1, s0
; %bb.5:
	v_mov_b32_e32 v1, 0
	ds_store_b32 v1, v1 offset:344
; %bb.6:
	s_or_b32 exec_lo, exec_lo, s1
	s_wait_storecnt_dscnt 0x0
	s_barrier_signal -1
	s_barrier_wait -1
	scratch_load_b64 v[90:91], v0, off scale_offset
	s_mov_b32 s4, exec_lo
	s_wait_loadcnt 0x0
	v_cmpx_eq_f64_e32 0, v[90:91]
	s_cbranch_execz .LBB106_10
; %bb.7:
	v_mov_b32_e32 v1, 0
	s_mov_b32 s5, 0
	ds_load_b32 v3, v1 offset:344
	s_wait_dscnt 0x0
	v_readfirstlane_b32 s1, v3
	v_add_nc_u32_e32 v3, 1, v0
	s_cmp_eq_u32 s1, 0
	s_delay_alu instid0(VALU_DEP_1) | instskip(SKIP_1) | instid1(SALU_CYCLE_1)
	v_cmp_gt_i32_e32 vcc_lo, s1, v3
	s_cselect_b32 s13, -1, 0
	s_or_b32 s13, s13, vcc_lo
	s_delay_alu instid0(SALU_CYCLE_1)
	s_and_b32 exec_lo, exec_lo, s13
	s_cbranch_execz .LBB106_10
; %bb.8:
	v_mov_b32_e32 v9, s1
.LBB106_9:                              ; =>This Inner Loop Header: Depth=1
	ds_cmpstore_rtn_b32 v9, v1, v3, v9 offset:344
	s_wait_dscnt 0x0
	v_cmp_ne_u32_e32 vcc_lo, 0, v9
	v_cmp_le_i32_e64 s1, v9, v3
	s_and_b32 s1, vcc_lo, s1
	s_delay_alu instid0(SALU_CYCLE_1) | instskip(NEXT) | instid1(SALU_CYCLE_1)
	s_and_b32 s1, exec_lo, s1
	s_or_b32 s5, s1, s5
	s_delay_alu instid0(SALU_CYCLE_1)
	s_and_not1_b32 exec_lo, exec_lo, s5
	s_cbranch_execnz .LBB106_9
.LBB106_10:
	s_or_b32 exec_lo, exec_lo, s4
	v_mov_b32_e32 v1, 0
	s_barrier_signal -1
	s_barrier_wait -1
	ds_load_b32 v3, v1 offset:344
	s_and_saveexec_b32 s1, s0
	s_cbranch_execz .LBB106_12
; %bb.11:
	s_lshl_b64 s[4:5], s[10:11], 2
	s_delay_alu instid0(SALU_CYCLE_1)
	s_add_nc_u64 s[4:5], s[6:7], s[4:5]
	s_wait_dscnt 0x0
	global_store_b32 v1, v3, s[4:5]
.LBB106_12:
	s_wait_xcnt 0x0
	s_or_b32 exec_lo, exec_lo, s1
	s_wait_dscnt 0x0
	v_cmp_ne_u32_e32 vcc_lo, 0, v3
	s_mov_b32 s1, 0
	s_cbranch_vccnz .LBB106_180
; %bb.13:
	v_lshl_add_u32 v3, v0, 3, 0
	v_add_nc_u32_e32 v1, 0x160, v2
	scratch_load_b64 v[90:91], v3, off
	s_wait_loadcnt 0x0
	v_div_scale_f64 v[92:93], null, v[90:91], v[90:91], 1.0
	v_div_scale_f64 v[98:99], vcc_lo, 1.0, v[90:91], 1.0
	s_delay_alu instid0(VALU_DEP_2) | instskip(SKIP_1) | instid1(TRANS32_DEP_1)
	v_rcp_f64_e32 v[94:95], v[92:93]
	v_nop
	v_fma_f64 v[96:97], -v[92:93], v[94:95], 1.0
	s_delay_alu instid0(VALU_DEP_1) | instskip(NEXT) | instid1(VALU_DEP_1)
	v_fmac_f64_e32 v[94:95], v[94:95], v[96:97]
	v_fma_f64 v[96:97], -v[92:93], v[94:95], 1.0
	s_delay_alu instid0(VALU_DEP_1) | instskip(NEXT) | instid1(VALU_DEP_1)
	v_fmac_f64_e32 v[94:95], v[94:95], v[96:97]
	v_mul_f64_e32 v[96:97], v[98:99], v[94:95]
	s_delay_alu instid0(VALU_DEP_1) | instskip(NEXT) | instid1(VALU_DEP_1)
	v_fma_f64 v[92:93], -v[92:93], v[96:97], v[98:99]
	v_div_fmas_f64 v[92:93], v[92:93], v[94:95], v[96:97]
	s_delay_alu instid0(VALU_DEP_1)
	v_div_fixup_f64 v[90:91], v[92:93], v[90:91], 1.0
	scratch_store_b64 v3, v[90:91], off
	scratch_load_b64 v[92:93], off, off offset:8
	s_wait_xcnt 0x1
	v_xor_b32_e32 v91, 0x80000000, v91
	s_wait_loadcnt 0x0
	ds_store_2addr_b64 v2, v[90:91], v[92:93] offset1:44
	s_wait_storecnt_dscnt 0x0
	s_barrier_signal -1
	s_barrier_wait -1
	s_wait_xcnt 0x0
	s_and_saveexec_b32 s1, s0
	s_cbranch_execz .LBB106_15
; %bb.14:
	scratch_load_b64 v[90:91], v3, off
	ds_load_b64 v[92:93], v1
	s_wait_loadcnt_dscnt 0x0
	v_fma_f64 v[90:91], v[90:91], v[92:93], 0
	v_mov_b32_e32 v9, 0
	ds_load_b64 v[94:95], v9 offset:8
	s_wait_dscnt 0x0
	v_mul_f64_e32 v[90:91], v[90:91], v[94:95]
	scratch_store_b64 off, v[90:91], off offset:8
.LBB106_15:
	s_wait_xcnt 0x0
	s_or_b32 exec_lo, exec_lo, s1
	s_wait_storecnt 0x0
	s_barrier_signal -1
	s_barrier_wait -1
	scratch_load_b64 v[90:91], off, off offset:16
	s_mov_b32 s1, exec_lo
	s_wait_loadcnt 0x0
	ds_store_b64 v1, v[90:91]
	s_wait_dscnt 0x0
	s_barrier_signal -1
	s_barrier_wait -1
	v_cmpx_gt_u32_e32 2, v0
	s_cbranch_execz .LBB106_19
; %bb.16:
	scratch_load_b64 v[90:91], v3, off
	ds_load_b64 v[92:93], v1
	s_wait_loadcnt_dscnt 0x0
	v_fma_f64 v[90:91], v[90:91], v[92:93], 0
	s_and_saveexec_b32 s4, s0
	s_cbranch_execz .LBB106_18
; %bb.17:
	scratch_load_b64 v[92:93], off, off offset:8
	v_mov_b32_e32 v3, 0
	ds_load_b64 v[94:95], v3 offset:360
	s_wait_loadcnt_dscnt 0x0
	v_fmac_f64_e32 v[90:91], v[92:93], v[94:95]
.LBB106_18:
	s_or_b32 exec_lo, exec_lo, s4
	v_mov_b32_e32 v3, 0
	ds_load_b64 v[92:93], v3 offset:16
	s_wait_dscnt 0x0
	v_mul_f64_e32 v[90:91], v[90:91], v[92:93]
	scratch_store_b64 off, v[90:91], off offset:16
.LBB106_19:
	s_wait_xcnt 0x0
	s_or_b32 exec_lo, exec_lo, s1
	s_wait_storecnt 0x0
	s_barrier_signal -1
	s_barrier_wait -1
	scratch_load_b64 v[90:91], off, off offset:24
	v_add_nc_u32_e32 v3, -1, v0
	s_mov_b32 s0, exec_lo
	s_wait_loadcnt 0x0
	ds_store_b64 v1, v[90:91]
	s_wait_dscnt 0x0
	s_barrier_signal -1
	s_barrier_wait -1
	v_cmpx_gt_u32_e32 3, v0
	s_cbranch_execz .LBB106_23
; %bb.20:
	v_mov_b64_e32 v[90:91], 0
	v_dual_add_nc_u32 v9, -1, v0 :: v_dual_mov_b32 v13, v2
	v_add_nc_u32_e32 v11, 0x160, v2
	s_mov_b32 s1, 0
.LBB106_21:                             ; =>This Inner Loop Header: Depth=1
	scratch_load_b64 v[92:93], v13, off
	ds_load_b64 v[94:95], v11
	v_dual_add_nc_u32 v9, 1, v9 :: v_dual_add_nc_u32 v11, 8, v11
	s_wait_xcnt 0x0
	v_add_nc_u32_e32 v13, 8, v13
	s_delay_alu instid0(VALU_DEP_2)
	v_cmp_lt_u32_e32 vcc_lo, 1, v9
	s_or_b32 s1, vcc_lo, s1
	s_wait_loadcnt_dscnt 0x0
	v_fmac_f64_e32 v[90:91], v[92:93], v[94:95]
	s_and_not1_b32 exec_lo, exec_lo, s1
	s_cbranch_execnz .LBB106_21
; %bb.22:
	s_or_b32 exec_lo, exec_lo, s1
	v_mov_b32_e32 v9, 0
	ds_load_b64 v[92:93], v9 offset:24
	s_wait_dscnt 0x0
	v_mul_f64_e32 v[90:91], v[90:91], v[92:93]
	scratch_store_b64 off, v[90:91], off offset:24
.LBB106_23:
	s_wait_xcnt 0x0
	s_or_b32 exec_lo, exec_lo, s0
	s_wait_storecnt 0x0
	s_barrier_signal -1
	s_barrier_wait -1
	scratch_load_b64 v[90:91], off, off offset:32
	s_mov_b32 s0, exec_lo
	s_wait_loadcnt 0x0
	ds_store_b64 v1, v[90:91]
	s_wait_dscnt 0x0
	s_barrier_signal -1
	s_barrier_wait -1
	v_cmpx_gt_u32_e32 4, v0
	s_cbranch_execz .LBB106_27
; %bb.24:
	v_mov_b64_e32 v[90:91], 0
	v_dual_add_nc_u32 v9, -1, v0 :: v_dual_mov_b32 v13, v2
	v_add_nc_u32_e32 v11, 0x160, v2
	s_mov_b32 s1, 0
.LBB106_25:                             ; =>This Inner Loop Header: Depth=1
	scratch_load_b64 v[92:93], v13, off
	ds_load_b64 v[94:95], v11
	v_dual_add_nc_u32 v9, 1, v9 :: v_dual_add_nc_u32 v11, 8, v11
	s_wait_xcnt 0x0
	v_add_nc_u32_e32 v13, 8, v13
	s_delay_alu instid0(VALU_DEP_2)
	v_cmp_lt_u32_e32 vcc_lo, 2, v9
	s_or_b32 s1, vcc_lo, s1
	s_wait_loadcnt_dscnt 0x0
	v_fmac_f64_e32 v[90:91], v[92:93], v[94:95]
	s_and_not1_b32 exec_lo, exec_lo, s1
	s_cbranch_execnz .LBB106_25
; %bb.26:
	s_or_b32 exec_lo, exec_lo, s1
	v_mov_b32_e32 v9, 0
	ds_load_b64 v[92:93], v9 offset:32
	s_wait_dscnt 0x0
	v_mul_f64_e32 v[90:91], v[90:91], v[92:93]
	scratch_store_b64 off, v[90:91], off offset:32
.LBB106_27:
	s_wait_xcnt 0x0
	s_or_b32 exec_lo, exec_lo, s0
	s_wait_storecnt 0x0
	s_barrier_signal -1
	s_barrier_wait -1
	scratch_load_b64 v[90:91], off, off offset:40
	;; [unrolled: 40-line block ×20, first 2 shown]
	s_mov_b32 s0, exec_lo
	s_wait_loadcnt 0x0
	ds_store_b64 v1, v[90:91]
	s_wait_dscnt 0x0
	s_barrier_signal -1
	s_barrier_wait -1
	v_cmpx_gt_u32_e32 23, v0
	s_cbranch_execz .LBB106_103
; %bb.100:
	v_mov_b64_e32 v[90:91], 0
	v_dual_add_nc_u32 v9, -1, v0 :: v_dual_mov_b32 v13, v2
	v_add_nc_u32_e32 v11, 0x160, v2
	s_mov_b32 s1, 0
.LBB106_101:                            ; =>This Inner Loop Header: Depth=1
	scratch_load_b64 v[92:93], v13, off
	ds_load_b64 v[94:95], v11
	v_dual_add_nc_u32 v9, 1, v9 :: v_dual_add_nc_u32 v11, 8, v11
	s_wait_xcnt 0x0
	v_add_nc_u32_e32 v13, 8, v13
	s_delay_alu instid0(VALU_DEP_2)
	v_cmp_lt_u32_e32 vcc_lo, 21, v9
	s_or_b32 s1, vcc_lo, s1
	s_wait_loadcnt_dscnt 0x0
	v_fmac_f64_e32 v[90:91], v[92:93], v[94:95]
	s_and_not1_b32 exec_lo, exec_lo, s1
	s_cbranch_execnz .LBB106_101
; %bb.102:
	s_or_b32 exec_lo, exec_lo, s1
	v_mov_b32_e32 v9, 0
	ds_load_b64 v[92:93], v9 offset:184
	s_wait_dscnt 0x0
	v_mul_f64_e32 v[90:91], v[90:91], v[92:93]
	scratch_store_b64 off, v[90:91], off offset:184
.LBB106_103:
	s_wait_xcnt 0x0
	s_or_b32 exec_lo, exec_lo, s0
	s_wait_storecnt 0x0
	s_barrier_signal -1
	s_barrier_wait -1
	scratch_load_b64 v[90:91], off, off offset:192
	s_mov_b32 s0, exec_lo
	s_wait_loadcnt 0x0
	ds_store_b64 v1, v[90:91]
	s_wait_dscnt 0x0
	s_barrier_signal -1
	s_barrier_wait -1
	v_cmpx_gt_u32_e32 24, v0
	s_cbranch_execz .LBB106_107
; %bb.104:
	v_mov_b64_e32 v[90:91], 0
	v_dual_add_nc_u32 v9, -1, v0 :: v_dual_mov_b32 v13, v2
	v_add_nc_u32_e32 v11, 0x160, v2
	s_mov_b32 s1, 0
.LBB106_105:                            ; =>This Inner Loop Header: Depth=1
	scratch_load_b64 v[92:93], v13, off
	ds_load_b64 v[94:95], v11
	v_dual_add_nc_u32 v9, 1, v9 :: v_dual_add_nc_u32 v11, 8, v11
	s_wait_xcnt 0x0
	v_add_nc_u32_e32 v13, 8, v13
	s_delay_alu instid0(VALU_DEP_2)
	v_cmp_lt_u32_e32 vcc_lo, 22, v9
	s_or_b32 s1, vcc_lo, s1
	s_wait_loadcnt_dscnt 0x0
	v_fmac_f64_e32 v[90:91], v[92:93], v[94:95]
	s_and_not1_b32 exec_lo, exec_lo, s1
	s_cbranch_execnz .LBB106_105
; %bb.106:
	s_or_b32 exec_lo, exec_lo, s1
	v_mov_b32_e32 v9, 0
	ds_load_b64 v[92:93], v9 offset:192
	s_wait_dscnt 0x0
	v_mul_f64_e32 v[90:91], v[90:91], v[92:93]
	scratch_store_b64 off, v[90:91], off offset:192
.LBB106_107:
	s_wait_xcnt 0x0
	s_or_b32 exec_lo, exec_lo, s0
	s_wait_storecnt 0x0
	s_barrier_signal -1
	s_barrier_wait -1
	scratch_load_b64 v[90:91], off, off offset:200
	;; [unrolled: 40-line block ×19, first 2 shown]
	s_mov_b32 s0, exec_lo
	s_wait_loadcnt 0x0
	ds_store_b64 v1, v[90:91]
	s_wait_dscnt 0x0
	s_barrier_signal -1
	s_barrier_wait -1
	v_cmpx_ne_u32_e32 42, v0
	s_cbranch_execz .LBB106_179
; %bb.176:
	v_mov_b64_e32 v[90:91], 0
	s_mov_b32 s1, 0
.LBB106_177:                            ; =>This Inner Loop Header: Depth=1
	scratch_load_b64 v[92:93], v2, off
	ds_load_b64 v[94:95], v1
	v_dual_add_nc_u32 v3, 1, v3 :: v_dual_add_nc_u32 v1, 8, v1
	s_wait_xcnt 0x0
	v_add_nc_u32_e32 v2, 8, v2
	s_delay_alu instid0(VALU_DEP_2)
	v_cmp_lt_u32_e32 vcc_lo, 40, v3
	s_or_b32 s1, vcc_lo, s1
	s_wait_loadcnt_dscnt 0x0
	v_fmac_f64_e32 v[90:91], v[92:93], v[94:95]
	s_and_not1_b32 exec_lo, exec_lo, s1
	s_cbranch_execnz .LBB106_177
; %bb.178:
	s_or_b32 exec_lo, exec_lo, s1
	v_mov_b32_e32 v1, 0
	ds_load_b64 v[2:3], v1 offset:336
	s_wait_dscnt 0x0
	v_mul_f64_e32 v[2:3], v[90:91], v[2:3]
	scratch_store_b64 off, v[2:3], off offset:336
.LBB106_179:
	s_wait_xcnt 0x0
	s_or_b32 exec_lo, exec_lo, s0
	s_mov_b32 s1, -1
	s_wait_storecnt 0x0
	s_barrier_signal -1
	s_barrier_wait -1
.LBB106_180:
	s_and_b32 vcc_lo, exec_lo, s1
	s_cbranch_vccz .LBB106_182
; %bb.181:
	v_mov_b32_e32 v1, 0
	s_lshl_b64 s[0:1], s[10:11], 2
	s_delay_alu instid0(SALU_CYCLE_1)
	s_add_nc_u64 s[0:1], s[6:7], s[0:1]
	global_load_b32 v1, v1, s[0:1]
	s_wait_loadcnt 0x0
	v_cmp_ne_u32_e32 vcc_lo, 0, v1
	s_cbranch_vccz .LBB106_183
.LBB106_182:
	s_sendmsg sendmsg(MSG_DEALLOC_VGPRS)
	s_endpgm
.LBB106_183:
	s_wait_xcnt 0x0
	v_lshl_add_u32 v1, v0, 3, 0x160
	s_mov_b32 s0, exec_lo
	v_cmpx_eq_u32_e32 42, v0
	s_cbranch_execz .LBB106_185
; %bb.184:
	scratch_load_b64 v[2:3], off, off offset:328
	v_mov_b64_e32 v[90:91], 0
	scratch_store_b64 off, v[90:91], off offset:328
	s_wait_loadcnt 0x0
	ds_store_b64 v1, v[2:3]
.LBB106_185:
	s_wait_xcnt 0x0
	s_or_b32 exec_lo, exec_lo, s0
	s_wait_storecnt_dscnt 0x0
	s_barrier_signal -1
	s_barrier_wait -1
	scratch_load_b128 v[90:93], off, off offset:328
	v_mov_b32_e32 v2, 0
	s_mov_b32 s0, exec_lo
	ds_load_b64 v[94:95], v2 offset:688
	s_wait_loadcnt_dscnt 0x0
	v_fma_f64 v[92:93], v[92:93], v[94:95], 0
	s_delay_alu instid0(VALU_DEP_1)
	v_add_f64_e64 v[90:91], v[90:91], -v[92:93]
	scratch_store_b64 off, v[90:91], off offset:328
	s_wait_xcnt 0x0
	v_cmpx_lt_u32_e32 40, v0
	s_cbranch_execz .LBB106_187
; %bb.186:
	scratch_load_b64 v[90:91], off, off offset:320
	v_mov_b64_e32 v[92:93], 0
	scratch_store_b64 off, v[92:93], off offset:320
	s_wait_loadcnt 0x0
	ds_store_b64 v1, v[90:91]
.LBB106_187:
	s_wait_xcnt 0x0
	s_or_b32 exec_lo, exec_lo, s0
	s_wait_storecnt_dscnt 0x0
	s_barrier_signal -1
	s_barrier_wait -1
	s_clause 0x1
	scratch_load_b128 v[90:93], off, off offset:320
	scratch_load_b64 v[98:99], off, off offset:336
	ds_load_2addr_b64 v[94:97], v2 offset0:85 offset1:86
	s_mov_b32 s0, exec_lo
	s_wait_loadcnt_dscnt 0x100
	v_fma_f64 v[2:3], v[92:93], v[94:95], 0
	s_wait_loadcnt 0x0
	s_delay_alu instid0(VALU_DEP_1) | instskip(NEXT) | instid1(VALU_DEP_1)
	v_fmac_f64_e32 v[2:3], v[98:99], v[96:97]
	v_add_f64_e64 v[2:3], v[90:91], -v[2:3]
	scratch_store_b64 off, v[2:3], off offset:320
	s_wait_xcnt 0x0
	v_cmpx_lt_u32_e32 39, v0
	s_cbranch_execz .LBB106_189
; %bb.188:
	scratch_load_b64 v[2:3], off, off offset:312
	v_mov_b64_e32 v[90:91], 0
	scratch_store_b64 off, v[90:91], off offset:312
	s_wait_loadcnt 0x0
	ds_store_b64 v1, v[2:3]
.LBB106_189:
	s_wait_xcnt 0x0
	s_or_b32 exec_lo, exec_lo, s0
	s_wait_storecnt_dscnt 0x0
	s_barrier_signal -1
	s_barrier_wait -1
	s_clause 0x1
	scratch_load_b128 v[90:93], off, off offset:312
	scratch_load_b128 v[94:97], off, off offset:328
	v_mov_b32_e32 v2, 0
	ds_load_b128 v[98:101], v2 offset:672
	ds_load_b64 v[102:103], v2 offset:688
	s_mov_b32 s0, exec_lo
	s_wait_loadcnt_dscnt 0x101
	v_fma_f64 v[92:93], v[92:93], v[98:99], 0
	s_wait_loadcnt 0x0
	s_delay_alu instid0(VALU_DEP_1) | instskip(SKIP_1) | instid1(VALU_DEP_1)
	v_fmac_f64_e32 v[92:93], v[94:95], v[100:101]
	s_wait_dscnt 0x0
	v_fmac_f64_e32 v[92:93], v[96:97], v[102:103]
	s_delay_alu instid0(VALU_DEP_1)
	v_add_f64_e64 v[90:91], v[90:91], -v[92:93]
	scratch_store_b64 off, v[90:91], off offset:312
	s_wait_xcnt 0x0
	v_cmpx_lt_u32_e32 38, v0
	s_cbranch_execz .LBB106_191
; %bb.190:
	scratch_load_b64 v[90:91], off, off offset:304
	v_mov_b64_e32 v[92:93], 0
	scratch_store_b64 off, v[92:93], off offset:304
	s_wait_loadcnt 0x0
	ds_store_b64 v1, v[90:91]
.LBB106_191:
	s_wait_xcnt 0x0
	s_or_b32 exec_lo, exec_lo, s0
	s_wait_storecnt_dscnt 0x0
	s_barrier_signal -1
	s_barrier_wait -1
	s_clause 0x2
	scratch_load_b128 v[90:93], off, off offset:304
	scratch_load_b128 v[94:97], off, off offset:320
	scratch_load_b64 v[106:107], off, off offset:336
	ds_load_2addr_b64 v[98:101], v2 offset0:83 offset1:84
	ds_load_2addr_b64 v[102:105], v2 offset0:85 offset1:86
	s_mov_b32 s0, exec_lo
	s_wait_loadcnt_dscnt 0x201
	v_fma_f64 v[2:3], v[92:93], v[98:99], 0
	s_wait_loadcnt 0x1
	s_delay_alu instid0(VALU_DEP_1) | instskip(SKIP_1) | instid1(VALU_DEP_1)
	v_fmac_f64_e32 v[2:3], v[94:95], v[100:101]
	s_wait_dscnt 0x0
	v_fmac_f64_e32 v[2:3], v[96:97], v[102:103]
	s_wait_loadcnt 0x0
	s_delay_alu instid0(VALU_DEP_1) | instskip(NEXT) | instid1(VALU_DEP_1)
	v_fmac_f64_e32 v[2:3], v[106:107], v[104:105]
	v_add_f64_e64 v[2:3], v[90:91], -v[2:3]
	scratch_store_b64 off, v[2:3], off offset:304
	s_wait_xcnt 0x0
	v_cmpx_lt_u32_e32 37, v0
	s_cbranch_execz .LBB106_193
; %bb.192:
	scratch_load_b64 v[2:3], off, off offset:296
	v_mov_b64_e32 v[90:91], 0
	scratch_store_b64 off, v[90:91], off offset:296
	s_wait_loadcnt 0x0
	ds_store_b64 v1, v[2:3]
.LBB106_193:
	s_wait_xcnt 0x0
	s_or_b32 exec_lo, exec_lo, s0
	s_wait_storecnt_dscnt 0x0
	s_barrier_signal -1
	s_barrier_wait -1
	s_clause 0x2
	scratch_load_b128 v[90:93], off, off offset:296
	scratch_load_b128 v[94:97], off, off offset:312
	;; [unrolled: 1-line block ×3, first 2 shown]
	v_mov_b32_e32 v2, 0
	ds_load_b128 v[102:105], v2 offset:656
	ds_load_b128 v[106:109], v2 offset:672
	s_mov_b32 s0, exec_lo
	s_wait_loadcnt_dscnt 0x201
	v_fma_f64 v[92:93], v[92:93], v[102:103], 0
	s_wait_loadcnt 0x1
	s_delay_alu instid0(VALU_DEP_1) | instskip(SKIP_4) | instid1(VALU_DEP_1)
	v_fmac_f64_e32 v[92:93], v[94:95], v[104:105]
	ds_load_b64 v[94:95], v2 offset:688
	s_wait_dscnt 0x1
	v_fmac_f64_e32 v[92:93], v[96:97], v[106:107]
	s_wait_loadcnt 0x0
	v_fmac_f64_e32 v[92:93], v[98:99], v[108:109]
	s_wait_dscnt 0x0
	s_delay_alu instid0(VALU_DEP_1) | instskip(NEXT) | instid1(VALU_DEP_1)
	v_fmac_f64_e32 v[92:93], v[100:101], v[94:95]
	v_add_f64_e64 v[90:91], v[90:91], -v[92:93]
	scratch_store_b64 off, v[90:91], off offset:296
	s_wait_xcnt 0x0
	v_cmpx_lt_u32_e32 36, v0
	s_cbranch_execz .LBB106_195
; %bb.194:
	scratch_load_b64 v[90:91], off, off offset:288
	v_mov_b64_e32 v[92:93], 0
	scratch_store_b64 off, v[92:93], off offset:288
	s_wait_loadcnt 0x0
	ds_store_b64 v1, v[90:91]
.LBB106_195:
	s_wait_xcnt 0x0
	s_or_b32 exec_lo, exec_lo, s0
	s_wait_storecnt_dscnt 0x0
	s_barrier_signal -1
	s_barrier_wait -1
	s_clause 0x3
	scratch_load_b128 v[90:93], off, off offset:288
	scratch_load_b128 v[94:97], off, off offset:304
	;; [unrolled: 1-line block ×3, first 2 shown]
	scratch_load_b64 v[110:111], off, off offset:336
	ds_load_2addr_b64 v[102:105], v2 offset0:81 offset1:82
	ds_load_2addr_b64 v[106:109], v2 offset0:83 offset1:84
	s_mov_b32 s0, exec_lo
	s_wait_loadcnt_dscnt 0x301
	v_fma_f64 v[102:103], v[92:93], v[102:103], 0
	s_wait_loadcnt 0x2
	s_delay_alu instid0(VALU_DEP_1) | instskip(SKIP_4) | instid1(VALU_DEP_1)
	v_fmac_f64_e32 v[102:103], v[94:95], v[104:105]
	ds_load_2addr_b64 v[92:95], v2 offset0:85 offset1:86
	s_wait_dscnt 0x1
	v_fmac_f64_e32 v[102:103], v[96:97], v[106:107]
	s_wait_loadcnt 0x1
	v_fmac_f64_e32 v[102:103], v[98:99], v[108:109]
	s_wait_dscnt 0x0
	s_delay_alu instid0(VALU_DEP_1) | instskip(SKIP_1) | instid1(VALU_DEP_1)
	v_fmac_f64_e32 v[102:103], v[100:101], v[92:93]
	s_wait_loadcnt 0x0
	v_fmac_f64_e32 v[102:103], v[110:111], v[94:95]
	s_delay_alu instid0(VALU_DEP_1)
	v_add_f64_e64 v[2:3], v[90:91], -v[102:103]
	scratch_store_b64 off, v[2:3], off offset:288
	s_wait_xcnt 0x0
	v_cmpx_lt_u32_e32 35, v0
	s_cbranch_execz .LBB106_197
; %bb.196:
	scratch_load_b64 v[2:3], off, off offset:280
	v_mov_b64_e32 v[90:91], 0
	scratch_store_b64 off, v[90:91], off offset:280
	s_wait_loadcnt 0x0
	ds_store_b64 v1, v[2:3]
.LBB106_197:
	s_wait_xcnt 0x0
	s_or_b32 exec_lo, exec_lo, s0
	s_wait_storecnt_dscnt 0x0
	s_barrier_signal -1
	s_barrier_wait -1
	s_clause 0x3
	scratch_load_b128 v[90:93], off, off offset:280
	scratch_load_b128 v[94:97], off, off offset:296
	;; [unrolled: 1-line block ×4, first 2 shown]
	v_mov_b32_e32 v2, 0
	ds_load_b128 v[106:109], v2 offset:640
	ds_load_b128 v[110:113], v2 offset:656
	s_mov_b32 s0, exec_lo
	s_wait_loadcnt_dscnt 0x301
	v_fma_f64 v[106:107], v[92:93], v[106:107], 0
	s_wait_loadcnt 0x2
	s_delay_alu instid0(VALU_DEP_1) | instskip(SKIP_1) | instid1(VALU_DEP_1)
	v_fmac_f64_e32 v[106:107], v[94:95], v[108:109]
	s_wait_dscnt 0x0
	v_fmac_f64_e32 v[106:107], v[96:97], v[110:111]
	ds_load_b128 v[92:95], v2 offset:672
	ds_load_b64 v[96:97], v2 offset:688
	s_wait_loadcnt 0x1
	v_fmac_f64_e32 v[106:107], v[98:99], v[112:113]
	s_wait_dscnt 0x1
	s_delay_alu instid0(VALU_DEP_1) | instskip(SKIP_1) | instid1(VALU_DEP_1)
	v_fmac_f64_e32 v[106:107], v[100:101], v[92:93]
	s_wait_loadcnt 0x0
	v_fmac_f64_e32 v[106:107], v[102:103], v[94:95]
	s_wait_dscnt 0x0
	s_delay_alu instid0(VALU_DEP_1) | instskip(NEXT) | instid1(VALU_DEP_1)
	v_fmac_f64_e32 v[106:107], v[104:105], v[96:97]
	v_add_f64_e64 v[90:91], v[90:91], -v[106:107]
	scratch_store_b64 off, v[90:91], off offset:280
	s_wait_xcnt 0x0
	v_cmpx_lt_u32_e32 34, v0
	s_cbranch_execz .LBB106_199
; %bb.198:
	scratch_load_b64 v[90:91], off, off offset:272
	v_mov_b64_e32 v[92:93], 0
	scratch_store_b64 off, v[92:93], off offset:272
	s_wait_loadcnt 0x0
	ds_store_b64 v1, v[90:91]
.LBB106_199:
	s_wait_xcnt 0x0
	s_or_b32 exec_lo, exec_lo, s0
	s_wait_storecnt_dscnt 0x0
	s_barrier_signal -1
	s_barrier_wait -1
	s_clause 0x4
	scratch_load_b128 v[90:93], off, off offset:272
	scratch_load_b128 v[94:97], off, off offset:288
	scratch_load_b128 v[98:101], off, off offset:304
	scratch_load_b128 v[102:105], off, off offset:320
	scratch_load_b64 v[114:115], off, off offset:336
	ds_load_2addr_b64 v[106:109], v2 offset0:79 offset1:80
	ds_load_2addr_b64 v[110:113], v2 offset0:81 offset1:82
	s_mov_b32 s0, exec_lo
	s_wait_loadcnt_dscnt 0x401
	v_fma_f64 v[106:107], v[92:93], v[106:107], 0
	s_wait_loadcnt 0x3
	s_delay_alu instid0(VALU_DEP_1) | instskip(SKIP_1) | instid1(VALU_DEP_1)
	v_fmac_f64_e32 v[106:107], v[94:95], v[108:109]
	s_wait_dscnt 0x0
	v_fmac_f64_e32 v[106:107], v[96:97], v[110:111]
	s_wait_loadcnt 0x2
	s_delay_alu instid0(VALU_DEP_1)
	v_fmac_f64_e32 v[106:107], v[98:99], v[112:113]
	ds_load_2addr_b64 v[92:95], v2 offset0:83 offset1:84
	ds_load_2addr_b64 v[96:99], v2 offset0:85 offset1:86
	s_wait_dscnt 0x1
	v_fmac_f64_e32 v[106:107], v[100:101], v[92:93]
	s_wait_loadcnt 0x1
	s_delay_alu instid0(VALU_DEP_1) | instskip(SKIP_1) | instid1(VALU_DEP_1)
	v_fmac_f64_e32 v[106:107], v[102:103], v[94:95]
	s_wait_dscnt 0x0
	v_fmac_f64_e32 v[106:107], v[104:105], v[96:97]
	s_wait_loadcnt 0x0
	s_delay_alu instid0(VALU_DEP_1) | instskip(NEXT) | instid1(VALU_DEP_1)
	v_fmac_f64_e32 v[106:107], v[114:115], v[98:99]
	v_add_f64_e64 v[2:3], v[90:91], -v[106:107]
	scratch_store_b64 off, v[2:3], off offset:272
	s_wait_xcnt 0x0
	v_cmpx_lt_u32_e32 33, v0
	s_cbranch_execz .LBB106_201
; %bb.200:
	scratch_load_b64 v[2:3], off, off offset:264
	v_mov_b64_e32 v[90:91], 0
	scratch_store_b64 off, v[90:91], off offset:264
	s_wait_loadcnt 0x0
	ds_store_b64 v1, v[2:3]
.LBB106_201:
	s_wait_xcnt 0x0
	s_or_b32 exec_lo, exec_lo, s0
	s_wait_storecnt_dscnt 0x0
	s_barrier_signal -1
	s_barrier_wait -1
	s_clause 0x4
	scratch_load_b128 v[90:93], off, off offset:264
	scratch_load_b128 v[94:97], off, off offset:280
	;; [unrolled: 1-line block ×5, first 2 shown]
	v_mov_b32_e32 v2, 0
	ds_load_b128 v[110:113], v2 offset:624
	ds_load_b128 v[114:117], v2 offset:640
	s_mov_b32 s0, exec_lo
	s_wait_loadcnt_dscnt 0x401
	v_fma_f64 v[110:111], v[92:93], v[110:111], 0
	s_wait_loadcnt 0x3
	s_delay_alu instid0(VALU_DEP_1) | instskip(SKIP_1) | instid1(VALU_DEP_1)
	v_fmac_f64_e32 v[110:111], v[94:95], v[112:113]
	s_wait_dscnt 0x0
	v_fmac_f64_e32 v[110:111], v[96:97], v[114:115]
	s_wait_loadcnt 0x2
	s_delay_alu instid0(VALU_DEP_1)
	v_fmac_f64_e32 v[110:111], v[98:99], v[116:117]
	ds_load_b128 v[92:95], v2 offset:656
	ds_load_b128 v[96:99], v2 offset:672
	s_wait_dscnt 0x1
	v_fmac_f64_e32 v[110:111], v[100:101], v[92:93]
	ds_load_b64 v[92:93], v2 offset:688
	s_wait_loadcnt 0x1
	v_fmac_f64_e32 v[110:111], v[102:103], v[94:95]
	s_wait_dscnt 0x1
	s_delay_alu instid0(VALU_DEP_1) | instskip(SKIP_1) | instid1(VALU_DEP_1)
	v_fmac_f64_e32 v[110:111], v[104:105], v[96:97]
	s_wait_loadcnt 0x0
	v_fmac_f64_e32 v[110:111], v[106:107], v[98:99]
	s_wait_dscnt 0x0
	s_delay_alu instid0(VALU_DEP_1) | instskip(NEXT) | instid1(VALU_DEP_1)
	v_fmac_f64_e32 v[110:111], v[108:109], v[92:93]
	v_add_f64_e64 v[90:91], v[90:91], -v[110:111]
	scratch_store_b64 off, v[90:91], off offset:264
	s_wait_xcnt 0x0
	v_cmpx_lt_u32_e32 32, v0
	s_cbranch_execz .LBB106_203
; %bb.202:
	scratch_load_b64 v[90:91], off, off offset:256
	v_mov_b64_e32 v[92:93], 0
	scratch_store_b64 off, v[92:93], off offset:256
	s_wait_loadcnt 0x0
	ds_store_b64 v1, v[90:91]
.LBB106_203:
	s_wait_xcnt 0x0
	s_or_b32 exec_lo, exec_lo, s0
	s_wait_storecnt_dscnt 0x0
	s_barrier_signal -1
	s_barrier_wait -1
	s_clause 0x5
	scratch_load_b128 v[90:93], off, off offset:256
	scratch_load_b128 v[94:97], off, off offset:272
	;; [unrolled: 1-line block ×5, first 2 shown]
	scratch_load_b64 v[118:119], off, off offset:336
	ds_load_2addr_b64 v[110:113], v2 offset0:77 offset1:78
	ds_load_2addr_b64 v[114:117], v2 offset0:79 offset1:80
	s_mov_b32 s0, exec_lo
	s_wait_loadcnt_dscnt 0x501
	v_fma_f64 v[110:111], v[92:93], v[110:111], 0
	s_wait_loadcnt 0x4
	s_delay_alu instid0(VALU_DEP_1) | instskip(SKIP_1) | instid1(VALU_DEP_1)
	v_fmac_f64_e32 v[110:111], v[94:95], v[112:113]
	s_wait_dscnt 0x0
	v_fmac_f64_e32 v[110:111], v[96:97], v[114:115]
	s_wait_loadcnt 0x3
	s_delay_alu instid0(VALU_DEP_1)
	v_fmac_f64_e32 v[110:111], v[98:99], v[116:117]
	ds_load_2addr_b64 v[92:95], v2 offset0:81 offset1:82
	ds_load_2addr_b64 v[96:99], v2 offset0:83 offset1:84
	s_wait_dscnt 0x1
	v_fmac_f64_e32 v[110:111], v[100:101], v[92:93]
	s_wait_loadcnt 0x2
	s_delay_alu instid0(VALU_DEP_1) | instskip(SKIP_4) | instid1(VALU_DEP_1)
	v_fmac_f64_e32 v[110:111], v[102:103], v[94:95]
	ds_load_2addr_b64 v[92:95], v2 offset0:85 offset1:86
	s_wait_dscnt 0x1
	v_fmac_f64_e32 v[110:111], v[104:105], v[96:97]
	s_wait_loadcnt 0x1
	v_fmac_f64_e32 v[110:111], v[106:107], v[98:99]
	s_wait_dscnt 0x0
	s_delay_alu instid0(VALU_DEP_1) | instskip(SKIP_1) | instid1(VALU_DEP_1)
	v_fmac_f64_e32 v[110:111], v[108:109], v[92:93]
	s_wait_loadcnt 0x0
	v_fmac_f64_e32 v[110:111], v[118:119], v[94:95]
	s_delay_alu instid0(VALU_DEP_1)
	v_add_f64_e64 v[2:3], v[90:91], -v[110:111]
	scratch_store_b64 off, v[2:3], off offset:256
	s_wait_xcnt 0x0
	v_cmpx_lt_u32_e32 31, v0
	s_cbranch_execz .LBB106_205
; %bb.204:
	scratch_load_b64 v[2:3], off, off offset:248
	v_mov_b64_e32 v[90:91], 0
	scratch_store_b64 off, v[90:91], off offset:248
	s_wait_loadcnt 0x0
	ds_store_b64 v1, v[2:3]
.LBB106_205:
	s_wait_xcnt 0x0
	s_or_b32 exec_lo, exec_lo, s0
	s_wait_storecnt_dscnt 0x0
	s_barrier_signal -1
	s_barrier_wait -1
	s_clause 0x5
	scratch_load_b128 v[90:93], off, off offset:248
	scratch_load_b128 v[94:97], off, off offset:264
	scratch_load_b128 v[98:101], off, off offset:280
	scratch_load_b128 v[102:105], off, off offset:296
	scratch_load_b128 v[106:109], off, off offset:312
	scratch_load_b128 v[110:113], off, off offset:328
	v_mov_b32_e32 v2, 0
	ds_load_b128 v[114:117], v2 offset:608
	ds_load_b128 v[118:121], v2 offset:624
	s_mov_b32 s0, exec_lo
	s_wait_loadcnt_dscnt 0x501
	v_fma_f64 v[114:115], v[92:93], v[114:115], 0
	s_wait_loadcnt 0x4
	s_delay_alu instid0(VALU_DEP_1) | instskip(SKIP_1) | instid1(VALU_DEP_1)
	v_fmac_f64_e32 v[114:115], v[94:95], v[116:117]
	s_wait_dscnt 0x0
	v_fmac_f64_e32 v[114:115], v[96:97], v[118:119]
	s_wait_loadcnt 0x3
	s_delay_alu instid0(VALU_DEP_1)
	v_fmac_f64_e32 v[114:115], v[98:99], v[120:121]
	ds_load_b128 v[92:95], v2 offset:640
	ds_load_b128 v[96:99], v2 offset:656
	s_wait_dscnt 0x1
	v_fmac_f64_e32 v[114:115], v[100:101], v[92:93]
	s_wait_loadcnt 0x2
	s_delay_alu instid0(VALU_DEP_1) | instskip(SKIP_1) | instid1(VALU_DEP_1)
	v_fmac_f64_e32 v[114:115], v[102:103], v[94:95]
	s_wait_dscnt 0x0
	v_fmac_f64_e32 v[114:115], v[104:105], v[96:97]
	ds_load_b128 v[92:95], v2 offset:672
	ds_load_b64 v[96:97], v2 offset:688
	s_wait_loadcnt 0x1
	v_fmac_f64_e32 v[114:115], v[106:107], v[98:99]
	s_wait_dscnt 0x1
	s_delay_alu instid0(VALU_DEP_1) | instskip(SKIP_1) | instid1(VALU_DEP_1)
	v_fmac_f64_e32 v[114:115], v[108:109], v[92:93]
	s_wait_loadcnt 0x0
	v_fmac_f64_e32 v[114:115], v[110:111], v[94:95]
	s_wait_dscnt 0x0
	s_delay_alu instid0(VALU_DEP_1) | instskip(NEXT) | instid1(VALU_DEP_1)
	v_fmac_f64_e32 v[114:115], v[112:113], v[96:97]
	v_add_f64_e64 v[90:91], v[90:91], -v[114:115]
	scratch_store_b64 off, v[90:91], off offset:248
	s_wait_xcnt 0x0
	v_cmpx_lt_u32_e32 30, v0
	s_cbranch_execz .LBB106_207
; %bb.206:
	scratch_load_b64 v[90:91], off, off offset:240
	v_mov_b64_e32 v[92:93], 0
	scratch_store_b64 off, v[92:93], off offset:240
	s_wait_loadcnt 0x0
	ds_store_b64 v1, v[90:91]
.LBB106_207:
	s_wait_xcnt 0x0
	s_or_b32 exec_lo, exec_lo, s0
	s_wait_storecnt_dscnt 0x0
	s_barrier_signal -1
	s_barrier_wait -1
	s_clause 0x5
	scratch_load_b128 v[90:93], off, off offset:240
	scratch_load_b128 v[94:97], off, off offset:256
	;; [unrolled: 1-line block ×6, first 2 shown]
	ds_load_2addr_b64 v[114:117], v2 offset0:75 offset1:76
	ds_load_2addr_b64 v[118:121], v2 offset0:77 offset1:78
	s_mov_b32 s0, exec_lo
	s_wait_loadcnt_dscnt 0x501
	v_fma_f64 v[114:115], v[92:93], v[114:115], 0
	s_wait_loadcnt 0x4
	s_delay_alu instid0(VALU_DEP_1) | instskip(SKIP_4) | instid1(VALU_DEP_1)
	v_fmac_f64_e32 v[114:115], v[94:95], v[116:117]
	scratch_load_b64 v[116:117], off, off offset:336
	s_wait_dscnt 0x0
	v_fmac_f64_e32 v[114:115], v[96:97], v[118:119]
	s_wait_loadcnt 0x4
	v_fmac_f64_e32 v[114:115], v[98:99], v[120:121]
	ds_load_2addr_b64 v[92:95], v2 offset0:79 offset1:80
	ds_load_2addr_b64 v[96:99], v2 offset0:81 offset1:82
	s_wait_dscnt 0x1
	v_fmac_f64_e32 v[114:115], v[100:101], v[92:93]
	s_wait_loadcnt 0x3
	s_delay_alu instid0(VALU_DEP_1) | instskip(SKIP_1) | instid1(VALU_DEP_1)
	v_fmac_f64_e32 v[114:115], v[102:103], v[94:95]
	s_wait_dscnt 0x0
	v_fmac_f64_e32 v[114:115], v[104:105], v[96:97]
	s_wait_loadcnt 0x2
	s_delay_alu instid0(VALU_DEP_1)
	v_fmac_f64_e32 v[114:115], v[106:107], v[98:99]
	ds_load_2addr_b64 v[92:95], v2 offset0:83 offset1:84
	ds_load_2addr_b64 v[96:99], v2 offset0:85 offset1:86
	s_wait_dscnt 0x1
	v_fmac_f64_e32 v[114:115], v[108:109], v[92:93]
	s_wait_loadcnt 0x1
	s_delay_alu instid0(VALU_DEP_1) | instskip(SKIP_1) | instid1(VALU_DEP_1)
	v_fmac_f64_e32 v[114:115], v[110:111], v[94:95]
	s_wait_dscnt 0x0
	v_fmac_f64_e32 v[114:115], v[112:113], v[96:97]
	s_wait_loadcnt 0x0
	s_delay_alu instid0(VALU_DEP_1) | instskip(NEXT) | instid1(VALU_DEP_1)
	v_fmac_f64_e32 v[114:115], v[116:117], v[98:99]
	v_add_f64_e64 v[2:3], v[90:91], -v[114:115]
	scratch_store_b64 off, v[2:3], off offset:240
	s_wait_xcnt 0x0
	v_cmpx_lt_u32_e32 29, v0
	s_cbranch_execz .LBB106_209
; %bb.208:
	scratch_load_b64 v[2:3], off, off offset:232
	v_mov_b64_e32 v[90:91], 0
	scratch_store_b64 off, v[90:91], off offset:232
	s_wait_loadcnt 0x0
	ds_store_b64 v1, v[2:3]
.LBB106_209:
	s_wait_xcnt 0x0
	s_or_b32 exec_lo, exec_lo, s0
	s_wait_storecnt_dscnt 0x0
	s_barrier_signal -1
	s_barrier_wait -1
	s_clause 0x5
	scratch_load_b128 v[90:93], off, off offset:232
	scratch_load_b128 v[94:97], off, off offset:248
	;; [unrolled: 1-line block ×6, first 2 shown]
	v_mov_b32_e32 v2, 0
	ds_load_b128 v[114:117], v2 offset:592
	ds_load_b128 v[118:121], v2 offset:608
	s_mov_b32 s0, exec_lo
	s_wait_loadcnt_dscnt 0x501
	v_fma_f64 v[122:123], v[92:93], v[114:115], 0
	s_wait_loadcnt 0x4
	s_delay_alu instid0(VALU_DEP_1) | instskip(SKIP_4) | instid1(VALU_DEP_1)
	v_fmac_f64_e32 v[122:123], v[94:95], v[116:117]
	scratch_load_b128 v[92:95], off, off offset:328
	s_wait_dscnt 0x0
	v_fmac_f64_e32 v[122:123], v[96:97], v[118:119]
	s_wait_loadcnt 0x4
	v_fmac_f64_e32 v[122:123], v[98:99], v[120:121]
	ds_load_b128 v[96:99], v2 offset:624
	ds_load_b128 v[114:117], v2 offset:640
	s_wait_dscnt 0x1
	v_fmac_f64_e32 v[122:123], v[100:101], v[96:97]
	s_wait_loadcnt 0x3
	s_delay_alu instid0(VALU_DEP_1)
	v_fmac_f64_e32 v[122:123], v[102:103], v[98:99]
	ds_load_b128 v[96:99], v2 offset:656
	ds_load_b128 v[100:103], v2 offset:672
	s_wait_dscnt 0x2
	v_fmac_f64_e32 v[122:123], v[104:105], v[114:115]
	s_wait_loadcnt 0x2
	s_delay_alu instid0(VALU_DEP_1) | instskip(SKIP_1) | instid1(VALU_DEP_1)
	v_fmac_f64_e32 v[122:123], v[106:107], v[116:117]
	s_wait_dscnt 0x1
	v_fmac_f64_e32 v[122:123], v[108:109], v[96:97]
	s_wait_loadcnt 0x1
	s_delay_alu instid0(VALU_DEP_1) | instskip(SKIP_1) | instid1(VALU_DEP_1)
	v_fmac_f64_e32 v[122:123], v[110:111], v[98:99]
	s_wait_dscnt 0x0
	v_fmac_f64_e32 v[122:123], v[112:113], v[100:101]
	s_wait_loadcnt 0x0
	s_delay_alu instid0(VALU_DEP_1) | instskip(SKIP_3) | instid1(VALU_DEP_1)
	v_fmac_f64_e32 v[122:123], v[92:93], v[102:103]
	ds_load_b64 v[92:93], v2 offset:688
	s_wait_dscnt 0x0
	v_fmac_f64_e32 v[122:123], v[94:95], v[92:93]
	v_add_f64_e64 v[90:91], v[90:91], -v[122:123]
	scratch_store_b64 off, v[90:91], off offset:232
	s_wait_xcnt 0x0
	v_cmpx_lt_u32_e32 28, v0
	s_cbranch_execz .LBB106_211
; %bb.210:
	scratch_load_b64 v[90:91], off, off offset:224
	v_mov_b64_e32 v[92:93], 0
	scratch_store_b64 off, v[92:93], off offset:224
	s_wait_loadcnt 0x0
	ds_store_b64 v1, v[90:91]
.LBB106_211:
	s_wait_xcnt 0x0
	s_or_b32 exec_lo, exec_lo, s0
	s_wait_storecnt_dscnt 0x0
	s_barrier_signal -1
	s_barrier_wait -1
	s_clause 0x5
	scratch_load_b128 v[90:93], off, off offset:224
	scratch_load_b128 v[94:97], off, off offset:240
	;; [unrolled: 1-line block ×6, first 2 shown]
	ds_load_2addr_b64 v[114:117], v2 offset0:73 offset1:74
	ds_load_2addr_b64 v[118:121], v2 offset0:75 offset1:76
	s_mov_b32 s0, exec_lo
	s_wait_loadcnt_dscnt 0x501
	v_fma_f64 v[122:123], v[92:93], v[114:115], 0
	s_wait_loadcnt 0x4
	s_delay_alu instid0(VALU_DEP_1)
	v_fmac_f64_e32 v[122:123], v[94:95], v[116:117]
	scratch_load_b128 v[92:95], off, off offset:320
	s_wait_dscnt 0x0
	v_fmac_f64_e32 v[122:123], v[96:97], v[118:119]
	scratch_load_b64 v[118:119], off, off offset:336
	s_wait_loadcnt 0x5
	v_fmac_f64_e32 v[122:123], v[98:99], v[120:121]
	ds_load_2addr_b64 v[96:99], v2 offset0:77 offset1:78
	ds_load_2addr_b64 v[114:117], v2 offset0:79 offset1:80
	s_wait_dscnt 0x1
	v_fmac_f64_e32 v[122:123], v[100:101], v[96:97]
	s_wait_loadcnt 0x4
	s_delay_alu instid0(VALU_DEP_1)
	v_fmac_f64_e32 v[122:123], v[102:103], v[98:99]
	ds_load_2addr_b64 v[96:99], v2 offset0:81 offset1:82
	ds_load_2addr_b64 v[100:103], v2 offset0:83 offset1:84
	s_wait_dscnt 0x2
	v_fmac_f64_e32 v[122:123], v[104:105], v[114:115]
	s_wait_loadcnt 0x3
	s_delay_alu instid0(VALU_DEP_1) | instskip(SKIP_1) | instid1(VALU_DEP_1)
	v_fmac_f64_e32 v[122:123], v[106:107], v[116:117]
	s_wait_dscnt 0x1
	v_fmac_f64_e32 v[122:123], v[108:109], v[96:97]
	s_wait_loadcnt 0x2
	s_delay_alu instid0(VALU_DEP_1) | instskip(SKIP_4) | instid1(VALU_DEP_1)
	v_fmac_f64_e32 v[122:123], v[110:111], v[98:99]
	ds_load_2addr_b64 v[96:99], v2 offset0:85 offset1:86
	s_wait_dscnt 0x1
	v_fmac_f64_e32 v[122:123], v[112:113], v[100:101]
	s_wait_loadcnt 0x1
	v_fmac_f64_e32 v[122:123], v[92:93], v[102:103]
	s_wait_dscnt 0x0
	s_delay_alu instid0(VALU_DEP_1) | instskip(SKIP_1) | instid1(VALU_DEP_1)
	v_fmac_f64_e32 v[122:123], v[94:95], v[96:97]
	s_wait_loadcnt 0x0
	v_fmac_f64_e32 v[122:123], v[118:119], v[98:99]
	s_delay_alu instid0(VALU_DEP_1)
	v_add_f64_e64 v[2:3], v[90:91], -v[122:123]
	scratch_store_b64 off, v[2:3], off offset:224
	s_wait_xcnt 0x0
	v_cmpx_lt_u32_e32 27, v0
	s_cbranch_execz .LBB106_213
; %bb.212:
	scratch_load_b64 v[2:3], off, off offset:216
	v_mov_b64_e32 v[90:91], 0
	scratch_store_b64 off, v[90:91], off offset:216
	s_wait_loadcnt 0x0
	ds_store_b64 v1, v[2:3]
.LBB106_213:
	s_wait_xcnt 0x0
	s_or_b32 exec_lo, exec_lo, s0
	s_wait_storecnt_dscnt 0x0
	s_barrier_signal -1
	s_barrier_wait -1
	s_clause 0x5
	scratch_load_b128 v[90:93], off, off offset:216
	scratch_load_b128 v[94:97], off, off offset:232
	;; [unrolled: 1-line block ×6, first 2 shown]
	v_mov_b32_e32 v2, 0
	ds_load_b128 v[114:117], v2 offset:576
	ds_load_b128 v[118:121], v2 offset:592
	s_mov_b32 s0, exec_lo
	s_wait_loadcnt_dscnt 0x501
	v_fma_f64 v[122:123], v[92:93], v[114:115], 0
	s_wait_loadcnt 0x4
	s_delay_alu instid0(VALU_DEP_1) | instskip(SKIP_4) | instid1(VALU_DEP_1)
	v_fmac_f64_e32 v[122:123], v[94:95], v[116:117]
	scratch_load_b128 v[92:95], off, off offset:312
	s_wait_dscnt 0x0
	v_fmac_f64_e32 v[122:123], v[96:97], v[118:119]
	s_wait_loadcnt 0x4
	v_fmac_f64_e32 v[122:123], v[98:99], v[120:121]
	scratch_load_b128 v[96:99], off, off offset:328
	ds_load_b128 v[114:117], v2 offset:608
	ds_load_b128 v[118:121], v2 offset:624
	s_wait_dscnt 0x1
	v_fmac_f64_e32 v[122:123], v[100:101], v[114:115]
	s_wait_loadcnt 0x4
	s_delay_alu instid0(VALU_DEP_1) | instskip(SKIP_1) | instid1(VALU_DEP_1)
	v_fmac_f64_e32 v[122:123], v[102:103], v[116:117]
	s_wait_dscnt 0x0
	v_fmac_f64_e32 v[122:123], v[104:105], v[118:119]
	s_wait_loadcnt 0x3
	s_delay_alu instid0(VALU_DEP_1)
	v_fmac_f64_e32 v[122:123], v[106:107], v[120:121]
	ds_load_b128 v[100:103], v2 offset:640
	ds_load_b128 v[104:107], v2 offset:656
	s_wait_dscnt 0x1
	v_fmac_f64_e32 v[122:123], v[108:109], v[100:101]
	s_wait_loadcnt 0x2
	s_delay_alu instid0(VALU_DEP_1) | instskip(SKIP_1) | instid1(VALU_DEP_1)
	v_fmac_f64_e32 v[122:123], v[110:111], v[102:103]
	s_wait_dscnt 0x0
	v_fmac_f64_e32 v[122:123], v[112:113], v[104:105]
	s_wait_loadcnt 0x1
	s_delay_alu instid0(VALU_DEP_1)
	v_fmac_f64_e32 v[122:123], v[92:93], v[106:107]
	ds_load_b128 v[100:103], v2 offset:672
	ds_load_b64 v[92:93], v2 offset:688
	s_wait_dscnt 0x1
	v_fmac_f64_e32 v[122:123], v[94:95], v[100:101]
	s_wait_loadcnt 0x0
	s_delay_alu instid0(VALU_DEP_1) | instskip(SKIP_1) | instid1(VALU_DEP_1)
	v_fmac_f64_e32 v[122:123], v[96:97], v[102:103]
	s_wait_dscnt 0x0
	v_fmac_f64_e32 v[122:123], v[98:99], v[92:93]
	s_delay_alu instid0(VALU_DEP_1)
	v_add_f64_e64 v[90:91], v[90:91], -v[122:123]
	scratch_store_b64 off, v[90:91], off offset:216
	s_wait_xcnt 0x0
	v_cmpx_lt_u32_e32 26, v0
	s_cbranch_execz .LBB106_215
; %bb.214:
	scratch_load_b64 v[90:91], off, off offset:208
	v_mov_b64_e32 v[92:93], 0
	scratch_store_b64 off, v[92:93], off offset:208
	s_wait_loadcnt 0x0
	ds_store_b64 v1, v[90:91]
.LBB106_215:
	s_wait_xcnt 0x0
	s_or_b32 exec_lo, exec_lo, s0
	s_wait_storecnt_dscnt 0x0
	s_barrier_signal -1
	s_barrier_wait -1
	s_clause 0x5
	scratch_load_b128 v[90:93], off, off offset:208
	scratch_load_b128 v[94:97], off, off offset:224
	;; [unrolled: 1-line block ×6, first 2 shown]
	ds_load_2addr_b64 v[114:117], v2 offset0:71 offset1:72
	ds_load_2addr_b64 v[118:121], v2 offset0:73 offset1:74
	s_mov_b32 s0, exec_lo
	s_wait_loadcnt_dscnt 0x501
	v_fma_f64 v[122:123], v[92:93], v[114:115], 0
	s_wait_loadcnt 0x4
	s_delay_alu instid0(VALU_DEP_1) | instskip(SKIP_4) | instid1(VALU_DEP_1)
	v_fmac_f64_e32 v[122:123], v[94:95], v[116:117]
	scratch_load_b128 v[92:95], off, off offset:304
	s_wait_dscnt 0x0
	v_fmac_f64_e32 v[122:123], v[96:97], v[118:119]
	s_wait_loadcnt 0x4
	v_fmac_f64_e32 v[122:123], v[98:99], v[120:121]
	scratch_load_b128 v[96:99], off, off offset:320
	ds_load_2addr_b64 v[114:117], v2 offset0:75 offset1:76
	ds_load_2addr_b64 v[118:121], v2 offset0:77 offset1:78
	s_wait_dscnt 0x1
	v_fmac_f64_e32 v[122:123], v[100:101], v[114:115]
	scratch_load_b64 v[114:115], off, off offset:336
	s_wait_loadcnt 0x5
	v_fmac_f64_e32 v[122:123], v[102:103], v[116:117]
	s_wait_dscnt 0x0
	s_delay_alu instid0(VALU_DEP_1) | instskip(SKIP_1) | instid1(VALU_DEP_1)
	v_fmac_f64_e32 v[122:123], v[104:105], v[118:119]
	s_wait_loadcnt 0x4
	v_fmac_f64_e32 v[122:123], v[106:107], v[120:121]
	ds_load_2addr_b64 v[100:103], v2 offset0:79 offset1:80
	ds_load_2addr_b64 v[104:107], v2 offset0:81 offset1:82
	s_wait_dscnt 0x1
	v_fmac_f64_e32 v[122:123], v[108:109], v[100:101]
	s_wait_loadcnt 0x3
	s_delay_alu instid0(VALU_DEP_1) | instskip(SKIP_1) | instid1(VALU_DEP_1)
	v_fmac_f64_e32 v[122:123], v[110:111], v[102:103]
	s_wait_dscnt 0x0
	v_fmac_f64_e32 v[122:123], v[112:113], v[104:105]
	s_wait_loadcnt 0x2
	s_delay_alu instid0(VALU_DEP_1)
	v_fmac_f64_e32 v[122:123], v[92:93], v[106:107]
	ds_load_2addr_b64 v[100:103], v2 offset0:83 offset1:84
	ds_load_2addr_b64 v[104:107], v2 offset0:85 offset1:86
	s_wait_dscnt 0x1
	v_fmac_f64_e32 v[122:123], v[94:95], v[100:101]
	s_wait_loadcnt 0x1
	s_delay_alu instid0(VALU_DEP_1) | instskip(SKIP_1) | instid1(VALU_DEP_1)
	v_fmac_f64_e32 v[122:123], v[96:97], v[102:103]
	s_wait_dscnt 0x0
	v_fmac_f64_e32 v[122:123], v[98:99], v[104:105]
	s_wait_loadcnt 0x0
	s_delay_alu instid0(VALU_DEP_1) | instskip(NEXT) | instid1(VALU_DEP_1)
	v_fmac_f64_e32 v[122:123], v[114:115], v[106:107]
	v_add_f64_e64 v[2:3], v[90:91], -v[122:123]
	scratch_store_b64 off, v[2:3], off offset:208
	s_wait_xcnt 0x0
	v_cmpx_lt_u32_e32 25, v0
	s_cbranch_execz .LBB106_217
; %bb.216:
	scratch_load_b64 v[2:3], off, off offset:200
	v_mov_b64_e32 v[90:91], 0
	scratch_store_b64 off, v[90:91], off offset:200
	s_wait_loadcnt 0x0
	ds_store_b64 v1, v[2:3]
.LBB106_217:
	s_wait_xcnt 0x0
	s_or_b32 exec_lo, exec_lo, s0
	s_wait_storecnt_dscnt 0x0
	s_barrier_signal -1
	s_barrier_wait -1
	s_clause 0x5
	scratch_load_b128 v[90:93], off, off offset:200
	scratch_load_b128 v[94:97], off, off offset:216
	scratch_load_b128 v[98:101], off, off offset:232
	scratch_load_b128 v[102:105], off, off offset:248
	scratch_load_b128 v[106:109], off, off offset:264
	scratch_load_b128 v[110:113], off, off offset:280
	v_mov_b32_e32 v2, 0
	ds_load_b128 v[114:117], v2 offset:560
	ds_load_b128 v[118:121], v2 offset:576
	s_mov_b32 s0, exec_lo
	s_wait_loadcnt_dscnt 0x501
	v_fma_f64 v[122:123], v[92:93], v[114:115], 0
	s_wait_loadcnt 0x4
	s_delay_alu instid0(VALU_DEP_1) | instskip(SKIP_4) | instid1(VALU_DEP_1)
	v_fmac_f64_e32 v[122:123], v[94:95], v[116:117]
	scratch_load_b128 v[92:95], off, off offset:296
	s_wait_dscnt 0x0
	v_fmac_f64_e32 v[122:123], v[96:97], v[118:119]
	s_wait_loadcnt 0x4
	v_fmac_f64_e32 v[122:123], v[98:99], v[120:121]
	scratch_load_b128 v[96:99], off, off offset:312
	ds_load_b128 v[114:117], v2 offset:592
	ds_load_b128 v[118:121], v2 offset:608
	s_wait_dscnt 0x1
	v_fmac_f64_e32 v[122:123], v[100:101], v[114:115]
	s_wait_loadcnt 0x4
	s_delay_alu instid0(VALU_DEP_1) | instskip(SKIP_4) | instid1(VALU_DEP_1)
	v_fmac_f64_e32 v[122:123], v[102:103], v[116:117]
	scratch_load_b128 v[100:103], off, off offset:328
	s_wait_dscnt 0x0
	v_fmac_f64_e32 v[122:123], v[104:105], v[118:119]
	s_wait_loadcnt 0x4
	v_fmac_f64_e32 v[122:123], v[106:107], v[120:121]
	ds_load_b128 v[104:107], v2 offset:624
	ds_load_b128 v[114:117], v2 offset:640
	s_wait_dscnt 0x1
	v_fmac_f64_e32 v[122:123], v[108:109], v[104:105]
	s_wait_loadcnt 0x3
	s_delay_alu instid0(VALU_DEP_1)
	v_fmac_f64_e32 v[122:123], v[110:111], v[106:107]
	ds_load_b128 v[104:107], v2 offset:656
	ds_load_b128 v[108:111], v2 offset:672
	s_wait_dscnt 0x2
	v_fmac_f64_e32 v[122:123], v[112:113], v[114:115]
	s_wait_loadcnt 0x2
	s_delay_alu instid0(VALU_DEP_1) | instskip(SKIP_4) | instid1(VALU_DEP_1)
	v_fmac_f64_e32 v[122:123], v[92:93], v[116:117]
	ds_load_b64 v[92:93], v2 offset:688
	s_wait_dscnt 0x2
	v_fmac_f64_e32 v[122:123], v[94:95], v[104:105]
	s_wait_loadcnt 0x1
	v_fmac_f64_e32 v[122:123], v[96:97], v[106:107]
	s_wait_dscnt 0x1
	s_delay_alu instid0(VALU_DEP_1) | instskip(SKIP_1) | instid1(VALU_DEP_1)
	v_fmac_f64_e32 v[122:123], v[98:99], v[108:109]
	s_wait_loadcnt 0x0
	v_fmac_f64_e32 v[122:123], v[100:101], v[110:111]
	s_wait_dscnt 0x0
	s_delay_alu instid0(VALU_DEP_1) | instskip(NEXT) | instid1(VALU_DEP_1)
	v_fmac_f64_e32 v[122:123], v[102:103], v[92:93]
	v_add_f64_e64 v[90:91], v[90:91], -v[122:123]
	scratch_store_b64 off, v[90:91], off offset:200
	s_wait_xcnt 0x0
	v_cmpx_lt_u32_e32 24, v0
	s_cbranch_execz .LBB106_219
; %bb.218:
	scratch_load_b64 v[90:91], off, off offset:192
	v_mov_b64_e32 v[92:93], 0
	scratch_store_b64 off, v[92:93], off offset:192
	s_wait_loadcnt 0x0
	ds_store_b64 v1, v[90:91]
.LBB106_219:
	s_wait_xcnt 0x0
	s_or_b32 exec_lo, exec_lo, s0
	s_wait_storecnt_dscnt 0x0
	s_barrier_signal -1
	s_barrier_wait -1
	s_clause 0x5
	scratch_load_b128 v[90:93], off, off offset:192
	scratch_load_b128 v[94:97], off, off offset:208
	;; [unrolled: 1-line block ×6, first 2 shown]
	ds_load_2addr_b64 v[114:117], v2 offset0:69 offset1:70
	ds_load_2addr_b64 v[118:121], v2 offset0:71 offset1:72
	s_mov_b32 s0, exec_lo
	s_wait_loadcnt_dscnt 0x501
	v_fma_f64 v[122:123], v[92:93], v[114:115], 0
	s_wait_loadcnt 0x4
	s_delay_alu instid0(VALU_DEP_1) | instskip(SKIP_4) | instid1(VALU_DEP_1)
	v_fmac_f64_e32 v[122:123], v[94:95], v[116:117]
	scratch_load_b128 v[92:95], off, off offset:288
	s_wait_dscnt 0x0
	v_fmac_f64_e32 v[122:123], v[96:97], v[118:119]
	s_wait_loadcnt 0x4
	v_fmac_f64_e32 v[122:123], v[98:99], v[120:121]
	scratch_load_b128 v[96:99], off, off offset:304
	ds_load_2addr_b64 v[114:117], v2 offset0:73 offset1:74
	ds_load_2addr_b64 v[118:121], v2 offset0:75 offset1:76
	s_wait_dscnt 0x1
	v_fmac_f64_e32 v[122:123], v[100:101], v[114:115]
	s_wait_loadcnt 0x4
	s_delay_alu instid0(VALU_DEP_1)
	v_fmac_f64_e32 v[122:123], v[102:103], v[116:117]
	scratch_load_b128 v[100:103], off, off offset:320
	s_wait_dscnt 0x0
	v_fmac_f64_e32 v[122:123], v[104:105], v[118:119]
	scratch_load_b64 v[118:119], off, off offset:336
	s_wait_loadcnt 0x5
	v_fmac_f64_e32 v[122:123], v[106:107], v[120:121]
	ds_load_2addr_b64 v[104:107], v2 offset0:77 offset1:78
	ds_load_2addr_b64 v[114:117], v2 offset0:79 offset1:80
	s_wait_dscnt 0x1
	v_fmac_f64_e32 v[122:123], v[108:109], v[104:105]
	s_wait_loadcnt 0x4
	s_delay_alu instid0(VALU_DEP_1)
	v_fmac_f64_e32 v[122:123], v[110:111], v[106:107]
	ds_load_2addr_b64 v[104:107], v2 offset0:81 offset1:82
	ds_load_2addr_b64 v[108:111], v2 offset0:83 offset1:84
	s_wait_dscnt 0x2
	v_fmac_f64_e32 v[122:123], v[112:113], v[114:115]
	s_wait_loadcnt 0x3
	s_delay_alu instid0(VALU_DEP_1) | instskip(SKIP_1) | instid1(VALU_DEP_1)
	v_fmac_f64_e32 v[122:123], v[92:93], v[116:117]
	s_wait_dscnt 0x1
	v_fmac_f64_e32 v[122:123], v[94:95], v[104:105]
	ds_load_2addr_b64 v[92:95], v2 offset0:85 offset1:86
	s_wait_loadcnt 0x2
	v_fmac_f64_e32 v[122:123], v[96:97], v[106:107]
	s_wait_dscnt 0x1
	s_delay_alu instid0(VALU_DEP_1) | instskip(SKIP_1) | instid1(VALU_DEP_1)
	v_fmac_f64_e32 v[122:123], v[98:99], v[108:109]
	s_wait_loadcnt 0x1
	v_fmac_f64_e32 v[122:123], v[100:101], v[110:111]
	s_wait_dscnt 0x0
	s_delay_alu instid0(VALU_DEP_1) | instskip(SKIP_1) | instid1(VALU_DEP_1)
	v_fmac_f64_e32 v[122:123], v[102:103], v[92:93]
	s_wait_loadcnt 0x0
	v_fmac_f64_e32 v[122:123], v[118:119], v[94:95]
	s_delay_alu instid0(VALU_DEP_1)
	v_add_f64_e64 v[2:3], v[90:91], -v[122:123]
	scratch_store_b64 off, v[2:3], off offset:192
	s_wait_xcnt 0x0
	v_cmpx_lt_u32_e32 23, v0
	s_cbranch_execz .LBB106_221
; %bb.220:
	scratch_load_b64 v[2:3], off, off offset:184
	v_mov_b64_e32 v[90:91], 0
	scratch_store_b64 off, v[90:91], off offset:184
	s_wait_loadcnt 0x0
	ds_store_b64 v1, v[2:3]
.LBB106_221:
	s_wait_xcnt 0x0
	s_or_b32 exec_lo, exec_lo, s0
	s_wait_storecnt_dscnt 0x0
	s_barrier_signal -1
	s_barrier_wait -1
	s_clause 0x5
	scratch_load_b128 v[90:93], off, off offset:184
	scratch_load_b128 v[94:97], off, off offset:200
	;; [unrolled: 1-line block ×6, first 2 shown]
	v_mov_b32_e32 v2, 0
	ds_load_b128 v[114:117], v2 offset:544
	ds_load_b128 v[118:121], v2 offset:560
	s_mov_b32 s0, exec_lo
	s_wait_loadcnt_dscnt 0x501
	v_fma_f64 v[122:123], v[92:93], v[114:115], 0
	s_wait_loadcnt 0x4
	s_delay_alu instid0(VALU_DEP_1) | instskip(SKIP_4) | instid1(VALU_DEP_1)
	v_fmac_f64_e32 v[122:123], v[94:95], v[116:117]
	scratch_load_b128 v[92:95], off, off offset:280
	s_wait_dscnt 0x0
	v_fmac_f64_e32 v[122:123], v[96:97], v[118:119]
	s_wait_loadcnt 0x4
	v_fmac_f64_e32 v[122:123], v[98:99], v[120:121]
	scratch_load_b128 v[96:99], off, off offset:296
	ds_load_b128 v[114:117], v2 offset:576
	ds_load_b128 v[118:121], v2 offset:592
	s_wait_dscnt 0x1
	v_fmac_f64_e32 v[122:123], v[100:101], v[114:115]
	s_wait_loadcnt 0x4
	s_delay_alu instid0(VALU_DEP_1) | instskip(SKIP_4) | instid1(VALU_DEP_1)
	v_fmac_f64_e32 v[122:123], v[102:103], v[116:117]
	scratch_load_b128 v[100:103], off, off offset:312
	s_wait_dscnt 0x0
	v_fmac_f64_e32 v[122:123], v[104:105], v[118:119]
	s_wait_loadcnt 0x4
	v_fmac_f64_e32 v[122:123], v[106:107], v[120:121]
	scratch_load_b128 v[104:107], off, off offset:328
	ds_load_b128 v[114:117], v2 offset:608
	ds_load_b128 v[118:121], v2 offset:624
	s_wait_dscnt 0x1
	v_fmac_f64_e32 v[122:123], v[108:109], v[114:115]
	s_wait_loadcnt 0x4
	s_delay_alu instid0(VALU_DEP_1) | instskip(SKIP_1) | instid1(VALU_DEP_1)
	v_fmac_f64_e32 v[122:123], v[110:111], v[116:117]
	s_wait_dscnt 0x0
	v_fmac_f64_e32 v[122:123], v[112:113], v[118:119]
	ds_load_b128 v[108:111], v2 offset:640
	ds_load_b128 v[112:115], v2 offset:656
	s_wait_loadcnt 0x3
	v_fmac_f64_e32 v[122:123], v[92:93], v[120:121]
	s_wait_dscnt 0x1
	s_delay_alu instid0(VALU_DEP_1) | instskip(SKIP_1) | instid1(VALU_DEP_1)
	v_fmac_f64_e32 v[122:123], v[94:95], v[108:109]
	s_wait_loadcnt 0x2
	v_fmac_f64_e32 v[122:123], v[96:97], v[110:111]
	ds_load_b128 v[92:95], v2 offset:672
	ds_load_b64 v[96:97], v2 offset:688
	s_wait_dscnt 0x2
	v_fmac_f64_e32 v[122:123], v[98:99], v[112:113]
	s_wait_loadcnt 0x1
	s_delay_alu instid0(VALU_DEP_1) | instskip(SKIP_1) | instid1(VALU_DEP_1)
	v_fmac_f64_e32 v[122:123], v[100:101], v[114:115]
	s_wait_dscnt 0x1
	v_fmac_f64_e32 v[122:123], v[102:103], v[92:93]
	s_wait_loadcnt 0x0
	s_delay_alu instid0(VALU_DEP_1) | instskip(SKIP_1) | instid1(VALU_DEP_1)
	v_fmac_f64_e32 v[122:123], v[104:105], v[94:95]
	s_wait_dscnt 0x0
	v_fmac_f64_e32 v[122:123], v[106:107], v[96:97]
	s_delay_alu instid0(VALU_DEP_1)
	v_add_f64_e64 v[90:91], v[90:91], -v[122:123]
	scratch_store_b64 off, v[90:91], off offset:184
	s_wait_xcnt 0x0
	v_cmpx_lt_u32_e32 22, v0
	s_cbranch_execz .LBB106_223
; %bb.222:
	scratch_load_b64 v[90:91], off, off offset:176
	v_mov_b64_e32 v[92:93], 0
	scratch_store_b64 off, v[92:93], off offset:176
	s_wait_loadcnt 0x0
	ds_store_b64 v1, v[90:91]
.LBB106_223:
	s_wait_xcnt 0x0
	s_or_b32 exec_lo, exec_lo, s0
	s_wait_storecnt_dscnt 0x0
	s_barrier_signal -1
	s_barrier_wait -1
	s_clause 0x5
	scratch_load_b128 v[90:93], off, off offset:176
	scratch_load_b128 v[94:97], off, off offset:192
	;; [unrolled: 1-line block ×6, first 2 shown]
	ds_load_2addr_b64 v[114:117], v2 offset0:67 offset1:68
	ds_load_2addr_b64 v[118:121], v2 offset0:69 offset1:70
	s_mov_b32 s0, exec_lo
	s_wait_loadcnt_dscnt 0x501
	v_fma_f64 v[122:123], v[92:93], v[114:115], 0
	s_wait_loadcnt 0x4
	s_delay_alu instid0(VALU_DEP_1) | instskip(SKIP_4) | instid1(VALU_DEP_1)
	v_fmac_f64_e32 v[122:123], v[94:95], v[116:117]
	scratch_load_b128 v[92:95], off, off offset:272
	s_wait_dscnt 0x0
	v_fmac_f64_e32 v[122:123], v[96:97], v[118:119]
	s_wait_loadcnt 0x4
	v_fmac_f64_e32 v[122:123], v[98:99], v[120:121]
	scratch_load_b128 v[96:99], off, off offset:288
	ds_load_2addr_b64 v[114:117], v2 offset0:71 offset1:72
	ds_load_2addr_b64 v[118:121], v2 offset0:73 offset1:74
	s_wait_dscnt 0x1
	v_fmac_f64_e32 v[122:123], v[100:101], v[114:115]
	s_wait_loadcnt 0x4
	s_delay_alu instid0(VALU_DEP_1) | instskip(SKIP_4) | instid1(VALU_DEP_1)
	v_fmac_f64_e32 v[122:123], v[102:103], v[116:117]
	scratch_load_b128 v[100:103], off, off offset:304
	s_wait_dscnt 0x0
	v_fmac_f64_e32 v[122:123], v[104:105], v[118:119]
	s_wait_loadcnt 0x4
	v_fmac_f64_e32 v[122:123], v[106:107], v[120:121]
	scratch_load_b128 v[104:107], off, off offset:320
	ds_load_2addr_b64 v[114:117], v2 offset0:75 offset1:76
	ds_load_2addr_b64 v[118:121], v2 offset0:77 offset1:78
	s_wait_dscnt 0x1
	v_fmac_f64_e32 v[122:123], v[108:109], v[114:115]
	s_wait_loadcnt 0x4
	s_delay_alu instid0(VALU_DEP_1)
	v_fmac_f64_e32 v[122:123], v[110:111], v[116:117]
	scratch_load_b64 v[116:117], off, off offset:336
	s_wait_dscnt 0x0
	v_fmac_f64_e32 v[122:123], v[112:113], v[118:119]
	ds_load_2addr_b64 v[108:111], v2 offset0:79 offset1:80
	ds_load_2addr_b64 v[112:115], v2 offset0:81 offset1:82
	s_wait_loadcnt 0x4
	v_fmac_f64_e32 v[122:123], v[92:93], v[120:121]
	s_wait_dscnt 0x1
	s_delay_alu instid0(VALU_DEP_1) | instskip(SKIP_1) | instid1(VALU_DEP_1)
	v_fmac_f64_e32 v[122:123], v[94:95], v[108:109]
	s_wait_loadcnt 0x3
	v_fmac_f64_e32 v[122:123], v[96:97], v[110:111]
	s_wait_dscnt 0x0
	s_delay_alu instid0(VALU_DEP_1)
	v_fmac_f64_e32 v[122:123], v[98:99], v[112:113]
	ds_load_2addr_b64 v[92:95], v2 offset0:83 offset1:84
	ds_load_2addr_b64 v[96:99], v2 offset0:85 offset1:86
	s_wait_loadcnt 0x2
	v_fmac_f64_e32 v[122:123], v[100:101], v[114:115]
	s_wait_dscnt 0x1
	s_delay_alu instid0(VALU_DEP_1) | instskip(SKIP_1) | instid1(VALU_DEP_1)
	v_fmac_f64_e32 v[122:123], v[102:103], v[92:93]
	s_wait_loadcnt 0x1
	v_fmac_f64_e32 v[122:123], v[104:105], v[94:95]
	s_wait_dscnt 0x0
	s_delay_alu instid0(VALU_DEP_1) | instskip(SKIP_1) | instid1(VALU_DEP_1)
	v_fmac_f64_e32 v[122:123], v[106:107], v[96:97]
	s_wait_loadcnt 0x0
	v_fmac_f64_e32 v[122:123], v[116:117], v[98:99]
	s_delay_alu instid0(VALU_DEP_1)
	v_add_f64_e64 v[2:3], v[90:91], -v[122:123]
	scratch_store_b64 off, v[2:3], off offset:176
	s_wait_xcnt 0x0
	v_cmpx_lt_u32_e32 21, v0
	s_cbranch_execz .LBB106_225
; %bb.224:
	scratch_load_b64 v[2:3], off, off offset:168
	v_mov_b64_e32 v[90:91], 0
	scratch_store_b64 off, v[90:91], off offset:168
	s_wait_loadcnt 0x0
	ds_store_b64 v1, v[2:3]
.LBB106_225:
	s_wait_xcnt 0x0
	s_or_b32 exec_lo, exec_lo, s0
	s_wait_storecnt_dscnt 0x0
	s_barrier_signal -1
	s_barrier_wait -1
	s_clause 0x5
	scratch_load_b128 v[90:93], off, off offset:168
	scratch_load_b128 v[94:97], off, off offset:184
	;; [unrolled: 1-line block ×6, first 2 shown]
	v_mov_b32_e32 v2, 0
	ds_load_b128 v[114:117], v2 offset:528
	ds_load_b128 v[118:121], v2 offset:544
	s_mov_b32 s0, exec_lo
	s_wait_loadcnt_dscnt 0x501
	v_fma_f64 v[122:123], v[92:93], v[114:115], 0
	s_wait_loadcnt 0x4
	s_delay_alu instid0(VALU_DEP_1) | instskip(SKIP_4) | instid1(VALU_DEP_1)
	v_fmac_f64_e32 v[122:123], v[94:95], v[116:117]
	scratch_load_b128 v[92:95], off, off offset:264
	s_wait_dscnt 0x0
	v_fmac_f64_e32 v[122:123], v[96:97], v[118:119]
	s_wait_loadcnt 0x4
	v_fmac_f64_e32 v[122:123], v[98:99], v[120:121]
	scratch_load_b128 v[96:99], off, off offset:280
	ds_load_b128 v[114:117], v2 offset:560
	ds_load_b128 v[118:121], v2 offset:576
	s_wait_dscnt 0x1
	v_fmac_f64_e32 v[122:123], v[100:101], v[114:115]
	s_wait_loadcnt 0x4
	s_delay_alu instid0(VALU_DEP_1) | instskip(SKIP_4) | instid1(VALU_DEP_1)
	v_fmac_f64_e32 v[122:123], v[102:103], v[116:117]
	scratch_load_b128 v[100:103], off, off offset:296
	s_wait_dscnt 0x0
	v_fmac_f64_e32 v[122:123], v[104:105], v[118:119]
	s_wait_loadcnt 0x4
	v_fmac_f64_e32 v[122:123], v[106:107], v[120:121]
	scratch_load_b128 v[104:107], off, off offset:312
	ds_load_b128 v[114:117], v2 offset:592
	ds_load_b128 v[118:121], v2 offset:608
	s_wait_dscnt 0x1
	v_fmac_f64_e32 v[122:123], v[108:109], v[114:115]
	s_wait_loadcnt 0x4
	s_delay_alu instid0(VALU_DEP_1)
	v_fmac_f64_e32 v[122:123], v[110:111], v[116:117]
	scratch_load_b128 v[108:111], off, off offset:328
	s_wait_dscnt 0x0
	v_fmac_f64_e32 v[122:123], v[112:113], v[118:119]
	ds_load_b128 v[112:115], v2 offset:624
	ds_load_b128 v[116:119], v2 offset:640
	s_wait_loadcnt 0x4
	v_fmac_f64_e32 v[122:123], v[92:93], v[120:121]
	s_wait_dscnt 0x1
	s_delay_alu instid0(VALU_DEP_1) | instskip(SKIP_1) | instid1(VALU_DEP_1)
	v_fmac_f64_e32 v[122:123], v[94:95], v[112:113]
	s_wait_loadcnt 0x3
	v_fmac_f64_e32 v[122:123], v[96:97], v[114:115]
	s_wait_dscnt 0x0
	s_delay_alu instid0(VALU_DEP_1)
	v_fmac_f64_e32 v[122:123], v[98:99], v[116:117]
	ds_load_b128 v[92:95], v2 offset:656
	ds_load_b128 v[96:99], v2 offset:672
	s_wait_loadcnt 0x2
	v_fmac_f64_e32 v[122:123], v[100:101], v[118:119]
	s_wait_dscnt 0x1
	s_delay_alu instid0(VALU_DEP_1) | instskip(SKIP_4) | instid1(VALU_DEP_1)
	v_fmac_f64_e32 v[122:123], v[102:103], v[92:93]
	ds_load_b64 v[92:93], v2 offset:688
	s_wait_loadcnt 0x1
	v_fmac_f64_e32 v[122:123], v[104:105], v[94:95]
	s_wait_dscnt 0x1
	v_fmac_f64_e32 v[122:123], v[106:107], v[96:97]
	s_wait_loadcnt 0x0
	s_delay_alu instid0(VALU_DEP_1) | instskip(SKIP_1) | instid1(VALU_DEP_1)
	v_fmac_f64_e32 v[122:123], v[108:109], v[98:99]
	s_wait_dscnt 0x0
	v_fmac_f64_e32 v[122:123], v[110:111], v[92:93]
	s_delay_alu instid0(VALU_DEP_1)
	v_add_f64_e64 v[90:91], v[90:91], -v[122:123]
	scratch_store_b64 off, v[90:91], off offset:168
	s_wait_xcnt 0x0
	v_cmpx_lt_u32_e32 20, v0
	s_cbranch_execz .LBB106_227
; %bb.226:
	scratch_load_b64 v[90:91], off, off offset:160
	v_mov_b64_e32 v[92:93], 0
	scratch_store_b64 off, v[92:93], off offset:160
	s_wait_loadcnt 0x0
	ds_store_b64 v1, v[90:91]
.LBB106_227:
	s_wait_xcnt 0x0
	s_or_b32 exec_lo, exec_lo, s0
	s_wait_storecnt_dscnt 0x0
	s_barrier_signal -1
	s_barrier_wait -1
	s_clause 0x5
	scratch_load_b128 v[90:93], off, off offset:160
	scratch_load_b128 v[94:97], off, off offset:176
	;; [unrolled: 1-line block ×6, first 2 shown]
	ds_load_2addr_b64 v[114:117], v2 offset0:65 offset1:66
	ds_load_2addr_b64 v[118:121], v2 offset0:67 offset1:68
	scratch_load_b128 v[122:125], off, off offset:256
	s_mov_b32 s0, exec_lo
	s_wait_loadcnt_dscnt 0x601
	v_fma_f64 v[126:127], v[92:93], v[114:115], 0
	s_wait_loadcnt 0x5
	s_delay_alu instid0(VALU_DEP_1) | instskip(SKIP_4) | instid1(VALU_DEP_1)
	v_fmac_f64_e32 v[126:127], v[94:95], v[116:117]
	scratch_load_b128 v[92:95], off, off offset:272
	s_wait_dscnt 0x0
	v_fmac_f64_e32 v[126:127], v[96:97], v[118:119]
	s_wait_loadcnt 0x5
	v_fmac_f64_e32 v[126:127], v[98:99], v[120:121]
	ds_load_2addr_b64 v[96:99], v2 offset0:69 offset1:70
	ds_load_2addr_b64 v[114:117], v2 offset0:71 offset1:72
	s_wait_dscnt 0x1
	v_fmac_f64_e32 v[126:127], v[100:101], v[96:97]
	s_wait_loadcnt 0x4
	s_delay_alu instid0(VALU_DEP_1)
	v_fmac_f64_e32 v[126:127], v[102:103], v[98:99]
	s_clause 0x1
	scratch_load_b128 v[96:99], off, off offset:288
	scratch_load_b128 v[100:103], off, off offset:304
	s_wait_dscnt 0x0
	v_fmac_f64_e32 v[126:127], v[104:105], v[114:115]
	s_wait_loadcnt 0x5
	s_delay_alu instid0(VALU_DEP_1)
	v_fmac_f64_e32 v[126:127], v[106:107], v[116:117]
	ds_load_2addr_b64 v[104:107], v2 offset0:73 offset1:74
	ds_load_2addr_b64 v[114:117], v2 offset0:75 offset1:76
	s_wait_dscnt 0x1
	v_fmac_f64_e32 v[126:127], v[108:109], v[104:105]
	s_wait_loadcnt 0x4
	s_delay_alu instid0(VALU_DEP_1) | instskip(SKIP_4) | instid1(VALU_DEP_1)
	v_fmac_f64_e32 v[126:127], v[110:111], v[106:107]
	scratch_load_b128 v[104:107], off, off offset:320
	s_wait_dscnt 0x0
	v_fmac_f64_e32 v[126:127], v[112:113], v[114:115]
	s_wait_loadcnt 0x4
	v_fmac_f64_e32 v[126:127], v[122:123], v[116:117]
	scratch_load_b64 v[116:117], off, off offset:336
	ds_load_2addr_b64 v[108:111], v2 offset0:77 offset1:78
	ds_load_2addr_b64 v[112:115], v2 offset0:79 offset1:80
	s_wait_dscnt 0x1
	v_fmac_f64_e32 v[126:127], v[124:125], v[108:109]
	s_wait_loadcnt 0x4
	s_delay_alu instid0(VALU_DEP_1) | instskip(SKIP_1) | instid1(VALU_DEP_1)
	v_fmac_f64_e32 v[126:127], v[92:93], v[110:111]
	s_wait_dscnt 0x0
	v_fmac_f64_e32 v[126:127], v[94:95], v[112:113]
	ds_load_2addr_b64 v[92:95], v2 offset0:81 offset1:82
	ds_load_2addr_b64 v[108:111], v2 offset0:83 offset1:84
	s_wait_loadcnt 0x3
	v_fmac_f64_e32 v[126:127], v[96:97], v[114:115]
	s_wait_dscnt 0x1
	s_delay_alu instid0(VALU_DEP_1) | instskip(SKIP_1) | instid1(VALU_DEP_1)
	v_fmac_f64_e32 v[126:127], v[98:99], v[92:93]
	s_wait_loadcnt 0x2
	v_fmac_f64_e32 v[126:127], v[100:101], v[94:95]
	ds_load_2addr_b64 v[92:95], v2 offset0:85 offset1:86
	s_wait_dscnt 0x1
	v_fmac_f64_e32 v[126:127], v[102:103], v[108:109]
	s_wait_loadcnt 0x1
	s_delay_alu instid0(VALU_DEP_1) | instskip(SKIP_1) | instid1(VALU_DEP_1)
	v_fmac_f64_e32 v[126:127], v[104:105], v[110:111]
	s_wait_dscnt 0x0
	v_fmac_f64_e32 v[126:127], v[106:107], v[92:93]
	s_wait_loadcnt 0x0
	s_delay_alu instid0(VALU_DEP_1) | instskip(NEXT) | instid1(VALU_DEP_1)
	v_fmac_f64_e32 v[126:127], v[116:117], v[94:95]
	v_add_f64_e64 v[2:3], v[90:91], -v[126:127]
	scratch_store_b64 off, v[2:3], off offset:160
	s_wait_xcnt 0x0
	v_cmpx_lt_u32_e32 19, v0
	s_cbranch_execz .LBB106_229
; %bb.228:
	scratch_load_b64 v[2:3], off, off offset:152
	v_mov_b64_e32 v[90:91], 0
	scratch_store_b64 off, v[90:91], off offset:152
	s_wait_loadcnt 0x0
	ds_store_b64 v1, v[2:3]
.LBB106_229:
	s_wait_xcnt 0x0
	s_or_b32 exec_lo, exec_lo, s0
	s_wait_storecnt_dscnt 0x0
	s_barrier_signal -1
	s_barrier_wait -1
	s_clause 0x5
	scratch_load_b128 v[90:93], off, off offset:152
	scratch_load_b128 v[94:97], off, off offset:168
	;; [unrolled: 1-line block ×6, first 2 shown]
	v_mov_b32_e32 v2, 0
	ds_load_b128 v[114:117], v2 offset:512
	ds_load_b128 v[118:121], v2 offset:528
	scratch_load_b128 v[122:125], off, off offset:248
	s_mov_b32 s0, exec_lo
	s_wait_loadcnt_dscnt 0x601
	v_fma_f64 v[126:127], v[92:93], v[114:115], 0
	s_wait_loadcnt 0x5
	s_delay_alu instid0(VALU_DEP_1) | instskip(SKIP_4) | instid1(VALU_DEP_1)
	v_fmac_f64_e32 v[126:127], v[94:95], v[116:117]
	scratch_load_b128 v[92:95], off, off offset:264
	s_wait_dscnt 0x0
	v_fmac_f64_e32 v[126:127], v[96:97], v[118:119]
	s_wait_loadcnt 0x5
	v_fmac_f64_e32 v[126:127], v[98:99], v[120:121]
	ds_load_b128 v[96:99], v2 offset:544
	ds_load_b128 v[114:117], v2 offset:560
	s_wait_dscnt 0x1
	v_fmac_f64_e32 v[126:127], v[100:101], v[96:97]
	s_wait_loadcnt 0x4
	s_delay_alu instid0(VALU_DEP_1)
	v_fmac_f64_e32 v[126:127], v[102:103], v[98:99]
	s_clause 0x1
	scratch_load_b128 v[96:99], off, off offset:280
	scratch_load_b128 v[100:103], off, off offset:296
	s_wait_dscnt 0x0
	v_fmac_f64_e32 v[126:127], v[104:105], v[114:115]
	s_wait_loadcnt 0x5
	s_delay_alu instid0(VALU_DEP_1)
	v_fmac_f64_e32 v[126:127], v[106:107], v[116:117]
	ds_load_b128 v[104:107], v2 offset:576
	ds_load_b128 v[114:117], v2 offset:592
	s_wait_dscnt 0x1
	v_fmac_f64_e32 v[126:127], v[108:109], v[104:105]
	s_wait_loadcnt 0x4
	s_delay_alu instid0(VALU_DEP_1)
	v_fmac_f64_e32 v[126:127], v[110:111], v[106:107]
	s_clause 0x1
	scratch_load_b128 v[104:107], off, off offset:312
	scratch_load_b128 v[108:111], off, off offset:328
	s_wait_dscnt 0x0
	v_fmac_f64_e32 v[126:127], v[112:113], v[114:115]
	s_wait_loadcnt 0x5
	s_delay_alu instid0(VALU_DEP_1)
	v_fmac_f64_e32 v[126:127], v[122:123], v[116:117]
	ds_load_b128 v[112:115], v2 offset:608
	ds_load_b128 v[116:119], v2 offset:624
	s_wait_dscnt 0x1
	v_fmac_f64_e32 v[126:127], v[124:125], v[112:113]
	s_wait_loadcnt 0x4
	s_delay_alu instid0(VALU_DEP_1) | instskip(SKIP_1) | instid1(VALU_DEP_1)
	v_fmac_f64_e32 v[126:127], v[92:93], v[114:115]
	s_wait_dscnt 0x0
	v_fmac_f64_e32 v[126:127], v[94:95], v[116:117]
	ds_load_b128 v[92:95], v2 offset:640
	ds_load_b128 v[112:115], v2 offset:656
	s_wait_loadcnt 0x3
	v_fmac_f64_e32 v[126:127], v[96:97], v[118:119]
	s_wait_dscnt 0x1
	s_delay_alu instid0(VALU_DEP_1) | instskip(SKIP_1) | instid1(VALU_DEP_1)
	v_fmac_f64_e32 v[126:127], v[98:99], v[92:93]
	s_wait_loadcnt 0x2
	v_fmac_f64_e32 v[126:127], v[100:101], v[94:95]
	ds_load_b128 v[92:95], v2 offset:672
	ds_load_b64 v[96:97], v2 offset:688
	s_wait_dscnt 0x2
	v_fmac_f64_e32 v[126:127], v[102:103], v[112:113]
	s_wait_loadcnt 0x1
	s_delay_alu instid0(VALU_DEP_1) | instskip(SKIP_1) | instid1(VALU_DEP_1)
	v_fmac_f64_e32 v[126:127], v[104:105], v[114:115]
	s_wait_dscnt 0x1
	v_fmac_f64_e32 v[126:127], v[106:107], v[92:93]
	s_wait_loadcnt 0x0
	s_delay_alu instid0(VALU_DEP_1) | instskip(SKIP_1) | instid1(VALU_DEP_1)
	v_fmac_f64_e32 v[126:127], v[108:109], v[94:95]
	s_wait_dscnt 0x0
	v_fmac_f64_e32 v[126:127], v[110:111], v[96:97]
	s_delay_alu instid0(VALU_DEP_1)
	v_add_f64_e64 v[90:91], v[90:91], -v[126:127]
	scratch_store_b64 off, v[90:91], off offset:152
	s_wait_xcnt 0x0
	v_cmpx_lt_u32_e32 18, v0
	s_cbranch_execz .LBB106_231
; %bb.230:
	scratch_load_b64 v[90:91], off, off offset:144
	v_mov_b64_e32 v[92:93], 0
	scratch_store_b64 off, v[92:93], off offset:144
	s_wait_loadcnt 0x0
	ds_store_b64 v1, v[90:91]
.LBB106_231:
	s_wait_xcnt 0x0
	s_or_b32 exec_lo, exec_lo, s0
	s_wait_storecnt_dscnt 0x0
	s_barrier_signal -1
	s_barrier_wait -1
	s_clause 0x5
	scratch_load_b128 v[90:93], off, off offset:144
	scratch_load_b128 v[94:97], off, off offset:160
	;; [unrolled: 1-line block ×6, first 2 shown]
	ds_load_2addr_b64 v[114:117], v2 offset0:63 offset1:64
	ds_load_2addr_b64 v[118:121], v2 offset0:65 offset1:66
	scratch_load_b128 v[122:125], off, off offset:240
	s_mov_b32 s0, exec_lo
	s_wait_loadcnt_dscnt 0x601
	v_fma_f64 v[126:127], v[92:93], v[114:115], 0
	s_wait_loadcnt 0x5
	s_delay_alu instid0(VALU_DEP_1) | instskip(SKIP_4) | instid1(VALU_DEP_1)
	v_fmac_f64_e32 v[126:127], v[94:95], v[116:117]
	scratch_load_b128 v[92:95], off, off offset:256
	s_wait_dscnt 0x0
	v_fmac_f64_e32 v[126:127], v[96:97], v[118:119]
	s_wait_loadcnt 0x5
	v_fmac_f64_e32 v[126:127], v[98:99], v[120:121]
	ds_load_2addr_b64 v[96:99], v2 offset0:67 offset1:68
	ds_load_2addr_b64 v[114:117], v2 offset0:69 offset1:70
	s_wait_dscnt 0x1
	v_fmac_f64_e32 v[126:127], v[100:101], v[96:97]
	s_wait_loadcnt 0x4
	s_delay_alu instid0(VALU_DEP_1)
	v_fmac_f64_e32 v[126:127], v[102:103], v[98:99]
	s_clause 0x1
	scratch_load_b128 v[96:99], off, off offset:272
	scratch_load_b128 v[100:103], off, off offset:288
	s_wait_dscnt 0x0
	v_fmac_f64_e32 v[126:127], v[104:105], v[114:115]
	s_wait_loadcnt 0x5
	s_delay_alu instid0(VALU_DEP_1)
	v_fmac_f64_e32 v[126:127], v[106:107], v[116:117]
	ds_load_2addr_b64 v[104:107], v2 offset0:71 offset1:72
	ds_load_2addr_b64 v[114:117], v2 offset0:73 offset1:74
	s_wait_dscnt 0x1
	v_fmac_f64_e32 v[126:127], v[108:109], v[104:105]
	s_wait_loadcnt 0x4
	s_delay_alu instid0(VALU_DEP_1)
	v_fmac_f64_e32 v[126:127], v[110:111], v[106:107]
	s_clause 0x1
	scratch_load_b128 v[104:107], off, off offset:304
	scratch_load_b128 v[108:111], off, off offset:320
	s_wait_dscnt 0x0
	v_fmac_f64_e32 v[126:127], v[112:113], v[114:115]
	s_wait_loadcnt 0x5
	s_delay_alu instid0(VALU_DEP_1)
	v_fmac_f64_e32 v[126:127], v[122:123], v[116:117]
	ds_load_2addr_b64 v[112:115], v2 offset0:75 offset1:76
	ds_load_2addr_b64 v[116:119], v2 offset0:77 offset1:78
	scratch_load_b64 v[120:121], off, off offset:336
	s_wait_dscnt 0x1
	v_fmac_f64_e32 v[126:127], v[124:125], v[112:113]
	s_wait_loadcnt 0x5
	s_delay_alu instid0(VALU_DEP_1) | instskip(SKIP_1) | instid1(VALU_DEP_1)
	v_fmac_f64_e32 v[126:127], v[92:93], v[114:115]
	s_wait_dscnt 0x0
	v_fmac_f64_e32 v[126:127], v[94:95], v[116:117]
	ds_load_2addr_b64 v[92:95], v2 offset0:79 offset1:80
	ds_load_2addr_b64 v[112:115], v2 offset0:81 offset1:82
	s_wait_loadcnt 0x4
	v_fmac_f64_e32 v[126:127], v[96:97], v[118:119]
	s_wait_dscnt 0x1
	s_delay_alu instid0(VALU_DEP_1) | instskip(SKIP_1) | instid1(VALU_DEP_1)
	v_fmac_f64_e32 v[126:127], v[98:99], v[92:93]
	s_wait_loadcnt 0x3
	v_fmac_f64_e32 v[126:127], v[100:101], v[94:95]
	ds_load_2addr_b64 v[92:95], v2 offset0:83 offset1:84
	ds_load_2addr_b64 v[96:99], v2 offset0:85 offset1:86
	s_wait_dscnt 0x2
	v_fmac_f64_e32 v[126:127], v[102:103], v[112:113]
	s_wait_loadcnt 0x2
	s_delay_alu instid0(VALU_DEP_1) | instskip(SKIP_1) | instid1(VALU_DEP_1)
	v_fmac_f64_e32 v[126:127], v[104:105], v[114:115]
	s_wait_dscnt 0x1
	v_fmac_f64_e32 v[126:127], v[106:107], v[92:93]
	s_wait_loadcnt 0x1
	s_delay_alu instid0(VALU_DEP_1) | instskip(SKIP_1) | instid1(VALU_DEP_1)
	v_fmac_f64_e32 v[126:127], v[108:109], v[94:95]
	s_wait_dscnt 0x0
	v_fmac_f64_e32 v[126:127], v[110:111], v[96:97]
	s_wait_loadcnt 0x0
	s_delay_alu instid0(VALU_DEP_1) | instskip(NEXT) | instid1(VALU_DEP_1)
	v_fmac_f64_e32 v[126:127], v[120:121], v[98:99]
	v_add_f64_e64 v[2:3], v[90:91], -v[126:127]
	scratch_store_b64 off, v[2:3], off offset:144
	s_wait_xcnt 0x0
	v_cmpx_lt_u32_e32 17, v0
	s_cbranch_execz .LBB106_233
; %bb.232:
	scratch_load_b64 v[2:3], off, off offset:136
	v_mov_b64_e32 v[90:91], 0
	scratch_store_b64 off, v[90:91], off offset:136
	s_wait_loadcnt 0x0
	ds_store_b64 v1, v[2:3]
.LBB106_233:
	s_wait_xcnt 0x0
	s_or_b32 exec_lo, exec_lo, s0
	s_wait_storecnt_dscnt 0x0
	s_barrier_signal -1
	s_barrier_wait -1
	s_clause 0x5
	scratch_load_b128 v[90:93], off, off offset:136
	scratch_load_b128 v[94:97], off, off offset:152
	;; [unrolled: 1-line block ×6, first 2 shown]
	v_mov_b32_e32 v2, 0
	ds_load_b128 v[114:117], v2 offset:496
	ds_load_b128 v[118:121], v2 offset:512
	scratch_load_b128 v[122:125], off, off offset:232
	s_mov_b32 s0, exec_lo
	s_wait_loadcnt_dscnt 0x601
	v_fma_f64 v[126:127], v[92:93], v[114:115], 0
	s_wait_loadcnt 0x5
	s_delay_alu instid0(VALU_DEP_1) | instskip(SKIP_4) | instid1(VALU_DEP_1)
	v_fmac_f64_e32 v[126:127], v[94:95], v[116:117]
	scratch_load_b128 v[92:95], off, off offset:248
	s_wait_dscnt 0x0
	v_fmac_f64_e32 v[126:127], v[96:97], v[118:119]
	s_wait_loadcnt 0x5
	v_fmac_f64_e32 v[126:127], v[98:99], v[120:121]
	ds_load_b128 v[96:99], v2 offset:528
	ds_load_b128 v[114:117], v2 offset:544
	s_wait_dscnt 0x1
	v_fmac_f64_e32 v[126:127], v[100:101], v[96:97]
	s_wait_loadcnt 0x4
	s_delay_alu instid0(VALU_DEP_1)
	v_fmac_f64_e32 v[126:127], v[102:103], v[98:99]
	s_clause 0x1
	scratch_load_b128 v[96:99], off, off offset:264
	scratch_load_b128 v[100:103], off, off offset:280
	s_wait_dscnt 0x0
	v_fmac_f64_e32 v[126:127], v[104:105], v[114:115]
	s_wait_loadcnt 0x5
	s_delay_alu instid0(VALU_DEP_1)
	v_fmac_f64_e32 v[126:127], v[106:107], v[116:117]
	ds_load_b128 v[104:107], v2 offset:560
	ds_load_b128 v[114:117], v2 offset:576
	s_wait_dscnt 0x1
	v_fmac_f64_e32 v[126:127], v[108:109], v[104:105]
	s_wait_loadcnt 0x4
	s_delay_alu instid0(VALU_DEP_1)
	v_fmac_f64_e32 v[126:127], v[110:111], v[106:107]
	s_clause 0x1
	scratch_load_b128 v[104:107], off, off offset:296
	scratch_load_b128 v[108:111], off, off offset:312
	s_wait_dscnt 0x0
	v_fmac_f64_e32 v[126:127], v[112:113], v[114:115]
	s_wait_loadcnt 0x5
	s_delay_alu instid0(VALU_DEP_1)
	v_fmac_f64_e32 v[126:127], v[122:123], v[116:117]
	ds_load_b128 v[112:115], v2 offset:592
	ds_load_b128 v[116:119], v2 offset:608
	s_wait_dscnt 0x1
	v_fmac_f64_e32 v[126:127], v[124:125], v[112:113]
	s_wait_loadcnt 0x4
	s_delay_alu instid0(VALU_DEP_1) | instskip(SKIP_4) | instid1(VALU_DEP_1)
	v_fmac_f64_e32 v[126:127], v[92:93], v[114:115]
	scratch_load_b128 v[112:115], off, off offset:328
	s_wait_dscnt 0x0
	v_fmac_f64_e32 v[126:127], v[94:95], v[116:117]
	s_wait_loadcnt 0x4
	v_fmac_f64_e32 v[126:127], v[96:97], v[118:119]
	ds_load_b128 v[92:95], v2 offset:624
	ds_load_b128 v[116:119], v2 offset:640
	s_wait_dscnt 0x1
	v_fmac_f64_e32 v[126:127], v[98:99], v[92:93]
	s_wait_loadcnt 0x3
	s_delay_alu instid0(VALU_DEP_1)
	v_fmac_f64_e32 v[126:127], v[100:101], v[94:95]
	ds_load_b128 v[92:95], v2 offset:656
	ds_load_b128 v[96:99], v2 offset:672
	s_wait_dscnt 0x2
	v_fmac_f64_e32 v[126:127], v[102:103], v[116:117]
	s_wait_loadcnt 0x2
	s_delay_alu instid0(VALU_DEP_1) | instskip(SKIP_1) | instid1(VALU_DEP_1)
	v_fmac_f64_e32 v[126:127], v[104:105], v[118:119]
	s_wait_dscnt 0x1
	v_fmac_f64_e32 v[126:127], v[106:107], v[92:93]
	ds_load_b64 v[92:93], v2 offset:688
	s_wait_loadcnt 0x1
	v_fmac_f64_e32 v[126:127], v[108:109], v[94:95]
	s_wait_dscnt 0x1
	s_delay_alu instid0(VALU_DEP_1) | instskip(SKIP_1) | instid1(VALU_DEP_1)
	v_fmac_f64_e32 v[126:127], v[110:111], v[96:97]
	s_wait_loadcnt 0x0
	v_fmac_f64_e32 v[126:127], v[112:113], v[98:99]
	s_wait_dscnt 0x0
	s_delay_alu instid0(VALU_DEP_1) | instskip(NEXT) | instid1(VALU_DEP_1)
	v_fmac_f64_e32 v[126:127], v[114:115], v[92:93]
	v_add_f64_e64 v[90:91], v[90:91], -v[126:127]
	scratch_store_b64 off, v[90:91], off offset:136
	s_wait_xcnt 0x0
	v_cmpx_lt_u32_e32 16, v0
	s_cbranch_execz .LBB106_235
; %bb.234:
	scratch_load_b64 v[90:91], off, off offset:128
	v_mov_b64_e32 v[92:93], 0
	scratch_store_b64 off, v[92:93], off offset:128
	s_wait_loadcnt 0x0
	ds_store_b64 v1, v[90:91]
.LBB106_235:
	s_wait_xcnt 0x0
	s_or_b32 exec_lo, exec_lo, s0
	s_wait_storecnt_dscnt 0x0
	s_barrier_signal -1
	s_barrier_wait -1
	s_clause 0x5
	scratch_load_b128 v[90:93], off, off offset:128
	scratch_load_b128 v[94:97], off, off offset:144
	;; [unrolled: 1-line block ×6, first 2 shown]
	ds_load_2addr_b64 v[114:117], v2 offset0:61 offset1:62
	ds_load_2addr_b64 v[118:121], v2 offset0:63 offset1:64
	scratch_load_b128 v[122:125], off, off offset:224
	s_mov_b32 s0, exec_lo
	s_wait_loadcnt_dscnt 0x601
	v_fma_f64 v[126:127], v[92:93], v[114:115], 0
	s_wait_loadcnt 0x5
	s_delay_alu instid0(VALU_DEP_1) | instskip(SKIP_4) | instid1(VALU_DEP_1)
	v_fmac_f64_e32 v[126:127], v[94:95], v[116:117]
	scratch_load_b128 v[92:95], off, off offset:240
	s_wait_dscnt 0x0
	v_fmac_f64_e32 v[126:127], v[96:97], v[118:119]
	s_wait_loadcnt 0x5
	v_fmac_f64_e32 v[126:127], v[98:99], v[120:121]
	ds_load_2addr_b64 v[96:99], v2 offset0:65 offset1:66
	ds_load_2addr_b64 v[114:117], v2 offset0:67 offset1:68
	scratch_load_b128 v[118:121], off, off offset:256
	s_wait_dscnt 0x1
	v_fmac_f64_e32 v[126:127], v[100:101], v[96:97]
	s_wait_loadcnt 0x5
	s_delay_alu instid0(VALU_DEP_1) | instskip(SKIP_4) | instid1(VALU_DEP_1)
	v_fmac_f64_e32 v[126:127], v[102:103], v[98:99]
	scratch_load_b128 v[96:99], off, off offset:272
	s_wait_dscnt 0x0
	v_fmac_f64_e32 v[126:127], v[104:105], v[114:115]
	s_wait_loadcnt 0x5
	v_fmac_f64_e32 v[126:127], v[106:107], v[116:117]
	ds_load_2addr_b64 v[100:103], v2 offset0:69 offset1:70
	ds_load_2addr_b64 v[104:107], v2 offset0:71 offset1:72
	s_wait_dscnt 0x1
	v_fmac_f64_e32 v[126:127], v[108:109], v[100:101]
	s_wait_loadcnt 0x4
	s_delay_alu instid0(VALU_DEP_1) | instskip(SKIP_4) | instid1(VALU_DEP_1)
	v_fmac_f64_e32 v[126:127], v[110:111], v[102:103]
	scratch_load_b128 v[100:103], off, off offset:288
	s_wait_dscnt 0x0
	v_fmac_f64_e32 v[126:127], v[112:113], v[104:105]
	s_wait_loadcnt 0x4
	v_fmac_f64_e32 v[126:127], v[122:123], v[106:107]
	scratch_load_b128 v[104:107], off, off offset:304
	ds_load_2addr_b64 v[108:111], v2 offset0:73 offset1:74
	ds_load_2addr_b64 v[112:115], v2 offset0:75 offset1:76
	scratch_load_b64 v[116:117], off, off offset:336
	s_wait_dscnt 0x1
	v_fmac_f64_e32 v[126:127], v[124:125], v[108:109]
	s_wait_loadcnt 0x5
	s_delay_alu instid0(VALU_DEP_1) | instskip(SKIP_4) | instid1(VALU_DEP_1)
	v_fmac_f64_e32 v[126:127], v[92:93], v[110:111]
	scratch_load_b128 v[108:111], off, off offset:320
	s_wait_dscnt 0x0
	v_fmac_f64_e32 v[126:127], v[94:95], v[112:113]
	s_wait_loadcnt 0x5
	v_fmac_f64_e32 v[126:127], v[118:119], v[114:115]
	ds_load_2addr_b64 v[92:95], v2 offset0:77 offset1:78
	ds_load_2addr_b64 v[112:115], v2 offset0:79 offset1:80
	s_wait_dscnt 0x1
	v_fmac_f64_e32 v[126:127], v[120:121], v[92:93]
	s_wait_loadcnt 0x4
	s_delay_alu instid0(VALU_DEP_1) | instskip(SKIP_1) | instid1(VALU_DEP_1)
	v_fmac_f64_e32 v[126:127], v[96:97], v[94:95]
	s_wait_dscnt 0x0
	v_fmac_f64_e32 v[126:127], v[98:99], v[112:113]
	ds_load_2addr_b64 v[92:95], v2 offset0:81 offset1:82
	ds_load_2addr_b64 v[96:99], v2 offset0:83 offset1:84
	s_wait_loadcnt 0x3
	v_fmac_f64_e32 v[126:127], v[100:101], v[114:115]
	s_wait_dscnt 0x1
	s_delay_alu instid0(VALU_DEP_1) | instskip(SKIP_1) | instid1(VALU_DEP_1)
	v_fmac_f64_e32 v[126:127], v[102:103], v[92:93]
	s_wait_loadcnt 0x2
	v_fmac_f64_e32 v[126:127], v[104:105], v[94:95]
	ds_load_2addr_b64 v[92:95], v2 offset0:85 offset1:86
	s_wait_dscnt 0x1
	v_fmac_f64_e32 v[126:127], v[106:107], v[96:97]
	s_wait_loadcnt 0x0
	s_delay_alu instid0(VALU_DEP_1) | instskip(SKIP_1) | instid1(VALU_DEP_1)
	v_fmac_f64_e32 v[126:127], v[108:109], v[98:99]
	s_wait_dscnt 0x0
	v_fmac_f64_e32 v[126:127], v[110:111], v[92:93]
	s_delay_alu instid0(VALU_DEP_1) | instskip(NEXT) | instid1(VALU_DEP_1)
	v_fmac_f64_e32 v[126:127], v[116:117], v[94:95]
	v_add_f64_e64 v[2:3], v[90:91], -v[126:127]
	scratch_store_b64 off, v[2:3], off offset:128
	s_wait_xcnt 0x0
	v_cmpx_lt_u32_e32 15, v0
	s_cbranch_execz .LBB106_237
; %bb.236:
	scratch_load_b64 v[2:3], off, off offset:120
	v_mov_b64_e32 v[90:91], 0
	scratch_store_b64 off, v[90:91], off offset:120
	s_wait_loadcnt 0x0
	ds_store_b64 v1, v[2:3]
.LBB106_237:
	s_wait_xcnt 0x0
	s_or_b32 exec_lo, exec_lo, s0
	s_wait_storecnt_dscnt 0x0
	s_barrier_signal -1
	s_barrier_wait -1
	s_clause 0x5
	scratch_load_b128 v[90:93], off, off offset:120
	scratch_load_b128 v[94:97], off, off offset:136
	;; [unrolled: 1-line block ×6, first 2 shown]
	v_mov_b32_e32 v2, 0
	ds_load_b128 v[114:117], v2 offset:480
	ds_load_b128 v[118:121], v2 offset:496
	scratch_load_b128 v[122:125], off, off offset:216
	s_mov_b32 s0, exec_lo
	s_wait_loadcnt_dscnt 0x601
	v_fma_f64 v[126:127], v[92:93], v[114:115], 0
	s_wait_loadcnt 0x5
	s_delay_alu instid0(VALU_DEP_1) | instskip(SKIP_4) | instid1(VALU_DEP_1)
	v_fmac_f64_e32 v[126:127], v[94:95], v[116:117]
	scratch_load_b128 v[92:95], off, off offset:232
	s_wait_dscnt 0x0
	v_fmac_f64_e32 v[126:127], v[96:97], v[118:119]
	s_wait_loadcnt 0x5
	v_fmac_f64_e32 v[126:127], v[98:99], v[120:121]
	ds_load_b128 v[96:99], v2 offset:512
	ds_load_b128 v[114:117], v2 offset:528
	scratch_load_b128 v[118:121], off, off offset:248
	s_wait_dscnt 0x1
	v_fmac_f64_e32 v[126:127], v[100:101], v[96:97]
	s_wait_loadcnt 0x5
	s_delay_alu instid0(VALU_DEP_1) | instskip(SKIP_4) | instid1(VALU_DEP_1)
	v_fmac_f64_e32 v[126:127], v[102:103], v[98:99]
	scratch_load_b128 v[96:99], off, off offset:264
	s_wait_dscnt 0x0
	v_fmac_f64_e32 v[126:127], v[104:105], v[114:115]
	s_wait_loadcnt 0x5
	v_fmac_f64_e32 v[126:127], v[106:107], v[116:117]
	ds_load_b128 v[100:103], v2 offset:544
	ds_load_b128 v[104:107], v2 offset:560
	s_wait_dscnt 0x1
	v_fmac_f64_e32 v[126:127], v[108:109], v[100:101]
	s_wait_loadcnt 0x4
	s_delay_alu instid0(VALU_DEP_1) | instskip(SKIP_4) | instid1(VALU_DEP_1)
	v_fmac_f64_e32 v[126:127], v[110:111], v[102:103]
	scratch_load_b128 v[100:103], off, off offset:280
	s_wait_dscnt 0x0
	v_fmac_f64_e32 v[126:127], v[112:113], v[104:105]
	s_wait_loadcnt 0x4
	v_fmac_f64_e32 v[126:127], v[122:123], v[106:107]
	scratch_load_b128 v[104:107], off, off offset:296
	ds_load_b128 v[108:111], v2 offset:576
	ds_load_b128 v[112:115], v2 offset:592
	s_wait_dscnt 0x1
	v_fmac_f64_e32 v[126:127], v[124:125], v[108:109]
	s_wait_loadcnt 0x4
	s_delay_alu instid0(VALU_DEP_1)
	v_fmac_f64_e32 v[126:127], v[92:93], v[110:111]
	scratch_load_b128 v[108:111], off, off offset:312
	s_wait_dscnt 0x0
	v_fmac_f64_e32 v[126:127], v[94:95], v[112:113]
	scratch_load_b128 v[92:95], off, off offset:328
	s_wait_loadcnt 0x5
	v_fmac_f64_e32 v[126:127], v[118:119], v[114:115]
	ds_load_b128 v[112:115], v2 offset:608
	ds_load_b128 v[116:119], v2 offset:624
	s_wait_dscnt 0x1
	v_fmac_f64_e32 v[126:127], v[120:121], v[112:113]
	s_wait_loadcnt 0x4
	s_delay_alu instid0(VALU_DEP_1) | instskip(SKIP_1) | instid1(VALU_DEP_1)
	v_fmac_f64_e32 v[126:127], v[96:97], v[114:115]
	s_wait_dscnt 0x0
	v_fmac_f64_e32 v[126:127], v[98:99], v[116:117]
	ds_load_b128 v[96:99], v2 offset:640
	ds_load_b128 v[112:115], v2 offset:656
	s_wait_loadcnt 0x3
	v_fmac_f64_e32 v[126:127], v[100:101], v[118:119]
	s_wait_dscnt 0x1
	s_delay_alu instid0(VALU_DEP_1) | instskip(SKIP_1) | instid1(VALU_DEP_1)
	v_fmac_f64_e32 v[126:127], v[102:103], v[96:97]
	s_wait_loadcnt 0x2
	v_fmac_f64_e32 v[126:127], v[104:105], v[98:99]
	ds_load_b128 v[96:99], v2 offset:672
	ds_load_b64 v[100:101], v2 offset:688
	s_wait_dscnt 0x2
	v_fmac_f64_e32 v[126:127], v[106:107], v[112:113]
	s_wait_loadcnt 0x1
	s_delay_alu instid0(VALU_DEP_1) | instskip(SKIP_1) | instid1(VALU_DEP_1)
	v_fmac_f64_e32 v[126:127], v[108:109], v[114:115]
	s_wait_dscnt 0x1
	v_fmac_f64_e32 v[126:127], v[110:111], v[96:97]
	s_wait_loadcnt 0x0
	s_delay_alu instid0(VALU_DEP_1) | instskip(SKIP_1) | instid1(VALU_DEP_1)
	v_fmac_f64_e32 v[126:127], v[92:93], v[98:99]
	s_wait_dscnt 0x0
	v_fmac_f64_e32 v[126:127], v[94:95], v[100:101]
	s_delay_alu instid0(VALU_DEP_1)
	v_add_f64_e64 v[90:91], v[90:91], -v[126:127]
	scratch_store_b64 off, v[90:91], off offset:120
	s_wait_xcnt 0x0
	v_cmpx_lt_u32_e32 14, v0
	s_cbranch_execz .LBB106_239
; %bb.238:
	scratch_load_b64 v[90:91], off, off offset:112
	v_mov_b64_e32 v[92:93], 0
	scratch_store_b64 off, v[92:93], off offset:112
	s_wait_loadcnt 0x0
	ds_store_b64 v1, v[90:91]
.LBB106_239:
	s_wait_xcnt 0x0
	s_or_b32 exec_lo, exec_lo, s0
	s_wait_storecnt_dscnt 0x0
	s_barrier_signal -1
	s_barrier_wait -1
	s_clause 0x5
	scratch_load_b128 v[90:93], off, off offset:112
	scratch_load_b128 v[94:97], off, off offset:128
	;; [unrolled: 1-line block ×6, first 2 shown]
	ds_load_2addr_b64 v[114:117], v2 offset0:59 offset1:60
	ds_load_2addr_b64 v[118:121], v2 offset0:61 offset1:62
	scratch_load_b128 v[122:125], off, off offset:208
	s_mov_b32 s0, exec_lo
	s_wait_loadcnt_dscnt 0x601
	v_fma_f64 v[126:127], v[92:93], v[114:115], 0
	s_wait_loadcnt 0x5
	s_delay_alu instid0(VALU_DEP_1) | instskip(SKIP_4) | instid1(VALU_DEP_1)
	v_fmac_f64_e32 v[126:127], v[94:95], v[116:117]
	scratch_load_b128 v[92:95], off, off offset:224
	s_wait_dscnt 0x0
	v_fmac_f64_e32 v[126:127], v[96:97], v[118:119]
	s_wait_loadcnt 0x5
	v_fmac_f64_e32 v[126:127], v[98:99], v[120:121]
	ds_load_2addr_b64 v[96:99], v2 offset0:63 offset1:64
	ds_load_2addr_b64 v[114:117], v2 offset0:65 offset1:66
	scratch_load_b128 v[118:121], off, off offset:240
	s_wait_dscnt 0x1
	v_fmac_f64_e32 v[126:127], v[100:101], v[96:97]
	s_wait_loadcnt 0x5
	s_delay_alu instid0(VALU_DEP_1) | instskip(SKIP_4) | instid1(VALU_DEP_1)
	v_fmac_f64_e32 v[126:127], v[102:103], v[98:99]
	scratch_load_b128 v[96:99], off, off offset:256
	s_wait_dscnt 0x0
	v_fmac_f64_e32 v[126:127], v[104:105], v[114:115]
	s_wait_loadcnt 0x5
	v_fmac_f64_e32 v[126:127], v[106:107], v[116:117]
	ds_load_2addr_b64 v[100:103], v2 offset0:67 offset1:68
	ds_load_2addr_b64 v[104:107], v2 offset0:69 offset1:70
	s_wait_dscnt 0x1
	v_fmac_f64_e32 v[126:127], v[108:109], v[100:101]
	s_wait_loadcnt 0x4
	s_delay_alu instid0(VALU_DEP_1) | instskip(SKIP_4) | instid1(VALU_DEP_1)
	v_fmac_f64_e32 v[126:127], v[110:111], v[102:103]
	scratch_load_b128 v[100:103], off, off offset:272
	s_wait_dscnt 0x0
	v_fmac_f64_e32 v[126:127], v[112:113], v[104:105]
	s_wait_loadcnt 0x4
	v_fmac_f64_e32 v[126:127], v[122:123], v[106:107]
	scratch_load_b128 v[104:107], off, off offset:288
	ds_load_2addr_b64 v[108:111], v2 offset0:71 offset1:72
	ds_load_2addr_b64 v[112:115], v2 offset0:73 offset1:74
	s_wait_dscnt 0x1
	v_fmac_f64_e32 v[126:127], v[124:125], v[108:109]
	s_wait_loadcnt 0x4
	s_delay_alu instid0(VALU_DEP_1)
	v_fmac_f64_e32 v[126:127], v[92:93], v[110:111]
	scratch_load_b128 v[108:111], off, off offset:304
	s_wait_dscnt 0x0
	v_fmac_f64_e32 v[126:127], v[94:95], v[112:113]
	scratch_load_b128 v[92:95], off, off offset:320
	s_wait_loadcnt 0x5
	v_fmac_f64_e32 v[126:127], v[118:119], v[114:115]
	ds_load_2addr_b64 v[112:115], v2 offset0:75 offset1:76
	ds_load_2addr_b64 v[116:119], v2 offset0:77 offset1:78
	s_wait_dscnt 0x1
	v_fmac_f64_e32 v[126:127], v[120:121], v[112:113]
	scratch_load_b64 v[120:121], off, off offset:336
	s_wait_loadcnt 0x5
	v_fmac_f64_e32 v[126:127], v[96:97], v[114:115]
	s_wait_dscnt 0x0
	s_delay_alu instid0(VALU_DEP_1)
	v_fmac_f64_e32 v[126:127], v[98:99], v[116:117]
	ds_load_2addr_b64 v[96:99], v2 offset0:79 offset1:80
	ds_load_2addr_b64 v[112:115], v2 offset0:81 offset1:82
	s_wait_loadcnt 0x4
	v_fmac_f64_e32 v[126:127], v[100:101], v[118:119]
	s_wait_dscnt 0x1
	s_delay_alu instid0(VALU_DEP_1) | instskip(SKIP_1) | instid1(VALU_DEP_1)
	v_fmac_f64_e32 v[126:127], v[102:103], v[96:97]
	s_wait_loadcnt 0x3
	v_fmac_f64_e32 v[126:127], v[104:105], v[98:99]
	ds_load_2addr_b64 v[96:99], v2 offset0:83 offset1:84
	ds_load_2addr_b64 v[100:103], v2 offset0:85 offset1:86
	s_wait_dscnt 0x2
	v_fmac_f64_e32 v[126:127], v[106:107], v[112:113]
	s_wait_loadcnt 0x2
	s_delay_alu instid0(VALU_DEP_1) | instskip(SKIP_1) | instid1(VALU_DEP_1)
	v_fmac_f64_e32 v[126:127], v[108:109], v[114:115]
	s_wait_dscnt 0x1
	v_fmac_f64_e32 v[126:127], v[110:111], v[96:97]
	s_wait_loadcnt 0x1
	s_delay_alu instid0(VALU_DEP_1) | instskip(SKIP_1) | instid1(VALU_DEP_1)
	v_fmac_f64_e32 v[126:127], v[92:93], v[98:99]
	s_wait_dscnt 0x0
	v_fmac_f64_e32 v[126:127], v[94:95], v[100:101]
	s_wait_loadcnt 0x0
	s_delay_alu instid0(VALU_DEP_1) | instskip(NEXT) | instid1(VALU_DEP_1)
	v_fmac_f64_e32 v[126:127], v[120:121], v[102:103]
	v_add_f64_e64 v[2:3], v[90:91], -v[126:127]
	scratch_store_b64 off, v[2:3], off offset:112
	s_wait_xcnt 0x0
	v_cmpx_lt_u32_e32 13, v0
	s_cbranch_execz .LBB106_241
; %bb.240:
	scratch_load_b64 v[2:3], off, off offset:104
	v_mov_b64_e32 v[90:91], 0
	scratch_store_b64 off, v[90:91], off offset:104
	s_wait_loadcnt 0x0
	ds_store_b64 v1, v[2:3]
.LBB106_241:
	s_wait_xcnt 0x0
	s_or_b32 exec_lo, exec_lo, s0
	s_wait_storecnt_dscnt 0x0
	s_barrier_signal -1
	s_barrier_wait -1
	s_clause 0x5
	scratch_load_b128 v[90:93], off, off offset:104
	scratch_load_b128 v[94:97], off, off offset:120
	;; [unrolled: 1-line block ×6, first 2 shown]
	v_mov_b32_e32 v2, 0
	ds_load_b128 v[114:117], v2 offset:464
	ds_load_b128 v[118:121], v2 offset:480
	scratch_load_b128 v[122:125], off, off offset:200
	s_mov_b32 s0, exec_lo
	s_wait_loadcnt_dscnt 0x601
	v_fma_f64 v[126:127], v[92:93], v[114:115], 0
	s_wait_loadcnt 0x5
	s_delay_alu instid0(VALU_DEP_1) | instskip(SKIP_4) | instid1(VALU_DEP_1)
	v_fmac_f64_e32 v[126:127], v[94:95], v[116:117]
	scratch_load_b128 v[92:95], off, off offset:216
	s_wait_dscnt 0x0
	v_fmac_f64_e32 v[126:127], v[96:97], v[118:119]
	s_wait_loadcnt 0x5
	v_fmac_f64_e32 v[126:127], v[98:99], v[120:121]
	ds_load_b128 v[96:99], v2 offset:496
	ds_load_b128 v[114:117], v2 offset:512
	scratch_load_b128 v[118:121], off, off offset:232
	s_wait_dscnt 0x1
	v_fmac_f64_e32 v[126:127], v[100:101], v[96:97]
	s_wait_loadcnt 0x5
	s_delay_alu instid0(VALU_DEP_1) | instskip(SKIP_4) | instid1(VALU_DEP_1)
	v_fmac_f64_e32 v[126:127], v[102:103], v[98:99]
	scratch_load_b128 v[96:99], off, off offset:248
	s_wait_dscnt 0x0
	v_fmac_f64_e32 v[126:127], v[104:105], v[114:115]
	s_wait_loadcnt 0x5
	v_fmac_f64_e32 v[126:127], v[106:107], v[116:117]
	ds_load_b128 v[100:103], v2 offset:528
	ds_load_b128 v[104:107], v2 offset:544
	s_wait_dscnt 0x1
	v_fmac_f64_e32 v[126:127], v[108:109], v[100:101]
	s_wait_loadcnt 0x4
	s_delay_alu instid0(VALU_DEP_1) | instskip(SKIP_4) | instid1(VALU_DEP_1)
	v_fmac_f64_e32 v[126:127], v[110:111], v[102:103]
	scratch_load_b128 v[100:103], off, off offset:264
	s_wait_dscnt 0x0
	v_fmac_f64_e32 v[126:127], v[112:113], v[104:105]
	s_wait_loadcnt 0x4
	v_fmac_f64_e32 v[126:127], v[122:123], v[106:107]
	scratch_load_b128 v[104:107], off, off offset:280
	ds_load_b128 v[108:111], v2 offset:560
	ds_load_b128 v[112:115], v2 offset:576
	s_wait_dscnt 0x1
	v_fmac_f64_e32 v[126:127], v[124:125], v[108:109]
	s_wait_loadcnt 0x4
	s_delay_alu instid0(VALU_DEP_1)
	v_fmac_f64_e32 v[126:127], v[92:93], v[110:111]
	scratch_load_b128 v[108:111], off, off offset:296
	s_wait_dscnt 0x0
	v_fmac_f64_e32 v[126:127], v[94:95], v[112:113]
	scratch_load_b128 v[92:95], off, off offset:312
	s_wait_loadcnt 0x5
	v_fmac_f64_e32 v[126:127], v[118:119], v[114:115]
	ds_load_b128 v[112:115], v2 offset:592
	ds_load_b128 v[116:119], v2 offset:608
	s_wait_dscnt 0x1
	v_fmac_f64_e32 v[126:127], v[120:121], v[112:113]
	s_wait_loadcnt 0x4
	s_delay_alu instid0(VALU_DEP_1) | instskip(SKIP_4) | instid1(VALU_DEP_1)
	v_fmac_f64_e32 v[126:127], v[96:97], v[114:115]
	scratch_load_b128 v[112:115], off, off offset:328
	s_wait_dscnt 0x0
	v_fmac_f64_e32 v[126:127], v[98:99], v[116:117]
	s_wait_loadcnt 0x4
	v_fmac_f64_e32 v[126:127], v[100:101], v[118:119]
	ds_load_b128 v[96:99], v2 offset:624
	ds_load_b128 v[116:119], v2 offset:640
	s_wait_dscnt 0x1
	v_fmac_f64_e32 v[126:127], v[102:103], v[96:97]
	s_wait_loadcnt 0x3
	s_delay_alu instid0(VALU_DEP_1)
	v_fmac_f64_e32 v[126:127], v[104:105], v[98:99]
	ds_load_b128 v[96:99], v2 offset:656
	ds_load_b128 v[100:103], v2 offset:672
	s_wait_dscnt 0x2
	v_fmac_f64_e32 v[126:127], v[106:107], v[116:117]
	s_wait_loadcnt 0x2
	s_delay_alu instid0(VALU_DEP_1) | instskip(SKIP_1) | instid1(VALU_DEP_1)
	v_fmac_f64_e32 v[126:127], v[108:109], v[118:119]
	s_wait_dscnt 0x1
	v_fmac_f64_e32 v[126:127], v[110:111], v[96:97]
	s_wait_loadcnt 0x1
	s_delay_alu instid0(VALU_DEP_1) | instskip(SKIP_4) | instid1(VALU_DEP_1)
	v_fmac_f64_e32 v[126:127], v[92:93], v[98:99]
	ds_load_b64 v[92:93], v2 offset:688
	s_wait_dscnt 0x1
	v_fmac_f64_e32 v[126:127], v[94:95], v[100:101]
	s_wait_loadcnt 0x0
	v_fmac_f64_e32 v[126:127], v[112:113], v[102:103]
	s_wait_dscnt 0x0
	s_delay_alu instid0(VALU_DEP_1) | instskip(NEXT) | instid1(VALU_DEP_1)
	v_fmac_f64_e32 v[126:127], v[114:115], v[92:93]
	v_add_f64_e64 v[90:91], v[90:91], -v[126:127]
	scratch_store_b64 off, v[90:91], off offset:104
	s_wait_xcnt 0x0
	v_cmpx_lt_u32_e32 12, v0
	s_cbranch_execz .LBB106_243
; %bb.242:
	scratch_load_b64 v[90:91], off, off offset:96
	v_mov_b64_e32 v[92:93], 0
	scratch_store_b64 off, v[92:93], off offset:96
	s_wait_loadcnt 0x0
	ds_store_b64 v1, v[90:91]
.LBB106_243:
	s_wait_xcnt 0x0
	s_or_b32 exec_lo, exec_lo, s0
	s_wait_storecnt_dscnt 0x0
	s_barrier_signal -1
	s_barrier_wait -1
	s_clause 0x5
	scratch_load_b128 v[90:93], off, off offset:96
	scratch_load_b128 v[94:97], off, off offset:112
	;; [unrolled: 1-line block ×6, first 2 shown]
	ds_load_2addr_b64 v[114:117], v2 offset0:57 offset1:58
	ds_load_2addr_b64 v[118:121], v2 offset0:59 offset1:60
	scratch_load_b128 v[122:125], off, off offset:192
	s_mov_b32 s0, exec_lo
	s_wait_loadcnt_dscnt 0x601
	v_fma_f64 v[126:127], v[92:93], v[114:115], 0
	s_wait_loadcnt 0x5
	s_delay_alu instid0(VALU_DEP_1) | instskip(SKIP_4) | instid1(VALU_DEP_1)
	v_fmac_f64_e32 v[126:127], v[94:95], v[116:117]
	scratch_load_b128 v[92:95], off, off offset:208
	s_wait_dscnt 0x0
	v_fmac_f64_e32 v[126:127], v[96:97], v[118:119]
	s_wait_loadcnt 0x5
	v_fmac_f64_e32 v[126:127], v[98:99], v[120:121]
	ds_load_2addr_b64 v[96:99], v2 offset0:61 offset1:62
	ds_load_2addr_b64 v[114:117], v2 offset0:63 offset1:64
	scratch_load_b128 v[118:121], off, off offset:224
	s_wait_dscnt 0x1
	v_fmac_f64_e32 v[126:127], v[100:101], v[96:97]
	s_wait_loadcnt 0x5
	s_delay_alu instid0(VALU_DEP_1) | instskip(SKIP_4) | instid1(VALU_DEP_1)
	v_fmac_f64_e32 v[126:127], v[102:103], v[98:99]
	scratch_load_b128 v[96:99], off, off offset:240
	s_wait_dscnt 0x0
	v_fmac_f64_e32 v[126:127], v[104:105], v[114:115]
	s_wait_loadcnt 0x5
	v_fmac_f64_e32 v[126:127], v[106:107], v[116:117]
	ds_load_2addr_b64 v[100:103], v2 offset0:65 offset1:66
	ds_load_2addr_b64 v[104:107], v2 offset0:67 offset1:68
	scratch_load_b128 v[114:117], off, off offset:256
	s_wait_dscnt 0x1
	v_fmac_f64_e32 v[126:127], v[108:109], v[100:101]
	s_wait_loadcnt 0x5
	s_delay_alu instid0(VALU_DEP_1) | instskip(SKIP_4) | instid1(VALU_DEP_1)
	v_fmac_f64_e32 v[126:127], v[110:111], v[102:103]
	scratch_load_b128 v[100:103], off, off offset:272
	s_wait_dscnt 0x0
	v_fmac_f64_e32 v[126:127], v[112:113], v[104:105]
	s_wait_loadcnt 0x5
	v_fmac_f64_e32 v[126:127], v[122:123], v[106:107]
	ds_load_2addr_b64 v[104:107], v2 offset0:69 offset1:70
	ds_load_2addr_b64 v[108:111], v2 offset0:71 offset1:72
	s_wait_dscnt 0x1
	v_fmac_f64_e32 v[126:127], v[124:125], v[104:105]
	s_wait_loadcnt 0x4
	s_delay_alu instid0(VALU_DEP_1)
	v_fmac_f64_e32 v[126:127], v[92:93], v[106:107]
	scratch_load_b128 v[104:107], off, off offset:288
	s_wait_dscnt 0x0
	v_fmac_f64_e32 v[126:127], v[94:95], v[108:109]
	scratch_load_b128 v[92:95], off, off offset:304
	s_wait_loadcnt 0x5
	v_fmac_f64_e32 v[126:127], v[118:119], v[110:111]
	ds_load_2addr_b64 v[108:111], v2 offset0:73 offset1:74
	ds_load_2addr_b64 v[122:125], v2 offset0:75 offset1:76
	scratch_load_b64 v[118:119], off, off offset:336
	s_wait_dscnt 0x1
	v_fmac_f64_e32 v[126:127], v[120:121], v[108:109]
	s_wait_loadcnt 0x5
	s_delay_alu instid0(VALU_DEP_1) | instskip(SKIP_4) | instid1(VALU_DEP_1)
	v_fmac_f64_e32 v[126:127], v[96:97], v[110:111]
	scratch_load_b128 v[108:111], off, off offset:320
	s_wait_dscnt 0x0
	v_fmac_f64_e32 v[126:127], v[98:99], v[122:123]
	s_wait_loadcnt 0x5
	v_fmac_f64_e32 v[126:127], v[114:115], v[124:125]
	ds_load_2addr_b64 v[96:99], v2 offset0:77 offset1:78
	ds_load_2addr_b64 v[112:115], v2 offset0:79 offset1:80
	s_wait_dscnt 0x1
	v_fmac_f64_e32 v[126:127], v[116:117], v[96:97]
	s_wait_loadcnt 0x4
	s_delay_alu instid0(VALU_DEP_1) | instskip(SKIP_1) | instid1(VALU_DEP_1)
	v_fmac_f64_e32 v[126:127], v[100:101], v[98:99]
	s_wait_dscnt 0x0
	v_fmac_f64_e32 v[126:127], v[102:103], v[112:113]
	ds_load_2addr_b64 v[96:99], v2 offset0:81 offset1:82
	ds_load_2addr_b64 v[100:103], v2 offset0:83 offset1:84
	s_wait_loadcnt 0x3
	v_fmac_f64_e32 v[126:127], v[104:105], v[114:115]
	s_wait_dscnt 0x1
	s_delay_alu instid0(VALU_DEP_1) | instskip(SKIP_1) | instid1(VALU_DEP_1)
	v_fmac_f64_e32 v[126:127], v[106:107], v[96:97]
	s_wait_loadcnt 0x2
	v_fmac_f64_e32 v[126:127], v[92:93], v[98:99]
	s_wait_dscnt 0x0
	s_delay_alu instid0(VALU_DEP_1) | instskip(SKIP_4) | instid1(VALU_DEP_1)
	v_fmac_f64_e32 v[126:127], v[94:95], v[100:101]
	ds_load_2addr_b64 v[92:95], v2 offset0:85 offset1:86
	s_wait_loadcnt 0x0
	v_fmac_f64_e32 v[126:127], v[108:109], v[102:103]
	s_wait_dscnt 0x0
	v_fmac_f64_e32 v[126:127], v[110:111], v[92:93]
	s_delay_alu instid0(VALU_DEP_1) | instskip(NEXT) | instid1(VALU_DEP_1)
	v_fmac_f64_e32 v[126:127], v[118:119], v[94:95]
	v_add_f64_e64 v[2:3], v[90:91], -v[126:127]
	scratch_store_b64 off, v[2:3], off offset:96
	s_wait_xcnt 0x0
	v_cmpx_lt_u32_e32 11, v0
	s_cbranch_execz .LBB106_245
; %bb.244:
	scratch_load_b64 v[2:3], off, off offset:88
	v_mov_b64_e32 v[90:91], 0
	scratch_store_b64 off, v[90:91], off offset:88
	s_wait_loadcnt 0x0
	ds_store_b64 v1, v[2:3]
.LBB106_245:
	s_wait_xcnt 0x0
	s_or_b32 exec_lo, exec_lo, s0
	s_wait_storecnt_dscnt 0x0
	s_barrier_signal -1
	s_barrier_wait -1
	s_clause 0x5
	scratch_load_b128 v[90:93], off, off offset:88
	scratch_load_b128 v[94:97], off, off offset:104
	scratch_load_b128 v[98:101], off, off offset:120
	scratch_load_b128 v[102:105], off, off offset:136
	scratch_load_b128 v[106:109], off, off offset:152
	scratch_load_b128 v[110:113], off, off offset:168
	v_mov_b32_e32 v2, 0
	ds_load_b128 v[114:117], v2 offset:448
	ds_load_b128 v[118:121], v2 offset:464
	scratch_load_b128 v[122:125], off, off offset:184
	s_mov_b32 s0, exec_lo
	s_wait_loadcnt_dscnt 0x601
	v_fma_f64 v[126:127], v[92:93], v[114:115], 0
	s_wait_loadcnt 0x5
	s_delay_alu instid0(VALU_DEP_1) | instskip(SKIP_4) | instid1(VALU_DEP_1)
	v_fmac_f64_e32 v[126:127], v[94:95], v[116:117]
	scratch_load_b128 v[92:95], off, off offset:200
	s_wait_dscnt 0x0
	v_fmac_f64_e32 v[126:127], v[96:97], v[118:119]
	s_wait_loadcnt 0x5
	v_fmac_f64_e32 v[126:127], v[98:99], v[120:121]
	ds_load_b128 v[96:99], v2 offset:480
	ds_load_b128 v[114:117], v2 offset:496
	scratch_load_b128 v[118:121], off, off offset:216
	s_wait_dscnt 0x1
	v_fmac_f64_e32 v[126:127], v[100:101], v[96:97]
	s_wait_loadcnt 0x5
	s_delay_alu instid0(VALU_DEP_1) | instskip(SKIP_4) | instid1(VALU_DEP_1)
	v_fmac_f64_e32 v[126:127], v[102:103], v[98:99]
	scratch_load_b128 v[96:99], off, off offset:232
	s_wait_dscnt 0x0
	v_fmac_f64_e32 v[126:127], v[104:105], v[114:115]
	s_wait_loadcnt 0x5
	v_fmac_f64_e32 v[126:127], v[106:107], v[116:117]
	ds_load_b128 v[100:103], v2 offset:512
	ds_load_b128 v[104:107], v2 offset:528
	scratch_load_b128 v[114:117], off, off offset:248
	s_wait_dscnt 0x1
	v_fmac_f64_e32 v[126:127], v[108:109], v[100:101]
	s_wait_loadcnt 0x5
	s_delay_alu instid0(VALU_DEP_1) | instskip(SKIP_4) | instid1(VALU_DEP_1)
	v_fmac_f64_e32 v[126:127], v[110:111], v[102:103]
	scratch_load_b128 v[100:103], off, off offset:264
	s_wait_dscnt 0x0
	v_fmac_f64_e32 v[126:127], v[112:113], v[104:105]
	s_wait_loadcnt 0x5
	v_fmac_f64_e32 v[126:127], v[122:123], v[106:107]
	ds_load_b128 v[104:107], v2 offset:544
	ds_load_b128 v[108:111], v2 offset:560
	s_wait_dscnt 0x1
	v_fmac_f64_e32 v[126:127], v[124:125], v[104:105]
	s_wait_loadcnt 0x4
	s_delay_alu instid0(VALU_DEP_1)
	v_fmac_f64_e32 v[126:127], v[92:93], v[106:107]
	scratch_load_b128 v[104:107], off, off offset:280
	s_wait_dscnt 0x0
	v_fmac_f64_e32 v[126:127], v[94:95], v[108:109]
	scratch_load_b128 v[92:95], off, off offset:296
	s_wait_loadcnt 0x5
	v_fmac_f64_e32 v[126:127], v[118:119], v[110:111]
	ds_load_b128 v[108:111], v2 offset:576
	ds_load_b128 v[122:125], v2 offset:592
	s_wait_dscnt 0x1
	v_fmac_f64_e32 v[126:127], v[120:121], v[108:109]
	s_wait_loadcnt 0x4
	s_delay_alu instid0(VALU_DEP_1)
	v_fmac_f64_e32 v[126:127], v[96:97], v[110:111]
	scratch_load_b128 v[108:111], off, off offset:312
	s_wait_dscnt 0x0
	v_fmac_f64_e32 v[126:127], v[98:99], v[122:123]
	scratch_load_b128 v[96:99], off, off offset:328
	s_wait_loadcnt 0x5
	v_fmac_f64_e32 v[126:127], v[114:115], v[124:125]
	ds_load_b128 v[112:115], v2 offset:608
	ds_load_b128 v[118:121], v2 offset:624
	s_wait_dscnt 0x1
	v_fmac_f64_e32 v[126:127], v[116:117], v[112:113]
	s_wait_loadcnt 0x4
	s_delay_alu instid0(VALU_DEP_1) | instskip(SKIP_1) | instid1(VALU_DEP_1)
	v_fmac_f64_e32 v[126:127], v[100:101], v[114:115]
	s_wait_dscnt 0x0
	v_fmac_f64_e32 v[126:127], v[102:103], v[118:119]
	ds_load_b128 v[100:103], v2 offset:640
	ds_load_b128 v[112:115], v2 offset:656
	s_wait_loadcnt 0x3
	v_fmac_f64_e32 v[126:127], v[104:105], v[120:121]
	s_wait_dscnt 0x1
	s_delay_alu instid0(VALU_DEP_1) | instskip(SKIP_1) | instid1(VALU_DEP_1)
	v_fmac_f64_e32 v[126:127], v[106:107], v[100:101]
	s_wait_loadcnt 0x2
	v_fmac_f64_e32 v[126:127], v[92:93], v[102:103]
	s_wait_dscnt 0x0
	s_delay_alu instid0(VALU_DEP_1)
	v_fmac_f64_e32 v[126:127], v[94:95], v[112:113]
	ds_load_b128 v[92:95], v2 offset:672
	ds_load_b64 v[100:101], v2 offset:688
	s_wait_loadcnt 0x1
	v_fmac_f64_e32 v[126:127], v[108:109], v[114:115]
	s_wait_dscnt 0x1
	s_delay_alu instid0(VALU_DEP_1) | instskip(SKIP_1) | instid1(VALU_DEP_1)
	v_fmac_f64_e32 v[126:127], v[110:111], v[92:93]
	s_wait_loadcnt 0x0
	v_fmac_f64_e32 v[126:127], v[96:97], v[94:95]
	s_wait_dscnt 0x0
	s_delay_alu instid0(VALU_DEP_1) | instskip(NEXT) | instid1(VALU_DEP_1)
	v_fmac_f64_e32 v[126:127], v[98:99], v[100:101]
	v_add_f64_e64 v[90:91], v[90:91], -v[126:127]
	scratch_store_b64 off, v[90:91], off offset:88
	s_wait_xcnt 0x0
	v_cmpx_lt_u32_e32 10, v0
	s_cbranch_execz .LBB106_247
; %bb.246:
	scratch_load_b64 v[90:91], off, off offset:80
	v_mov_b64_e32 v[92:93], 0
	scratch_store_b64 off, v[92:93], off offset:80
	s_wait_loadcnt 0x0
	ds_store_b64 v1, v[90:91]
.LBB106_247:
	s_wait_xcnt 0x0
	s_or_b32 exec_lo, exec_lo, s0
	s_wait_storecnt_dscnt 0x0
	s_barrier_signal -1
	s_barrier_wait -1
	s_clause 0x5
	scratch_load_b128 v[90:93], off, off offset:80
	scratch_load_b128 v[94:97], off, off offset:96
	;; [unrolled: 1-line block ×6, first 2 shown]
	ds_load_2addr_b64 v[114:117], v2 offset0:55 offset1:56
	ds_load_2addr_b64 v[118:121], v2 offset0:57 offset1:58
	scratch_load_b128 v[122:125], off, off offset:176
	s_mov_b32 s0, exec_lo
	s_wait_loadcnt_dscnt 0x601
	v_fma_f64 v[126:127], v[92:93], v[114:115], 0
	s_wait_loadcnt 0x5
	s_delay_alu instid0(VALU_DEP_1) | instskip(SKIP_4) | instid1(VALU_DEP_1)
	v_fmac_f64_e32 v[126:127], v[94:95], v[116:117]
	scratch_load_b128 v[92:95], off, off offset:192
	s_wait_dscnt 0x0
	v_fmac_f64_e32 v[126:127], v[96:97], v[118:119]
	s_wait_loadcnt 0x5
	v_fmac_f64_e32 v[126:127], v[98:99], v[120:121]
	ds_load_2addr_b64 v[96:99], v2 offset0:59 offset1:60
	ds_load_2addr_b64 v[114:117], v2 offset0:61 offset1:62
	scratch_load_b128 v[118:121], off, off offset:208
	s_wait_dscnt 0x1
	v_fmac_f64_e32 v[126:127], v[100:101], v[96:97]
	s_wait_loadcnt 0x5
	s_delay_alu instid0(VALU_DEP_1) | instskip(SKIP_4) | instid1(VALU_DEP_1)
	v_fmac_f64_e32 v[126:127], v[102:103], v[98:99]
	scratch_load_b128 v[96:99], off, off offset:224
	s_wait_dscnt 0x0
	v_fmac_f64_e32 v[126:127], v[104:105], v[114:115]
	s_wait_loadcnt 0x5
	v_fmac_f64_e32 v[126:127], v[106:107], v[116:117]
	ds_load_2addr_b64 v[100:103], v2 offset0:63 offset1:64
	ds_load_2addr_b64 v[104:107], v2 offset0:65 offset1:66
	scratch_load_b128 v[114:117], off, off offset:240
	s_wait_dscnt 0x1
	v_fmac_f64_e32 v[126:127], v[108:109], v[100:101]
	s_wait_loadcnt 0x5
	s_delay_alu instid0(VALU_DEP_1) | instskip(SKIP_4) | instid1(VALU_DEP_1)
	v_fmac_f64_e32 v[126:127], v[110:111], v[102:103]
	scratch_load_b128 v[100:103], off, off offset:256
	s_wait_dscnt 0x0
	v_fmac_f64_e32 v[126:127], v[112:113], v[104:105]
	s_wait_loadcnt 0x5
	v_fmac_f64_e32 v[126:127], v[122:123], v[106:107]
	ds_load_2addr_b64 v[104:107], v2 offset0:67 offset1:68
	ds_load_2addr_b64 v[108:111], v2 offset0:69 offset1:70
	s_wait_dscnt 0x1
	v_fmac_f64_e32 v[126:127], v[124:125], v[104:105]
	s_wait_loadcnt 0x4
	s_delay_alu instid0(VALU_DEP_1)
	v_fmac_f64_e32 v[126:127], v[92:93], v[106:107]
	scratch_load_b128 v[104:107], off, off offset:272
	s_wait_dscnt 0x0
	v_fmac_f64_e32 v[126:127], v[94:95], v[108:109]
	scratch_load_b128 v[92:95], off, off offset:288
	s_wait_loadcnt 0x5
	v_fmac_f64_e32 v[126:127], v[118:119], v[110:111]
	ds_load_2addr_b64 v[108:111], v2 offset0:71 offset1:72
	ds_load_2addr_b64 v[122:125], v2 offset0:73 offset1:74
	s_wait_dscnt 0x1
	v_fmac_f64_e32 v[126:127], v[120:121], v[108:109]
	s_wait_loadcnt 0x4
	s_delay_alu instid0(VALU_DEP_1)
	v_fmac_f64_e32 v[126:127], v[96:97], v[110:111]
	scratch_load_b128 v[108:111], off, off offset:304
	s_wait_dscnt 0x0
	v_fmac_f64_e32 v[126:127], v[98:99], v[122:123]
	scratch_load_b128 v[96:99], off, off offset:320
	s_wait_loadcnt 0x5
	v_fmac_f64_e32 v[126:127], v[114:115], v[124:125]
	ds_load_2addr_b64 v[112:115], v2 offset0:75 offset1:76
	ds_load_2addr_b64 v[118:121], v2 offset0:77 offset1:78
	s_wait_dscnt 0x1
	v_fmac_f64_e32 v[126:127], v[116:117], v[112:113]
	scratch_load_b64 v[116:117], off, off offset:336
	s_wait_loadcnt 0x5
	v_fmac_f64_e32 v[126:127], v[100:101], v[114:115]
	s_wait_dscnt 0x0
	s_delay_alu instid0(VALU_DEP_1)
	v_fmac_f64_e32 v[126:127], v[102:103], v[118:119]
	ds_load_2addr_b64 v[100:103], v2 offset0:79 offset1:80
	ds_load_2addr_b64 v[112:115], v2 offset0:81 offset1:82
	s_wait_loadcnt 0x4
	v_fmac_f64_e32 v[126:127], v[104:105], v[120:121]
	s_wait_dscnt 0x1
	s_delay_alu instid0(VALU_DEP_1) | instskip(SKIP_1) | instid1(VALU_DEP_1)
	v_fmac_f64_e32 v[126:127], v[106:107], v[100:101]
	s_wait_loadcnt 0x3
	v_fmac_f64_e32 v[126:127], v[92:93], v[102:103]
	s_wait_dscnt 0x0
	s_delay_alu instid0(VALU_DEP_1)
	v_fmac_f64_e32 v[126:127], v[94:95], v[112:113]
	ds_load_2addr_b64 v[92:95], v2 offset0:83 offset1:84
	ds_load_2addr_b64 v[100:103], v2 offset0:85 offset1:86
	s_wait_loadcnt 0x2
	v_fmac_f64_e32 v[126:127], v[108:109], v[114:115]
	s_wait_dscnt 0x1
	s_delay_alu instid0(VALU_DEP_1) | instskip(SKIP_1) | instid1(VALU_DEP_1)
	v_fmac_f64_e32 v[126:127], v[110:111], v[92:93]
	s_wait_loadcnt 0x1
	v_fmac_f64_e32 v[126:127], v[96:97], v[94:95]
	s_wait_dscnt 0x0
	s_delay_alu instid0(VALU_DEP_1) | instskip(SKIP_1) | instid1(VALU_DEP_1)
	v_fmac_f64_e32 v[126:127], v[98:99], v[100:101]
	s_wait_loadcnt 0x0
	v_fmac_f64_e32 v[126:127], v[116:117], v[102:103]
	s_delay_alu instid0(VALU_DEP_1)
	v_add_f64_e64 v[2:3], v[90:91], -v[126:127]
	scratch_store_b64 off, v[2:3], off offset:80
	s_wait_xcnt 0x0
	v_cmpx_lt_u32_e32 9, v0
	s_cbranch_execz .LBB106_249
; %bb.248:
	scratch_load_b64 v[2:3], off, off offset:72
	v_mov_b64_e32 v[90:91], 0
	scratch_store_b64 off, v[90:91], off offset:72
	s_wait_loadcnt 0x0
	ds_store_b64 v1, v[2:3]
.LBB106_249:
	s_wait_xcnt 0x0
	s_or_b32 exec_lo, exec_lo, s0
	s_wait_storecnt_dscnt 0x0
	s_barrier_signal -1
	s_barrier_wait -1
	s_clause 0x5
	scratch_load_b128 v[90:93], off, off offset:72
	scratch_load_b128 v[94:97], off, off offset:88
	;; [unrolled: 1-line block ×6, first 2 shown]
	v_mov_b32_e32 v2, 0
	ds_load_b128 v[114:117], v2 offset:432
	ds_load_b128 v[118:121], v2 offset:448
	scratch_load_b128 v[122:125], off, off offset:168
	s_mov_b32 s0, exec_lo
	s_wait_loadcnt_dscnt 0x601
	v_fma_f64 v[126:127], v[92:93], v[114:115], 0
	s_wait_loadcnt 0x5
	s_delay_alu instid0(VALU_DEP_1) | instskip(SKIP_4) | instid1(VALU_DEP_1)
	v_fmac_f64_e32 v[126:127], v[94:95], v[116:117]
	scratch_load_b128 v[92:95], off, off offset:184
	s_wait_dscnt 0x0
	v_fmac_f64_e32 v[126:127], v[96:97], v[118:119]
	s_wait_loadcnt 0x5
	v_fmac_f64_e32 v[126:127], v[98:99], v[120:121]
	ds_load_b128 v[96:99], v2 offset:464
	ds_load_b128 v[114:117], v2 offset:480
	scratch_load_b128 v[118:121], off, off offset:200
	s_wait_dscnt 0x1
	v_fmac_f64_e32 v[126:127], v[100:101], v[96:97]
	s_wait_loadcnt 0x5
	s_delay_alu instid0(VALU_DEP_1) | instskip(SKIP_4) | instid1(VALU_DEP_1)
	v_fmac_f64_e32 v[126:127], v[102:103], v[98:99]
	scratch_load_b128 v[96:99], off, off offset:216
	s_wait_dscnt 0x0
	v_fmac_f64_e32 v[126:127], v[104:105], v[114:115]
	s_wait_loadcnt 0x5
	v_fmac_f64_e32 v[126:127], v[106:107], v[116:117]
	ds_load_b128 v[100:103], v2 offset:496
	ds_load_b128 v[104:107], v2 offset:512
	scratch_load_b128 v[114:117], off, off offset:232
	s_wait_dscnt 0x1
	v_fmac_f64_e32 v[126:127], v[108:109], v[100:101]
	s_wait_loadcnt 0x5
	s_delay_alu instid0(VALU_DEP_1) | instskip(SKIP_4) | instid1(VALU_DEP_1)
	v_fmac_f64_e32 v[126:127], v[110:111], v[102:103]
	scratch_load_b128 v[100:103], off, off offset:248
	s_wait_dscnt 0x0
	v_fmac_f64_e32 v[126:127], v[112:113], v[104:105]
	s_wait_loadcnt 0x5
	v_fmac_f64_e32 v[126:127], v[122:123], v[106:107]
	ds_load_b128 v[104:107], v2 offset:528
	ds_load_b128 v[108:111], v2 offset:544
	s_wait_dscnt 0x1
	v_fmac_f64_e32 v[126:127], v[124:125], v[104:105]
	s_wait_loadcnt 0x4
	s_delay_alu instid0(VALU_DEP_1)
	v_fmac_f64_e32 v[126:127], v[92:93], v[106:107]
	scratch_load_b128 v[104:107], off, off offset:264
	s_wait_dscnt 0x0
	v_fmac_f64_e32 v[126:127], v[94:95], v[108:109]
	scratch_load_b128 v[92:95], off, off offset:280
	s_wait_loadcnt 0x5
	v_fmac_f64_e32 v[126:127], v[118:119], v[110:111]
	ds_load_b128 v[108:111], v2 offset:560
	ds_load_b128 v[122:125], v2 offset:576
	s_wait_dscnt 0x1
	v_fmac_f64_e32 v[126:127], v[120:121], v[108:109]
	s_wait_loadcnt 0x4
	s_delay_alu instid0(VALU_DEP_1)
	v_fmac_f64_e32 v[126:127], v[96:97], v[110:111]
	scratch_load_b128 v[108:111], off, off offset:296
	s_wait_dscnt 0x0
	v_fmac_f64_e32 v[126:127], v[98:99], v[122:123]
	scratch_load_b128 v[96:99], off, off offset:312
	s_wait_loadcnt 0x5
	v_fmac_f64_e32 v[126:127], v[114:115], v[124:125]
	ds_load_b128 v[112:115], v2 offset:592
	ds_load_b128 v[118:121], v2 offset:608
	s_wait_dscnt 0x1
	v_fmac_f64_e32 v[126:127], v[116:117], v[112:113]
	s_wait_loadcnt 0x4
	s_delay_alu instid0(VALU_DEP_1)
	v_fmac_f64_e32 v[126:127], v[100:101], v[114:115]
	scratch_load_b128 v[112:115], off, off offset:328
	s_wait_dscnt 0x0
	v_fmac_f64_e32 v[126:127], v[102:103], v[118:119]
	ds_load_b128 v[100:103], v2 offset:624
	ds_load_b128 v[116:119], v2 offset:640
	s_wait_loadcnt 0x4
	v_fmac_f64_e32 v[126:127], v[104:105], v[120:121]
	s_wait_dscnt 0x1
	s_delay_alu instid0(VALU_DEP_1) | instskip(SKIP_1) | instid1(VALU_DEP_1)
	v_fmac_f64_e32 v[126:127], v[106:107], v[100:101]
	s_wait_loadcnt 0x3
	v_fmac_f64_e32 v[126:127], v[92:93], v[102:103]
	s_wait_dscnt 0x0
	s_delay_alu instid0(VALU_DEP_1)
	v_fmac_f64_e32 v[126:127], v[94:95], v[116:117]
	ds_load_b128 v[92:95], v2 offset:656
	ds_load_b128 v[100:103], v2 offset:672
	s_wait_loadcnt 0x2
	v_fmac_f64_e32 v[126:127], v[108:109], v[118:119]
	s_wait_dscnt 0x1
	s_delay_alu instid0(VALU_DEP_1) | instskip(SKIP_4) | instid1(VALU_DEP_1)
	v_fmac_f64_e32 v[126:127], v[110:111], v[92:93]
	ds_load_b64 v[92:93], v2 offset:688
	s_wait_loadcnt 0x1
	v_fmac_f64_e32 v[126:127], v[96:97], v[94:95]
	s_wait_dscnt 0x1
	v_fmac_f64_e32 v[126:127], v[98:99], v[100:101]
	s_wait_loadcnt 0x0
	s_delay_alu instid0(VALU_DEP_1) | instskip(SKIP_1) | instid1(VALU_DEP_1)
	v_fmac_f64_e32 v[126:127], v[112:113], v[102:103]
	s_wait_dscnt 0x0
	v_fmac_f64_e32 v[126:127], v[114:115], v[92:93]
	s_delay_alu instid0(VALU_DEP_1)
	v_add_f64_e64 v[90:91], v[90:91], -v[126:127]
	scratch_store_b64 off, v[90:91], off offset:72
	s_wait_xcnt 0x0
	v_cmpx_lt_u32_e32 8, v0
	s_cbranch_execz .LBB106_251
; %bb.250:
	scratch_load_b64 v[90:91], off, off offset:64
	v_mov_b64_e32 v[92:93], 0
	scratch_store_b64 off, v[92:93], off offset:64
	s_wait_loadcnt 0x0
	ds_store_b64 v1, v[90:91]
.LBB106_251:
	s_wait_xcnt 0x0
	s_or_b32 exec_lo, exec_lo, s0
	s_wait_storecnt_dscnt 0x0
	s_barrier_signal -1
	s_barrier_wait -1
	s_clause 0x5
	scratch_load_b128 v[90:93], off, off offset:64
	scratch_load_b128 v[94:97], off, off offset:80
	;; [unrolled: 1-line block ×6, first 2 shown]
	ds_load_2addr_b64 v[114:117], v2 offset0:53 offset1:54
	ds_load_2addr_b64 v[118:121], v2 offset0:55 offset1:56
	scratch_load_b128 v[122:125], off, off offset:160
	s_mov_b32 s0, exec_lo
	s_wait_loadcnt_dscnt 0x601
	v_fma_f64 v[126:127], v[92:93], v[114:115], 0
	s_wait_loadcnt 0x5
	s_delay_alu instid0(VALU_DEP_1) | instskip(SKIP_4) | instid1(VALU_DEP_1)
	v_fmac_f64_e32 v[126:127], v[94:95], v[116:117]
	scratch_load_b128 v[92:95], off, off offset:176
	s_wait_dscnt 0x0
	v_fmac_f64_e32 v[126:127], v[96:97], v[118:119]
	s_wait_loadcnt 0x5
	v_fmac_f64_e32 v[126:127], v[98:99], v[120:121]
	ds_load_2addr_b64 v[96:99], v2 offset0:57 offset1:58
	ds_load_2addr_b64 v[114:117], v2 offset0:59 offset1:60
	scratch_load_b128 v[118:121], off, off offset:192
	s_wait_dscnt 0x1
	v_fmac_f64_e32 v[126:127], v[100:101], v[96:97]
	s_wait_loadcnt 0x5
	s_delay_alu instid0(VALU_DEP_1) | instskip(SKIP_4) | instid1(VALU_DEP_1)
	v_fmac_f64_e32 v[126:127], v[102:103], v[98:99]
	scratch_load_b128 v[96:99], off, off offset:208
	s_wait_dscnt 0x0
	v_fmac_f64_e32 v[126:127], v[104:105], v[114:115]
	s_wait_loadcnt 0x5
	v_fmac_f64_e32 v[126:127], v[106:107], v[116:117]
	ds_load_2addr_b64 v[100:103], v2 offset0:61 offset1:62
	ds_load_2addr_b64 v[104:107], v2 offset0:63 offset1:64
	scratch_load_b128 v[114:117], off, off offset:224
	s_wait_dscnt 0x1
	v_fmac_f64_e32 v[126:127], v[108:109], v[100:101]
	s_wait_loadcnt 0x5
	s_delay_alu instid0(VALU_DEP_1) | instskip(SKIP_4) | instid1(VALU_DEP_1)
	v_fmac_f64_e32 v[126:127], v[110:111], v[102:103]
	scratch_load_b128 v[100:103], off, off offset:240
	s_wait_dscnt 0x0
	v_fmac_f64_e32 v[126:127], v[112:113], v[104:105]
	s_wait_loadcnt 0x5
	v_fmac_f64_e32 v[126:127], v[122:123], v[106:107]
	ds_load_2addr_b64 v[104:107], v2 offset0:65 offset1:66
	ds_load_2addr_b64 v[108:111], v2 offset0:67 offset1:68
	s_wait_dscnt 0x1
	v_fmac_f64_e32 v[126:127], v[124:125], v[104:105]
	scratch_load_b128 v[122:125], off, off offset:256
	s_wait_loadcnt 0x5
	v_fmac_f64_e32 v[126:127], v[92:93], v[106:107]
	s_wait_dscnt 0x0
	s_delay_alu instid0(VALU_DEP_1)
	v_fmac_f64_e32 v[126:127], v[94:95], v[108:109]
	scratch_load_b128 v[92:95], off, off offset:272
	s_wait_loadcnt 0x5
	v_fmac_f64_e32 v[126:127], v[118:119], v[110:111]
	ds_load_2addr_b64 v[104:107], v2 offset0:69 offset1:70
	ds_load_2addr_b64 v[108:111], v2 offset0:71 offset1:72
	s_wait_dscnt 0x1
	v_fmac_f64_e32 v[126:127], v[120:121], v[104:105]
	s_wait_loadcnt 0x4
	s_delay_alu instid0(VALU_DEP_1)
	v_fmac_f64_e32 v[126:127], v[96:97], v[106:107]
	scratch_load_b128 v[104:107], off, off offset:288
	s_wait_dscnt 0x0
	v_fmac_f64_e32 v[126:127], v[98:99], v[108:109]
	scratch_load_b128 v[96:99], off, off offset:304
	s_wait_loadcnt 0x5
	v_fmac_f64_e32 v[126:127], v[114:115], v[110:111]
	ds_load_2addr_b64 v[108:111], v2 offset0:73 offset1:74
	ds_load_2addr_b64 v[112:115], v2 offset0:75 offset1:76
	s_wait_dscnt 0x1
	v_fmac_f64_e32 v[126:127], v[116:117], v[108:109]
	scratch_load_b64 v[116:117], off, off offset:336
	s_wait_loadcnt 0x5
	v_fmac_f64_e32 v[126:127], v[100:101], v[110:111]
	scratch_load_b128 v[108:111], off, off offset:320
	s_wait_dscnt 0x0
	v_fmac_f64_e32 v[126:127], v[102:103], v[112:113]
	s_wait_loadcnt 0x5
	s_delay_alu instid0(VALU_DEP_1)
	v_fmac_f64_e32 v[126:127], v[122:123], v[114:115]
	ds_load_2addr_b64 v[100:103], v2 offset0:77 offset1:78
	ds_load_2addr_b64 v[112:115], v2 offset0:79 offset1:80
	s_wait_dscnt 0x1
	v_fmac_f64_e32 v[126:127], v[124:125], v[100:101]
	s_wait_loadcnt 0x4
	s_delay_alu instid0(VALU_DEP_1) | instskip(SKIP_1) | instid1(VALU_DEP_1)
	v_fmac_f64_e32 v[126:127], v[92:93], v[102:103]
	s_wait_dscnt 0x0
	v_fmac_f64_e32 v[126:127], v[94:95], v[112:113]
	ds_load_2addr_b64 v[92:95], v2 offset0:81 offset1:82
	ds_load_2addr_b64 v[100:103], v2 offset0:83 offset1:84
	s_wait_loadcnt 0x3
	v_fmac_f64_e32 v[126:127], v[104:105], v[114:115]
	s_wait_dscnt 0x1
	s_delay_alu instid0(VALU_DEP_1) | instskip(SKIP_1) | instid1(VALU_DEP_1)
	v_fmac_f64_e32 v[126:127], v[106:107], v[92:93]
	s_wait_loadcnt 0x2
	v_fmac_f64_e32 v[126:127], v[96:97], v[94:95]
	ds_load_2addr_b64 v[92:95], v2 offset0:85 offset1:86
	s_wait_dscnt 0x1
	v_fmac_f64_e32 v[126:127], v[98:99], v[100:101]
	s_wait_loadcnt 0x0
	s_delay_alu instid0(VALU_DEP_1) | instskip(SKIP_1) | instid1(VALU_DEP_1)
	v_fmac_f64_e32 v[126:127], v[108:109], v[102:103]
	s_wait_dscnt 0x0
	v_fmac_f64_e32 v[126:127], v[110:111], v[92:93]
	s_delay_alu instid0(VALU_DEP_1) | instskip(NEXT) | instid1(VALU_DEP_1)
	v_fmac_f64_e32 v[126:127], v[116:117], v[94:95]
	v_add_f64_e64 v[2:3], v[90:91], -v[126:127]
	scratch_store_b64 off, v[2:3], off offset:64
	s_wait_xcnt 0x0
	v_cmpx_lt_u32_e32 7, v0
	s_cbranch_execz .LBB106_253
; %bb.252:
	scratch_load_b64 v[2:3], off, off offset:56
	v_mov_b64_e32 v[90:91], 0
	scratch_store_b64 off, v[90:91], off offset:56
	s_wait_loadcnt 0x0
	ds_store_b64 v1, v[2:3]
.LBB106_253:
	s_wait_xcnt 0x0
	s_or_b32 exec_lo, exec_lo, s0
	s_wait_storecnt_dscnt 0x0
	s_barrier_signal -1
	s_barrier_wait -1
	s_clause 0x5
	scratch_load_b128 v[90:93], off, off offset:56
	scratch_load_b128 v[94:97], off, off offset:72
	;; [unrolled: 1-line block ×6, first 2 shown]
	v_mov_b32_e32 v2, 0
	ds_load_b128 v[114:117], v2 offset:416
	ds_load_b128 v[118:121], v2 offset:432
	scratch_load_b128 v[122:125], off, off offset:152
	s_mov_b32 s0, exec_lo
	s_wait_loadcnt_dscnt 0x601
	v_fma_f64 v[126:127], v[92:93], v[114:115], 0
	s_wait_loadcnt 0x5
	s_delay_alu instid0(VALU_DEP_1) | instskip(SKIP_4) | instid1(VALU_DEP_1)
	v_fmac_f64_e32 v[126:127], v[94:95], v[116:117]
	scratch_load_b128 v[92:95], off, off offset:168
	s_wait_dscnt 0x0
	v_fmac_f64_e32 v[126:127], v[96:97], v[118:119]
	s_wait_loadcnt 0x5
	v_fmac_f64_e32 v[126:127], v[98:99], v[120:121]
	ds_load_b128 v[96:99], v2 offset:448
	ds_load_b128 v[114:117], v2 offset:464
	scratch_load_b128 v[118:121], off, off offset:184
	s_wait_dscnt 0x1
	v_fmac_f64_e32 v[126:127], v[100:101], v[96:97]
	s_wait_loadcnt 0x5
	s_delay_alu instid0(VALU_DEP_1) | instskip(SKIP_4) | instid1(VALU_DEP_1)
	v_fmac_f64_e32 v[126:127], v[102:103], v[98:99]
	scratch_load_b128 v[96:99], off, off offset:200
	s_wait_dscnt 0x0
	v_fmac_f64_e32 v[126:127], v[104:105], v[114:115]
	s_wait_loadcnt 0x5
	v_fmac_f64_e32 v[126:127], v[106:107], v[116:117]
	ds_load_b128 v[100:103], v2 offset:480
	ds_load_b128 v[104:107], v2 offset:496
	scratch_load_b128 v[114:117], off, off offset:216
	s_wait_dscnt 0x1
	v_fmac_f64_e32 v[126:127], v[108:109], v[100:101]
	s_wait_loadcnt 0x5
	s_delay_alu instid0(VALU_DEP_1) | instskip(SKIP_4) | instid1(VALU_DEP_1)
	v_fmac_f64_e32 v[126:127], v[110:111], v[102:103]
	scratch_load_b128 v[100:103], off, off offset:232
	s_wait_dscnt 0x0
	v_fmac_f64_e32 v[126:127], v[112:113], v[104:105]
	s_wait_loadcnt 0x5
	v_fmac_f64_e32 v[126:127], v[122:123], v[106:107]
	ds_load_b128 v[104:107], v2 offset:512
	ds_load_b128 v[108:111], v2 offset:528
	s_wait_dscnt 0x1
	v_fmac_f64_e32 v[126:127], v[124:125], v[104:105]
	scratch_load_b128 v[122:125], off, off offset:248
	s_wait_loadcnt 0x5
	v_fmac_f64_e32 v[126:127], v[92:93], v[106:107]
	s_wait_dscnt 0x0
	s_delay_alu instid0(VALU_DEP_1)
	v_fmac_f64_e32 v[126:127], v[94:95], v[108:109]
	scratch_load_b128 v[92:95], off, off offset:264
	s_wait_loadcnt 0x5
	v_fmac_f64_e32 v[126:127], v[118:119], v[110:111]
	ds_load_b128 v[104:107], v2 offset:544
	ds_load_b128 v[108:111], v2 offset:560
	s_wait_dscnt 0x1
	v_fmac_f64_e32 v[126:127], v[120:121], v[104:105]
	s_wait_loadcnt 0x4
	s_delay_alu instid0(VALU_DEP_1)
	v_fmac_f64_e32 v[126:127], v[96:97], v[106:107]
	scratch_load_b128 v[104:107], off, off offset:280
	s_wait_dscnt 0x0
	v_fmac_f64_e32 v[126:127], v[98:99], v[108:109]
	scratch_load_b128 v[96:99], off, off offset:296
	s_wait_loadcnt 0x5
	v_fmac_f64_e32 v[126:127], v[114:115], v[110:111]
	ds_load_b128 v[108:111], v2 offset:576
	ds_load_b128 v[112:115], v2 offset:592
	s_wait_dscnt 0x1
	v_fmac_f64_e32 v[126:127], v[116:117], v[108:109]
	s_wait_loadcnt 0x4
	s_delay_alu instid0(VALU_DEP_1)
	v_fmac_f64_e32 v[126:127], v[100:101], v[110:111]
	scratch_load_b128 v[108:111], off, off offset:312
	s_wait_dscnt 0x0
	v_fmac_f64_e32 v[126:127], v[102:103], v[112:113]
	scratch_load_b128 v[100:103], off, off offset:328
	s_wait_loadcnt 0x5
	v_fmac_f64_e32 v[126:127], v[122:123], v[114:115]
	ds_load_b128 v[112:115], v2 offset:608
	ds_load_b128 v[116:119], v2 offset:624
	s_wait_dscnt 0x1
	v_fmac_f64_e32 v[126:127], v[124:125], v[112:113]
	s_wait_loadcnt 0x4
	s_delay_alu instid0(VALU_DEP_1) | instskip(SKIP_1) | instid1(VALU_DEP_1)
	v_fmac_f64_e32 v[126:127], v[92:93], v[114:115]
	s_wait_dscnt 0x0
	v_fmac_f64_e32 v[126:127], v[94:95], v[116:117]
	ds_load_b128 v[92:95], v2 offset:640
	ds_load_b128 v[112:115], v2 offset:656
	s_wait_loadcnt 0x3
	v_fmac_f64_e32 v[126:127], v[104:105], v[118:119]
	s_wait_dscnt 0x1
	s_delay_alu instid0(VALU_DEP_1) | instskip(SKIP_1) | instid1(VALU_DEP_1)
	v_fmac_f64_e32 v[126:127], v[106:107], v[92:93]
	s_wait_loadcnt 0x2
	v_fmac_f64_e32 v[126:127], v[96:97], v[94:95]
	ds_load_b128 v[92:95], v2 offset:672
	ds_load_b64 v[96:97], v2 offset:688
	s_wait_dscnt 0x2
	v_fmac_f64_e32 v[126:127], v[98:99], v[112:113]
	s_wait_loadcnt 0x1
	s_delay_alu instid0(VALU_DEP_1) | instskip(SKIP_1) | instid1(VALU_DEP_1)
	v_fmac_f64_e32 v[126:127], v[108:109], v[114:115]
	s_wait_dscnt 0x1
	v_fmac_f64_e32 v[126:127], v[110:111], v[92:93]
	s_wait_loadcnt 0x0
	s_delay_alu instid0(VALU_DEP_1) | instskip(SKIP_1) | instid1(VALU_DEP_1)
	v_fmac_f64_e32 v[126:127], v[100:101], v[94:95]
	s_wait_dscnt 0x0
	v_fmac_f64_e32 v[126:127], v[102:103], v[96:97]
	s_delay_alu instid0(VALU_DEP_1)
	v_add_f64_e64 v[90:91], v[90:91], -v[126:127]
	scratch_store_b64 off, v[90:91], off offset:56
	s_wait_xcnt 0x0
	v_cmpx_lt_u32_e32 6, v0
	s_cbranch_execz .LBB106_255
; %bb.254:
	scratch_load_b64 v[90:91], off, off offset:48
	v_mov_b64_e32 v[92:93], 0
	scratch_store_b64 off, v[92:93], off offset:48
	s_wait_loadcnt 0x0
	ds_store_b64 v1, v[90:91]
.LBB106_255:
	s_wait_xcnt 0x0
	s_or_b32 exec_lo, exec_lo, s0
	s_wait_storecnt_dscnt 0x0
	s_barrier_signal -1
	s_barrier_wait -1
	s_clause 0x5
	scratch_load_b128 v[90:93], off, off offset:48
	scratch_load_b128 v[94:97], off, off offset:64
	;; [unrolled: 1-line block ×6, first 2 shown]
	ds_load_2addr_b64 v[114:117], v2 offset0:51 offset1:52
	ds_load_2addr_b64 v[118:121], v2 offset0:53 offset1:54
	scratch_load_b128 v[122:125], off, off offset:144
	s_mov_b32 s0, exec_lo
	s_wait_loadcnt_dscnt 0x601
	v_fma_f64 v[126:127], v[92:93], v[114:115], 0
	s_wait_loadcnt 0x5
	s_delay_alu instid0(VALU_DEP_1) | instskip(SKIP_4) | instid1(VALU_DEP_1)
	v_fmac_f64_e32 v[126:127], v[94:95], v[116:117]
	scratch_load_b128 v[92:95], off, off offset:160
	s_wait_dscnt 0x0
	v_fmac_f64_e32 v[126:127], v[96:97], v[118:119]
	s_wait_loadcnt 0x5
	v_fmac_f64_e32 v[126:127], v[98:99], v[120:121]
	ds_load_2addr_b64 v[96:99], v2 offset0:55 offset1:56
	ds_load_2addr_b64 v[114:117], v2 offset0:57 offset1:58
	scratch_load_b128 v[118:121], off, off offset:176
	s_wait_dscnt 0x1
	v_fmac_f64_e32 v[126:127], v[100:101], v[96:97]
	s_wait_loadcnt 0x5
	s_delay_alu instid0(VALU_DEP_1) | instskip(SKIP_4) | instid1(VALU_DEP_1)
	v_fmac_f64_e32 v[126:127], v[102:103], v[98:99]
	scratch_load_b128 v[96:99], off, off offset:192
	s_wait_dscnt 0x0
	v_fmac_f64_e32 v[126:127], v[104:105], v[114:115]
	s_wait_loadcnt 0x5
	v_fmac_f64_e32 v[126:127], v[106:107], v[116:117]
	ds_load_2addr_b64 v[100:103], v2 offset0:59 offset1:60
	ds_load_2addr_b64 v[104:107], v2 offset0:61 offset1:62
	scratch_load_b128 v[114:117], off, off offset:208
	s_wait_dscnt 0x1
	v_fmac_f64_e32 v[126:127], v[108:109], v[100:101]
	s_wait_loadcnt 0x5
	s_delay_alu instid0(VALU_DEP_1) | instskip(SKIP_4) | instid1(VALU_DEP_1)
	v_fmac_f64_e32 v[126:127], v[110:111], v[102:103]
	scratch_load_b128 v[100:103], off, off offset:224
	s_wait_dscnt 0x0
	v_fmac_f64_e32 v[126:127], v[112:113], v[104:105]
	s_wait_loadcnt 0x5
	v_fmac_f64_e32 v[126:127], v[122:123], v[106:107]
	ds_load_2addr_b64 v[104:107], v2 offset0:63 offset1:64
	ds_load_2addr_b64 v[108:111], v2 offset0:65 offset1:66
	s_wait_dscnt 0x1
	v_fmac_f64_e32 v[126:127], v[124:125], v[104:105]
	scratch_load_b128 v[122:125], off, off offset:240
	s_wait_loadcnt 0x5
	v_fmac_f64_e32 v[126:127], v[92:93], v[106:107]
	s_wait_dscnt 0x0
	s_delay_alu instid0(VALU_DEP_1)
	v_fmac_f64_e32 v[126:127], v[94:95], v[108:109]
	scratch_load_b128 v[92:95], off, off offset:256
	s_wait_loadcnt 0x5
	v_fmac_f64_e32 v[126:127], v[118:119], v[110:111]
	ds_load_2addr_b64 v[104:107], v2 offset0:67 offset1:68
	ds_load_2addr_b64 v[108:111], v2 offset0:69 offset1:70
	s_wait_dscnt 0x1
	v_fmac_f64_e32 v[126:127], v[120:121], v[104:105]
	s_wait_loadcnt 0x4
	s_delay_alu instid0(VALU_DEP_1)
	v_fmac_f64_e32 v[126:127], v[96:97], v[106:107]
	scratch_load_b128 v[104:107], off, off offset:272
	s_wait_dscnt 0x0
	v_fmac_f64_e32 v[126:127], v[98:99], v[108:109]
	scratch_load_b128 v[96:99], off, off offset:288
	s_wait_loadcnt 0x5
	v_fmac_f64_e32 v[126:127], v[114:115], v[110:111]
	ds_load_2addr_b64 v[108:111], v2 offset0:71 offset1:72
	ds_load_2addr_b64 v[112:115], v2 offset0:73 offset1:74
	s_wait_dscnt 0x1
	v_fmac_f64_e32 v[126:127], v[116:117], v[108:109]
	s_wait_loadcnt 0x4
	s_delay_alu instid0(VALU_DEP_1)
	v_fmac_f64_e32 v[126:127], v[100:101], v[110:111]
	scratch_load_b128 v[108:111], off, off offset:304
	s_wait_dscnt 0x0
	v_fmac_f64_e32 v[126:127], v[102:103], v[112:113]
	scratch_load_b128 v[100:103], off, off offset:320
	s_wait_loadcnt 0x5
	v_fmac_f64_e32 v[126:127], v[122:123], v[114:115]
	ds_load_2addr_b64 v[112:115], v2 offset0:75 offset1:76
	ds_load_2addr_b64 v[116:119], v2 offset0:77 offset1:78
	scratch_load_b64 v[120:121], off, off offset:336
	s_wait_dscnt 0x1
	v_fmac_f64_e32 v[126:127], v[124:125], v[112:113]
	s_wait_loadcnt 0x5
	s_delay_alu instid0(VALU_DEP_1) | instskip(SKIP_1) | instid1(VALU_DEP_1)
	v_fmac_f64_e32 v[126:127], v[92:93], v[114:115]
	s_wait_dscnt 0x0
	v_fmac_f64_e32 v[126:127], v[94:95], v[116:117]
	ds_load_2addr_b64 v[92:95], v2 offset0:79 offset1:80
	ds_load_2addr_b64 v[112:115], v2 offset0:81 offset1:82
	s_wait_loadcnt 0x4
	v_fmac_f64_e32 v[126:127], v[104:105], v[118:119]
	s_wait_dscnt 0x1
	s_delay_alu instid0(VALU_DEP_1) | instskip(SKIP_1) | instid1(VALU_DEP_1)
	v_fmac_f64_e32 v[126:127], v[106:107], v[92:93]
	s_wait_loadcnt 0x3
	v_fmac_f64_e32 v[126:127], v[96:97], v[94:95]
	s_wait_dscnt 0x0
	s_delay_alu instid0(VALU_DEP_1)
	v_fmac_f64_e32 v[126:127], v[98:99], v[112:113]
	ds_load_2addr_b64 v[92:95], v2 offset0:83 offset1:84
	ds_load_2addr_b64 v[96:99], v2 offset0:85 offset1:86
	s_wait_loadcnt 0x2
	v_fmac_f64_e32 v[126:127], v[108:109], v[114:115]
	s_wait_dscnt 0x1
	s_delay_alu instid0(VALU_DEP_1) | instskip(SKIP_1) | instid1(VALU_DEP_1)
	v_fmac_f64_e32 v[126:127], v[110:111], v[92:93]
	s_wait_loadcnt 0x1
	v_fmac_f64_e32 v[126:127], v[100:101], v[94:95]
	s_wait_dscnt 0x0
	s_delay_alu instid0(VALU_DEP_1) | instskip(SKIP_1) | instid1(VALU_DEP_1)
	v_fmac_f64_e32 v[126:127], v[102:103], v[96:97]
	s_wait_loadcnt 0x0
	v_fmac_f64_e32 v[126:127], v[120:121], v[98:99]
	s_delay_alu instid0(VALU_DEP_1)
	v_add_f64_e64 v[2:3], v[90:91], -v[126:127]
	scratch_store_b64 off, v[2:3], off offset:48
	s_wait_xcnt 0x0
	v_cmpx_lt_u32_e32 5, v0
	s_cbranch_execz .LBB106_257
; %bb.256:
	scratch_load_b64 v[2:3], off, off offset:40
	v_mov_b64_e32 v[90:91], 0
	scratch_store_b64 off, v[90:91], off offset:40
	s_wait_loadcnt 0x0
	ds_store_b64 v1, v[2:3]
.LBB106_257:
	s_wait_xcnt 0x0
	s_or_b32 exec_lo, exec_lo, s0
	s_wait_storecnt_dscnt 0x0
	s_barrier_signal -1
	s_barrier_wait -1
	s_clause 0x5
	scratch_load_b128 v[90:93], off, off offset:40
	scratch_load_b128 v[94:97], off, off offset:56
	;; [unrolled: 1-line block ×6, first 2 shown]
	v_mov_b32_e32 v2, 0
	ds_load_b128 v[114:117], v2 offset:400
	ds_load_b128 v[118:121], v2 offset:416
	scratch_load_b128 v[122:125], off, off offset:136
	s_mov_b32 s0, exec_lo
	s_wait_loadcnt_dscnt 0x601
	v_fma_f64 v[126:127], v[92:93], v[114:115], 0
	s_wait_loadcnt 0x5
	s_delay_alu instid0(VALU_DEP_1) | instskip(SKIP_4) | instid1(VALU_DEP_1)
	v_fmac_f64_e32 v[126:127], v[94:95], v[116:117]
	scratch_load_b128 v[92:95], off, off offset:152
	s_wait_dscnt 0x0
	v_fmac_f64_e32 v[126:127], v[96:97], v[118:119]
	s_wait_loadcnt 0x5
	v_fmac_f64_e32 v[126:127], v[98:99], v[120:121]
	ds_load_b128 v[96:99], v2 offset:432
	ds_load_b128 v[114:117], v2 offset:448
	scratch_load_b128 v[118:121], off, off offset:168
	s_wait_dscnt 0x1
	v_fmac_f64_e32 v[126:127], v[100:101], v[96:97]
	s_wait_loadcnt 0x5
	s_delay_alu instid0(VALU_DEP_1) | instskip(SKIP_4) | instid1(VALU_DEP_1)
	v_fmac_f64_e32 v[126:127], v[102:103], v[98:99]
	scratch_load_b128 v[96:99], off, off offset:184
	s_wait_dscnt 0x0
	v_fmac_f64_e32 v[126:127], v[104:105], v[114:115]
	s_wait_loadcnt 0x5
	v_fmac_f64_e32 v[126:127], v[106:107], v[116:117]
	ds_load_b128 v[100:103], v2 offset:464
	ds_load_b128 v[104:107], v2 offset:480
	scratch_load_b128 v[114:117], off, off offset:200
	s_wait_dscnt 0x1
	v_fmac_f64_e32 v[126:127], v[108:109], v[100:101]
	s_wait_loadcnt 0x5
	s_delay_alu instid0(VALU_DEP_1) | instskip(SKIP_4) | instid1(VALU_DEP_1)
	v_fmac_f64_e32 v[126:127], v[110:111], v[102:103]
	scratch_load_b128 v[100:103], off, off offset:216
	s_wait_dscnt 0x0
	v_fmac_f64_e32 v[126:127], v[112:113], v[104:105]
	s_wait_loadcnt 0x5
	v_fmac_f64_e32 v[126:127], v[122:123], v[106:107]
	ds_load_b128 v[104:107], v2 offset:496
	ds_load_b128 v[108:111], v2 offset:512
	s_wait_dscnt 0x1
	v_fmac_f64_e32 v[126:127], v[124:125], v[104:105]
	scratch_load_b128 v[122:125], off, off offset:232
	s_wait_loadcnt 0x5
	v_fmac_f64_e32 v[126:127], v[92:93], v[106:107]
	s_wait_dscnt 0x0
	s_delay_alu instid0(VALU_DEP_1)
	v_fmac_f64_e32 v[126:127], v[94:95], v[108:109]
	scratch_load_b128 v[92:95], off, off offset:248
	s_wait_loadcnt 0x5
	v_fmac_f64_e32 v[126:127], v[118:119], v[110:111]
	ds_load_b128 v[104:107], v2 offset:528
	ds_load_b128 v[108:111], v2 offset:544
	s_wait_dscnt 0x1
	v_fmac_f64_e32 v[126:127], v[120:121], v[104:105]
	s_wait_loadcnt 0x4
	s_delay_alu instid0(VALU_DEP_1)
	v_fmac_f64_e32 v[126:127], v[96:97], v[106:107]
	scratch_load_b128 v[104:107], off, off offset:264
	s_wait_dscnt 0x0
	v_fmac_f64_e32 v[126:127], v[98:99], v[108:109]
	scratch_load_b128 v[96:99], off, off offset:280
	s_wait_loadcnt 0x5
	v_fmac_f64_e32 v[126:127], v[114:115], v[110:111]
	ds_load_b128 v[108:111], v2 offset:560
	ds_load_b128 v[112:115], v2 offset:576
	s_wait_dscnt 0x1
	v_fmac_f64_e32 v[126:127], v[116:117], v[108:109]
	s_wait_loadcnt 0x4
	s_delay_alu instid0(VALU_DEP_1)
	v_fmac_f64_e32 v[126:127], v[100:101], v[110:111]
	scratch_load_b128 v[108:111], off, off offset:296
	s_wait_dscnt 0x0
	v_fmac_f64_e32 v[126:127], v[102:103], v[112:113]
	scratch_load_b128 v[100:103], off, off offset:312
	s_wait_loadcnt 0x5
	v_fmac_f64_e32 v[126:127], v[122:123], v[114:115]
	ds_load_b128 v[112:115], v2 offset:592
	ds_load_b128 v[116:119], v2 offset:608
	s_wait_dscnt 0x1
	v_fmac_f64_e32 v[126:127], v[124:125], v[112:113]
	s_wait_loadcnt 0x4
	s_delay_alu instid0(VALU_DEP_1) | instskip(SKIP_4) | instid1(VALU_DEP_1)
	v_fmac_f64_e32 v[126:127], v[92:93], v[114:115]
	scratch_load_b128 v[112:115], off, off offset:328
	s_wait_dscnt 0x0
	v_fmac_f64_e32 v[126:127], v[94:95], v[116:117]
	s_wait_loadcnt 0x4
	v_fmac_f64_e32 v[126:127], v[104:105], v[118:119]
	ds_load_b128 v[92:95], v2 offset:624
	ds_load_b128 v[116:119], v2 offset:640
	s_wait_dscnt 0x1
	v_fmac_f64_e32 v[126:127], v[106:107], v[92:93]
	s_wait_loadcnt 0x3
	s_delay_alu instid0(VALU_DEP_1) | instskip(SKIP_1) | instid1(VALU_DEP_1)
	v_fmac_f64_e32 v[126:127], v[96:97], v[94:95]
	s_wait_dscnt 0x0
	v_fmac_f64_e32 v[126:127], v[98:99], v[116:117]
	ds_load_b128 v[92:95], v2 offset:656
	ds_load_b128 v[96:99], v2 offset:672
	s_wait_loadcnt 0x2
	v_fmac_f64_e32 v[126:127], v[108:109], v[118:119]
	s_wait_dscnt 0x1
	s_delay_alu instid0(VALU_DEP_1) | instskip(SKIP_4) | instid1(VALU_DEP_1)
	v_fmac_f64_e32 v[126:127], v[110:111], v[92:93]
	ds_load_b64 v[92:93], v2 offset:688
	s_wait_loadcnt 0x1
	v_fmac_f64_e32 v[126:127], v[100:101], v[94:95]
	s_wait_dscnt 0x1
	v_fmac_f64_e32 v[126:127], v[102:103], v[96:97]
	s_wait_loadcnt 0x0
	s_delay_alu instid0(VALU_DEP_1) | instskip(SKIP_1) | instid1(VALU_DEP_1)
	v_fmac_f64_e32 v[126:127], v[112:113], v[98:99]
	s_wait_dscnt 0x0
	v_fmac_f64_e32 v[126:127], v[114:115], v[92:93]
	s_delay_alu instid0(VALU_DEP_1)
	v_add_f64_e64 v[90:91], v[90:91], -v[126:127]
	scratch_store_b64 off, v[90:91], off offset:40
	s_wait_xcnt 0x0
	v_cmpx_lt_u32_e32 4, v0
	s_cbranch_execz .LBB106_259
; %bb.258:
	scratch_load_b64 v[90:91], off, off offset:32
	v_mov_b64_e32 v[92:93], 0
	scratch_store_b64 off, v[92:93], off offset:32
	s_wait_loadcnt 0x0
	ds_store_b64 v1, v[90:91]
.LBB106_259:
	s_wait_xcnt 0x0
	s_or_b32 exec_lo, exec_lo, s0
	s_wait_storecnt_dscnt 0x0
	s_barrier_signal -1
	s_barrier_wait -1
	s_clause 0x5
	scratch_load_b128 v[90:93], off, off offset:32
	scratch_load_b128 v[94:97], off, off offset:48
	;; [unrolled: 1-line block ×6, first 2 shown]
	ds_load_2addr_b64 v[114:117], v2 offset0:49 offset1:50
	ds_load_2addr_b64 v[118:121], v2 offset0:51 offset1:52
	scratch_load_b128 v[122:125], off, off offset:128
	s_mov_b32 s0, exec_lo
	s_wait_loadcnt_dscnt 0x601
	v_fma_f64 v[126:127], v[92:93], v[114:115], 0
	s_wait_loadcnt 0x5
	s_delay_alu instid0(VALU_DEP_1) | instskip(SKIP_4) | instid1(VALU_DEP_1)
	v_fmac_f64_e32 v[126:127], v[94:95], v[116:117]
	scratch_load_b128 v[92:95], off, off offset:144
	s_wait_dscnt 0x0
	v_fmac_f64_e32 v[126:127], v[96:97], v[118:119]
	s_wait_loadcnt 0x5
	v_fmac_f64_e32 v[126:127], v[98:99], v[120:121]
	ds_load_2addr_b64 v[96:99], v2 offset0:53 offset1:54
	ds_load_2addr_b64 v[114:117], v2 offset0:55 offset1:56
	scratch_load_b128 v[118:121], off, off offset:160
	s_wait_dscnt 0x1
	v_fmac_f64_e32 v[126:127], v[100:101], v[96:97]
	s_wait_loadcnt 0x5
	s_delay_alu instid0(VALU_DEP_1) | instskip(SKIP_4) | instid1(VALU_DEP_1)
	v_fmac_f64_e32 v[126:127], v[102:103], v[98:99]
	scratch_load_b128 v[96:99], off, off offset:176
	s_wait_dscnt 0x0
	v_fmac_f64_e32 v[126:127], v[104:105], v[114:115]
	s_wait_loadcnt 0x5
	v_fmac_f64_e32 v[126:127], v[106:107], v[116:117]
	ds_load_2addr_b64 v[100:103], v2 offset0:57 offset1:58
	ds_load_2addr_b64 v[104:107], v2 offset0:59 offset1:60
	scratch_load_b128 v[114:117], off, off offset:192
	s_wait_dscnt 0x1
	v_fmac_f64_e32 v[126:127], v[108:109], v[100:101]
	s_wait_loadcnt 0x5
	s_delay_alu instid0(VALU_DEP_1) | instskip(SKIP_4) | instid1(VALU_DEP_1)
	v_fmac_f64_e32 v[126:127], v[110:111], v[102:103]
	scratch_load_b128 v[100:103], off, off offset:208
	s_wait_dscnt 0x0
	v_fmac_f64_e32 v[126:127], v[112:113], v[104:105]
	s_wait_loadcnt 0x5
	v_fmac_f64_e32 v[126:127], v[122:123], v[106:107]
	ds_load_2addr_b64 v[104:107], v2 offset0:61 offset1:62
	ds_load_2addr_b64 v[108:111], v2 offset0:63 offset1:64
	s_wait_dscnt 0x1
	v_fmac_f64_e32 v[126:127], v[124:125], v[104:105]
	scratch_load_b128 v[122:125], off, off offset:224
	s_wait_loadcnt 0x5
	v_fmac_f64_e32 v[126:127], v[92:93], v[106:107]
	s_wait_dscnt 0x0
	s_delay_alu instid0(VALU_DEP_1)
	v_fmac_f64_e32 v[126:127], v[94:95], v[108:109]
	scratch_load_b128 v[92:95], off, off offset:240
	s_wait_loadcnt 0x5
	v_fmac_f64_e32 v[126:127], v[118:119], v[110:111]
	ds_load_2addr_b64 v[104:107], v2 offset0:65 offset1:66
	ds_load_2addr_b64 v[108:111], v2 offset0:67 offset1:68
	s_wait_dscnt 0x1
	v_fmac_f64_e32 v[126:127], v[120:121], v[104:105]
	scratch_load_b128 v[118:121], off, off offset:256
	s_wait_loadcnt 0x5
	v_fmac_f64_e32 v[126:127], v[96:97], v[106:107]
	s_wait_dscnt 0x0
	s_delay_alu instid0(VALU_DEP_1)
	v_fmac_f64_e32 v[126:127], v[98:99], v[108:109]
	scratch_load_b128 v[96:99], off, off offset:272
	s_wait_loadcnt 0x5
	v_fmac_f64_e32 v[126:127], v[114:115], v[110:111]
	ds_load_2addr_b64 v[104:107], v2 offset0:69 offset1:70
	ds_load_2addr_b64 v[108:111], v2 offset0:71 offset1:72
	s_wait_dscnt 0x1
	v_fmac_f64_e32 v[126:127], v[116:117], v[104:105]
	s_wait_loadcnt 0x4
	s_delay_alu instid0(VALU_DEP_1)
	v_fmac_f64_e32 v[126:127], v[100:101], v[106:107]
	scratch_load_b128 v[104:107], off, off offset:288
	s_wait_dscnt 0x0
	v_fmac_f64_e32 v[126:127], v[102:103], v[108:109]
	scratch_load_b128 v[100:103], off, off offset:304
	s_wait_loadcnt 0x5
	v_fmac_f64_e32 v[126:127], v[122:123], v[110:111]
	ds_load_2addr_b64 v[108:111], v2 offset0:73 offset1:74
	ds_load_2addr_b64 v[112:115], v2 offset0:75 offset1:76
	scratch_load_b64 v[116:117], off, off offset:336
	s_wait_dscnt 0x1
	v_fmac_f64_e32 v[126:127], v[124:125], v[108:109]
	s_wait_loadcnt 0x5
	s_delay_alu instid0(VALU_DEP_1) | instskip(SKIP_4) | instid1(VALU_DEP_1)
	v_fmac_f64_e32 v[126:127], v[92:93], v[110:111]
	scratch_load_b128 v[108:111], off, off offset:320
	s_wait_dscnt 0x0
	v_fmac_f64_e32 v[126:127], v[94:95], v[112:113]
	s_wait_loadcnt 0x5
	v_fmac_f64_e32 v[126:127], v[118:119], v[114:115]
	ds_load_2addr_b64 v[92:95], v2 offset0:77 offset1:78
	ds_load_2addr_b64 v[112:115], v2 offset0:79 offset1:80
	s_wait_dscnt 0x1
	v_fmac_f64_e32 v[126:127], v[120:121], v[92:93]
	s_wait_loadcnt 0x4
	s_delay_alu instid0(VALU_DEP_1) | instskip(SKIP_1) | instid1(VALU_DEP_1)
	v_fmac_f64_e32 v[126:127], v[96:97], v[94:95]
	s_wait_dscnt 0x0
	v_fmac_f64_e32 v[126:127], v[98:99], v[112:113]
	ds_load_2addr_b64 v[92:95], v2 offset0:81 offset1:82
	ds_load_2addr_b64 v[96:99], v2 offset0:83 offset1:84
	s_wait_loadcnt 0x3
	v_fmac_f64_e32 v[126:127], v[104:105], v[114:115]
	s_wait_dscnt 0x1
	s_delay_alu instid0(VALU_DEP_1) | instskip(SKIP_1) | instid1(VALU_DEP_1)
	v_fmac_f64_e32 v[126:127], v[106:107], v[92:93]
	s_wait_loadcnt 0x2
	v_fmac_f64_e32 v[126:127], v[100:101], v[94:95]
	ds_load_2addr_b64 v[92:95], v2 offset0:85 offset1:86
	s_wait_dscnt 0x1
	v_fmac_f64_e32 v[126:127], v[102:103], v[96:97]
	s_wait_loadcnt 0x0
	s_delay_alu instid0(VALU_DEP_1) | instskip(SKIP_1) | instid1(VALU_DEP_1)
	v_fmac_f64_e32 v[126:127], v[108:109], v[98:99]
	s_wait_dscnt 0x0
	v_fmac_f64_e32 v[126:127], v[110:111], v[92:93]
	s_delay_alu instid0(VALU_DEP_1) | instskip(NEXT) | instid1(VALU_DEP_1)
	v_fmac_f64_e32 v[126:127], v[116:117], v[94:95]
	v_add_f64_e64 v[2:3], v[90:91], -v[126:127]
	scratch_store_b64 off, v[2:3], off offset:32
	s_wait_xcnt 0x0
	v_cmpx_lt_u32_e32 3, v0
	s_cbranch_execz .LBB106_261
; %bb.260:
	scratch_load_b64 v[2:3], off, off offset:24
	v_mov_b64_e32 v[90:91], 0
	scratch_store_b64 off, v[90:91], off offset:24
	s_wait_loadcnt 0x0
	ds_store_b64 v1, v[2:3]
.LBB106_261:
	s_wait_xcnt 0x0
	s_or_b32 exec_lo, exec_lo, s0
	s_wait_storecnt_dscnt 0x0
	s_barrier_signal -1
	s_barrier_wait -1
	s_clause 0x5
	scratch_load_b128 v[90:93], off, off offset:24
	scratch_load_b128 v[94:97], off, off offset:40
	;; [unrolled: 1-line block ×6, first 2 shown]
	v_mov_b32_e32 v2, 0
	ds_load_b128 v[114:117], v2 offset:384
	ds_load_b128 v[118:121], v2 offset:400
	scratch_load_b128 v[122:125], off, off offset:120
	s_mov_b32 s0, exec_lo
	s_wait_loadcnt_dscnt 0x601
	v_fma_f64 v[126:127], v[92:93], v[114:115], 0
	s_wait_loadcnt 0x5
	s_delay_alu instid0(VALU_DEP_1) | instskip(SKIP_4) | instid1(VALU_DEP_1)
	v_fmac_f64_e32 v[126:127], v[94:95], v[116:117]
	scratch_load_b128 v[92:95], off, off offset:136
	s_wait_dscnt 0x0
	v_fmac_f64_e32 v[126:127], v[96:97], v[118:119]
	s_wait_loadcnt 0x5
	v_fmac_f64_e32 v[126:127], v[98:99], v[120:121]
	ds_load_b128 v[96:99], v2 offset:416
	ds_load_b128 v[114:117], v2 offset:432
	scratch_load_b128 v[118:121], off, off offset:152
	s_wait_dscnt 0x1
	v_fmac_f64_e32 v[126:127], v[100:101], v[96:97]
	s_wait_loadcnt 0x5
	s_delay_alu instid0(VALU_DEP_1) | instskip(SKIP_4) | instid1(VALU_DEP_1)
	v_fmac_f64_e32 v[126:127], v[102:103], v[98:99]
	scratch_load_b128 v[96:99], off, off offset:168
	s_wait_dscnt 0x0
	v_fmac_f64_e32 v[126:127], v[104:105], v[114:115]
	s_wait_loadcnt 0x5
	v_fmac_f64_e32 v[126:127], v[106:107], v[116:117]
	ds_load_b128 v[100:103], v2 offset:448
	ds_load_b128 v[104:107], v2 offset:464
	scratch_load_b128 v[114:117], off, off offset:184
	s_wait_dscnt 0x1
	v_fmac_f64_e32 v[126:127], v[108:109], v[100:101]
	s_wait_loadcnt 0x5
	s_delay_alu instid0(VALU_DEP_1) | instskip(SKIP_4) | instid1(VALU_DEP_1)
	v_fmac_f64_e32 v[126:127], v[110:111], v[102:103]
	scratch_load_b128 v[100:103], off, off offset:200
	s_wait_dscnt 0x0
	v_fmac_f64_e32 v[126:127], v[112:113], v[104:105]
	s_wait_loadcnt 0x5
	v_fmac_f64_e32 v[126:127], v[122:123], v[106:107]
	ds_load_b128 v[104:107], v2 offset:480
	ds_load_b128 v[108:111], v2 offset:496
	s_wait_dscnt 0x1
	v_fmac_f64_e32 v[126:127], v[124:125], v[104:105]
	scratch_load_b128 v[122:125], off, off offset:216
	s_wait_loadcnt 0x5
	v_fmac_f64_e32 v[126:127], v[92:93], v[106:107]
	s_wait_dscnt 0x0
	s_delay_alu instid0(VALU_DEP_1)
	v_fmac_f64_e32 v[126:127], v[94:95], v[108:109]
	scratch_load_b128 v[92:95], off, off offset:232
	s_wait_loadcnt 0x5
	v_fmac_f64_e32 v[126:127], v[118:119], v[110:111]
	ds_load_b128 v[104:107], v2 offset:512
	ds_load_b128 v[108:111], v2 offset:528
	s_wait_dscnt 0x1
	v_fmac_f64_e32 v[126:127], v[120:121], v[104:105]
	scratch_load_b128 v[118:121], off, off offset:248
	s_wait_loadcnt 0x5
	v_fmac_f64_e32 v[126:127], v[96:97], v[106:107]
	s_wait_dscnt 0x0
	s_delay_alu instid0(VALU_DEP_1)
	v_fmac_f64_e32 v[126:127], v[98:99], v[108:109]
	scratch_load_b128 v[96:99], off, off offset:264
	s_wait_loadcnt 0x5
	v_fmac_f64_e32 v[126:127], v[114:115], v[110:111]
	ds_load_b128 v[104:107], v2 offset:544
	ds_load_b128 v[108:111], v2 offset:560
	s_wait_dscnt 0x1
	v_fmac_f64_e32 v[126:127], v[116:117], v[104:105]
	s_wait_loadcnt 0x4
	s_delay_alu instid0(VALU_DEP_1)
	v_fmac_f64_e32 v[126:127], v[100:101], v[106:107]
	scratch_load_b128 v[104:107], off, off offset:280
	s_wait_dscnt 0x0
	v_fmac_f64_e32 v[126:127], v[102:103], v[108:109]
	scratch_load_b128 v[100:103], off, off offset:296
	s_wait_loadcnt 0x5
	v_fmac_f64_e32 v[126:127], v[122:123], v[110:111]
	ds_load_b128 v[108:111], v2 offset:576
	ds_load_b128 v[112:115], v2 offset:592
	s_wait_dscnt 0x1
	v_fmac_f64_e32 v[126:127], v[124:125], v[108:109]
	s_wait_loadcnt 0x4
	s_delay_alu instid0(VALU_DEP_1)
	v_fmac_f64_e32 v[126:127], v[92:93], v[110:111]
	scratch_load_b128 v[108:111], off, off offset:312
	s_wait_dscnt 0x0
	v_fmac_f64_e32 v[126:127], v[94:95], v[112:113]
	scratch_load_b128 v[92:95], off, off offset:328
	s_wait_loadcnt 0x5
	v_fmac_f64_e32 v[126:127], v[118:119], v[114:115]
	ds_load_b128 v[112:115], v2 offset:608
	ds_load_b128 v[116:119], v2 offset:624
	s_wait_dscnt 0x1
	v_fmac_f64_e32 v[126:127], v[120:121], v[112:113]
	s_wait_loadcnt 0x4
	s_delay_alu instid0(VALU_DEP_1) | instskip(SKIP_1) | instid1(VALU_DEP_1)
	v_fmac_f64_e32 v[126:127], v[96:97], v[114:115]
	s_wait_dscnt 0x0
	v_fmac_f64_e32 v[126:127], v[98:99], v[116:117]
	ds_load_b128 v[96:99], v2 offset:640
	ds_load_b128 v[112:115], v2 offset:656
	s_wait_loadcnt 0x3
	v_fmac_f64_e32 v[126:127], v[104:105], v[118:119]
	s_wait_dscnt 0x1
	s_delay_alu instid0(VALU_DEP_1) | instskip(SKIP_1) | instid1(VALU_DEP_1)
	v_fmac_f64_e32 v[126:127], v[106:107], v[96:97]
	s_wait_loadcnt 0x2
	v_fmac_f64_e32 v[126:127], v[100:101], v[98:99]
	ds_load_b128 v[96:99], v2 offset:672
	ds_load_b64 v[100:101], v2 offset:688
	s_wait_dscnt 0x2
	v_fmac_f64_e32 v[126:127], v[102:103], v[112:113]
	s_wait_loadcnt 0x1
	s_delay_alu instid0(VALU_DEP_1) | instskip(SKIP_1) | instid1(VALU_DEP_1)
	v_fmac_f64_e32 v[126:127], v[108:109], v[114:115]
	s_wait_dscnt 0x1
	v_fmac_f64_e32 v[126:127], v[110:111], v[96:97]
	s_wait_loadcnt 0x0
	s_delay_alu instid0(VALU_DEP_1) | instskip(SKIP_1) | instid1(VALU_DEP_1)
	v_fmac_f64_e32 v[126:127], v[92:93], v[98:99]
	s_wait_dscnt 0x0
	v_fmac_f64_e32 v[126:127], v[94:95], v[100:101]
	s_delay_alu instid0(VALU_DEP_1)
	v_add_f64_e64 v[90:91], v[90:91], -v[126:127]
	scratch_store_b64 off, v[90:91], off offset:24
	s_wait_xcnt 0x0
	v_cmpx_lt_u32_e32 2, v0
	s_cbranch_execz .LBB106_263
; %bb.262:
	scratch_load_b64 v[90:91], off, off offset:16
	v_mov_b64_e32 v[92:93], 0
	scratch_store_b64 off, v[92:93], off offset:16
	s_wait_loadcnt 0x0
	ds_store_b64 v1, v[90:91]
.LBB106_263:
	s_wait_xcnt 0x0
	s_or_b32 exec_lo, exec_lo, s0
	s_wait_storecnt_dscnt 0x0
	s_barrier_signal -1
	s_barrier_wait -1
	s_clause 0x5
	scratch_load_b128 v[90:93], off, off offset:16
	scratch_load_b128 v[94:97], off, off offset:32
	;; [unrolled: 1-line block ×6, first 2 shown]
	ds_load_2addr_b64 v[114:117], v2 offset0:47 offset1:48
	ds_load_2addr_b64 v[118:121], v2 offset0:49 offset1:50
	scratch_load_b128 v[122:125], off, off offset:112
	s_mov_b32 s0, exec_lo
	s_wait_loadcnt_dscnt 0x601
	v_fma_f64 v[126:127], v[92:93], v[114:115], 0
	s_wait_loadcnt 0x5
	s_delay_alu instid0(VALU_DEP_1) | instskip(SKIP_4) | instid1(VALU_DEP_1)
	v_fmac_f64_e32 v[126:127], v[94:95], v[116:117]
	scratch_load_b128 v[92:95], off, off offset:128
	s_wait_dscnt 0x0
	v_fmac_f64_e32 v[126:127], v[96:97], v[118:119]
	s_wait_loadcnt 0x5
	v_fmac_f64_e32 v[126:127], v[98:99], v[120:121]
	ds_load_2addr_b64 v[96:99], v2 offset0:51 offset1:52
	ds_load_2addr_b64 v[114:117], v2 offset0:53 offset1:54
	scratch_load_b128 v[118:121], off, off offset:144
	s_wait_dscnt 0x1
	v_fmac_f64_e32 v[126:127], v[100:101], v[96:97]
	s_wait_loadcnt 0x5
	s_delay_alu instid0(VALU_DEP_1) | instskip(SKIP_4) | instid1(VALU_DEP_1)
	v_fmac_f64_e32 v[126:127], v[102:103], v[98:99]
	scratch_load_b128 v[96:99], off, off offset:160
	s_wait_dscnt 0x0
	v_fmac_f64_e32 v[126:127], v[104:105], v[114:115]
	s_wait_loadcnt 0x5
	v_fmac_f64_e32 v[126:127], v[106:107], v[116:117]
	ds_load_2addr_b64 v[100:103], v2 offset0:55 offset1:56
	ds_load_2addr_b64 v[104:107], v2 offset0:57 offset1:58
	scratch_load_b128 v[114:117], off, off offset:176
	s_wait_dscnt 0x1
	v_fmac_f64_e32 v[126:127], v[108:109], v[100:101]
	s_wait_loadcnt 0x5
	s_delay_alu instid0(VALU_DEP_1) | instskip(SKIP_4) | instid1(VALU_DEP_1)
	v_fmac_f64_e32 v[126:127], v[110:111], v[102:103]
	scratch_load_b128 v[100:103], off, off offset:192
	s_wait_dscnt 0x0
	v_fmac_f64_e32 v[126:127], v[112:113], v[104:105]
	s_wait_loadcnt 0x5
	v_fmac_f64_e32 v[126:127], v[122:123], v[106:107]
	ds_load_2addr_b64 v[104:107], v2 offset0:59 offset1:60
	ds_load_2addr_b64 v[108:111], v2 offset0:61 offset1:62
	s_wait_dscnt 0x1
	v_fmac_f64_e32 v[126:127], v[124:125], v[104:105]
	scratch_load_b128 v[122:125], off, off offset:208
	s_wait_loadcnt 0x5
	v_fmac_f64_e32 v[126:127], v[92:93], v[106:107]
	s_wait_dscnt 0x0
	s_delay_alu instid0(VALU_DEP_1)
	v_fmac_f64_e32 v[126:127], v[94:95], v[108:109]
	scratch_load_b128 v[92:95], off, off offset:224
	s_wait_loadcnt 0x5
	v_fmac_f64_e32 v[126:127], v[118:119], v[110:111]
	ds_load_2addr_b64 v[104:107], v2 offset0:63 offset1:64
	ds_load_2addr_b64 v[108:111], v2 offset0:65 offset1:66
	s_wait_dscnt 0x1
	v_fmac_f64_e32 v[126:127], v[120:121], v[104:105]
	scratch_load_b128 v[118:121], off, off offset:240
	s_wait_loadcnt 0x5
	v_fmac_f64_e32 v[126:127], v[96:97], v[106:107]
	s_wait_dscnt 0x0
	s_delay_alu instid0(VALU_DEP_1)
	v_fmac_f64_e32 v[126:127], v[98:99], v[108:109]
	scratch_load_b128 v[96:99], off, off offset:256
	s_wait_loadcnt 0x5
	v_fmac_f64_e32 v[126:127], v[114:115], v[110:111]
	ds_load_2addr_b64 v[104:107], v2 offset0:67 offset1:68
	ds_load_2addr_b64 v[108:111], v2 offset0:69 offset1:70
	s_wait_dscnt 0x1
	v_fmac_f64_e32 v[126:127], v[116:117], v[104:105]
	s_wait_loadcnt 0x4
	s_delay_alu instid0(VALU_DEP_1)
	v_fmac_f64_e32 v[126:127], v[100:101], v[106:107]
	scratch_load_b128 v[104:107], off, off offset:272
	s_wait_dscnt 0x0
	v_fmac_f64_e32 v[126:127], v[102:103], v[108:109]
	scratch_load_b128 v[100:103], off, off offset:288
	s_wait_loadcnt 0x5
	v_fmac_f64_e32 v[126:127], v[122:123], v[110:111]
	ds_load_2addr_b64 v[108:111], v2 offset0:71 offset1:72
	ds_load_2addr_b64 v[112:115], v2 offset0:73 offset1:74
	s_wait_dscnt 0x1
	v_fmac_f64_e32 v[126:127], v[124:125], v[108:109]
	s_wait_loadcnt 0x4
	s_delay_alu instid0(VALU_DEP_1)
	v_fmac_f64_e32 v[126:127], v[92:93], v[110:111]
	scratch_load_b128 v[108:111], off, off offset:304
	s_wait_dscnt 0x0
	v_fmac_f64_e32 v[126:127], v[94:95], v[112:113]
	scratch_load_b128 v[92:95], off, off offset:320
	s_wait_loadcnt 0x5
	v_fmac_f64_e32 v[126:127], v[118:119], v[114:115]
	ds_load_2addr_b64 v[112:115], v2 offset0:75 offset1:76
	ds_load_2addr_b64 v[116:119], v2 offset0:77 offset1:78
	s_wait_dscnt 0x1
	v_fmac_f64_e32 v[126:127], v[120:121], v[112:113]
	scratch_load_b64 v[120:121], off, off offset:336
	s_wait_loadcnt 0x5
	v_fmac_f64_e32 v[126:127], v[96:97], v[114:115]
	s_wait_dscnt 0x0
	s_delay_alu instid0(VALU_DEP_1)
	v_fmac_f64_e32 v[126:127], v[98:99], v[116:117]
	ds_load_2addr_b64 v[96:99], v2 offset0:79 offset1:80
	ds_load_2addr_b64 v[112:115], v2 offset0:81 offset1:82
	s_wait_loadcnt 0x4
	v_fmac_f64_e32 v[126:127], v[104:105], v[118:119]
	s_wait_dscnt 0x1
	s_delay_alu instid0(VALU_DEP_1) | instskip(SKIP_1) | instid1(VALU_DEP_1)
	v_fmac_f64_e32 v[126:127], v[106:107], v[96:97]
	s_wait_loadcnt 0x3
	v_fmac_f64_e32 v[126:127], v[100:101], v[98:99]
	s_wait_dscnt 0x0
	s_delay_alu instid0(VALU_DEP_1)
	v_fmac_f64_e32 v[126:127], v[102:103], v[112:113]
	ds_load_2addr_b64 v[96:99], v2 offset0:83 offset1:84
	ds_load_2addr_b64 v[100:103], v2 offset0:85 offset1:86
	s_wait_loadcnt 0x2
	v_fmac_f64_e32 v[126:127], v[108:109], v[114:115]
	s_wait_dscnt 0x1
	s_delay_alu instid0(VALU_DEP_1) | instskip(SKIP_1) | instid1(VALU_DEP_1)
	v_fmac_f64_e32 v[126:127], v[110:111], v[96:97]
	s_wait_loadcnt 0x1
	v_fmac_f64_e32 v[126:127], v[92:93], v[98:99]
	s_wait_dscnt 0x0
	s_delay_alu instid0(VALU_DEP_1) | instskip(SKIP_1) | instid1(VALU_DEP_1)
	v_fmac_f64_e32 v[126:127], v[94:95], v[100:101]
	s_wait_loadcnt 0x0
	v_fmac_f64_e32 v[126:127], v[120:121], v[102:103]
	s_delay_alu instid0(VALU_DEP_1)
	v_add_f64_e64 v[2:3], v[90:91], -v[126:127]
	scratch_store_b64 off, v[2:3], off offset:16
	s_wait_xcnt 0x0
	v_cmpx_lt_u32_e32 1, v0
	s_cbranch_execz .LBB106_265
; %bb.264:
	scratch_load_b64 v[2:3], off, off offset:8
	v_mov_b64_e32 v[90:91], 0
	scratch_store_b64 off, v[90:91], off offset:8
	s_wait_loadcnt 0x0
	ds_store_b64 v1, v[2:3]
.LBB106_265:
	s_wait_xcnt 0x0
	s_or_b32 exec_lo, exec_lo, s0
	s_wait_storecnt_dscnt 0x0
	s_barrier_signal -1
	s_barrier_wait -1
	s_clause 0x5
	scratch_load_b128 v[92:95], off, off offset:8
	scratch_load_b128 v[96:99], off, off offset:24
	;; [unrolled: 1-line block ×6, first 2 shown]
	v_dual_mov_b32 v90, 0 :: v_dual_ashrrev_i32 v9, 31, v8
	ds_load_b128 v[116:119], v90 offset:368
	ds_load_b128 v[120:123], v90 offset:384
	scratch_load_b128 v[124:127], off, off offset:104
	v_dual_ashrrev_i32 v11, 31, v10 :: v_dual_ashrrev_i32 v13, 31, v12
	v_dual_ashrrev_i32 v15, 31, v14 :: v_dual_ashrrev_i32 v17, 31, v16
	;; [unrolled: 1-line block ×19, first 2 shown]
	v_ashrrev_i32_e32 v87, 31, v86
	s_mov_b32 s0, exec_lo
	v_ashrrev_i32_e32 v41, 31, v40
	s_wait_loadcnt_dscnt 0x601
	v_fma_f64 v[2:3], v[94:95], v[116:117], 0
	s_wait_loadcnt 0x5
	s_delay_alu instid0(VALU_DEP_1) | instskip(SKIP_4) | instid1(VALU_DEP_1)
	v_fmac_f64_e32 v[2:3], v[96:97], v[118:119]
	scratch_load_b128 v[94:97], off, off offset:120
	s_wait_dscnt 0x0
	v_fmac_f64_e32 v[2:3], v[98:99], v[120:121]
	s_wait_loadcnt 0x5
	v_fmac_f64_e32 v[2:3], v[100:101], v[122:123]
	ds_load_b128 v[98:101], v90 offset:400
	ds_load_b128 v[116:119], v90 offset:416
	scratch_load_b128 v[120:123], off, off offset:136
	s_wait_dscnt 0x1
	v_fmac_f64_e32 v[2:3], v[102:103], v[98:99]
	s_wait_loadcnt 0x5
	s_delay_alu instid0(VALU_DEP_1) | instskip(SKIP_4) | instid1(VALU_DEP_1)
	v_fmac_f64_e32 v[2:3], v[104:105], v[100:101]
	scratch_load_b128 v[98:101], off, off offset:152
	s_wait_dscnt 0x0
	v_fmac_f64_e32 v[2:3], v[106:107], v[116:117]
	s_wait_loadcnt 0x5
	v_fmac_f64_e32 v[2:3], v[108:109], v[118:119]
	ds_load_b128 v[102:105], v90 offset:432
	ds_load_b128 v[106:109], v90 offset:448
	scratch_load_b128 v[116:119], off, off offset:168
	s_wait_dscnt 0x1
	v_fmac_f64_e32 v[2:3], v[110:111], v[102:103]
	s_wait_loadcnt 0x5
	s_delay_alu instid0(VALU_DEP_1) | instskip(SKIP_4) | instid1(VALU_DEP_1)
	v_fmac_f64_e32 v[2:3], v[112:113], v[104:105]
	scratch_load_b128 v[102:105], off, off offset:184
	s_wait_dscnt 0x0
	v_fmac_f64_e32 v[2:3], v[114:115], v[106:107]
	s_wait_loadcnt 0x5
	v_fmac_f64_e32 v[2:3], v[124:125], v[108:109]
	ds_load_b128 v[106:109], v90 offset:464
	ds_load_b128 v[110:113], v90 offset:480
	s_wait_dscnt 0x1
	v_fmac_f64_e32 v[2:3], v[126:127], v[106:107]
	scratch_load_b128 v[124:127], off, off offset:200
	s_wait_loadcnt 0x5
	v_fmac_f64_e32 v[2:3], v[94:95], v[108:109]
	s_wait_dscnt 0x0
	s_delay_alu instid0(VALU_DEP_1)
	v_fmac_f64_e32 v[2:3], v[96:97], v[110:111]
	scratch_load_b128 v[94:97], off, off offset:216
	s_wait_loadcnt 0x5
	v_fmac_f64_e32 v[2:3], v[120:121], v[112:113]
	ds_load_b128 v[106:109], v90 offset:496
	ds_load_b128 v[110:113], v90 offset:512
	s_wait_dscnt 0x1
	v_fmac_f64_e32 v[2:3], v[122:123], v[106:107]
	scratch_load_b128 v[120:123], off, off offset:232
	s_wait_loadcnt 0x5
	v_fmac_f64_e32 v[2:3], v[98:99], v[108:109]
	s_wait_dscnt 0x0
	s_delay_alu instid0(VALU_DEP_1)
	v_fmac_f64_e32 v[2:3], v[100:101], v[110:111]
	scratch_load_b128 v[98:101], off, off offset:248
	s_wait_loadcnt 0x5
	v_fmac_f64_e32 v[2:3], v[116:117], v[112:113]
	ds_load_b128 v[106:109], v90 offset:528
	ds_load_b128 v[110:113], v90 offset:544
	s_wait_dscnt 0x1
	v_fmac_f64_e32 v[2:3], v[118:119], v[106:107]
	s_wait_loadcnt 0x4
	s_delay_alu instid0(VALU_DEP_1)
	v_fmac_f64_e32 v[2:3], v[102:103], v[108:109]
	scratch_load_b128 v[106:109], off, off offset:264
	s_wait_dscnt 0x0
	v_fmac_f64_e32 v[2:3], v[104:105], v[110:111]
	scratch_load_b128 v[102:105], off, off offset:280
	s_wait_loadcnt 0x5
	v_fmac_f64_e32 v[2:3], v[124:125], v[112:113]
	ds_load_b128 v[110:113], v90 offset:560
	ds_load_b128 v[114:117], v90 offset:576
	s_wait_dscnt 0x1
	v_fmac_f64_e32 v[2:3], v[126:127], v[110:111]
	s_wait_loadcnt 0x4
	s_delay_alu instid0(VALU_DEP_1)
	v_fmac_f64_e32 v[2:3], v[94:95], v[112:113]
	scratch_load_b128 v[110:113], off, off offset:296
	s_wait_dscnt 0x0
	v_fmac_f64_e32 v[2:3], v[96:97], v[114:115]
	scratch_load_b128 v[94:97], off, off offset:312
	s_wait_loadcnt 0x5
	v_fmac_f64_e32 v[2:3], v[120:121], v[116:117]
	ds_load_b128 v[114:117], v90 offset:592
	ds_load_b128 v[118:121], v90 offset:608
	s_wait_dscnt 0x1
	v_fmac_f64_e32 v[2:3], v[122:123], v[114:115]
	s_wait_loadcnt 0x4
	s_delay_alu instid0(VALU_DEP_1) | instskip(SKIP_4) | instid1(VALU_DEP_1)
	v_fmac_f64_e32 v[2:3], v[98:99], v[116:117]
	scratch_load_b128 v[114:117], off, off offset:328
	s_wait_dscnt 0x0
	v_fmac_f64_e32 v[2:3], v[100:101], v[118:119]
	s_wait_loadcnt 0x4
	v_fmac_f64_e32 v[2:3], v[106:107], v[120:121]
	ds_load_b128 v[98:101], v90 offset:624
	ds_load_b128 v[118:121], v90 offset:640
	s_wait_dscnt 0x1
	v_fmac_f64_e32 v[2:3], v[108:109], v[98:99]
	s_wait_loadcnt 0x3
	s_delay_alu instid0(VALU_DEP_1) | instskip(SKIP_1) | instid1(VALU_DEP_1)
	v_fmac_f64_e32 v[2:3], v[102:103], v[100:101]
	s_wait_dscnt 0x0
	v_fmac_f64_e32 v[2:3], v[104:105], v[118:119]
	ds_load_b128 v[98:101], v90 offset:656
	ds_load_b128 v[102:105], v90 offset:672
	s_wait_loadcnt 0x2
	v_fmac_f64_e32 v[2:3], v[110:111], v[120:121]
	s_wait_dscnt 0x1
	s_delay_alu instid0(VALU_DEP_1) | instskip(SKIP_1) | instid1(VALU_DEP_1)
	v_fmac_f64_e32 v[2:3], v[112:113], v[98:99]
	s_wait_loadcnt 0x1
	v_fmac_f64_e32 v[2:3], v[94:95], v[100:101]
	ds_load_b64 v[94:95], v90 offset:688
	s_wait_dscnt 0x1
	v_fmac_f64_e32 v[2:3], v[96:97], v[102:103]
	s_wait_loadcnt 0x0
	s_delay_alu instid0(VALU_DEP_1) | instskip(SKIP_1) | instid1(VALU_DEP_1)
	v_fmac_f64_e32 v[2:3], v[114:115], v[104:105]
	s_wait_dscnt 0x0
	v_fmac_f64_e32 v[2:3], v[116:117], v[94:95]
	s_delay_alu instid0(VALU_DEP_1)
	v_add_f64_e64 v[2:3], v[92:93], -v[2:3]
	scratch_store_b64 off, v[2:3], off offset:8
	s_wait_xcnt 0x0
	v_cmpx_ne_u32_e32 0, v0
	s_cbranch_execz .LBB106_267
; %bb.266:
	scratch_load_b64 v[2:3], off, off
	v_mov_b64_e32 v[92:93], 0
	scratch_store_b64 off, v[92:93], off
	s_wait_loadcnt 0x0
	ds_store_b64 v1, v[2:3]
.LBB106_267:
	s_wait_xcnt 0x0
	s_or_b32 exec_lo, exec_lo, s0
	s_wait_storecnt_dscnt 0x0
	s_barrier_signal -1
	s_barrier_wait -1
	s_clause 0x5
	scratch_load_b128 v[92:95], off, off
	scratch_load_b128 v[0:3], off, off offset:16
	scratch_load_b128 v[96:99], off, off offset:32
	;; [unrolled: 1-line block ×5, first 2 shown]
	ds_load_2addr_b64 v[112:115], v90 offset0:45 offset1:46
	scratch_load_b128 v[116:119], off, off offset:96
	s_and_b32 vcc_lo, exec_lo, s12
	s_wait_loadcnt_dscnt 0x600
	v_fma_f64 v[122:123], v[94:95], v[112:113], 0
	s_wait_loadcnt 0x5
	s_delay_alu instid0(VALU_DEP_1)
	v_fmac_f64_e32 v[122:123], v[0:1], v[114:115]
	ds_load_2addr_b64 v[112:115], v90 offset0:47 offset1:48
	s_wait_dscnt 0x0
	v_fmac_f64_e32 v[122:123], v[2:3], v[112:113]
	scratch_load_b128 v[0:3], off, off offset:112
	s_wait_loadcnt 0x5
	v_fmac_f64_e32 v[122:123], v[96:97], v[114:115]
	ds_load_2addr_b64 v[94:97], v90 offset0:49 offset1:50
	scratch_load_b128 v[112:115], off, off offset:128
	s_wait_dscnt 0x0
	v_fmac_f64_e32 v[122:123], v[98:99], v[94:95]
	s_wait_loadcnt 0x5
	s_delay_alu instid0(VALU_DEP_1)
	v_fmac_f64_e32 v[122:123], v[100:101], v[96:97]
	ds_load_2addr_b64 v[94:97], v90 offset0:51 offset1:52
	scratch_load_b128 v[98:101], off, off offset:144
	s_wait_dscnt 0x0
	v_fmac_f64_e32 v[122:123], v[102:103], v[94:95]
	s_wait_loadcnt 0x5
	s_delay_alu instid0(VALU_DEP_1)
	;; [unrolled: 7-line block ×4, first 2 shown]
	v_fmac_f64_e32 v[122:123], v[116:117], v[96:97]
	ds_load_2addr_b64 v[94:97], v90 offset0:57 offset1:58
	s_wait_dscnt 0x0
	v_fmac_f64_e32 v[122:123], v[118:119], v[94:95]
	scratch_load_b128 v[116:119], off, off offset:192
	s_wait_loadcnt 0x5
	v_fmac_f64_e32 v[122:123], v[0:1], v[96:97]
	ds_load_2addr_b64 v[94:97], v90 offset0:59 offset1:60
	s_wait_dscnt 0x0
	v_fmac_f64_e32 v[122:123], v[2:3], v[94:95]
	scratch_load_b128 v[0:3], off, off offset:208
	s_wait_loadcnt 0x5
	v_fmac_f64_e32 v[122:123], v[112:113], v[96:97]
	ds_load_2addr_b64 v[94:97], v90 offset0:61 offset1:62
	scratch_load_b128 v[110:113], off, off offset:224
	s_wait_dscnt 0x0
	v_fmac_f64_e32 v[122:123], v[114:115], v[94:95]
	s_wait_loadcnt 0x5
	s_delay_alu instid0(VALU_DEP_1)
	v_fmac_f64_e32 v[122:123], v[98:99], v[96:97]
	ds_load_2addr_b64 v[94:97], v90 offset0:63 offset1:64
	s_wait_dscnt 0x0
	v_fmac_f64_e32 v[122:123], v[100:101], v[94:95]
	scratch_load_b128 v[98:101], off, off offset:240
	s_wait_loadcnt 0x5
	v_fmac_f64_e32 v[122:123], v[102:103], v[96:97]
	ds_load_2addr_b64 v[94:97], v90 offset0:65 offset1:66
	s_wait_dscnt 0x0
	v_fmac_f64_e32 v[122:123], v[104:105], v[94:95]
	scratch_load_b128 v[102:105], off, off offset:256
	s_wait_loadcnt 0x5
	;; [unrolled: 6-line block ×3, first 2 shown]
	v_fmac_f64_e32 v[122:123], v[116:117], v[96:97]
	ds_load_2addr_b64 v[94:97], v90 offset0:69 offset1:70
	scratch_load_b128 v[114:117], off, off offset:288
	s_wait_dscnt 0x0
	v_fmac_f64_e32 v[122:123], v[118:119], v[94:95]
	scratch_load_b128 v[118:121], off, off offset:304
	s_wait_loadcnt 0x6
	v_fmac_f64_e32 v[122:123], v[0:1], v[96:97]
	ds_load_2addr_b64 v[94:97], v90 offset0:71 offset1:72
	s_wait_dscnt 0x0
	v_fmac_f64_e32 v[122:123], v[2:3], v[94:95]
	scratch_load_b128 v[0:3], off, off offset:320
	s_wait_loadcnt 0x6
	v_fmac_f64_e32 v[122:123], v[110:111], v[96:97]
	ds_load_2addr_b64 v[94:97], v90 offset0:73 offset1:74
	s_wait_dscnt 0x0
	v_fmac_f64_e32 v[122:123], v[112:113], v[94:95]
	s_wait_loadcnt 0x5
	s_delay_alu instid0(VALU_DEP_1)
	v_fmac_f64_e32 v[122:123], v[98:99], v[96:97]
	ds_load_2addr_b64 v[94:97], v90 offset0:75 offset1:76
	scratch_load_b64 v[98:99], off, off offset:336
	s_wait_dscnt 0x0
	v_fmac_f64_e32 v[122:123], v[100:101], v[94:95]
	s_wait_loadcnt 0x5
	s_delay_alu instid0(VALU_DEP_1) | instskip(SKIP_4) | instid1(VALU_DEP_1)
	v_fmac_f64_e32 v[122:123], v[102:103], v[96:97]
	ds_load_2addr_b64 v[94:97], v90 offset0:77 offset1:78
	s_wait_dscnt 0x0
	v_fmac_f64_e32 v[122:123], v[104:105], v[94:95]
	s_wait_loadcnt 0x4
	v_fmac_f64_e32 v[122:123], v[106:107], v[96:97]
	ds_load_2addr_b64 v[94:97], v90 offset0:79 offset1:80
	s_wait_dscnt 0x0
	v_fmac_f64_e32 v[122:123], v[108:109], v[94:95]
	s_wait_loadcnt 0x3
	s_delay_alu instid0(VALU_DEP_1) | instskip(SKIP_4) | instid1(VALU_DEP_1)
	v_fmac_f64_e32 v[122:123], v[114:115], v[96:97]
	ds_load_2addr_b64 v[94:97], v90 offset0:81 offset1:82
	s_wait_dscnt 0x0
	v_fmac_f64_e32 v[122:123], v[116:117], v[94:95]
	s_wait_loadcnt 0x2
	v_fmac_f64_e32 v[122:123], v[118:119], v[96:97]
	ds_load_2addr_b64 v[94:97], v90 offset0:83 offset1:84
	s_wait_dscnt 0x0
	v_fmac_f64_e32 v[122:123], v[120:121], v[94:95]
	s_wait_loadcnt 0x1
	s_delay_alu instid0(VALU_DEP_1) | instskip(SKIP_4) | instid1(VALU_DEP_1)
	v_fmac_f64_e32 v[122:123], v[0:1], v[96:97]
	ds_load_2addr_b64 v[94:97], v90 offset0:85 offset1:86
	s_wait_dscnt 0x0
	v_fmac_f64_e32 v[122:123], v[2:3], v[94:95]
	s_wait_loadcnt 0x0
	v_fmac_f64_e32 v[122:123], v[98:99], v[96:97]
	s_delay_alu instid0(VALU_DEP_1)
	v_add_f64_e64 v[90:91], v[92:93], -v[122:123]
	scratch_store_b64 off, v[90:91], off
	s_cbranch_vccz .LBB106_352
; %bb.268:
	v_mov_b32_e32 v0, 0
	global_load_b32 v1, v0, s[8:9] offset:164
	s_wait_loadcnt 0x0
	v_cmp_ne_u32_e32 vcc_lo, 42, v1
	s_cbranch_vccz .LBB106_270
; %bb.269:
	v_lshlrev_b32_e32 v1, 3, v1
	scratch_load_b64 v[90:91], v1, off offset:-8
	s_wait_loadcnt 0x0
	scratch_store_b64 off, v[90:91], off offset:328
	scratch_store_b64 v1, v[2:3], off offset:-8
.LBB106_270:
	global_load_b32 v0, v0, s[8:9] offset:160
	s_wait_loadcnt 0x0
	v_cmp_eq_u32_e32 vcc_lo, 41, v0
	s_cbranch_vccnz .LBB106_272
; %bb.271:
	s_wait_xcnt 0x0
	v_lshlrev_b32_e32 v0, 3, v0
	s_delay_alu instid0(VALU_DEP_1)
	v_mov_b32_e32 v90, v0
	scratch_load_b64 v[0:1], v90, off offset:-8
	scratch_load_b64 v[2:3], off, off offset:320
	s_wait_loadcnt 0x1
	scratch_store_b64 off, v[0:1], off offset:320
	s_wait_loadcnt 0x0
	scratch_store_b64 v90, v[2:3], off offset:-8
.LBB106_272:
	s_wait_xcnt 0x0
	v_mov_b32_e32 v0, 0
	global_load_b32 v1, v0, s[8:9] offset:156
	s_wait_loadcnt 0x0
	v_cmp_eq_u32_e32 vcc_lo, 40, v1
	s_cbranch_vccnz .LBB106_274
; %bb.273:
	v_lshlrev_b32_e32 v1, 3, v1
	scratch_load_b64 v[2:3], v1, off offset:-8
	scratch_load_b64 v[90:91], off, off offset:312
	s_wait_loadcnt 0x1
	scratch_store_b64 off, v[2:3], off offset:312
	s_wait_loadcnt 0x0
	scratch_store_b64 v1, v[90:91], off offset:-8
.LBB106_274:
	global_load_b32 v0, v0, s[8:9] offset:152
	s_wait_loadcnt 0x0
	v_cmp_eq_u32_e32 vcc_lo, 39, v0
	s_cbranch_vccnz .LBB106_276
; %bb.275:
	s_wait_xcnt 0x0
	v_lshlrev_b32_e32 v0, 3, v0
	s_delay_alu instid0(VALU_DEP_1)
	v_mov_b32_e32 v90, v0
	scratch_load_b64 v[0:1], v90, off offset:-8
	scratch_load_b64 v[2:3], off, off offset:304
	s_wait_loadcnt 0x1
	scratch_store_b64 off, v[0:1], off offset:304
	s_wait_loadcnt 0x0
	scratch_store_b64 v90, v[2:3], off offset:-8
.LBB106_276:
	s_wait_xcnt 0x0
	v_mov_b32_e32 v0, 0
	global_load_b32 v1, v0, s[8:9] offset:148
	s_wait_loadcnt 0x0
	v_cmp_eq_u32_e32 vcc_lo, 38, v1
	s_cbranch_vccnz .LBB106_278
; %bb.277:
	v_lshlrev_b32_e32 v1, 3, v1
	scratch_load_b64 v[2:3], v1, off offset:-8
	scratch_load_b64 v[90:91], off, off offset:296
	s_wait_loadcnt 0x1
	scratch_store_b64 off, v[2:3], off offset:296
	s_wait_loadcnt 0x0
	scratch_store_b64 v1, v[90:91], off offset:-8
.LBB106_278:
	;; [unrolled: 31-line block ×20, first 2 shown]
	global_load_b32 v0, v0, s[8:9]
	scratch_load_b64 v[90:91], off, off
	s_wait_loadcnt 0x1
	v_cmp_eq_u32_e32 vcc_lo, 1, v0
	s_cbranch_vccnz .LBB106_352
; %bb.351:
	s_wait_xcnt 0x1
	v_lshlrev_b32_e32 v0, 3, v0
	s_delay_alu instid0(VALU_DEP_1)
	v_mov_b32_e32 v2, v0
	scratch_load_b64 v[0:1], v2, off offset:-8
	s_wait_loadcnt 0x0
	scratch_store_b64 off, v[0:1], off
	scratch_store_b64 v2, v[90:91], off offset:-8
	scratch_load_b64 v[90:91], off, off
.LBB106_352:
	s_wait_loadcnt 0x0
	flat_store_b64 v[4:5], v[90:91]
	scratch_load_b64 v[4:5], off, off offset:8
	v_lshl_add_u64 v[128:129], v[8:9], 3, s[2:3]
	v_lshl_add_u64 v[126:127], v[10:11], 3, s[2:3]
	;; [unrolled: 1-line block ×41, first 2 shown]
	s_wait_loadcnt 0x0
	flat_store_b64 v[6:7], v[4:5]
	scratch_load_b64 v[4:5], off, off offset:16
	s_wait_loadcnt 0x0
	flat_store_b64 v[128:129], v[4:5]
	scratch_load_b64 v[4:5], off, off offset:24
	;; [unrolled: 3-line block ×41, first 2 shown]
	s_wait_loadcnt 0x0
	flat_store_b64 v[0:1], v[2:3]
	s_sendmsg sendmsg(MSG_DEALLOC_VGPRS)
	s_endpgm
	.section	.rodata,"a",@progbits
	.p2align	6, 0x0
	.amdhsa_kernel _ZN9rocsolver6v33100L18getri_kernel_smallILi43EdPKPdEEvT1_iilPiilS6_bb
		.amdhsa_group_segment_fixed_size 696
		.amdhsa_private_segment_fixed_size 352
		.amdhsa_kernarg_size 60
		.amdhsa_user_sgpr_count 2
		.amdhsa_user_sgpr_dispatch_ptr 0
		.amdhsa_user_sgpr_queue_ptr 0
		.amdhsa_user_sgpr_kernarg_segment_ptr 1
		.amdhsa_user_sgpr_dispatch_id 0
		.amdhsa_user_sgpr_kernarg_preload_length 0
		.amdhsa_user_sgpr_kernarg_preload_offset 0
		.amdhsa_user_sgpr_private_segment_size 0
		.amdhsa_wavefront_size32 1
		.amdhsa_uses_dynamic_stack 0
		.amdhsa_enable_private_segment 1
		.amdhsa_system_sgpr_workgroup_id_x 1
		.amdhsa_system_sgpr_workgroup_id_y 0
		.amdhsa_system_sgpr_workgroup_id_z 0
		.amdhsa_system_sgpr_workgroup_info 0
		.amdhsa_system_vgpr_workitem_id 0
		.amdhsa_next_free_vgpr 130
		.amdhsa_next_free_sgpr 19
		.amdhsa_named_barrier_count 0
		.amdhsa_reserve_vcc 1
		.amdhsa_float_round_mode_32 0
		.amdhsa_float_round_mode_16_64 0
		.amdhsa_float_denorm_mode_32 3
		.amdhsa_float_denorm_mode_16_64 3
		.amdhsa_fp16_overflow 0
		.amdhsa_memory_ordered 1
		.amdhsa_forward_progress 1
		.amdhsa_inst_pref_size 255
		.amdhsa_round_robin_scheduling 0
		.amdhsa_exception_fp_ieee_invalid_op 0
		.amdhsa_exception_fp_denorm_src 0
		.amdhsa_exception_fp_ieee_div_zero 0
		.amdhsa_exception_fp_ieee_overflow 0
		.amdhsa_exception_fp_ieee_underflow 0
		.amdhsa_exception_fp_ieee_inexact 0
		.amdhsa_exception_int_div_zero 0
	.end_amdhsa_kernel
	.section	.text._ZN9rocsolver6v33100L18getri_kernel_smallILi43EdPKPdEEvT1_iilPiilS6_bb,"axG",@progbits,_ZN9rocsolver6v33100L18getri_kernel_smallILi43EdPKPdEEvT1_iilPiilS6_bb,comdat
.Lfunc_end106:
	.size	_ZN9rocsolver6v33100L18getri_kernel_smallILi43EdPKPdEEvT1_iilPiilS6_bb, .Lfunc_end106-_ZN9rocsolver6v33100L18getri_kernel_smallILi43EdPKPdEEvT1_iilPiilS6_bb
                                        ; -- End function
	.set _ZN9rocsolver6v33100L18getri_kernel_smallILi43EdPKPdEEvT1_iilPiilS6_bb.num_vgpr, 130
	.set _ZN9rocsolver6v33100L18getri_kernel_smallILi43EdPKPdEEvT1_iilPiilS6_bb.num_agpr, 0
	.set _ZN9rocsolver6v33100L18getri_kernel_smallILi43EdPKPdEEvT1_iilPiilS6_bb.numbered_sgpr, 19
	.set _ZN9rocsolver6v33100L18getri_kernel_smallILi43EdPKPdEEvT1_iilPiilS6_bb.num_named_barrier, 0
	.set _ZN9rocsolver6v33100L18getri_kernel_smallILi43EdPKPdEEvT1_iilPiilS6_bb.private_seg_size, 352
	.set _ZN9rocsolver6v33100L18getri_kernel_smallILi43EdPKPdEEvT1_iilPiilS6_bb.uses_vcc, 1
	.set _ZN9rocsolver6v33100L18getri_kernel_smallILi43EdPKPdEEvT1_iilPiilS6_bb.uses_flat_scratch, 1
	.set _ZN9rocsolver6v33100L18getri_kernel_smallILi43EdPKPdEEvT1_iilPiilS6_bb.has_dyn_sized_stack, 0
	.set _ZN9rocsolver6v33100L18getri_kernel_smallILi43EdPKPdEEvT1_iilPiilS6_bb.has_recursion, 0
	.set _ZN9rocsolver6v33100L18getri_kernel_smallILi43EdPKPdEEvT1_iilPiilS6_bb.has_indirect_call, 0
	.section	.AMDGPU.csdata,"",@progbits
; Kernel info:
; codeLenInByte = 38736
; TotalNumSgprs: 21
; NumVgprs: 130
; ScratchSize: 352
; MemoryBound: 0
; FloatMode: 240
; IeeeMode: 1
; LDSByteSize: 696 bytes/workgroup (compile time only)
; SGPRBlocks: 0
; VGPRBlocks: 8
; NumSGPRsForWavesPerEU: 21
; NumVGPRsForWavesPerEU: 130
; NamedBarCnt: 0
; Occupancy: 7
; WaveLimiterHint : 1
; COMPUTE_PGM_RSRC2:SCRATCH_EN: 1
; COMPUTE_PGM_RSRC2:USER_SGPR: 2
; COMPUTE_PGM_RSRC2:TRAP_HANDLER: 0
; COMPUTE_PGM_RSRC2:TGID_X_EN: 1
; COMPUTE_PGM_RSRC2:TGID_Y_EN: 0
; COMPUTE_PGM_RSRC2:TGID_Z_EN: 0
; COMPUTE_PGM_RSRC2:TIDIG_COMP_CNT: 0
	.section	.text._ZN9rocsolver6v33100L18getri_kernel_smallILi44EdPKPdEEvT1_iilPiilS6_bb,"axG",@progbits,_ZN9rocsolver6v33100L18getri_kernel_smallILi44EdPKPdEEvT1_iilPiilS6_bb,comdat
	.globl	_ZN9rocsolver6v33100L18getri_kernel_smallILi44EdPKPdEEvT1_iilPiilS6_bb ; -- Begin function _ZN9rocsolver6v33100L18getri_kernel_smallILi44EdPKPdEEvT1_iilPiilS6_bb
	.p2align	8
	.type	_ZN9rocsolver6v33100L18getri_kernel_smallILi44EdPKPdEEvT1_iilPiilS6_bb,@function
_ZN9rocsolver6v33100L18getri_kernel_smallILi44EdPKPdEEvT1_iilPiilS6_bb: ; @_ZN9rocsolver6v33100L18getri_kernel_smallILi44EdPKPdEEvT1_iilPiilS6_bb
; %bb.0:
	s_mov_b32 s2, exec_lo
	v_cmpx_gt_u32_e32 44, v0
	s_cbranch_execz .LBB107_186
; %bb.1:
	s_clause 0x1
	s_load_b32 s13, s[0:1], 0x38
	s_load_b64 s[2:3], s[0:1], 0x0
	s_getreg_b32 s6, hwreg(HW_REG_IB_STS2, 6, 4)
	s_wait_kmcnt 0x0
	s_bitcmp1_b32 s13, 8
	s_cselect_b32 s12, -1, 0
	s_bfe_u32 s4, ttmp6, 0x4000c
	s_and_b32 s5, ttmp6, 15
	s_add_co_i32 s4, s4, 1
	s_delay_alu instid0(SALU_CYCLE_1) | instskip(NEXT) | instid1(SALU_CYCLE_1)
	s_mul_i32 s4, ttmp9, s4
	s_add_co_i32 s5, s5, s4
	s_cmp_eq_u32 s6, 0
	s_cselect_b32 s10, ttmp9, s5
	s_load_b128 s[4:7], s[0:1], 0x28
	s_ashr_i32 s11, s10, 31
	s_delay_alu instid0(SALU_CYCLE_1) | instskip(NEXT) | instid1(SALU_CYCLE_1)
	s_lshl_b64 s[8:9], s[10:11], 3
	s_add_nc_u64 s[2:3], s[2:3], s[8:9]
	s_bfe_u32 s8, s13, 0x10008
	s_load_b64 s[2:3], s[2:3], 0x0
	s_cmp_eq_u32 s8, 0
                                        ; implicit-def: $sgpr8_sgpr9
	s_cbranch_scc1 .LBB107_3
; %bb.2:
	s_load_b96 s[16:18], s[0:1], 0x18
	s_wait_kmcnt 0x0
	s_mul_u64 s[4:5], s[4:5], s[10:11]
	s_delay_alu instid0(SALU_CYCLE_1) | instskip(SKIP_4) | instid1(SALU_CYCLE_1)
	s_lshl_b64 s[4:5], s[4:5], 2
	s_ashr_i32 s9, s18, 31
	s_mov_b32 s8, s18
	s_add_nc_u64 s[4:5], s[16:17], s[4:5]
	s_lshl_b64 s[8:9], s[8:9], 2
	s_add_nc_u64 s[8:9], s[4:5], s[8:9]
.LBB107_3:
	s_wait_kmcnt 0x0
	s_clause 0x1
	s_load_b64 s[4:5], s[0:1], 0x8
	s_load_b32 s13, s[0:1], 0x38
	v_dual_mov_b32 v3, 0 :: v_dual_lshlrev_b32 v2, 3, v0
	s_wait_kmcnt 0x0
	s_ashr_i32 s1, s4, 31
	s_mov_b32 s0, s4
	s_delay_alu instid0(SALU_CYCLE_1) | instskip(NEXT) | instid1(SALU_CYCLE_1)
	s_lshl_b64 s[0:1], s[0:1], 3
	s_add_nc_u64 s[2:3], s[2:3], s[0:1]
	s_ashr_i32 s1, s5, 31
	flat_load_b64 v[8:9], v0, s[2:3] scale_offset
	v_add_nc_u64_e32 v[4:5], s[2:3], v[2:3]
	s_mov_b32 s0, s5
	s_bitcmp0_b32 s13, 0
	s_delay_alu instid0(VALU_DEP_1)
	v_lshl_add_u64 v[6:7], s[0:1], 3, v[4:5]
	s_mov_b32 s1, -1
	s_wait_loadcnt_dscnt 0x0
	scratch_store_b64 off, v[8:9], off
	flat_load_b64 v[10:11], v[6:7]
	s_wait_xcnt 0x1
	v_add3_u32 v8, s5, s5, v0
	s_wait_loadcnt_dscnt 0x0
	scratch_store_b64 off, v[10:11], off offset:8
	flat_load_b64 v[12:13], v8, s[2:3] scale_offset
	s_wait_xcnt 0x1
	v_add_nc_u32_e32 v10, s5, v8
	s_wait_loadcnt_dscnt 0x0
	scratch_store_b64 off, v[12:13], off offset:16
	flat_load_b64 v[14:15], v10, s[2:3] scale_offset
	s_wait_xcnt 0x1
	v_add_nc_u32_e32 v12, s5, v10
	;; [unrolled: 5-line block ×41, first 2 shown]
	s_wait_loadcnt_dscnt 0x0
	scratch_store_b64 off, v[92:93], off offset:336
	flat_load_b64 v[92:93], v90, s[2:3] scale_offset
	s_wait_loadcnt_dscnt 0x0
	scratch_store_b64 off, v[92:93], off offset:344
	s_cbranch_scc1 .LBB107_184
; %bb.4:
	v_cmp_eq_u32_e64 s0, 0, v0
	s_wait_xcnt 0x0
	s_and_saveexec_b32 s1, s0
; %bb.5:
	v_mov_b32_e32 v1, 0
	ds_store_b32 v1, v1 offset:704
; %bb.6:
	s_or_b32 exec_lo, exec_lo, s1
	s_wait_storecnt_dscnt 0x0
	s_barrier_signal -1
	s_barrier_wait -1
	scratch_load_b64 v[92:93], v0, off scale_offset
	s_mov_b32 s4, exec_lo
	s_wait_loadcnt 0x0
	v_cmpx_eq_f64_e32 0, v[92:93]
	s_cbranch_execz .LBB107_10
; %bb.7:
	v_mov_b32_e32 v1, 0
	s_mov_b32 s5, 0
	ds_load_b32 v3, v1 offset:704
	s_wait_dscnt 0x0
	v_readfirstlane_b32 s1, v3
	v_add_nc_u32_e32 v3, 1, v0
	s_cmp_eq_u32 s1, 0
	s_delay_alu instid0(VALU_DEP_1) | instskip(SKIP_1) | instid1(SALU_CYCLE_1)
	v_cmp_gt_i32_e32 vcc_lo, s1, v3
	s_cselect_b32 s13, -1, 0
	s_or_b32 s13, s13, vcc_lo
	s_delay_alu instid0(SALU_CYCLE_1)
	s_and_b32 exec_lo, exec_lo, s13
	s_cbranch_execz .LBB107_10
; %bb.8:
	v_mov_b32_e32 v9, s1
.LBB107_9:                              ; =>This Inner Loop Header: Depth=1
	ds_cmpstore_rtn_b32 v9, v1, v3, v9 offset:704
	s_wait_dscnt 0x0
	v_cmp_ne_u32_e32 vcc_lo, 0, v9
	v_cmp_le_i32_e64 s1, v9, v3
	s_and_b32 s1, vcc_lo, s1
	s_delay_alu instid0(SALU_CYCLE_1) | instskip(NEXT) | instid1(SALU_CYCLE_1)
	s_and_b32 s1, exec_lo, s1
	s_or_b32 s5, s1, s5
	s_delay_alu instid0(SALU_CYCLE_1)
	s_and_not1_b32 exec_lo, exec_lo, s5
	s_cbranch_execnz .LBB107_9
.LBB107_10:
	s_or_b32 exec_lo, exec_lo, s4
	v_mov_b32_e32 v1, 0
	s_barrier_signal -1
	s_barrier_wait -1
	ds_load_b32 v3, v1 offset:704
	s_and_saveexec_b32 s1, s0
	s_cbranch_execz .LBB107_12
; %bb.11:
	s_lshl_b64 s[4:5], s[10:11], 2
	s_delay_alu instid0(SALU_CYCLE_1)
	s_add_nc_u64 s[4:5], s[6:7], s[4:5]
	s_wait_dscnt 0x0
	global_store_b32 v1, v3, s[4:5]
.LBB107_12:
	s_wait_xcnt 0x0
	s_or_b32 exec_lo, exec_lo, s1
	s_wait_dscnt 0x0
	v_cmp_ne_u32_e32 vcc_lo, 0, v3
	s_mov_b32 s1, 0
	s_cbranch_vccnz .LBB107_184
; %bb.13:
	v_lshl_add_u32 v3, v0, 3, 0
	v_add_nc_u32_e32 v1, 0x160, v2
	scratch_load_b64 v[92:93], v3, off
	s_wait_loadcnt 0x0
	v_div_scale_f64 v[94:95], null, v[92:93], v[92:93], 1.0
	v_div_scale_f64 v[100:101], vcc_lo, 1.0, v[92:93], 1.0
	s_delay_alu instid0(VALU_DEP_2) | instskip(SKIP_1) | instid1(TRANS32_DEP_1)
	v_rcp_f64_e32 v[96:97], v[94:95]
	v_nop
	v_fma_f64 v[98:99], -v[94:95], v[96:97], 1.0
	s_delay_alu instid0(VALU_DEP_1) | instskip(NEXT) | instid1(VALU_DEP_1)
	v_fmac_f64_e32 v[96:97], v[96:97], v[98:99]
	v_fma_f64 v[98:99], -v[94:95], v[96:97], 1.0
	s_delay_alu instid0(VALU_DEP_1) | instskip(NEXT) | instid1(VALU_DEP_1)
	v_fmac_f64_e32 v[96:97], v[96:97], v[98:99]
	v_mul_f64_e32 v[98:99], v[100:101], v[96:97]
	s_delay_alu instid0(VALU_DEP_1) | instskip(NEXT) | instid1(VALU_DEP_1)
	v_fma_f64 v[94:95], -v[94:95], v[98:99], v[100:101]
	v_div_fmas_f64 v[94:95], v[94:95], v[96:97], v[98:99]
	s_delay_alu instid0(VALU_DEP_1)
	v_div_fixup_f64 v[92:93], v[94:95], v[92:93], 1.0
	scratch_store_b64 v3, v[92:93], off
	scratch_load_b64 v[94:95], off, off offset:8
	s_wait_xcnt 0x1
	v_xor_b32_e32 v93, 0x80000000, v93
	s_wait_loadcnt 0x0
	ds_store_2addr_b64 v2, v[92:93], v[94:95] offset1:44
	s_wait_storecnt_dscnt 0x0
	s_barrier_signal -1
	s_barrier_wait -1
	s_wait_xcnt 0x0
	s_and_saveexec_b32 s1, s0
	s_cbranch_execz .LBB107_15
; %bb.14:
	scratch_load_b64 v[92:93], v3, off
	ds_load_b64 v[94:95], v1
	s_wait_loadcnt_dscnt 0x0
	v_fma_f64 v[92:93], v[92:93], v[94:95], 0
	v_mov_b32_e32 v9, 0
	ds_load_b64 v[96:97], v9 offset:8
	s_wait_dscnt 0x0
	v_mul_f64_e32 v[92:93], v[92:93], v[96:97]
	scratch_store_b64 off, v[92:93], off offset:8
.LBB107_15:
	s_wait_xcnt 0x0
	s_or_b32 exec_lo, exec_lo, s1
	s_wait_storecnt 0x0
	s_barrier_signal -1
	s_barrier_wait -1
	scratch_load_b64 v[92:93], off, off offset:16
	s_mov_b32 s1, exec_lo
	s_wait_loadcnt 0x0
	ds_store_b64 v1, v[92:93]
	s_wait_dscnt 0x0
	s_barrier_signal -1
	s_barrier_wait -1
	v_cmpx_gt_u32_e32 2, v0
	s_cbranch_execz .LBB107_19
; %bb.16:
	scratch_load_b64 v[92:93], v3, off
	ds_load_b64 v[94:95], v1
	s_wait_loadcnt_dscnt 0x0
	v_fma_f64 v[92:93], v[92:93], v[94:95], 0
	s_and_saveexec_b32 s4, s0
	s_cbranch_execz .LBB107_18
; %bb.17:
	scratch_load_b64 v[94:95], off, off offset:8
	v_mov_b32_e32 v3, 0
	ds_load_b64 v[96:97], v3 offset:360
	s_wait_loadcnt_dscnt 0x0
	v_fmac_f64_e32 v[92:93], v[94:95], v[96:97]
.LBB107_18:
	s_or_b32 exec_lo, exec_lo, s4
	v_mov_b32_e32 v3, 0
	ds_load_b64 v[94:95], v3 offset:16
	s_wait_dscnt 0x0
	v_mul_f64_e32 v[92:93], v[92:93], v[94:95]
	scratch_store_b64 off, v[92:93], off offset:16
.LBB107_19:
	s_wait_xcnt 0x0
	s_or_b32 exec_lo, exec_lo, s1
	s_wait_storecnt 0x0
	s_barrier_signal -1
	s_barrier_wait -1
	scratch_load_b64 v[92:93], off, off offset:24
	v_add_nc_u32_e32 v3, -1, v0
	s_mov_b32 s0, exec_lo
	s_wait_loadcnt 0x0
	ds_store_b64 v1, v[92:93]
	s_wait_dscnt 0x0
	s_barrier_signal -1
	s_barrier_wait -1
	v_cmpx_gt_u32_e32 3, v0
	s_cbranch_execz .LBB107_23
; %bb.20:
	v_mov_b64_e32 v[92:93], 0
	v_dual_add_nc_u32 v9, -1, v0 :: v_dual_mov_b32 v13, v2
	v_add_nc_u32_e32 v11, 0x160, v2
	s_mov_b32 s1, 0
.LBB107_21:                             ; =>This Inner Loop Header: Depth=1
	scratch_load_b64 v[94:95], v13, off
	ds_load_b64 v[96:97], v11
	v_dual_add_nc_u32 v9, 1, v9 :: v_dual_add_nc_u32 v11, 8, v11
	s_wait_xcnt 0x0
	v_add_nc_u32_e32 v13, 8, v13
	s_delay_alu instid0(VALU_DEP_2)
	v_cmp_lt_u32_e32 vcc_lo, 1, v9
	s_or_b32 s1, vcc_lo, s1
	s_wait_loadcnt_dscnt 0x0
	v_fmac_f64_e32 v[92:93], v[94:95], v[96:97]
	s_and_not1_b32 exec_lo, exec_lo, s1
	s_cbranch_execnz .LBB107_21
; %bb.22:
	s_or_b32 exec_lo, exec_lo, s1
	v_mov_b32_e32 v9, 0
	ds_load_b64 v[94:95], v9 offset:24
	s_wait_dscnt 0x0
	v_mul_f64_e32 v[92:93], v[92:93], v[94:95]
	scratch_store_b64 off, v[92:93], off offset:24
.LBB107_23:
	s_wait_xcnt 0x0
	s_or_b32 exec_lo, exec_lo, s0
	s_wait_storecnt 0x0
	s_barrier_signal -1
	s_barrier_wait -1
	scratch_load_b64 v[92:93], off, off offset:32
	s_mov_b32 s0, exec_lo
	s_wait_loadcnt 0x0
	ds_store_b64 v1, v[92:93]
	s_wait_dscnt 0x0
	s_barrier_signal -1
	s_barrier_wait -1
	v_cmpx_gt_u32_e32 4, v0
	s_cbranch_execz .LBB107_27
; %bb.24:
	v_mov_b64_e32 v[92:93], 0
	v_dual_add_nc_u32 v9, -1, v0 :: v_dual_mov_b32 v13, v2
	v_add_nc_u32_e32 v11, 0x160, v2
	s_mov_b32 s1, 0
.LBB107_25:                             ; =>This Inner Loop Header: Depth=1
	scratch_load_b64 v[94:95], v13, off
	ds_load_b64 v[96:97], v11
	v_dual_add_nc_u32 v9, 1, v9 :: v_dual_add_nc_u32 v11, 8, v11
	s_wait_xcnt 0x0
	v_add_nc_u32_e32 v13, 8, v13
	s_delay_alu instid0(VALU_DEP_2)
	v_cmp_lt_u32_e32 vcc_lo, 2, v9
	s_or_b32 s1, vcc_lo, s1
	s_wait_loadcnt_dscnt 0x0
	v_fmac_f64_e32 v[92:93], v[94:95], v[96:97]
	s_and_not1_b32 exec_lo, exec_lo, s1
	s_cbranch_execnz .LBB107_25
; %bb.26:
	s_or_b32 exec_lo, exec_lo, s1
	v_mov_b32_e32 v9, 0
	ds_load_b64 v[94:95], v9 offset:32
	s_wait_dscnt 0x0
	v_mul_f64_e32 v[92:93], v[92:93], v[94:95]
	scratch_store_b64 off, v[92:93], off offset:32
.LBB107_27:
	s_wait_xcnt 0x0
	s_or_b32 exec_lo, exec_lo, s0
	s_wait_storecnt 0x0
	s_barrier_signal -1
	s_barrier_wait -1
	scratch_load_b64 v[92:93], off, off offset:40
	;; [unrolled: 40-line block ×20, first 2 shown]
	s_mov_b32 s0, exec_lo
	s_wait_loadcnt 0x0
	ds_store_b64 v1, v[92:93]
	s_wait_dscnt 0x0
	s_barrier_signal -1
	s_barrier_wait -1
	v_cmpx_gt_u32_e32 23, v0
	s_cbranch_execz .LBB107_103
; %bb.100:
	v_mov_b64_e32 v[92:93], 0
	v_dual_add_nc_u32 v9, -1, v0 :: v_dual_mov_b32 v13, v2
	v_add_nc_u32_e32 v11, 0x160, v2
	s_mov_b32 s1, 0
.LBB107_101:                            ; =>This Inner Loop Header: Depth=1
	scratch_load_b64 v[94:95], v13, off
	ds_load_b64 v[96:97], v11
	v_dual_add_nc_u32 v9, 1, v9 :: v_dual_add_nc_u32 v11, 8, v11
	s_wait_xcnt 0x0
	v_add_nc_u32_e32 v13, 8, v13
	s_delay_alu instid0(VALU_DEP_2)
	v_cmp_lt_u32_e32 vcc_lo, 21, v9
	s_or_b32 s1, vcc_lo, s1
	s_wait_loadcnt_dscnt 0x0
	v_fmac_f64_e32 v[92:93], v[94:95], v[96:97]
	s_and_not1_b32 exec_lo, exec_lo, s1
	s_cbranch_execnz .LBB107_101
; %bb.102:
	s_or_b32 exec_lo, exec_lo, s1
	v_mov_b32_e32 v9, 0
	ds_load_b64 v[94:95], v9 offset:184
	s_wait_dscnt 0x0
	v_mul_f64_e32 v[92:93], v[92:93], v[94:95]
	scratch_store_b64 off, v[92:93], off offset:184
.LBB107_103:
	s_wait_xcnt 0x0
	s_or_b32 exec_lo, exec_lo, s0
	s_wait_storecnt 0x0
	s_barrier_signal -1
	s_barrier_wait -1
	scratch_load_b64 v[92:93], off, off offset:192
	s_mov_b32 s0, exec_lo
	s_wait_loadcnt 0x0
	ds_store_b64 v1, v[92:93]
	s_wait_dscnt 0x0
	s_barrier_signal -1
	s_barrier_wait -1
	v_cmpx_gt_u32_e32 24, v0
	s_cbranch_execz .LBB107_107
; %bb.104:
	v_mov_b64_e32 v[92:93], 0
	v_dual_add_nc_u32 v9, -1, v0 :: v_dual_mov_b32 v13, v2
	v_add_nc_u32_e32 v11, 0x160, v2
	s_mov_b32 s1, 0
.LBB107_105:                            ; =>This Inner Loop Header: Depth=1
	scratch_load_b64 v[94:95], v13, off
	ds_load_b64 v[96:97], v11
	v_dual_add_nc_u32 v9, 1, v9 :: v_dual_add_nc_u32 v11, 8, v11
	s_wait_xcnt 0x0
	v_add_nc_u32_e32 v13, 8, v13
	s_delay_alu instid0(VALU_DEP_2)
	v_cmp_lt_u32_e32 vcc_lo, 22, v9
	s_or_b32 s1, vcc_lo, s1
	s_wait_loadcnt_dscnt 0x0
	v_fmac_f64_e32 v[92:93], v[94:95], v[96:97]
	s_and_not1_b32 exec_lo, exec_lo, s1
	s_cbranch_execnz .LBB107_105
; %bb.106:
	s_or_b32 exec_lo, exec_lo, s1
	v_mov_b32_e32 v9, 0
	ds_load_b64 v[94:95], v9 offset:192
	s_wait_dscnt 0x0
	v_mul_f64_e32 v[92:93], v[92:93], v[94:95]
	scratch_store_b64 off, v[92:93], off offset:192
.LBB107_107:
	s_wait_xcnt 0x0
	s_or_b32 exec_lo, exec_lo, s0
	s_wait_storecnt 0x0
	s_barrier_signal -1
	s_barrier_wait -1
	scratch_load_b64 v[92:93], off, off offset:200
	;; [unrolled: 40-line block ×20, first 2 shown]
	s_mov_b32 s0, exec_lo
	s_wait_loadcnt 0x0
	ds_store_b64 v1, v[92:93]
	s_wait_dscnt 0x0
	s_barrier_signal -1
	s_barrier_wait -1
	v_cmpx_ne_u32_e32 43, v0
	s_cbranch_execz .LBB107_183
; %bb.180:
	v_mov_b64_e32 v[92:93], 0
	s_mov_b32 s1, 0
.LBB107_181:                            ; =>This Inner Loop Header: Depth=1
	scratch_load_b64 v[94:95], v2, off
	ds_load_b64 v[96:97], v1
	v_dual_add_nc_u32 v3, 1, v3 :: v_dual_add_nc_u32 v1, 8, v1
	s_wait_xcnt 0x0
	v_add_nc_u32_e32 v2, 8, v2
	s_delay_alu instid0(VALU_DEP_2)
	v_cmp_lt_u32_e32 vcc_lo, 41, v3
	s_or_b32 s1, vcc_lo, s1
	s_wait_loadcnt_dscnt 0x0
	v_fmac_f64_e32 v[92:93], v[94:95], v[96:97]
	s_and_not1_b32 exec_lo, exec_lo, s1
	s_cbranch_execnz .LBB107_181
; %bb.182:
	s_or_b32 exec_lo, exec_lo, s1
	v_mov_b32_e32 v1, 0
	ds_load_b64 v[2:3], v1 offset:344
	s_wait_dscnt 0x0
	v_mul_f64_e32 v[2:3], v[92:93], v[2:3]
	scratch_store_b64 off, v[2:3], off offset:344
.LBB107_183:
	s_wait_xcnt 0x0
	s_or_b32 exec_lo, exec_lo, s0
	s_mov_b32 s1, -1
	s_wait_storecnt 0x0
	s_barrier_signal -1
	s_barrier_wait -1
.LBB107_184:
	s_and_b32 vcc_lo, exec_lo, s1
	s_cbranch_vccz .LBB107_186
; %bb.185:
	v_mov_b32_e32 v1, 0
	s_lshl_b64 s[0:1], s[10:11], 2
	s_delay_alu instid0(SALU_CYCLE_1)
	s_add_nc_u64 s[0:1], s[6:7], s[0:1]
	global_load_b32 v1, v1, s[0:1]
	s_wait_loadcnt 0x0
	v_cmp_ne_u32_e32 vcc_lo, 0, v1
	s_cbranch_vccz .LBB107_187
.LBB107_186:
	s_sendmsg sendmsg(MSG_DEALLOC_VGPRS)
	s_endpgm
.LBB107_187:
	s_wait_xcnt 0x0
	v_lshl_add_u32 v1, v0, 3, 0x160
	s_mov_b32 s0, exec_lo
	v_cmpx_eq_u32_e32 43, v0
	s_cbranch_execz .LBB107_189
; %bb.188:
	scratch_load_b64 v[2:3], off, off offset:336
	v_mov_b64_e32 v[92:93], 0
	scratch_store_b64 off, v[92:93], off offset:336
	s_wait_loadcnt 0x0
	ds_store_b64 v1, v[2:3]
.LBB107_189:
	s_wait_xcnt 0x0
	s_or_b32 exec_lo, exec_lo, s0
	s_wait_storecnt_dscnt 0x0
	s_barrier_signal -1
	s_barrier_wait -1
	scratch_load_b128 v[92:95], off, off offset:336
	v_mov_b32_e32 v2, 0
	s_mov_b32 s0, exec_lo
	ds_load_b64 v[96:97], v2 offset:696
	s_wait_loadcnt_dscnt 0x0
	v_fma_f64 v[94:95], v[94:95], v[96:97], 0
	s_delay_alu instid0(VALU_DEP_1)
	v_add_f64_e64 v[92:93], v[92:93], -v[94:95]
	scratch_store_b64 off, v[92:93], off offset:336
	s_wait_xcnt 0x0
	v_cmpx_lt_u32_e32 41, v0
	s_cbranch_execz .LBB107_191
; %bb.190:
	scratch_load_b64 v[92:93], off, off offset:328
	v_mov_b64_e32 v[94:95], 0
	scratch_store_b64 off, v[94:95], off offset:328
	s_wait_loadcnt 0x0
	ds_store_b64 v1, v[92:93]
.LBB107_191:
	s_wait_xcnt 0x0
	s_or_b32 exec_lo, exec_lo, s0
	s_wait_storecnt_dscnt 0x0
	s_barrier_signal -1
	s_barrier_wait -1
	s_clause 0x1
	scratch_load_b128 v[92:95], off, off offset:328
	scratch_load_b64 v[100:101], off, off offset:344
	ds_load_b128 v[96:99], v2 offset:688
	s_mov_b32 s0, exec_lo
	s_wait_loadcnt_dscnt 0x100
	v_fma_f64 v[2:3], v[94:95], v[96:97], 0
	s_wait_loadcnt 0x0
	s_delay_alu instid0(VALU_DEP_1) | instskip(NEXT) | instid1(VALU_DEP_1)
	v_fmac_f64_e32 v[2:3], v[100:101], v[98:99]
	v_add_f64_e64 v[2:3], v[92:93], -v[2:3]
	scratch_store_b64 off, v[2:3], off offset:328
	s_wait_xcnt 0x0
	v_cmpx_lt_u32_e32 40, v0
	s_cbranch_execz .LBB107_193
; %bb.192:
	scratch_load_b64 v[2:3], off, off offset:320
	v_mov_b64_e32 v[92:93], 0
	scratch_store_b64 off, v[92:93], off offset:320
	s_wait_loadcnt 0x0
	ds_store_b64 v1, v[2:3]
.LBB107_193:
	s_wait_xcnt 0x0
	s_or_b32 exec_lo, exec_lo, s0
	s_wait_storecnt_dscnt 0x0
	s_barrier_signal -1
	s_barrier_wait -1
	s_clause 0x1
	scratch_load_b128 v[92:95], off, off offset:320
	scratch_load_b128 v[96:99], off, off offset:336
	v_mov_b32_e32 v2, 0
	ds_load_2addr_b64 v[100:103], v2 offset0:85 offset1:86
	ds_load_b64 v[104:105], v2 offset:696
	s_mov_b32 s0, exec_lo
	s_wait_loadcnt_dscnt 0x101
	v_fma_f64 v[94:95], v[94:95], v[100:101], 0
	s_wait_loadcnt 0x0
	s_delay_alu instid0(VALU_DEP_1) | instskip(SKIP_1) | instid1(VALU_DEP_1)
	v_fmac_f64_e32 v[94:95], v[96:97], v[102:103]
	s_wait_dscnt 0x0
	v_fmac_f64_e32 v[94:95], v[98:99], v[104:105]
	s_delay_alu instid0(VALU_DEP_1)
	v_add_f64_e64 v[92:93], v[92:93], -v[94:95]
	scratch_store_b64 off, v[92:93], off offset:320
	s_wait_xcnt 0x0
	v_cmpx_lt_u32_e32 39, v0
	s_cbranch_execz .LBB107_195
; %bb.194:
	scratch_load_b64 v[92:93], off, off offset:312
	v_mov_b64_e32 v[94:95], 0
	scratch_store_b64 off, v[94:95], off offset:312
	s_wait_loadcnt 0x0
	ds_store_b64 v1, v[92:93]
.LBB107_195:
	s_wait_xcnt 0x0
	s_or_b32 exec_lo, exec_lo, s0
	s_wait_storecnt_dscnt 0x0
	s_barrier_signal -1
	s_barrier_wait -1
	s_clause 0x2
	scratch_load_b128 v[92:95], off, off offset:312
	scratch_load_b128 v[96:99], off, off offset:328
	scratch_load_b64 v[108:109], off, off offset:344
	ds_load_b128 v[100:103], v2 offset:672
	ds_load_b128 v[104:107], v2 offset:688
	s_mov_b32 s0, exec_lo
	s_wait_loadcnt_dscnt 0x201
	v_fma_f64 v[2:3], v[94:95], v[100:101], 0
	s_wait_loadcnt 0x1
	s_delay_alu instid0(VALU_DEP_1) | instskip(SKIP_1) | instid1(VALU_DEP_1)
	v_fmac_f64_e32 v[2:3], v[96:97], v[102:103]
	s_wait_dscnt 0x0
	v_fmac_f64_e32 v[2:3], v[98:99], v[104:105]
	s_wait_loadcnt 0x0
	s_delay_alu instid0(VALU_DEP_1) | instskip(NEXT) | instid1(VALU_DEP_1)
	v_fmac_f64_e32 v[2:3], v[108:109], v[106:107]
	v_add_f64_e64 v[2:3], v[92:93], -v[2:3]
	scratch_store_b64 off, v[2:3], off offset:312
	s_wait_xcnt 0x0
	v_cmpx_lt_u32_e32 38, v0
	s_cbranch_execz .LBB107_197
; %bb.196:
	scratch_load_b64 v[2:3], off, off offset:304
	v_mov_b64_e32 v[92:93], 0
	scratch_store_b64 off, v[92:93], off offset:304
	s_wait_loadcnt 0x0
	ds_store_b64 v1, v[2:3]
.LBB107_197:
	s_wait_xcnt 0x0
	s_or_b32 exec_lo, exec_lo, s0
	s_wait_storecnt_dscnt 0x0
	s_barrier_signal -1
	s_barrier_wait -1
	s_clause 0x2
	scratch_load_b128 v[92:95], off, off offset:304
	scratch_load_b128 v[96:99], off, off offset:320
	;; [unrolled: 1-line block ×3, first 2 shown]
	v_mov_b32_e32 v2, 0
	ds_load_2addr_b64 v[104:107], v2 offset0:83 offset1:84
	ds_load_2addr_b64 v[108:111], v2 offset0:85 offset1:86
	s_mov_b32 s0, exec_lo
	s_wait_loadcnt_dscnt 0x201
	v_fma_f64 v[94:95], v[94:95], v[104:105], 0
	s_wait_loadcnt 0x1
	s_delay_alu instid0(VALU_DEP_1) | instskip(SKIP_4) | instid1(VALU_DEP_1)
	v_fmac_f64_e32 v[94:95], v[96:97], v[106:107]
	ds_load_b64 v[96:97], v2 offset:696
	s_wait_dscnt 0x1
	v_fmac_f64_e32 v[94:95], v[98:99], v[108:109]
	s_wait_loadcnt 0x0
	v_fmac_f64_e32 v[94:95], v[100:101], v[110:111]
	s_wait_dscnt 0x0
	s_delay_alu instid0(VALU_DEP_1) | instskip(NEXT) | instid1(VALU_DEP_1)
	v_fmac_f64_e32 v[94:95], v[102:103], v[96:97]
	v_add_f64_e64 v[92:93], v[92:93], -v[94:95]
	scratch_store_b64 off, v[92:93], off offset:304
	s_wait_xcnt 0x0
	v_cmpx_lt_u32_e32 37, v0
	s_cbranch_execz .LBB107_199
; %bb.198:
	scratch_load_b64 v[92:93], off, off offset:296
	v_mov_b64_e32 v[94:95], 0
	scratch_store_b64 off, v[94:95], off offset:296
	s_wait_loadcnt 0x0
	ds_store_b64 v1, v[92:93]
.LBB107_199:
	s_wait_xcnt 0x0
	s_or_b32 exec_lo, exec_lo, s0
	s_wait_storecnt_dscnt 0x0
	s_barrier_signal -1
	s_barrier_wait -1
	s_clause 0x3
	scratch_load_b128 v[92:95], off, off offset:296
	scratch_load_b128 v[96:99], off, off offset:312
	;; [unrolled: 1-line block ×3, first 2 shown]
	scratch_load_b64 v[112:113], off, off offset:344
	ds_load_b128 v[104:107], v2 offset:656
	ds_load_b128 v[108:111], v2 offset:672
	s_mov_b32 s0, exec_lo
	s_wait_loadcnt_dscnt 0x301
	v_fma_f64 v[104:105], v[94:95], v[104:105], 0
	s_wait_loadcnt 0x2
	s_delay_alu instid0(VALU_DEP_1) | instskip(SKIP_4) | instid1(VALU_DEP_1)
	v_fmac_f64_e32 v[104:105], v[96:97], v[106:107]
	ds_load_b128 v[94:97], v2 offset:688
	s_wait_dscnt 0x1
	v_fmac_f64_e32 v[104:105], v[98:99], v[108:109]
	s_wait_loadcnt 0x1
	v_fmac_f64_e32 v[104:105], v[100:101], v[110:111]
	s_wait_dscnt 0x0
	s_delay_alu instid0(VALU_DEP_1) | instskip(SKIP_1) | instid1(VALU_DEP_1)
	v_fmac_f64_e32 v[104:105], v[102:103], v[94:95]
	s_wait_loadcnt 0x0
	v_fmac_f64_e32 v[104:105], v[112:113], v[96:97]
	s_delay_alu instid0(VALU_DEP_1)
	v_add_f64_e64 v[2:3], v[92:93], -v[104:105]
	scratch_store_b64 off, v[2:3], off offset:296
	s_wait_xcnt 0x0
	v_cmpx_lt_u32_e32 36, v0
	s_cbranch_execz .LBB107_201
; %bb.200:
	scratch_load_b64 v[2:3], off, off offset:288
	v_mov_b64_e32 v[92:93], 0
	scratch_store_b64 off, v[92:93], off offset:288
	s_wait_loadcnt 0x0
	ds_store_b64 v1, v[2:3]
.LBB107_201:
	s_wait_xcnt 0x0
	s_or_b32 exec_lo, exec_lo, s0
	s_wait_storecnt_dscnt 0x0
	s_barrier_signal -1
	s_barrier_wait -1
	s_clause 0x3
	scratch_load_b128 v[92:95], off, off offset:288
	scratch_load_b128 v[96:99], off, off offset:304
	;; [unrolled: 1-line block ×4, first 2 shown]
	v_mov_b32_e32 v2, 0
	ds_load_2addr_b64 v[108:111], v2 offset0:81 offset1:82
	ds_load_2addr_b64 v[112:115], v2 offset0:83 offset1:84
	s_mov_b32 s0, exec_lo
	s_wait_loadcnt_dscnt 0x301
	v_fma_f64 v[108:109], v[94:95], v[108:109], 0
	s_wait_loadcnt 0x2
	s_delay_alu instid0(VALU_DEP_1) | instskip(SKIP_1) | instid1(VALU_DEP_1)
	v_fmac_f64_e32 v[108:109], v[96:97], v[110:111]
	s_wait_dscnt 0x0
	v_fmac_f64_e32 v[108:109], v[98:99], v[112:113]
	ds_load_2addr_b64 v[94:97], v2 offset0:85 offset1:86
	ds_load_b64 v[98:99], v2 offset:696
	s_wait_loadcnt 0x1
	v_fmac_f64_e32 v[108:109], v[100:101], v[114:115]
	s_wait_dscnt 0x1
	s_delay_alu instid0(VALU_DEP_1) | instskip(SKIP_1) | instid1(VALU_DEP_1)
	v_fmac_f64_e32 v[108:109], v[102:103], v[94:95]
	s_wait_loadcnt 0x0
	v_fmac_f64_e32 v[108:109], v[104:105], v[96:97]
	s_wait_dscnt 0x0
	s_delay_alu instid0(VALU_DEP_1) | instskip(NEXT) | instid1(VALU_DEP_1)
	v_fmac_f64_e32 v[108:109], v[106:107], v[98:99]
	v_add_f64_e64 v[92:93], v[92:93], -v[108:109]
	scratch_store_b64 off, v[92:93], off offset:288
	s_wait_xcnt 0x0
	v_cmpx_lt_u32_e32 35, v0
	s_cbranch_execz .LBB107_203
; %bb.202:
	scratch_load_b64 v[92:93], off, off offset:280
	v_mov_b64_e32 v[94:95], 0
	scratch_store_b64 off, v[94:95], off offset:280
	s_wait_loadcnt 0x0
	ds_store_b64 v1, v[92:93]
.LBB107_203:
	s_wait_xcnt 0x0
	s_or_b32 exec_lo, exec_lo, s0
	s_wait_storecnt_dscnt 0x0
	s_barrier_signal -1
	s_barrier_wait -1
	s_clause 0x4
	scratch_load_b128 v[92:95], off, off offset:280
	scratch_load_b128 v[96:99], off, off offset:296
	;; [unrolled: 1-line block ×4, first 2 shown]
	scratch_load_b64 v[116:117], off, off offset:344
	ds_load_b128 v[108:111], v2 offset:640
	ds_load_b128 v[112:115], v2 offset:656
	s_mov_b32 s0, exec_lo
	s_wait_loadcnt_dscnt 0x401
	v_fma_f64 v[108:109], v[94:95], v[108:109], 0
	s_wait_loadcnt 0x3
	s_delay_alu instid0(VALU_DEP_1) | instskip(SKIP_1) | instid1(VALU_DEP_1)
	v_fmac_f64_e32 v[108:109], v[96:97], v[110:111]
	s_wait_dscnt 0x0
	v_fmac_f64_e32 v[108:109], v[98:99], v[112:113]
	s_wait_loadcnt 0x2
	s_delay_alu instid0(VALU_DEP_1)
	v_fmac_f64_e32 v[108:109], v[100:101], v[114:115]
	ds_load_b128 v[94:97], v2 offset:672
	ds_load_b128 v[98:101], v2 offset:688
	s_wait_dscnt 0x1
	v_fmac_f64_e32 v[108:109], v[102:103], v[94:95]
	s_wait_loadcnt 0x1
	s_delay_alu instid0(VALU_DEP_1) | instskip(SKIP_1) | instid1(VALU_DEP_1)
	v_fmac_f64_e32 v[108:109], v[104:105], v[96:97]
	s_wait_dscnt 0x0
	v_fmac_f64_e32 v[108:109], v[106:107], v[98:99]
	s_wait_loadcnt 0x0
	s_delay_alu instid0(VALU_DEP_1) | instskip(NEXT) | instid1(VALU_DEP_1)
	v_fmac_f64_e32 v[108:109], v[116:117], v[100:101]
	v_add_f64_e64 v[2:3], v[92:93], -v[108:109]
	scratch_store_b64 off, v[2:3], off offset:280
	s_wait_xcnt 0x0
	v_cmpx_lt_u32_e32 34, v0
	s_cbranch_execz .LBB107_205
; %bb.204:
	scratch_load_b64 v[2:3], off, off offset:272
	v_mov_b64_e32 v[92:93], 0
	scratch_store_b64 off, v[92:93], off offset:272
	s_wait_loadcnt 0x0
	ds_store_b64 v1, v[2:3]
.LBB107_205:
	s_wait_xcnt 0x0
	s_or_b32 exec_lo, exec_lo, s0
	s_wait_storecnt_dscnt 0x0
	s_barrier_signal -1
	s_barrier_wait -1
	s_clause 0x4
	scratch_load_b128 v[92:95], off, off offset:272
	scratch_load_b128 v[96:99], off, off offset:288
	;; [unrolled: 1-line block ×5, first 2 shown]
	v_mov_b32_e32 v2, 0
	ds_load_2addr_b64 v[112:115], v2 offset0:79 offset1:80
	ds_load_2addr_b64 v[116:119], v2 offset0:81 offset1:82
	s_mov_b32 s0, exec_lo
	s_wait_loadcnt_dscnt 0x401
	v_fma_f64 v[112:113], v[94:95], v[112:113], 0
	s_wait_loadcnt 0x3
	s_delay_alu instid0(VALU_DEP_1) | instskip(SKIP_1) | instid1(VALU_DEP_1)
	v_fmac_f64_e32 v[112:113], v[96:97], v[114:115]
	s_wait_dscnt 0x0
	v_fmac_f64_e32 v[112:113], v[98:99], v[116:117]
	s_wait_loadcnt 0x2
	s_delay_alu instid0(VALU_DEP_1)
	v_fmac_f64_e32 v[112:113], v[100:101], v[118:119]
	ds_load_2addr_b64 v[94:97], v2 offset0:83 offset1:84
	ds_load_2addr_b64 v[98:101], v2 offset0:85 offset1:86
	s_wait_dscnt 0x1
	v_fmac_f64_e32 v[112:113], v[102:103], v[94:95]
	ds_load_b64 v[94:95], v2 offset:696
	s_wait_loadcnt 0x1
	v_fmac_f64_e32 v[112:113], v[104:105], v[96:97]
	s_wait_dscnt 0x1
	s_delay_alu instid0(VALU_DEP_1) | instskip(SKIP_1) | instid1(VALU_DEP_1)
	v_fmac_f64_e32 v[112:113], v[106:107], v[98:99]
	s_wait_loadcnt 0x0
	v_fmac_f64_e32 v[112:113], v[108:109], v[100:101]
	s_wait_dscnt 0x0
	s_delay_alu instid0(VALU_DEP_1) | instskip(NEXT) | instid1(VALU_DEP_1)
	v_fmac_f64_e32 v[112:113], v[110:111], v[94:95]
	v_add_f64_e64 v[92:93], v[92:93], -v[112:113]
	scratch_store_b64 off, v[92:93], off offset:272
	s_wait_xcnt 0x0
	v_cmpx_lt_u32_e32 33, v0
	s_cbranch_execz .LBB107_207
; %bb.206:
	scratch_load_b64 v[92:93], off, off offset:264
	v_mov_b64_e32 v[94:95], 0
	scratch_store_b64 off, v[94:95], off offset:264
	s_wait_loadcnt 0x0
	ds_store_b64 v1, v[92:93]
.LBB107_207:
	s_wait_xcnt 0x0
	s_or_b32 exec_lo, exec_lo, s0
	s_wait_storecnt_dscnt 0x0
	s_barrier_signal -1
	s_barrier_wait -1
	s_clause 0x5
	scratch_load_b128 v[92:95], off, off offset:264
	scratch_load_b128 v[96:99], off, off offset:280
	;; [unrolled: 1-line block ×5, first 2 shown]
	scratch_load_b64 v[120:121], off, off offset:344
	ds_load_b128 v[112:115], v2 offset:624
	ds_load_b128 v[116:119], v2 offset:640
	s_mov_b32 s0, exec_lo
	s_wait_loadcnt_dscnt 0x501
	v_fma_f64 v[112:113], v[94:95], v[112:113], 0
	s_wait_loadcnt 0x4
	s_delay_alu instid0(VALU_DEP_1) | instskip(SKIP_1) | instid1(VALU_DEP_1)
	v_fmac_f64_e32 v[112:113], v[96:97], v[114:115]
	s_wait_dscnt 0x0
	v_fmac_f64_e32 v[112:113], v[98:99], v[116:117]
	s_wait_loadcnt 0x3
	s_delay_alu instid0(VALU_DEP_1)
	v_fmac_f64_e32 v[112:113], v[100:101], v[118:119]
	ds_load_b128 v[94:97], v2 offset:656
	ds_load_b128 v[98:101], v2 offset:672
	s_wait_dscnt 0x1
	v_fmac_f64_e32 v[112:113], v[102:103], v[94:95]
	s_wait_loadcnt 0x2
	s_delay_alu instid0(VALU_DEP_1) | instskip(SKIP_4) | instid1(VALU_DEP_1)
	v_fmac_f64_e32 v[112:113], v[104:105], v[96:97]
	ds_load_b128 v[94:97], v2 offset:688
	s_wait_dscnt 0x1
	v_fmac_f64_e32 v[112:113], v[106:107], v[98:99]
	s_wait_loadcnt 0x1
	v_fmac_f64_e32 v[112:113], v[108:109], v[100:101]
	s_wait_dscnt 0x0
	s_delay_alu instid0(VALU_DEP_1) | instskip(SKIP_1) | instid1(VALU_DEP_1)
	v_fmac_f64_e32 v[112:113], v[110:111], v[94:95]
	s_wait_loadcnt 0x0
	v_fmac_f64_e32 v[112:113], v[120:121], v[96:97]
	s_delay_alu instid0(VALU_DEP_1)
	v_add_f64_e64 v[2:3], v[92:93], -v[112:113]
	scratch_store_b64 off, v[2:3], off offset:264
	s_wait_xcnt 0x0
	v_cmpx_lt_u32_e32 32, v0
	s_cbranch_execz .LBB107_209
; %bb.208:
	scratch_load_b64 v[2:3], off, off offset:256
	v_mov_b64_e32 v[92:93], 0
	scratch_store_b64 off, v[92:93], off offset:256
	s_wait_loadcnt 0x0
	ds_store_b64 v1, v[2:3]
.LBB107_209:
	s_wait_xcnt 0x0
	s_or_b32 exec_lo, exec_lo, s0
	s_wait_storecnt_dscnt 0x0
	s_barrier_signal -1
	s_barrier_wait -1
	s_clause 0x5
	scratch_load_b128 v[92:95], off, off offset:256
	scratch_load_b128 v[96:99], off, off offset:272
	;; [unrolled: 1-line block ×6, first 2 shown]
	v_mov_b32_e32 v2, 0
	ds_load_2addr_b64 v[116:119], v2 offset0:77 offset1:78
	ds_load_2addr_b64 v[120:123], v2 offset0:79 offset1:80
	s_mov_b32 s0, exec_lo
	s_wait_loadcnt_dscnt 0x501
	v_fma_f64 v[116:117], v[94:95], v[116:117], 0
	s_wait_loadcnt 0x4
	s_delay_alu instid0(VALU_DEP_1) | instskip(SKIP_1) | instid1(VALU_DEP_1)
	v_fmac_f64_e32 v[116:117], v[96:97], v[118:119]
	s_wait_dscnt 0x0
	v_fmac_f64_e32 v[116:117], v[98:99], v[120:121]
	s_wait_loadcnt 0x3
	s_delay_alu instid0(VALU_DEP_1)
	v_fmac_f64_e32 v[116:117], v[100:101], v[122:123]
	ds_load_2addr_b64 v[94:97], v2 offset0:81 offset1:82
	ds_load_2addr_b64 v[98:101], v2 offset0:83 offset1:84
	s_wait_dscnt 0x1
	v_fmac_f64_e32 v[116:117], v[102:103], v[94:95]
	s_wait_loadcnt 0x2
	s_delay_alu instid0(VALU_DEP_1) | instskip(SKIP_1) | instid1(VALU_DEP_1)
	v_fmac_f64_e32 v[116:117], v[104:105], v[96:97]
	s_wait_dscnt 0x0
	v_fmac_f64_e32 v[116:117], v[106:107], v[98:99]
	ds_load_2addr_b64 v[94:97], v2 offset0:85 offset1:86
	ds_load_b64 v[98:99], v2 offset:696
	s_wait_loadcnt 0x1
	v_fmac_f64_e32 v[116:117], v[108:109], v[100:101]
	s_wait_dscnt 0x1
	s_delay_alu instid0(VALU_DEP_1) | instskip(SKIP_1) | instid1(VALU_DEP_1)
	v_fmac_f64_e32 v[116:117], v[110:111], v[94:95]
	s_wait_loadcnt 0x0
	v_fmac_f64_e32 v[116:117], v[112:113], v[96:97]
	s_wait_dscnt 0x0
	s_delay_alu instid0(VALU_DEP_1) | instskip(NEXT) | instid1(VALU_DEP_1)
	v_fmac_f64_e32 v[116:117], v[114:115], v[98:99]
	v_add_f64_e64 v[92:93], v[92:93], -v[116:117]
	scratch_store_b64 off, v[92:93], off offset:256
	s_wait_xcnt 0x0
	v_cmpx_lt_u32_e32 31, v0
	s_cbranch_execz .LBB107_211
; %bb.210:
	scratch_load_b64 v[92:93], off, off offset:248
	v_mov_b64_e32 v[94:95], 0
	scratch_store_b64 off, v[94:95], off offset:248
	s_wait_loadcnt 0x0
	ds_store_b64 v1, v[92:93]
.LBB107_211:
	s_wait_xcnt 0x0
	s_or_b32 exec_lo, exec_lo, s0
	s_wait_storecnt_dscnt 0x0
	s_barrier_signal -1
	s_barrier_wait -1
	s_clause 0x5
	scratch_load_b128 v[92:95], off, off offset:248
	scratch_load_b128 v[96:99], off, off offset:264
	;; [unrolled: 1-line block ×6, first 2 shown]
	ds_load_b128 v[116:119], v2 offset:608
	ds_load_b128 v[120:123], v2 offset:624
	s_mov_b32 s0, exec_lo
	s_wait_loadcnt_dscnt 0x501
	v_fma_f64 v[116:117], v[94:95], v[116:117], 0
	s_wait_loadcnt 0x4
	s_delay_alu instid0(VALU_DEP_1) | instskip(SKIP_4) | instid1(VALU_DEP_1)
	v_fmac_f64_e32 v[116:117], v[96:97], v[118:119]
	scratch_load_b64 v[118:119], off, off offset:344
	s_wait_dscnt 0x0
	v_fmac_f64_e32 v[116:117], v[98:99], v[120:121]
	s_wait_loadcnt 0x4
	v_fmac_f64_e32 v[116:117], v[100:101], v[122:123]
	ds_load_b128 v[94:97], v2 offset:640
	ds_load_b128 v[98:101], v2 offset:656
	s_wait_dscnt 0x1
	v_fmac_f64_e32 v[116:117], v[102:103], v[94:95]
	s_wait_loadcnt 0x3
	s_delay_alu instid0(VALU_DEP_1) | instskip(SKIP_1) | instid1(VALU_DEP_1)
	v_fmac_f64_e32 v[116:117], v[104:105], v[96:97]
	s_wait_dscnt 0x0
	v_fmac_f64_e32 v[116:117], v[106:107], v[98:99]
	s_wait_loadcnt 0x2
	s_delay_alu instid0(VALU_DEP_1)
	v_fmac_f64_e32 v[116:117], v[108:109], v[100:101]
	ds_load_b128 v[94:97], v2 offset:672
	ds_load_b128 v[98:101], v2 offset:688
	s_wait_dscnt 0x1
	v_fmac_f64_e32 v[116:117], v[110:111], v[94:95]
	s_wait_loadcnt 0x1
	s_delay_alu instid0(VALU_DEP_1) | instskip(SKIP_1) | instid1(VALU_DEP_1)
	v_fmac_f64_e32 v[116:117], v[112:113], v[96:97]
	s_wait_dscnt 0x0
	v_fmac_f64_e32 v[116:117], v[114:115], v[98:99]
	s_wait_loadcnt 0x0
	s_delay_alu instid0(VALU_DEP_1) | instskip(NEXT) | instid1(VALU_DEP_1)
	v_fmac_f64_e32 v[116:117], v[118:119], v[100:101]
	v_add_f64_e64 v[2:3], v[92:93], -v[116:117]
	scratch_store_b64 off, v[2:3], off offset:248
	s_wait_xcnt 0x0
	v_cmpx_lt_u32_e32 30, v0
	s_cbranch_execz .LBB107_213
; %bb.212:
	scratch_load_b64 v[2:3], off, off offset:240
	v_mov_b64_e32 v[92:93], 0
	scratch_store_b64 off, v[92:93], off offset:240
	s_wait_loadcnt 0x0
	ds_store_b64 v1, v[2:3]
.LBB107_213:
	s_wait_xcnt 0x0
	s_or_b32 exec_lo, exec_lo, s0
	s_wait_storecnt_dscnt 0x0
	s_barrier_signal -1
	s_barrier_wait -1
	s_clause 0x5
	scratch_load_b128 v[92:95], off, off offset:240
	scratch_load_b128 v[96:99], off, off offset:256
	;; [unrolled: 1-line block ×6, first 2 shown]
	v_mov_b32_e32 v2, 0
	ds_load_2addr_b64 v[116:119], v2 offset0:75 offset1:76
	ds_load_2addr_b64 v[120:123], v2 offset0:77 offset1:78
	s_mov_b32 s0, exec_lo
	s_wait_loadcnt_dscnt 0x501
	v_fma_f64 v[124:125], v[94:95], v[116:117], 0
	s_wait_loadcnt 0x4
	s_delay_alu instid0(VALU_DEP_1) | instskip(SKIP_4) | instid1(VALU_DEP_1)
	v_fmac_f64_e32 v[124:125], v[96:97], v[118:119]
	scratch_load_b128 v[94:97], off, off offset:336
	s_wait_dscnt 0x0
	v_fmac_f64_e32 v[124:125], v[98:99], v[120:121]
	s_wait_loadcnt 0x4
	v_fmac_f64_e32 v[124:125], v[100:101], v[122:123]
	ds_load_2addr_b64 v[98:101], v2 offset0:79 offset1:80
	ds_load_2addr_b64 v[116:119], v2 offset0:81 offset1:82
	s_wait_dscnt 0x1
	v_fmac_f64_e32 v[124:125], v[102:103], v[98:99]
	s_wait_loadcnt 0x3
	s_delay_alu instid0(VALU_DEP_1)
	v_fmac_f64_e32 v[124:125], v[104:105], v[100:101]
	ds_load_2addr_b64 v[98:101], v2 offset0:83 offset1:84
	ds_load_2addr_b64 v[102:105], v2 offset0:85 offset1:86
	s_wait_dscnt 0x2
	v_fmac_f64_e32 v[124:125], v[106:107], v[116:117]
	s_wait_loadcnt 0x2
	s_delay_alu instid0(VALU_DEP_1) | instskip(SKIP_1) | instid1(VALU_DEP_1)
	v_fmac_f64_e32 v[124:125], v[108:109], v[118:119]
	s_wait_dscnt 0x1
	v_fmac_f64_e32 v[124:125], v[110:111], v[98:99]
	s_wait_loadcnt 0x1
	s_delay_alu instid0(VALU_DEP_1) | instskip(SKIP_1) | instid1(VALU_DEP_1)
	v_fmac_f64_e32 v[124:125], v[112:113], v[100:101]
	s_wait_dscnt 0x0
	v_fmac_f64_e32 v[124:125], v[114:115], v[102:103]
	s_wait_loadcnt 0x0
	s_delay_alu instid0(VALU_DEP_1) | instskip(SKIP_3) | instid1(VALU_DEP_1)
	v_fmac_f64_e32 v[124:125], v[94:95], v[104:105]
	ds_load_b64 v[94:95], v2 offset:696
	s_wait_dscnt 0x0
	v_fmac_f64_e32 v[124:125], v[96:97], v[94:95]
	v_add_f64_e64 v[92:93], v[92:93], -v[124:125]
	scratch_store_b64 off, v[92:93], off offset:240
	s_wait_xcnt 0x0
	v_cmpx_lt_u32_e32 29, v0
	s_cbranch_execz .LBB107_215
; %bb.214:
	scratch_load_b64 v[92:93], off, off offset:232
	v_mov_b64_e32 v[94:95], 0
	scratch_store_b64 off, v[94:95], off offset:232
	s_wait_loadcnt 0x0
	ds_store_b64 v1, v[92:93]
.LBB107_215:
	s_wait_xcnt 0x0
	s_or_b32 exec_lo, exec_lo, s0
	s_wait_storecnt_dscnt 0x0
	s_barrier_signal -1
	s_barrier_wait -1
	s_clause 0x5
	scratch_load_b128 v[92:95], off, off offset:232
	scratch_load_b128 v[96:99], off, off offset:248
	;; [unrolled: 1-line block ×6, first 2 shown]
	ds_load_b128 v[116:119], v2 offset:592
	ds_load_b128 v[120:123], v2 offset:608
	s_mov_b32 s0, exec_lo
	s_wait_loadcnt_dscnt 0x501
	v_fma_f64 v[124:125], v[94:95], v[116:117], 0
	s_wait_loadcnt 0x4
	s_delay_alu instid0(VALU_DEP_1)
	v_fmac_f64_e32 v[124:125], v[96:97], v[118:119]
	scratch_load_b128 v[94:97], off, off offset:328
	s_wait_dscnt 0x0
	v_fmac_f64_e32 v[124:125], v[98:99], v[120:121]
	scratch_load_b64 v[120:121], off, off offset:344
	s_wait_loadcnt 0x5
	v_fmac_f64_e32 v[124:125], v[100:101], v[122:123]
	ds_load_b128 v[98:101], v2 offset:624
	ds_load_b128 v[116:119], v2 offset:640
	s_wait_dscnt 0x1
	v_fmac_f64_e32 v[124:125], v[102:103], v[98:99]
	s_wait_loadcnt 0x4
	s_delay_alu instid0(VALU_DEP_1)
	v_fmac_f64_e32 v[124:125], v[104:105], v[100:101]
	ds_load_b128 v[98:101], v2 offset:656
	ds_load_b128 v[102:105], v2 offset:672
	s_wait_dscnt 0x2
	v_fmac_f64_e32 v[124:125], v[106:107], v[116:117]
	s_wait_loadcnt 0x3
	s_delay_alu instid0(VALU_DEP_1) | instskip(SKIP_1) | instid1(VALU_DEP_1)
	v_fmac_f64_e32 v[124:125], v[108:109], v[118:119]
	s_wait_dscnt 0x1
	v_fmac_f64_e32 v[124:125], v[110:111], v[98:99]
	s_wait_loadcnt 0x2
	s_delay_alu instid0(VALU_DEP_1) | instskip(SKIP_4) | instid1(VALU_DEP_1)
	v_fmac_f64_e32 v[124:125], v[112:113], v[100:101]
	ds_load_b128 v[98:101], v2 offset:688
	s_wait_dscnt 0x1
	v_fmac_f64_e32 v[124:125], v[114:115], v[102:103]
	s_wait_loadcnt 0x1
	v_fmac_f64_e32 v[124:125], v[94:95], v[104:105]
	s_wait_dscnt 0x0
	s_delay_alu instid0(VALU_DEP_1) | instskip(SKIP_1) | instid1(VALU_DEP_1)
	v_fmac_f64_e32 v[124:125], v[96:97], v[98:99]
	s_wait_loadcnt 0x0
	v_fmac_f64_e32 v[124:125], v[120:121], v[100:101]
	s_delay_alu instid0(VALU_DEP_1)
	v_add_f64_e64 v[2:3], v[92:93], -v[124:125]
	scratch_store_b64 off, v[2:3], off offset:232
	s_wait_xcnt 0x0
	v_cmpx_lt_u32_e32 28, v0
	s_cbranch_execz .LBB107_217
; %bb.216:
	scratch_load_b64 v[2:3], off, off offset:224
	v_mov_b64_e32 v[92:93], 0
	scratch_store_b64 off, v[92:93], off offset:224
	s_wait_loadcnt 0x0
	ds_store_b64 v1, v[2:3]
.LBB107_217:
	s_wait_xcnt 0x0
	s_or_b32 exec_lo, exec_lo, s0
	s_wait_storecnt_dscnt 0x0
	s_barrier_signal -1
	s_barrier_wait -1
	s_clause 0x5
	scratch_load_b128 v[92:95], off, off offset:224
	scratch_load_b128 v[96:99], off, off offset:240
	;; [unrolled: 1-line block ×6, first 2 shown]
	v_mov_b32_e32 v2, 0
	ds_load_2addr_b64 v[116:119], v2 offset0:73 offset1:74
	ds_load_2addr_b64 v[120:123], v2 offset0:75 offset1:76
	s_mov_b32 s0, exec_lo
	s_wait_loadcnt_dscnt 0x501
	v_fma_f64 v[124:125], v[94:95], v[116:117], 0
	s_wait_loadcnt 0x4
	s_delay_alu instid0(VALU_DEP_1) | instskip(SKIP_4) | instid1(VALU_DEP_1)
	v_fmac_f64_e32 v[124:125], v[96:97], v[118:119]
	scratch_load_b128 v[94:97], off, off offset:320
	s_wait_dscnt 0x0
	v_fmac_f64_e32 v[124:125], v[98:99], v[120:121]
	s_wait_loadcnt 0x4
	v_fmac_f64_e32 v[124:125], v[100:101], v[122:123]
	scratch_load_b128 v[98:101], off, off offset:336
	ds_load_2addr_b64 v[116:119], v2 offset0:77 offset1:78
	ds_load_2addr_b64 v[120:123], v2 offset0:79 offset1:80
	s_wait_dscnt 0x1
	v_fmac_f64_e32 v[124:125], v[102:103], v[116:117]
	s_wait_loadcnt 0x4
	s_delay_alu instid0(VALU_DEP_1) | instskip(SKIP_1) | instid1(VALU_DEP_1)
	v_fmac_f64_e32 v[124:125], v[104:105], v[118:119]
	s_wait_dscnt 0x0
	v_fmac_f64_e32 v[124:125], v[106:107], v[120:121]
	s_wait_loadcnt 0x3
	s_delay_alu instid0(VALU_DEP_1)
	v_fmac_f64_e32 v[124:125], v[108:109], v[122:123]
	ds_load_2addr_b64 v[102:105], v2 offset0:81 offset1:82
	ds_load_2addr_b64 v[106:109], v2 offset0:83 offset1:84
	s_wait_dscnt 0x1
	v_fmac_f64_e32 v[124:125], v[110:111], v[102:103]
	s_wait_loadcnt 0x2
	s_delay_alu instid0(VALU_DEP_1) | instskip(SKIP_1) | instid1(VALU_DEP_1)
	v_fmac_f64_e32 v[124:125], v[112:113], v[104:105]
	s_wait_dscnt 0x0
	v_fmac_f64_e32 v[124:125], v[114:115], v[106:107]
	s_wait_loadcnt 0x1
	s_delay_alu instid0(VALU_DEP_1)
	v_fmac_f64_e32 v[124:125], v[94:95], v[108:109]
	ds_load_2addr_b64 v[102:105], v2 offset0:85 offset1:86
	ds_load_b64 v[94:95], v2 offset:696
	s_wait_dscnt 0x1
	v_fmac_f64_e32 v[124:125], v[96:97], v[102:103]
	s_wait_loadcnt 0x0
	s_delay_alu instid0(VALU_DEP_1) | instskip(SKIP_1) | instid1(VALU_DEP_1)
	v_fmac_f64_e32 v[124:125], v[98:99], v[104:105]
	s_wait_dscnt 0x0
	v_fmac_f64_e32 v[124:125], v[100:101], v[94:95]
	s_delay_alu instid0(VALU_DEP_1)
	v_add_f64_e64 v[92:93], v[92:93], -v[124:125]
	scratch_store_b64 off, v[92:93], off offset:224
	s_wait_xcnt 0x0
	v_cmpx_lt_u32_e32 27, v0
	s_cbranch_execz .LBB107_219
; %bb.218:
	scratch_load_b64 v[92:93], off, off offset:216
	v_mov_b64_e32 v[94:95], 0
	scratch_store_b64 off, v[94:95], off offset:216
	s_wait_loadcnt 0x0
	ds_store_b64 v1, v[92:93]
.LBB107_219:
	s_wait_xcnt 0x0
	s_or_b32 exec_lo, exec_lo, s0
	s_wait_storecnt_dscnt 0x0
	s_barrier_signal -1
	s_barrier_wait -1
	s_clause 0x5
	scratch_load_b128 v[92:95], off, off offset:216
	scratch_load_b128 v[96:99], off, off offset:232
	;; [unrolled: 1-line block ×6, first 2 shown]
	ds_load_b128 v[116:119], v2 offset:576
	ds_load_b128 v[120:123], v2 offset:592
	s_mov_b32 s0, exec_lo
	s_wait_loadcnt_dscnt 0x501
	v_fma_f64 v[124:125], v[94:95], v[116:117], 0
	s_wait_loadcnt 0x4
	s_delay_alu instid0(VALU_DEP_1) | instskip(SKIP_4) | instid1(VALU_DEP_1)
	v_fmac_f64_e32 v[124:125], v[96:97], v[118:119]
	scratch_load_b128 v[94:97], off, off offset:312
	s_wait_dscnt 0x0
	v_fmac_f64_e32 v[124:125], v[98:99], v[120:121]
	s_wait_loadcnt 0x4
	v_fmac_f64_e32 v[124:125], v[100:101], v[122:123]
	scratch_load_b128 v[98:101], off, off offset:328
	ds_load_b128 v[116:119], v2 offset:608
	ds_load_b128 v[120:123], v2 offset:624
	s_wait_dscnt 0x1
	v_fmac_f64_e32 v[124:125], v[102:103], v[116:117]
	scratch_load_b64 v[116:117], off, off offset:344
	s_wait_loadcnt 0x5
	v_fmac_f64_e32 v[124:125], v[104:105], v[118:119]
	s_wait_dscnt 0x0
	s_delay_alu instid0(VALU_DEP_1) | instskip(SKIP_1) | instid1(VALU_DEP_1)
	v_fmac_f64_e32 v[124:125], v[106:107], v[120:121]
	s_wait_loadcnt 0x4
	v_fmac_f64_e32 v[124:125], v[108:109], v[122:123]
	ds_load_b128 v[102:105], v2 offset:640
	ds_load_b128 v[106:109], v2 offset:656
	s_wait_dscnt 0x1
	v_fmac_f64_e32 v[124:125], v[110:111], v[102:103]
	s_wait_loadcnt 0x3
	s_delay_alu instid0(VALU_DEP_1) | instskip(SKIP_1) | instid1(VALU_DEP_1)
	v_fmac_f64_e32 v[124:125], v[112:113], v[104:105]
	s_wait_dscnt 0x0
	v_fmac_f64_e32 v[124:125], v[114:115], v[106:107]
	s_wait_loadcnt 0x2
	s_delay_alu instid0(VALU_DEP_1)
	v_fmac_f64_e32 v[124:125], v[94:95], v[108:109]
	ds_load_b128 v[102:105], v2 offset:672
	ds_load_b128 v[106:109], v2 offset:688
	s_wait_dscnt 0x1
	v_fmac_f64_e32 v[124:125], v[96:97], v[102:103]
	s_wait_loadcnt 0x1
	s_delay_alu instid0(VALU_DEP_1) | instskip(SKIP_1) | instid1(VALU_DEP_1)
	v_fmac_f64_e32 v[124:125], v[98:99], v[104:105]
	s_wait_dscnt 0x0
	v_fmac_f64_e32 v[124:125], v[100:101], v[106:107]
	s_wait_loadcnt 0x0
	s_delay_alu instid0(VALU_DEP_1) | instskip(NEXT) | instid1(VALU_DEP_1)
	v_fmac_f64_e32 v[124:125], v[116:117], v[108:109]
	v_add_f64_e64 v[2:3], v[92:93], -v[124:125]
	scratch_store_b64 off, v[2:3], off offset:216
	s_wait_xcnt 0x0
	v_cmpx_lt_u32_e32 26, v0
	s_cbranch_execz .LBB107_221
; %bb.220:
	scratch_load_b64 v[2:3], off, off offset:208
	v_mov_b64_e32 v[92:93], 0
	scratch_store_b64 off, v[92:93], off offset:208
	s_wait_loadcnt 0x0
	ds_store_b64 v1, v[2:3]
.LBB107_221:
	s_wait_xcnt 0x0
	s_or_b32 exec_lo, exec_lo, s0
	s_wait_storecnt_dscnt 0x0
	s_barrier_signal -1
	s_barrier_wait -1
	s_clause 0x5
	scratch_load_b128 v[92:95], off, off offset:208
	scratch_load_b128 v[96:99], off, off offset:224
	;; [unrolled: 1-line block ×6, first 2 shown]
	v_mov_b32_e32 v2, 0
	ds_load_2addr_b64 v[116:119], v2 offset0:71 offset1:72
	ds_load_2addr_b64 v[120:123], v2 offset0:73 offset1:74
	s_mov_b32 s0, exec_lo
	s_wait_loadcnt_dscnt 0x501
	v_fma_f64 v[124:125], v[94:95], v[116:117], 0
	s_wait_loadcnt 0x4
	s_delay_alu instid0(VALU_DEP_1) | instskip(SKIP_4) | instid1(VALU_DEP_1)
	v_fmac_f64_e32 v[124:125], v[96:97], v[118:119]
	scratch_load_b128 v[94:97], off, off offset:304
	s_wait_dscnt 0x0
	v_fmac_f64_e32 v[124:125], v[98:99], v[120:121]
	s_wait_loadcnt 0x4
	v_fmac_f64_e32 v[124:125], v[100:101], v[122:123]
	scratch_load_b128 v[98:101], off, off offset:320
	ds_load_2addr_b64 v[116:119], v2 offset0:75 offset1:76
	ds_load_2addr_b64 v[120:123], v2 offset0:77 offset1:78
	s_wait_dscnt 0x1
	v_fmac_f64_e32 v[124:125], v[102:103], v[116:117]
	s_wait_loadcnt 0x4
	s_delay_alu instid0(VALU_DEP_1) | instskip(SKIP_4) | instid1(VALU_DEP_1)
	v_fmac_f64_e32 v[124:125], v[104:105], v[118:119]
	scratch_load_b128 v[102:105], off, off offset:336
	s_wait_dscnt 0x0
	v_fmac_f64_e32 v[124:125], v[106:107], v[120:121]
	s_wait_loadcnt 0x4
	v_fmac_f64_e32 v[124:125], v[108:109], v[122:123]
	ds_load_2addr_b64 v[106:109], v2 offset0:79 offset1:80
	ds_load_2addr_b64 v[116:119], v2 offset0:81 offset1:82
	s_wait_dscnt 0x1
	v_fmac_f64_e32 v[124:125], v[110:111], v[106:107]
	s_wait_loadcnt 0x3
	s_delay_alu instid0(VALU_DEP_1)
	v_fmac_f64_e32 v[124:125], v[112:113], v[108:109]
	ds_load_2addr_b64 v[106:109], v2 offset0:83 offset1:84
	ds_load_2addr_b64 v[110:113], v2 offset0:85 offset1:86
	s_wait_dscnt 0x2
	v_fmac_f64_e32 v[124:125], v[114:115], v[116:117]
	s_wait_loadcnt 0x2
	s_delay_alu instid0(VALU_DEP_1) | instskip(SKIP_4) | instid1(VALU_DEP_1)
	v_fmac_f64_e32 v[124:125], v[94:95], v[118:119]
	ds_load_b64 v[94:95], v2 offset:696
	s_wait_dscnt 0x2
	v_fmac_f64_e32 v[124:125], v[96:97], v[106:107]
	s_wait_loadcnt 0x1
	v_fmac_f64_e32 v[124:125], v[98:99], v[108:109]
	s_wait_dscnt 0x1
	s_delay_alu instid0(VALU_DEP_1) | instskip(SKIP_1) | instid1(VALU_DEP_1)
	v_fmac_f64_e32 v[124:125], v[100:101], v[110:111]
	s_wait_loadcnt 0x0
	v_fmac_f64_e32 v[124:125], v[102:103], v[112:113]
	s_wait_dscnt 0x0
	s_delay_alu instid0(VALU_DEP_1) | instskip(NEXT) | instid1(VALU_DEP_1)
	v_fmac_f64_e32 v[124:125], v[104:105], v[94:95]
	v_add_f64_e64 v[92:93], v[92:93], -v[124:125]
	scratch_store_b64 off, v[92:93], off offset:208
	s_wait_xcnt 0x0
	v_cmpx_lt_u32_e32 25, v0
	s_cbranch_execz .LBB107_223
; %bb.222:
	scratch_load_b64 v[92:93], off, off offset:200
	v_mov_b64_e32 v[94:95], 0
	scratch_store_b64 off, v[94:95], off offset:200
	s_wait_loadcnt 0x0
	ds_store_b64 v1, v[92:93]
.LBB107_223:
	s_wait_xcnt 0x0
	s_or_b32 exec_lo, exec_lo, s0
	s_wait_storecnt_dscnt 0x0
	s_barrier_signal -1
	s_barrier_wait -1
	s_clause 0x5
	scratch_load_b128 v[92:95], off, off offset:200
	scratch_load_b128 v[96:99], off, off offset:216
	;; [unrolled: 1-line block ×6, first 2 shown]
	ds_load_b128 v[116:119], v2 offset:560
	ds_load_b128 v[120:123], v2 offset:576
	s_mov_b32 s0, exec_lo
	s_wait_loadcnt_dscnt 0x501
	v_fma_f64 v[124:125], v[94:95], v[116:117], 0
	s_wait_loadcnt 0x4
	s_delay_alu instid0(VALU_DEP_1) | instskip(SKIP_4) | instid1(VALU_DEP_1)
	v_fmac_f64_e32 v[124:125], v[96:97], v[118:119]
	scratch_load_b128 v[94:97], off, off offset:296
	s_wait_dscnt 0x0
	v_fmac_f64_e32 v[124:125], v[98:99], v[120:121]
	s_wait_loadcnt 0x4
	v_fmac_f64_e32 v[124:125], v[100:101], v[122:123]
	scratch_load_b128 v[98:101], off, off offset:312
	ds_load_b128 v[116:119], v2 offset:592
	ds_load_b128 v[120:123], v2 offset:608
	s_wait_dscnt 0x1
	v_fmac_f64_e32 v[124:125], v[102:103], v[116:117]
	s_wait_loadcnt 0x4
	s_delay_alu instid0(VALU_DEP_1)
	v_fmac_f64_e32 v[124:125], v[104:105], v[118:119]
	scratch_load_b128 v[102:105], off, off offset:328
	s_wait_dscnt 0x0
	v_fmac_f64_e32 v[124:125], v[106:107], v[120:121]
	scratch_load_b64 v[120:121], off, off offset:344
	s_wait_loadcnt 0x5
	v_fmac_f64_e32 v[124:125], v[108:109], v[122:123]
	ds_load_b128 v[106:109], v2 offset:624
	ds_load_b128 v[116:119], v2 offset:640
	s_wait_dscnt 0x1
	v_fmac_f64_e32 v[124:125], v[110:111], v[106:107]
	s_wait_loadcnt 0x4
	s_delay_alu instid0(VALU_DEP_1)
	v_fmac_f64_e32 v[124:125], v[112:113], v[108:109]
	ds_load_b128 v[106:109], v2 offset:656
	ds_load_b128 v[110:113], v2 offset:672
	s_wait_dscnt 0x2
	v_fmac_f64_e32 v[124:125], v[114:115], v[116:117]
	s_wait_loadcnt 0x3
	s_delay_alu instid0(VALU_DEP_1) | instskip(SKIP_1) | instid1(VALU_DEP_1)
	v_fmac_f64_e32 v[124:125], v[94:95], v[118:119]
	s_wait_dscnt 0x1
	v_fmac_f64_e32 v[124:125], v[96:97], v[106:107]
	ds_load_b128 v[94:97], v2 offset:688
	s_wait_loadcnt 0x2
	v_fmac_f64_e32 v[124:125], v[98:99], v[108:109]
	s_wait_dscnt 0x1
	s_delay_alu instid0(VALU_DEP_1) | instskip(SKIP_1) | instid1(VALU_DEP_1)
	v_fmac_f64_e32 v[124:125], v[100:101], v[110:111]
	s_wait_loadcnt 0x1
	v_fmac_f64_e32 v[124:125], v[102:103], v[112:113]
	s_wait_dscnt 0x0
	s_delay_alu instid0(VALU_DEP_1) | instskip(SKIP_1) | instid1(VALU_DEP_1)
	v_fmac_f64_e32 v[124:125], v[104:105], v[94:95]
	s_wait_loadcnt 0x0
	v_fmac_f64_e32 v[124:125], v[120:121], v[96:97]
	s_delay_alu instid0(VALU_DEP_1)
	v_add_f64_e64 v[2:3], v[92:93], -v[124:125]
	scratch_store_b64 off, v[2:3], off offset:200
	s_wait_xcnt 0x0
	v_cmpx_lt_u32_e32 24, v0
	s_cbranch_execz .LBB107_225
; %bb.224:
	scratch_load_b64 v[2:3], off, off offset:192
	v_mov_b64_e32 v[92:93], 0
	scratch_store_b64 off, v[92:93], off offset:192
	s_wait_loadcnt 0x0
	ds_store_b64 v1, v[2:3]
.LBB107_225:
	s_wait_xcnt 0x0
	s_or_b32 exec_lo, exec_lo, s0
	s_wait_storecnt_dscnt 0x0
	s_barrier_signal -1
	s_barrier_wait -1
	s_clause 0x5
	scratch_load_b128 v[92:95], off, off offset:192
	scratch_load_b128 v[96:99], off, off offset:208
	;; [unrolled: 1-line block ×6, first 2 shown]
	v_mov_b32_e32 v2, 0
	ds_load_2addr_b64 v[116:119], v2 offset0:69 offset1:70
	ds_load_2addr_b64 v[120:123], v2 offset0:71 offset1:72
	s_mov_b32 s0, exec_lo
	s_wait_loadcnt_dscnt 0x501
	v_fma_f64 v[124:125], v[94:95], v[116:117], 0
	s_wait_loadcnt 0x4
	s_delay_alu instid0(VALU_DEP_1) | instskip(SKIP_4) | instid1(VALU_DEP_1)
	v_fmac_f64_e32 v[124:125], v[96:97], v[118:119]
	scratch_load_b128 v[94:97], off, off offset:288
	s_wait_dscnt 0x0
	v_fmac_f64_e32 v[124:125], v[98:99], v[120:121]
	s_wait_loadcnt 0x4
	v_fmac_f64_e32 v[124:125], v[100:101], v[122:123]
	scratch_load_b128 v[98:101], off, off offset:304
	ds_load_2addr_b64 v[116:119], v2 offset0:73 offset1:74
	ds_load_2addr_b64 v[120:123], v2 offset0:75 offset1:76
	s_wait_dscnt 0x1
	v_fmac_f64_e32 v[124:125], v[102:103], v[116:117]
	s_wait_loadcnt 0x4
	s_delay_alu instid0(VALU_DEP_1) | instskip(SKIP_4) | instid1(VALU_DEP_1)
	v_fmac_f64_e32 v[124:125], v[104:105], v[118:119]
	scratch_load_b128 v[102:105], off, off offset:320
	s_wait_dscnt 0x0
	v_fmac_f64_e32 v[124:125], v[106:107], v[120:121]
	s_wait_loadcnt 0x4
	v_fmac_f64_e32 v[124:125], v[108:109], v[122:123]
	scratch_load_b128 v[106:109], off, off offset:336
	ds_load_2addr_b64 v[116:119], v2 offset0:77 offset1:78
	ds_load_2addr_b64 v[120:123], v2 offset0:79 offset1:80
	s_wait_dscnt 0x1
	v_fmac_f64_e32 v[124:125], v[110:111], v[116:117]
	s_wait_loadcnt 0x4
	s_delay_alu instid0(VALU_DEP_1) | instskip(SKIP_1) | instid1(VALU_DEP_1)
	v_fmac_f64_e32 v[124:125], v[112:113], v[118:119]
	s_wait_dscnt 0x0
	v_fmac_f64_e32 v[124:125], v[114:115], v[120:121]
	ds_load_2addr_b64 v[110:113], v2 offset0:81 offset1:82
	ds_load_2addr_b64 v[114:117], v2 offset0:83 offset1:84
	s_wait_loadcnt 0x3
	v_fmac_f64_e32 v[124:125], v[94:95], v[122:123]
	s_wait_dscnt 0x1
	s_delay_alu instid0(VALU_DEP_1) | instskip(SKIP_1) | instid1(VALU_DEP_1)
	v_fmac_f64_e32 v[124:125], v[96:97], v[110:111]
	s_wait_loadcnt 0x2
	v_fmac_f64_e32 v[124:125], v[98:99], v[112:113]
	ds_load_2addr_b64 v[94:97], v2 offset0:85 offset1:86
	ds_load_b64 v[98:99], v2 offset:696
	s_wait_dscnt 0x2
	v_fmac_f64_e32 v[124:125], v[100:101], v[114:115]
	s_wait_loadcnt 0x1
	s_delay_alu instid0(VALU_DEP_1) | instskip(SKIP_1) | instid1(VALU_DEP_1)
	v_fmac_f64_e32 v[124:125], v[102:103], v[116:117]
	s_wait_dscnt 0x1
	v_fmac_f64_e32 v[124:125], v[104:105], v[94:95]
	s_wait_loadcnt 0x0
	s_delay_alu instid0(VALU_DEP_1) | instskip(SKIP_1) | instid1(VALU_DEP_1)
	v_fmac_f64_e32 v[124:125], v[106:107], v[96:97]
	s_wait_dscnt 0x0
	v_fmac_f64_e32 v[124:125], v[108:109], v[98:99]
	s_delay_alu instid0(VALU_DEP_1)
	v_add_f64_e64 v[92:93], v[92:93], -v[124:125]
	scratch_store_b64 off, v[92:93], off offset:192
	s_wait_xcnt 0x0
	v_cmpx_lt_u32_e32 23, v0
	s_cbranch_execz .LBB107_227
; %bb.226:
	scratch_load_b64 v[92:93], off, off offset:184
	v_mov_b64_e32 v[94:95], 0
	scratch_store_b64 off, v[94:95], off offset:184
	s_wait_loadcnt 0x0
	ds_store_b64 v1, v[92:93]
.LBB107_227:
	s_wait_xcnt 0x0
	s_or_b32 exec_lo, exec_lo, s0
	s_wait_storecnt_dscnt 0x0
	s_barrier_signal -1
	s_barrier_wait -1
	s_clause 0x5
	scratch_load_b128 v[92:95], off, off offset:184
	scratch_load_b128 v[96:99], off, off offset:200
	;; [unrolled: 1-line block ×6, first 2 shown]
	ds_load_b128 v[116:119], v2 offset:544
	ds_load_b128 v[120:123], v2 offset:560
	s_mov_b32 s0, exec_lo
	s_wait_loadcnt_dscnt 0x501
	v_fma_f64 v[124:125], v[94:95], v[116:117], 0
	s_wait_loadcnt 0x4
	s_delay_alu instid0(VALU_DEP_1) | instskip(SKIP_4) | instid1(VALU_DEP_1)
	v_fmac_f64_e32 v[124:125], v[96:97], v[118:119]
	scratch_load_b128 v[94:97], off, off offset:280
	s_wait_dscnt 0x0
	v_fmac_f64_e32 v[124:125], v[98:99], v[120:121]
	s_wait_loadcnt 0x4
	v_fmac_f64_e32 v[124:125], v[100:101], v[122:123]
	scratch_load_b128 v[98:101], off, off offset:296
	ds_load_b128 v[116:119], v2 offset:576
	ds_load_b128 v[120:123], v2 offset:592
	s_wait_dscnt 0x1
	v_fmac_f64_e32 v[124:125], v[102:103], v[116:117]
	s_wait_loadcnt 0x4
	s_delay_alu instid0(VALU_DEP_1) | instskip(SKIP_4) | instid1(VALU_DEP_1)
	v_fmac_f64_e32 v[124:125], v[104:105], v[118:119]
	scratch_load_b128 v[102:105], off, off offset:312
	s_wait_dscnt 0x0
	v_fmac_f64_e32 v[124:125], v[106:107], v[120:121]
	s_wait_loadcnt 0x4
	v_fmac_f64_e32 v[124:125], v[108:109], v[122:123]
	scratch_load_b128 v[106:109], off, off offset:328
	ds_load_b128 v[116:119], v2 offset:608
	ds_load_b128 v[120:123], v2 offset:624
	s_wait_dscnt 0x1
	v_fmac_f64_e32 v[124:125], v[110:111], v[116:117]
	s_wait_loadcnt 0x4
	s_delay_alu instid0(VALU_DEP_1)
	v_fmac_f64_e32 v[124:125], v[112:113], v[118:119]
	scratch_load_b64 v[118:119], off, off offset:344
	s_wait_dscnt 0x0
	v_fmac_f64_e32 v[124:125], v[114:115], v[120:121]
	ds_load_b128 v[110:113], v2 offset:640
	ds_load_b128 v[114:117], v2 offset:656
	s_wait_loadcnt 0x4
	v_fmac_f64_e32 v[124:125], v[94:95], v[122:123]
	s_wait_dscnt 0x1
	s_delay_alu instid0(VALU_DEP_1) | instskip(SKIP_1) | instid1(VALU_DEP_1)
	v_fmac_f64_e32 v[124:125], v[96:97], v[110:111]
	s_wait_loadcnt 0x3
	v_fmac_f64_e32 v[124:125], v[98:99], v[112:113]
	s_wait_dscnt 0x0
	s_delay_alu instid0(VALU_DEP_1)
	v_fmac_f64_e32 v[124:125], v[100:101], v[114:115]
	ds_load_b128 v[94:97], v2 offset:672
	ds_load_b128 v[98:101], v2 offset:688
	s_wait_loadcnt 0x2
	v_fmac_f64_e32 v[124:125], v[102:103], v[116:117]
	s_wait_dscnt 0x1
	s_delay_alu instid0(VALU_DEP_1) | instskip(SKIP_1) | instid1(VALU_DEP_1)
	v_fmac_f64_e32 v[124:125], v[104:105], v[94:95]
	s_wait_loadcnt 0x1
	v_fmac_f64_e32 v[124:125], v[106:107], v[96:97]
	s_wait_dscnt 0x0
	s_delay_alu instid0(VALU_DEP_1) | instskip(SKIP_1) | instid1(VALU_DEP_1)
	v_fmac_f64_e32 v[124:125], v[108:109], v[98:99]
	s_wait_loadcnt 0x0
	v_fmac_f64_e32 v[124:125], v[118:119], v[100:101]
	s_delay_alu instid0(VALU_DEP_1)
	v_add_f64_e64 v[2:3], v[92:93], -v[124:125]
	scratch_store_b64 off, v[2:3], off offset:184
	s_wait_xcnt 0x0
	v_cmpx_lt_u32_e32 22, v0
	s_cbranch_execz .LBB107_229
; %bb.228:
	scratch_load_b64 v[2:3], off, off offset:176
	v_mov_b64_e32 v[92:93], 0
	scratch_store_b64 off, v[92:93], off offset:176
	s_wait_loadcnt 0x0
	ds_store_b64 v1, v[2:3]
.LBB107_229:
	s_wait_xcnt 0x0
	s_or_b32 exec_lo, exec_lo, s0
	s_wait_storecnt_dscnt 0x0
	s_barrier_signal -1
	s_barrier_wait -1
	s_clause 0x5
	scratch_load_b128 v[92:95], off, off offset:176
	scratch_load_b128 v[96:99], off, off offset:192
	scratch_load_b128 v[100:103], off, off offset:208
	scratch_load_b128 v[104:107], off, off offset:224
	scratch_load_b128 v[108:111], off, off offset:240
	scratch_load_b128 v[112:115], off, off offset:256
	v_mov_b32_e32 v2, 0
	ds_load_2addr_b64 v[116:119], v2 offset0:67 offset1:68
	ds_load_2addr_b64 v[120:123], v2 offset0:69 offset1:70
	s_mov_b32 s0, exec_lo
	s_wait_loadcnt_dscnt 0x501
	v_fma_f64 v[124:125], v[94:95], v[116:117], 0
	s_wait_loadcnt 0x4
	s_delay_alu instid0(VALU_DEP_1) | instskip(SKIP_4) | instid1(VALU_DEP_1)
	v_fmac_f64_e32 v[124:125], v[96:97], v[118:119]
	scratch_load_b128 v[94:97], off, off offset:272
	s_wait_dscnt 0x0
	v_fmac_f64_e32 v[124:125], v[98:99], v[120:121]
	s_wait_loadcnt 0x4
	v_fmac_f64_e32 v[124:125], v[100:101], v[122:123]
	scratch_load_b128 v[98:101], off, off offset:288
	ds_load_2addr_b64 v[116:119], v2 offset0:71 offset1:72
	ds_load_2addr_b64 v[120:123], v2 offset0:73 offset1:74
	s_wait_dscnt 0x1
	v_fmac_f64_e32 v[124:125], v[102:103], v[116:117]
	s_wait_loadcnt 0x4
	s_delay_alu instid0(VALU_DEP_1) | instskip(SKIP_4) | instid1(VALU_DEP_1)
	v_fmac_f64_e32 v[124:125], v[104:105], v[118:119]
	scratch_load_b128 v[102:105], off, off offset:304
	s_wait_dscnt 0x0
	v_fmac_f64_e32 v[124:125], v[106:107], v[120:121]
	s_wait_loadcnt 0x4
	v_fmac_f64_e32 v[124:125], v[108:109], v[122:123]
	scratch_load_b128 v[106:109], off, off offset:320
	ds_load_2addr_b64 v[116:119], v2 offset0:75 offset1:76
	ds_load_2addr_b64 v[120:123], v2 offset0:77 offset1:78
	s_wait_dscnt 0x1
	v_fmac_f64_e32 v[124:125], v[110:111], v[116:117]
	s_wait_loadcnt 0x4
	s_delay_alu instid0(VALU_DEP_1)
	v_fmac_f64_e32 v[124:125], v[112:113], v[118:119]
	scratch_load_b128 v[110:113], off, off offset:336
	s_wait_dscnt 0x0
	v_fmac_f64_e32 v[124:125], v[114:115], v[120:121]
	ds_load_2addr_b64 v[114:117], v2 offset0:79 offset1:80
	ds_load_2addr_b64 v[118:121], v2 offset0:81 offset1:82
	s_wait_loadcnt 0x4
	v_fmac_f64_e32 v[124:125], v[94:95], v[122:123]
	s_wait_dscnt 0x1
	s_delay_alu instid0(VALU_DEP_1) | instskip(SKIP_1) | instid1(VALU_DEP_1)
	v_fmac_f64_e32 v[124:125], v[96:97], v[114:115]
	s_wait_loadcnt 0x3
	v_fmac_f64_e32 v[124:125], v[98:99], v[116:117]
	s_wait_dscnt 0x0
	s_delay_alu instid0(VALU_DEP_1)
	v_fmac_f64_e32 v[124:125], v[100:101], v[118:119]
	ds_load_2addr_b64 v[94:97], v2 offset0:83 offset1:84
	ds_load_2addr_b64 v[98:101], v2 offset0:85 offset1:86
	s_wait_loadcnt 0x2
	v_fmac_f64_e32 v[124:125], v[102:103], v[120:121]
	s_wait_dscnt 0x1
	s_delay_alu instid0(VALU_DEP_1) | instskip(SKIP_4) | instid1(VALU_DEP_1)
	v_fmac_f64_e32 v[124:125], v[104:105], v[94:95]
	ds_load_b64 v[94:95], v2 offset:696
	s_wait_loadcnt 0x1
	v_fmac_f64_e32 v[124:125], v[106:107], v[96:97]
	s_wait_dscnt 0x1
	v_fmac_f64_e32 v[124:125], v[108:109], v[98:99]
	s_wait_loadcnt 0x0
	s_delay_alu instid0(VALU_DEP_1) | instskip(SKIP_1) | instid1(VALU_DEP_1)
	v_fmac_f64_e32 v[124:125], v[110:111], v[100:101]
	s_wait_dscnt 0x0
	v_fmac_f64_e32 v[124:125], v[112:113], v[94:95]
	s_delay_alu instid0(VALU_DEP_1)
	v_add_f64_e64 v[92:93], v[92:93], -v[124:125]
	scratch_store_b64 off, v[92:93], off offset:176
	s_wait_xcnt 0x0
	v_cmpx_lt_u32_e32 21, v0
	s_cbranch_execz .LBB107_231
; %bb.230:
	scratch_load_b64 v[92:93], off, off offset:168
	v_mov_b64_e32 v[94:95], 0
	scratch_store_b64 off, v[94:95], off offset:168
	s_wait_loadcnt 0x0
	ds_store_b64 v1, v[92:93]
.LBB107_231:
	s_wait_xcnt 0x0
	s_or_b32 exec_lo, exec_lo, s0
	s_wait_storecnt_dscnt 0x0
	s_barrier_signal -1
	s_barrier_wait -1
	s_clause 0x5
	scratch_load_b128 v[92:95], off, off offset:168
	scratch_load_b128 v[96:99], off, off offset:184
	;; [unrolled: 1-line block ×6, first 2 shown]
	ds_load_b128 v[116:119], v2 offset:528
	ds_load_b128 v[120:123], v2 offset:544
	scratch_load_b128 v[124:127], off, off offset:264
	s_mov_b32 s0, exec_lo
	s_wait_loadcnt_dscnt 0x601
	v_fma_f64 v[128:129], v[94:95], v[116:117], 0
	s_wait_loadcnt 0x5
	s_delay_alu instid0(VALU_DEP_1) | instskip(SKIP_4) | instid1(VALU_DEP_1)
	v_fmac_f64_e32 v[128:129], v[96:97], v[118:119]
	scratch_load_b128 v[94:97], off, off offset:280
	s_wait_dscnt 0x0
	v_fmac_f64_e32 v[128:129], v[98:99], v[120:121]
	s_wait_loadcnt 0x5
	v_fmac_f64_e32 v[128:129], v[100:101], v[122:123]
	ds_load_b128 v[98:101], v2 offset:560
	ds_load_b128 v[116:119], v2 offset:576
	s_wait_dscnt 0x1
	v_fmac_f64_e32 v[128:129], v[102:103], v[98:99]
	s_wait_loadcnt 0x4
	s_delay_alu instid0(VALU_DEP_1)
	v_fmac_f64_e32 v[128:129], v[104:105], v[100:101]
	s_clause 0x1
	scratch_load_b128 v[98:101], off, off offset:296
	scratch_load_b128 v[102:105], off, off offset:312
	s_wait_dscnt 0x0
	v_fmac_f64_e32 v[128:129], v[106:107], v[116:117]
	s_wait_loadcnt 0x5
	s_delay_alu instid0(VALU_DEP_1)
	v_fmac_f64_e32 v[128:129], v[108:109], v[118:119]
	ds_load_b128 v[106:109], v2 offset:592
	ds_load_b128 v[116:119], v2 offset:608
	s_wait_dscnt 0x1
	v_fmac_f64_e32 v[128:129], v[110:111], v[106:107]
	s_wait_loadcnt 0x4
	s_delay_alu instid0(VALU_DEP_1) | instskip(SKIP_4) | instid1(VALU_DEP_1)
	v_fmac_f64_e32 v[128:129], v[112:113], v[108:109]
	scratch_load_b128 v[106:109], off, off offset:328
	s_wait_dscnt 0x0
	v_fmac_f64_e32 v[128:129], v[114:115], v[116:117]
	s_wait_loadcnt 0x4
	v_fmac_f64_e32 v[128:129], v[124:125], v[118:119]
	scratch_load_b64 v[118:119], off, off offset:344
	ds_load_b128 v[110:113], v2 offset:624
	ds_load_b128 v[114:117], v2 offset:640
	s_wait_dscnt 0x1
	v_fmac_f64_e32 v[128:129], v[126:127], v[110:111]
	s_wait_loadcnt 0x4
	s_delay_alu instid0(VALU_DEP_1) | instskip(SKIP_1) | instid1(VALU_DEP_1)
	v_fmac_f64_e32 v[128:129], v[94:95], v[112:113]
	s_wait_dscnt 0x0
	v_fmac_f64_e32 v[128:129], v[96:97], v[114:115]
	ds_load_b128 v[94:97], v2 offset:656
	ds_load_b128 v[110:113], v2 offset:672
	s_wait_loadcnt 0x3
	v_fmac_f64_e32 v[128:129], v[98:99], v[116:117]
	s_wait_dscnt 0x1
	s_delay_alu instid0(VALU_DEP_1) | instskip(SKIP_1) | instid1(VALU_DEP_1)
	v_fmac_f64_e32 v[128:129], v[100:101], v[94:95]
	s_wait_loadcnt 0x2
	v_fmac_f64_e32 v[128:129], v[102:103], v[96:97]
	ds_load_b128 v[94:97], v2 offset:688
	s_wait_dscnt 0x1
	v_fmac_f64_e32 v[128:129], v[104:105], v[110:111]
	s_wait_loadcnt 0x1
	s_delay_alu instid0(VALU_DEP_1) | instskip(SKIP_1) | instid1(VALU_DEP_1)
	v_fmac_f64_e32 v[128:129], v[106:107], v[112:113]
	s_wait_dscnt 0x0
	v_fmac_f64_e32 v[128:129], v[108:109], v[94:95]
	s_wait_loadcnt 0x0
	s_delay_alu instid0(VALU_DEP_1) | instskip(NEXT) | instid1(VALU_DEP_1)
	v_fmac_f64_e32 v[128:129], v[118:119], v[96:97]
	v_add_f64_e64 v[2:3], v[92:93], -v[128:129]
	scratch_store_b64 off, v[2:3], off offset:168
	s_wait_xcnt 0x0
	v_cmpx_lt_u32_e32 20, v0
	s_cbranch_execz .LBB107_233
; %bb.232:
	scratch_load_b64 v[2:3], off, off offset:160
	v_mov_b64_e32 v[92:93], 0
	scratch_store_b64 off, v[92:93], off offset:160
	s_wait_loadcnt 0x0
	ds_store_b64 v1, v[2:3]
.LBB107_233:
	s_wait_xcnt 0x0
	s_or_b32 exec_lo, exec_lo, s0
	s_wait_storecnt_dscnt 0x0
	s_barrier_signal -1
	s_barrier_wait -1
	s_clause 0x5
	scratch_load_b128 v[92:95], off, off offset:160
	scratch_load_b128 v[96:99], off, off offset:176
	;; [unrolled: 1-line block ×6, first 2 shown]
	v_mov_b32_e32 v2, 0
	ds_load_2addr_b64 v[116:119], v2 offset0:65 offset1:66
	ds_load_2addr_b64 v[120:123], v2 offset0:67 offset1:68
	scratch_load_b128 v[124:127], off, off offset:256
	s_mov_b32 s0, exec_lo
	s_wait_loadcnt_dscnt 0x601
	v_fma_f64 v[128:129], v[94:95], v[116:117], 0
	s_wait_loadcnt 0x5
	s_delay_alu instid0(VALU_DEP_1) | instskip(SKIP_4) | instid1(VALU_DEP_1)
	v_fmac_f64_e32 v[128:129], v[96:97], v[118:119]
	scratch_load_b128 v[94:97], off, off offset:272
	s_wait_dscnt 0x0
	v_fmac_f64_e32 v[128:129], v[98:99], v[120:121]
	s_wait_loadcnt 0x5
	v_fmac_f64_e32 v[128:129], v[100:101], v[122:123]
	ds_load_2addr_b64 v[98:101], v2 offset0:69 offset1:70
	ds_load_2addr_b64 v[116:119], v2 offset0:71 offset1:72
	s_wait_dscnt 0x1
	v_fmac_f64_e32 v[128:129], v[102:103], v[98:99]
	s_wait_loadcnt 0x4
	s_delay_alu instid0(VALU_DEP_1)
	v_fmac_f64_e32 v[128:129], v[104:105], v[100:101]
	s_clause 0x1
	scratch_load_b128 v[98:101], off, off offset:288
	scratch_load_b128 v[102:105], off, off offset:304
	s_wait_dscnt 0x0
	v_fmac_f64_e32 v[128:129], v[106:107], v[116:117]
	s_wait_loadcnt 0x5
	s_delay_alu instid0(VALU_DEP_1)
	v_fmac_f64_e32 v[128:129], v[108:109], v[118:119]
	ds_load_2addr_b64 v[106:109], v2 offset0:73 offset1:74
	ds_load_2addr_b64 v[116:119], v2 offset0:75 offset1:76
	s_wait_dscnt 0x1
	v_fmac_f64_e32 v[128:129], v[110:111], v[106:107]
	s_wait_loadcnt 0x4
	s_delay_alu instid0(VALU_DEP_1)
	v_fmac_f64_e32 v[128:129], v[112:113], v[108:109]
	s_clause 0x1
	scratch_load_b128 v[106:109], off, off offset:320
	scratch_load_b128 v[110:113], off, off offset:336
	s_wait_dscnt 0x0
	v_fmac_f64_e32 v[128:129], v[114:115], v[116:117]
	s_wait_loadcnt 0x5
	s_delay_alu instid0(VALU_DEP_1)
	v_fmac_f64_e32 v[128:129], v[124:125], v[118:119]
	ds_load_2addr_b64 v[114:117], v2 offset0:77 offset1:78
	ds_load_2addr_b64 v[118:121], v2 offset0:79 offset1:80
	s_wait_dscnt 0x1
	v_fmac_f64_e32 v[128:129], v[126:127], v[114:115]
	s_wait_loadcnt 0x4
	s_delay_alu instid0(VALU_DEP_1) | instskip(SKIP_1) | instid1(VALU_DEP_1)
	v_fmac_f64_e32 v[128:129], v[94:95], v[116:117]
	s_wait_dscnt 0x0
	v_fmac_f64_e32 v[128:129], v[96:97], v[118:119]
	ds_load_2addr_b64 v[94:97], v2 offset0:81 offset1:82
	ds_load_2addr_b64 v[114:117], v2 offset0:83 offset1:84
	s_wait_loadcnt 0x3
	v_fmac_f64_e32 v[128:129], v[98:99], v[120:121]
	s_wait_dscnt 0x1
	s_delay_alu instid0(VALU_DEP_1) | instskip(SKIP_1) | instid1(VALU_DEP_1)
	v_fmac_f64_e32 v[128:129], v[100:101], v[94:95]
	s_wait_loadcnt 0x2
	v_fmac_f64_e32 v[128:129], v[102:103], v[96:97]
	ds_load_2addr_b64 v[94:97], v2 offset0:85 offset1:86
	ds_load_b64 v[98:99], v2 offset:696
	s_wait_dscnt 0x2
	v_fmac_f64_e32 v[128:129], v[104:105], v[114:115]
	s_wait_loadcnt 0x1
	s_delay_alu instid0(VALU_DEP_1) | instskip(SKIP_1) | instid1(VALU_DEP_1)
	v_fmac_f64_e32 v[128:129], v[106:107], v[116:117]
	s_wait_dscnt 0x1
	v_fmac_f64_e32 v[128:129], v[108:109], v[94:95]
	s_wait_loadcnt 0x0
	s_delay_alu instid0(VALU_DEP_1) | instskip(SKIP_1) | instid1(VALU_DEP_1)
	v_fmac_f64_e32 v[128:129], v[110:111], v[96:97]
	s_wait_dscnt 0x0
	v_fmac_f64_e32 v[128:129], v[112:113], v[98:99]
	s_delay_alu instid0(VALU_DEP_1)
	v_add_f64_e64 v[92:93], v[92:93], -v[128:129]
	scratch_store_b64 off, v[92:93], off offset:160
	s_wait_xcnt 0x0
	v_cmpx_lt_u32_e32 19, v0
	s_cbranch_execz .LBB107_235
; %bb.234:
	scratch_load_b64 v[92:93], off, off offset:152
	v_mov_b64_e32 v[94:95], 0
	scratch_store_b64 off, v[94:95], off offset:152
	s_wait_loadcnt 0x0
	ds_store_b64 v1, v[92:93]
.LBB107_235:
	s_wait_xcnt 0x0
	s_or_b32 exec_lo, exec_lo, s0
	s_wait_storecnt_dscnt 0x0
	s_barrier_signal -1
	s_barrier_wait -1
	s_clause 0x5
	scratch_load_b128 v[92:95], off, off offset:152
	scratch_load_b128 v[96:99], off, off offset:168
	;; [unrolled: 1-line block ×6, first 2 shown]
	ds_load_b128 v[116:119], v2 offset:512
	ds_load_b128 v[120:123], v2 offset:528
	scratch_load_b128 v[124:127], off, off offset:248
	s_mov_b32 s0, exec_lo
	s_wait_loadcnt_dscnt 0x601
	v_fma_f64 v[128:129], v[94:95], v[116:117], 0
	s_wait_loadcnt 0x5
	s_delay_alu instid0(VALU_DEP_1) | instskip(SKIP_4) | instid1(VALU_DEP_1)
	v_fmac_f64_e32 v[128:129], v[96:97], v[118:119]
	scratch_load_b128 v[94:97], off, off offset:264
	s_wait_dscnt 0x0
	v_fmac_f64_e32 v[128:129], v[98:99], v[120:121]
	s_wait_loadcnt 0x5
	v_fmac_f64_e32 v[128:129], v[100:101], v[122:123]
	ds_load_b128 v[98:101], v2 offset:544
	ds_load_b128 v[116:119], v2 offset:560
	s_wait_dscnt 0x1
	v_fmac_f64_e32 v[128:129], v[102:103], v[98:99]
	s_wait_loadcnt 0x4
	s_delay_alu instid0(VALU_DEP_1)
	v_fmac_f64_e32 v[128:129], v[104:105], v[100:101]
	s_clause 0x1
	scratch_load_b128 v[98:101], off, off offset:280
	scratch_load_b128 v[102:105], off, off offset:296
	s_wait_dscnt 0x0
	v_fmac_f64_e32 v[128:129], v[106:107], v[116:117]
	s_wait_loadcnt 0x5
	s_delay_alu instid0(VALU_DEP_1)
	v_fmac_f64_e32 v[128:129], v[108:109], v[118:119]
	ds_load_b128 v[106:109], v2 offset:576
	ds_load_b128 v[116:119], v2 offset:592
	s_wait_dscnt 0x1
	v_fmac_f64_e32 v[128:129], v[110:111], v[106:107]
	s_wait_loadcnt 0x4
	s_delay_alu instid0(VALU_DEP_1)
	v_fmac_f64_e32 v[128:129], v[112:113], v[108:109]
	s_clause 0x1
	scratch_load_b128 v[106:109], off, off offset:312
	scratch_load_b128 v[110:113], off, off offset:328
	s_wait_dscnt 0x0
	v_fmac_f64_e32 v[128:129], v[114:115], v[116:117]
	s_wait_loadcnt 0x5
	s_delay_alu instid0(VALU_DEP_1)
	v_fmac_f64_e32 v[128:129], v[124:125], v[118:119]
	ds_load_b128 v[114:117], v2 offset:608
	ds_load_b128 v[118:121], v2 offset:624
	scratch_load_b64 v[122:123], off, off offset:344
	s_wait_dscnt 0x1
	v_fmac_f64_e32 v[128:129], v[126:127], v[114:115]
	s_wait_loadcnt 0x5
	s_delay_alu instid0(VALU_DEP_1) | instskip(SKIP_1) | instid1(VALU_DEP_1)
	v_fmac_f64_e32 v[128:129], v[94:95], v[116:117]
	s_wait_dscnt 0x0
	v_fmac_f64_e32 v[128:129], v[96:97], v[118:119]
	ds_load_b128 v[94:97], v2 offset:640
	ds_load_b128 v[114:117], v2 offset:656
	s_wait_loadcnt 0x4
	v_fmac_f64_e32 v[128:129], v[98:99], v[120:121]
	s_wait_dscnt 0x1
	s_delay_alu instid0(VALU_DEP_1) | instskip(SKIP_1) | instid1(VALU_DEP_1)
	v_fmac_f64_e32 v[128:129], v[100:101], v[94:95]
	s_wait_loadcnt 0x3
	v_fmac_f64_e32 v[128:129], v[102:103], v[96:97]
	ds_load_b128 v[94:97], v2 offset:672
	ds_load_b128 v[98:101], v2 offset:688
	s_wait_dscnt 0x2
	v_fmac_f64_e32 v[128:129], v[104:105], v[114:115]
	s_wait_loadcnt 0x2
	s_delay_alu instid0(VALU_DEP_1) | instskip(SKIP_1) | instid1(VALU_DEP_1)
	v_fmac_f64_e32 v[128:129], v[106:107], v[116:117]
	s_wait_dscnt 0x1
	v_fmac_f64_e32 v[128:129], v[108:109], v[94:95]
	s_wait_loadcnt 0x1
	s_delay_alu instid0(VALU_DEP_1) | instskip(SKIP_1) | instid1(VALU_DEP_1)
	v_fmac_f64_e32 v[128:129], v[110:111], v[96:97]
	s_wait_dscnt 0x0
	v_fmac_f64_e32 v[128:129], v[112:113], v[98:99]
	s_wait_loadcnt 0x0
	s_delay_alu instid0(VALU_DEP_1) | instskip(NEXT) | instid1(VALU_DEP_1)
	v_fmac_f64_e32 v[128:129], v[122:123], v[100:101]
	v_add_f64_e64 v[2:3], v[92:93], -v[128:129]
	scratch_store_b64 off, v[2:3], off offset:152
	s_wait_xcnt 0x0
	v_cmpx_lt_u32_e32 18, v0
	s_cbranch_execz .LBB107_237
; %bb.236:
	scratch_load_b64 v[2:3], off, off offset:144
	v_mov_b64_e32 v[92:93], 0
	scratch_store_b64 off, v[92:93], off offset:144
	s_wait_loadcnt 0x0
	ds_store_b64 v1, v[2:3]
.LBB107_237:
	s_wait_xcnt 0x0
	s_or_b32 exec_lo, exec_lo, s0
	s_wait_storecnt_dscnt 0x0
	s_barrier_signal -1
	s_barrier_wait -1
	s_clause 0x5
	scratch_load_b128 v[92:95], off, off offset:144
	scratch_load_b128 v[96:99], off, off offset:160
	scratch_load_b128 v[100:103], off, off offset:176
	scratch_load_b128 v[104:107], off, off offset:192
	scratch_load_b128 v[108:111], off, off offset:208
	scratch_load_b128 v[112:115], off, off offset:224
	v_mov_b32_e32 v2, 0
	ds_load_2addr_b64 v[116:119], v2 offset0:63 offset1:64
	ds_load_2addr_b64 v[120:123], v2 offset0:65 offset1:66
	scratch_load_b128 v[124:127], off, off offset:240
	s_mov_b32 s0, exec_lo
	s_wait_loadcnt_dscnt 0x601
	v_fma_f64 v[128:129], v[94:95], v[116:117], 0
	s_wait_loadcnt 0x5
	s_delay_alu instid0(VALU_DEP_1) | instskip(SKIP_4) | instid1(VALU_DEP_1)
	v_fmac_f64_e32 v[128:129], v[96:97], v[118:119]
	scratch_load_b128 v[94:97], off, off offset:256
	s_wait_dscnt 0x0
	v_fmac_f64_e32 v[128:129], v[98:99], v[120:121]
	s_wait_loadcnt 0x5
	v_fmac_f64_e32 v[128:129], v[100:101], v[122:123]
	ds_load_2addr_b64 v[98:101], v2 offset0:67 offset1:68
	ds_load_2addr_b64 v[116:119], v2 offset0:69 offset1:70
	s_wait_dscnt 0x1
	v_fmac_f64_e32 v[128:129], v[102:103], v[98:99]
	s_wait_loadcnt 0x4
	s_delay_alu instid0(VALU_DEP_1)
	v_fmac_f64_e32 v[128:129], v[104:105], v[100:101]
	s_clause 0x1
	scratch_load_b128 v[98:101], off, off offset:272
	scratch_load_b128 v[102:105], off, off offset:288
	s_wait_dscnt 0x0
	v_fmac_f64_e32 v[128:129], v[106:107], v[116:117]
	s_wait_loadcnt 0x5
	s_delay_alu instid0(VALU_DEP_1)
	v_fmac_f64_e32 v[128:129], v[108:109], v[118:119]
	ds_load_2addr_b64 v[106:109], v2 offset0:71 offset1:72
	ds_load_2addr_b64 v[116:119], v2 offset0:73 offset1:74
	s_wait_dscnt 0x1
	v_fmac_f64_e32 v[128:129], v[110:111], v[106:107]
	s_wait_loadcnt 0x4
	s_delay_alu instid0(VALU_DEP_1)
	v_fmac_f64_e32 v[128:129], v[112:113], v[108:109]
	s_clause 0x1
	scratch_load_b128 v[106:109], off, off offset:304
	scratch_load_b128 v[110:113], off, off offset:320
	s_wait_dscnt 0x0
	v_fmac_f64_e32 v[128:129], v[114:115], v[116:117]
	s_wait_loadcnt 0x5
	s_delay_alu instid0(VALU_DEP_1)
	v_fmac_f64_e32 v[128:129], v[124:125], v[118:119]
	ds_load_2addr_b64 v[114:117], v2 offset0:75 offset1:76
	ds_load_2addr_b64 v[118:121], v2 offset0:77 offset1:78
	s_wait_dscnt 0x1
	v_fmac_f64_e32 v[128:129], v[126:127], v[114:115]
	s_wait_loadcnt 0x4
	s_delay_alu instid0(VALU_DEP_1) | instskip(SKIP_4) | instid1(VALU_DEP_1)
	v_fmac_f64_e32 v[128:129], v[94:95], v[116:117]
	scratch_load_b128 v[114:117], off, off offset:336
	s_wait_dscnt 0x0
	v_fmac_f64_e32 v[128:129], v[96:97], v[118:119]
	s_wait_loadcnt 0x4
	v_fmac_f64_e32 v[128:129], v[98:99], v[120:121]
	ds_load_2addr_b64 v[94:97], v2 offset0:79 offset1:80
	ds_load_2addr_b64 v[118:121], v2 offset0:81 offset1:82
	s_wait_dscnt 0x1
	v_fmac_f64_e32 v[128:129], v[100:101], v[94:95]
	s_wait_loadcnt 0x3
	s_delay_alu instid0(VALU_DEP_1)
	v_fmac_f64_e32 v[128:129], v[102:103], v[96:97]
	ds_load_2addr_b64 v[94:97], v2 offset0:83 offset1:84
	ds_load_2addr_b64 v[98:101], v2 offset0:85 offset1:86
	s_wait_dscnt 0x2
	v_fmac_f64_e32 v[128:129], v[104:105], v[118:119]
	s_wait_loadcnt 0x2
	s_delay_alu instid0(VALU_DEP_1) | instskip(SKIP_1) | instid1(VALU_DEP_1)
	v_fmac_f64_e32 v[128:129], v[106:107], v[120:121]
	s_wait_dscnt 0x1
	v_fmac_f64_e32 v[128:129], v[108:109], v[94:95]
	ds_load_b64 v[94:95], v2 offset:696
	s_wait_loadcnt 0x1
	v_fmac_f64_e32 v[128:129], v[110:111], v[96:97]
	s_wait_dscnt 0x1
	s_delay_alu instid0(VALU_DEP_1) | instskip(SKIP_1) | instid1(VALU_DEP_1)
	v_fmac_f64_e32 v[128:129], v[112:113], v[98:99]
	s_wait_loadcnt 0x0
	v_fmac_f64_e32 v[128:129], v[114:115], v[100:101]
	s_wait_dscnt 0x0
	s_delay_alu instid0(VALU_DEP_1) | instskip(NEXT) | instid1(VALU_DEP_1)
	v_fmac_f64_e32 v[128:129], v[116:117], v[94:95]
	v_add_f64_e64 v[92:93], v[92:93], -v[128:129]
	scratch_store_b64 off, v[92:93], off offset:144
	s_wait_xcnt 0x0
	v_cmpx_lt_u32_e32 17, v0
	s_cbranch_execz .LBB107_239
; %bb.238:
	scratch_load_b64 v[92:93], off, off offset:136
	v_mov_b64_e32 v[94:95], 0
	scratch_store_b64 off, v[94:95], off offset:136
	s_wait_loadcnt 0x0
	ds_store_b64 v1, v[92:93]
.LBB107_239:
	s_wait_xcnt 0x0
	s_or_b32 exec_lo, exec_lo, s0
	s_wait_storecnt_dscnt 0x0
	s_barrier_signal -1
	s_barrier_wait -1
	s_clause 0x5
	scratch_load_b128 v[92:95], off, off offset:136
	scratch_load_b128 v[96:99], off, off offset:152
	;; [unrolled: 1-line block ×6, first 2 shown]
	ds_load_b128 v[116:119], v2 offset:496
	ds_load_b128 v[120:123], v2 offset:512
	scratch_load_b128 v[124:127], off, off offset:232
	s_mov_b32 s0, exec_lo
	s_wait_loadcnt_dscnt 0x601
	v_fma_f64 v[128:129], v[94:95], v[116:117], 0
	s_wait_loadcnt 0x5
	s_delay_alu instid0(VALU_DEP_1) | instskip(SKIP_4) | instid1(VALU_DEP_1)
	v_fmac_f64_e32 v[128:129], v[96:97], v[118:119]
	scratch_load_b128 v[94:97], off, off offset:248
	s_wait_dscnt 0x0
	v_fmac_f64_e32 v[128:129], v[98:99], v[120:121]
	s_wait_loadcnt 0x5
	v_fmac_f64_e32 v[128:129], v[100:101], v[122:123]
	ds_load_b128 v[98:101], v2 offset:528
	ds_load_b128 v[116:119], v2 offset:544
	scratch_load_b128 v[120:123], off, off offset:264
	s_wait_dscnt 0x1
	v_fmac_f64_e32 v[128:129], v[102:103], v[98:99]
	s_wait_loadcnt 0x5
	s_delay_alu instid0(VALU_DEP_1) | instskip(SKIP_4) | instid1(VALU_DEP_1)
	v_fmac_f64_e32 v[128:129], v[104:105], v[100:101]
	scratch_load_b128 v[98:101], off, off offset:280
	s_wait_dscnt 0x0
	v_fmac_f64_e32 v[128:129], v[106:107], v[116:117]
	s_wait_loadcnt 0x5
	v_fmac_f64_e32 v[128:129], v[108:109], v[118:119]
	ds_load_b128 v[102:105], v2 offset:560
	ds_load_b128 v[106:109], v2 offset:576
	s_wait_dscnt 0x1
	v_fmac_f64_e32 v[128:129], v[110:111], v[102:103]
	s_wait_loadcnt 0x4
	s_delay_alu instid0(VALU_DEP_1) | instskip(SKIP_4) | instid1(VALU_DEP_1)
	v_fmac_f64_e32 v[128:129], v[112:113], v[104:105]
	scratch_load_b128 v[102:105], off, off offset:296
	s_wait_dscnt 0x0
	v_fmac_f64_e32 v[128:129], v[114:115], v[106:107]
	s_wait_loadcnt 0x4
	v_fmac_f64_e32 v[128:129], v[124:125], v[108:109]
	scratch_load_b128 v[106:109], off, off offset:312
	ds_load_b128 v[110:113], v2 offset:592
	ds_load_b128 v[114:117], v2 offset:608
	scratch_load_b64 v[118:119], off, off offset:344
	s_wait_dscnt 0x1
	v_fmac_f64_e32 v[128:129], v[126:127], v[110:111]
	s_wait_loadcnt 0x5
	s_delay_alu instid0(VALU_DEP_1) | instskip(SKIP_4) | instid1(VALU_DEP_1)
	v_fmac_f64_e32 v[128:129], v[94:95], v[112:113]
	scratch_load_b128 v[110:113], off, off offset:328
	s_wait_dscnt 0x0
	v_fmac_f64_e32 v[128:129], v[96:97], v[114:115]
	s_wait_loadcnt 0x5
	v_fmac_f64_e32 v[128:129], v[120:121], v[116:117]
	ds_load_b128 v[94:97], v2 offset:624
	ds_load_b128 v[114:117], v2 offset:640
	s_wait_dscnt 0x1
	v_fmac_f64_e32 v[128:129], v[122:123], v[94:95]
	s_wait_loadcnt 0x4
	s_delay_alu instid0(VALU_DEP_1) | instskip(SKIP_1) | instid1(VALU_DEP_1)
	v_fmac_f64_e32 v[128:129], v[98:99], v[96:97]
	s_wait_dscnt 0x0
	v_fmac_f64_e32 v[128:129], v[100:101], v[114:115]
	ds_load_b128 v[94:97], v2 offset:656
	ds_load_b128 v[98:101], v2 offset:672
	s_wait_loadcnt 0x3
	v_fmac_f64_e32 v[128:129], v[102:103], v[116:117]
	s_wait_dscnt 0x1
	s_delay_alu instid0(VALU_DEP_1) | instskip(SKIP_1) | instid1(VALU_DEP_1)
	v_fmac_f64_e32 v[128:129], v[104:105], v[94:95]
	s_wait_loadcnt 0x2
	v_fmac_f64_e32 v[128:129], v[106:107], v[96:97]
	ds_load_b128 v[94:97], v2 offset:688
	s_wait_dscnt 0x1
	v_fmac_f64_e32 v[128:129], v[108:109], v[98:99]
	s_wait_loadcnt 0x0
	s_delay_alu instid0(VALU_DEP_1) | instskip(SKIP_1) | instid1(VALU_DEP_1)
	v_fmac_f64_e32 v[128:129], v[110:111], v[100:101]
	s_wait_dscnt 0x0
	v_fmac_f64_e32 v[128:129], v[112:113], v[94:95]
	s_delay_alu instid0(VALU_DEP_1) | instskip(NEXT) | instid1(VALU_DEP_1)
	v_fmac_f64_e32 v[128:129], v[118:119], v[96:97]
	v_add_f64_e64 v[2:3], v[92:93], -v[128:129]
	scratch_store_b64 off, v[2:3], off offset:136
	s_wait_xcnt 0x0
	v_cmpx_lt_u32_e32 16, v0
	s_cbranch_execz .LBB107_241
; %bb.240:
	scratch_load_b64 v[2:3], off, off offset:128
	v_mov_b64_e32 v[92:93], 0
	scratch_store_b64 off, v[92:93], off offset:128
	s_wait_loadcnt 0x0
	ds_store_b64 v1, v[2:3]
.LBB107_241:
	s_wait_xcnt 0x0
	s_or_b32 exec_lo, exec_lo, s0
	s_wait_storecnt_dscnt 0x0
	s_barrier_signal -1
	s_barrier_wait -1
	s_clause 0x5
	scratch_load_b128 v[92:95], off, off offset:128
	scratch_load_b128 v[96:99], off, off offset:144
	;; [unrolled: 1-line block ×6, first 2 shown]
	v_mov_b32_e32 v2, 0
	ds_load_2addr_b64 v[116:119], v2 offset0:61 offset1:62
	ds_load_2addr_b64 v[120:123], v2 offset0:63 offset1:64
	scratch_load_b128 v[124:127], off, off offset:224
	s_mov_b32 s0, exec_lo
	s_wait_loadcnt_dscnt 0x601
	v_fma_f64 v[128:129], v[94:95], v[116:117], 0
	s_wait_loadcnt 0x5
	s_delay_alu instid0(VALU_DEP_1) | instskip(SKIP_4) | instid1(VALU_DEP_1)
	v_fmac_f64_e32 v[128:129], v[96:97], v[118:119]
	scratch_load_b128 v[94:97], off, off offset:240
	s_wait_dscnt 0x0
	v_fmac_f64_e32 v[128:129], v[98:99], v[120:121]
	s_wait_loadcnt 0x5
	v_fmac_f64_e32 v[128:129], v[100:101], v[122:123]
	ds_load_2addr_b64 v[98:101], v2 offset0:65 offset1:66
	ds_load_2addr_b64 v[116:119], v2 offset0:67 offset1:68
	scratch_load_b128 v[120:123], off, off offset:256
	s_wait_dscnt 0x1
	v_fmac_f64_e32 v[128:129], v[102:103], v[98:99]
	s_wait_loadcnt 0x5
	s_delay_alu instid0(VALU_DEP_1) | instskip(SKIP_4) | instid1(VALU_DEP_1)
	v_fmac_f64_e32 v[128:129], v[104:105], v[100:101]
	scratch_load_b128 v[98:101], off, off offset:272
	s_wait_dscnt 0x0
	v_fmac_f64_e32 v[128:129], v[106:107], v[116:117]
	s_wait_loadcnt 0x5
	v_fmac_f64_e32 v[128:129], v[108:109], v[118:119]
	ds_load_2addr_b64 v[102:105], v2 offset0:69 offset1:70
	ds_load_2addr_b64 v[106:109], v2 offset0:71 offset1:72
	s_wait_dscnt 0x1
	v_fmac_f64_e32 v[128:129], v[110:111], v[102:103]
	s_wait_loadcnt 0x4
	s_delay_alu instid0(VALU_DEP_1) | instskip(SKIP_4) | instid1(VALU_DEP_1)
	v_fmac_f64_e32 v[128:129], v[112:113], v[104:105]
	scratch_load_b128 v[102:105], off, off offset:288
	s_wait_dscnt 0x0
	v_fmac_f64_e32 v[128:129], v[114:115], v[106:107]
	s_wait_loadcnt 0x4
	v_fmac_f64_e32 v[128:129], v[124:125], v[108:109]
	scratch_load_b128 v[106:109], off, off offset:304
	ds_load_2addr_b64 v[110:113], v2 offset0:73 offset1:74
	ds_load_2addr_b64 v[114:117], v2 offset0:75 offset1:76
	s_wait_dscnt 0x1
	v_fmac_f64_e32 v[128:129], v[126:127], v[110:111]
	s_wait_loadcnt 0x4
	s_delay_alu instid0(VALU_DEP_1)
	v_fmac_f64_e32 v[128:129], v[94:95], v[112:113]
	scratch_load_b128 v[110:113], off, off offset:320
	s_wait_dscnt 0x0
	v_fmac_f64_e32 v[128:129], v[96:97], v[114:115]
	scratch_load_b128 v[94:97], off, off offset:336
	s_wait_loadcnt 0x5
	v_fmac_f64_e32 v[128:129], v[120:121], v[116:117]
	ds_load_2addr_b64 v[114:117], v2 offset0:77 offset1:78
	ds_load_2addr_b64 v[118:121], v2 offset0:79 offset1:80
	s_wait_dscnt 0x1
	v_fmac_f64_e32 v[128:129], v[122:123], v[114:115]
	s_wait_loadcnt 0x4
	s_delay_alu instid0(VALU_DEP_1) | instskip(SKIP_1) | instid1(VALU_DEP_1)
	v_fmac_f64_e32 v[128:129], v[98:99], v[116:117]
	s_wait_dscnt 0x0
	v_fmac_f64_e32 v[128:129], v[100:101], v[118:119]
	ds_load_2addr_b64 v[98:101], v2 offset0:81 offset1:82
	ds_load_2addr_b64 v[114:117], v2 offset0:83 offset1:84
	s_wait_loadcnt 0x3
	v_fmac_f64_e32 v[128:129], v[102:103], v[120:121]
	s_wait_dscnt 0x1
	s_delay_alu instid0(VALU_DEP_1) | instskip(SKIP_1) | instid1(VALU_DEP_1)
	v_fmac_f64_e32 v[128:129], v[104:105], v[98:99]
	s_wait_loadcnt 0x2
	v_fmac_f64_e32 v[128:129], v[106:107], v[100:101]
	ds_load_2addr_b64 v[98:101], v2 offset0:85 offset1:86
	ds_load_b64 v[102:103], v2 offset:696
	s_wait_dscnt 0x2
	v_fmac_f64_e32 v[128:129], v[108:109], v[114:115]
	s_wait_loadcnt 0x1
	s_delay_alu instid0(VALU_DEP_1) | instskip(SKIP_1) | instid1(VALU_DEP_1)
	v_fmac_f64_e32 v[128:129], v[110:111], v[116:117]
	s_wait_dscnt 0x1
	v_fmac_f64_e32 v[128:129], v[112:113], v[98:99]
	s_wait_loadcnt 0x0
	s_delay_alu instid0(VALU_DEP_1) | instskip(SKIP_1) | instid1(VALU_DEP_1)
	v_fmac_f64_e32 v[128:129], v[94:95], v[100:101]
	s_wait_dscnt 0x0
	v_fmac_f64_e32 v[128:129], v[96:97], v[102:103]
	s_delay_alu instid0(VALU_DEP_1)
	v_add_f64_e64 v[92:93], v[92:93], -v[128:129]
	scratch_store_b64 off, v[92:93], off offset:128
	s_wait_xcnt 0x0
	v_cmpx_lt_u32_e32 15, v0
	s_cbranch_execz .LBB107_243
; %bb.242:
	scratch_load_b64 v[92:93], off, off offset:120
	v_mov_b64_e32 v[94:95], 0
	scratch_store_b64 off, v[94:95], off offset:120
	s_wait_loadcnt 0x0
	ds_store_b64 v1, v[92:93]
.LBB107_243:
	s_wait_xcnt 0x0
	s_or_b32 exec_lo, exec_lo, s0
	s_wait_storecnt_dscnt 0x0
	s_barrier_signal -1
	s_barrier_wait -1
	s_clause 0x5
	scratch_load_b128 v[92:95], off, off offset:120
	scratch_load_b128 v[96:99], off, off offset:136
	;; [unrolled: 1-line block ×6, first 2 shown]
	ds_load_b128 v[116:119], v2 offset:480
	ds_load_b128 v[120:123], v2 offset:496
	scratch_load_b128 v[124:127], off, off offset:216
	s_mov_b32 s0, exec_lo
	s_wait_loadcnt_dscnt 0x601
	v_fma_f64 v[128:129], v[94:95], v[116:117], 0
	s_wait_loadcnt 0x5
	s_delay_alu instid0(VALU_DEP_1) | instskip(SKIP_4) | instid1(VALU_DEP_1)
	v_fmac_f64_e32 v[128:129], v[96:97], v[118:119]
	scratch_load_b128 v[94:97], off, off offset:232
	s_wait_dscnt 0x0
	v_fmac_f64_e32 v[128:129], v[98:99], v[120:121]
	s_wait_loadcnt 0x5
	v_fmac_f64_e32 v[128:129], v[100:101], v[122:123]
	ds_load_b128 v[98:101], v2 offset:512
	ds_load_b128 v[116:119], v2 offset:528
	scratch_load_b128 v[120:123], off, off offset:248
	s_wait_dscnt 0x1
	v_fmac_f64_e32 v[128:129], v[102:103], v[98:99]
	s_wait_loadcnt 0x5
	s_delay_alu instid0(VALU_DEP_1) | instskip(SKIP_4) | instid1(VALU_DEP_1)
	v_fmac_f64_e32 v[128:129], v[104:105], v[100:101]
	scratch_load_b128 v[98:101], off, off offset:264
	s_wait_dscnt 0x0
	v_fmac_f64_e32 v[128:129], v[106:107], v[116:117]
	s_wait_loadcnt 0x5
	v_fmac_f64_e32 v[128:129], v[108:109], v[118:119]
	ds_load_b128 v[102:105], v2 offset:544
	ds_load_b128 v[106:109], v2 offset:560
	s_wait_dscnt 0x1
	v_fmac_f64_e32 v[128:129], v[110:111], v[102:103]
	s_wait_loadcnt 0x4
	s_delay_alu instid0(VALU_DEP_1) | instskip(SKIP_4) | instid1(VALU_DEP_1)
	v_fmac_f64_e32 v[128:129], v[112:113], v[104:105]
	scratch_load_b128 v[102:105], off, off offset:280
	s_wait_dscnt 0x0
	v_fmac_f64_e32 v[128:129], v[114:115], v[106:107]
	s_wait_loadcnt 0x4
	v_fmac_f64_e32 v[128:129], v[124:125], v[108:109]
	scratch_load_b128 v[106:109], off, off offset:296
	ds_load_b128 v[110:113], v2 offset:576
	ds_load_b128 v[114:117], v2 offset:592
	s_wait_dscnt 0x1
	v_fmac_f64_e32 v[128:129], v[126:127], v[110:111]
	s_wait_loadcnt 0x4
	s_delay_alu instid0(VALU_DEP_1)
	v_fmac_f64_e32 v[128:129], v[94:95], v[112:113]
	scratch_load_b128 v[110:113], off, off offset:312
	s_wait_dscnt 0x0
	v_fmac_f64_e32 v[128:129], v[96:97], v[114:115]
	scratch_load_b128 v[94:97], off, off offset:328
	s_wait_loadcnt 0x5
	v_fmac_f64_e32 v[128:129], v[120:121], v[116:117]
	ds_load_b128 v[114:117], v2 offset:608
	ds_load_b128 v[118:121], v2 offset:624
	s_wait_dscnt 0x1
	v_fmac_f64_e32 v[128:129], v[122:123], v[114:115]
	scratch_load_b64 v[122:123], off, off offset:344
	s_wait_loadcnt 0x5
	v_fmac_f64_e32 v[128:129], v[98:99], v[116:117]
	s_wait_dscnt 0x0
	s_delay_alu instid0(VALU_DEP_1)
	v_fmac_f64_e32 v[128:129], v[100:101], v[118:119]
	ds_load_b128 v[98:101], v2 offset:640
	ds_load_b128 v[114:117], v2 offset:656
	s_wait_loadcnt 0x4
	v_fmac_f64_e32 v[128:129], v[102:103], v[120:121]
	s_wait_dscnt 0x1
	s_delay_alu instid0(VALU_DEP_1) | instskip(SKIP_1) | instid1(VALU_DEP_1)
	v_fmac_f64_e32 v[128:129], v[104:105], v[98:99]
	s_wait_loadcnt 0x3
	v_fmac_f64_e32 v[128:129], v[106:107], v[100:101]
	ds_load_b128 v[98:101], v2 offset:672
	ds_load_b128 v[102:105], v2 offset:688
	s_wait_dscnt 0x2
	v_fmac_f64_e32 v[128:129], v[108:109], v[114:115]
	s_wait_loadcnt 0x2
	s_delay_alu instid0(VALU_DEP_1) | instskip(SKIP_1) | instid1(VALU_DEP_1)
	v_fmac_f64_e32 v[128:129], v[110:111], v[116:117]
	s_wait_dscnt 0x1
	v_fmac_f64_e32 v[128:129], v[112:113], v[98:99]
	s_wait_loadcnt 0x1
	s_delay_alu instid0(VALU_DEP_1) | instskip(SKIP_1) | instid1(VALU_DEP_1)
	v_fmac_f64_e32 v[128:129], v[94:95], v[100:101]
	s_wait_dscnt 0x0
	v_fmac_f64_e32 v[128:129], v[96:97], v[102:103]
	s_wait_loadcnt 0x0
	s_delay_alu instid0(VALU_DEP_1) | instskip(NEXT) | instid1(VALU_DEP_1)
	v_fmac_f64_e32 v[128:129], v[122:123], v[104:105]
	v_add_f64_e64 v[2:3], v[92:93], -v[128:129]
	scratch_store_b64 off, v[2:3], off offset:120
	s_wait_xcnt 0x0
	v_cmpx_lt_u32_e32 14, v0
	s_cbranch_execz .LBB107_245
; %bb.244:
	scratch_load_b64 v[2:3], off, off offset:112
	v_mov_b64_e32 v[92:93], 0
	scratch_store_b64 off, v[92:93], off offset:112
	s_wait_loadcnt 0x0
	ds_store_b64 v1, v[2:3]
.LBB107_245:
	s_wait_xcnt 0x0
	s_or_b32 exec_lo, exec_lo, s0
	s_wait_storecnt_dscnt 0x0
	s_barrier_signal -1
	s_barrier_wait -1
	s_clause 0x5
	scratch_load_b128 v[92:95], off, off offset:112
	scratch_load_b128 v[96:99], off, off offset:128
	;; [unrolled: 1-line block ×6, first 2 shown]
	v_mov_b32_e32 v2, 0
	ds_load_2addr_b64 v[116:119], v2 offset0:59 offset1:60
	ds_load_2addr_b64 v[120:123], v2 offset0:61 offset1:62
	scratch_load_b128 v[124:127], off, off offset:208
	s_mov_b32 s0, exec_lo
	s_wait_loadcnt_dscnt 0x601
	v_fma_f64 v[128:129], v[94:95], v[116:117], 0
	s_wait_loadcnt 0x5
	s_delay_alu instid0(VALU_DEP_1) | instskip(SKIP_4) | instid1(VALU_DEP_1)
	v_fmac_f64_e32 v[128:129], v[96:97], v[118:119]
	scratch_load_b128 v[94:97], off, off offset:224
	s_wait_dscnt 0x0
	v_fmac_f64_e32 v[128:129], v[98:99], v[120:121]
	s_wait_loadcnt 0x5
	v_fmac_f64_e32 v[128:129], v[100:101], v[122:123]
	ds_load_2addr_b64 v[98:101], v2 offset0:63 offset1:64
	ds_load_2addr_b64 v[116:119], v2 offset0:65 offset1:66
	scratch_load_b128 v[120:123], off, off offset:240
	s_wait_dscnt 0x1
	v_fmac_f64_e32 v[128:129], v[102:103], v[98:99]
	s_wait_loadcnt 0x5
	s_delay_alu instid0(VALU_DEP_1) | instskip(SKIP_4) | instid1(VALU_DEP_1)
	v_fmac_f64_e32 v[128:129], v[104:105], v[100:101]
	scratch_load_b128 v[98:101], off, off offset:256
	s_wait_dscnt 0x0
	v_fmac_f64_e32 v[128:129], v[106:107], v[116:117]
	s_wait_loadcnt 0x5
	v_fmac_f64_e32 v[128:129], v[108:109], v[118:119]
	ds_load_2addr_b64 v[102:105], v2 offset0:67 offset1:68
	ds_load_2addr_b64 v[106:109], v2 offset0:69 offset1:70
	s_wait_dscnt 0x1
	v_fmac_f64_e32 v[128:129], v[110:111], v[102:103]
	s_wait_loadcnt 0x4
	s_delay_alu instid0(VALU_DEP_1) | instskip(SKIP_4) | instid1(VALU_DEP_1)
	v_fmac_f64_e32 v[128:129], v[112:113], v[104:105]
	scratch_load_b128 v[102:105], off, off offset:272
	s_wait_dscnt 0x0
	v_fmac_f64_e32 v[128:129], v[114:115], v[106:107]
	s_wait_loadcnt 0x4
	v_fmac_f64_e32 v[128:129], v[124:125], v[108:109]
	scratch_load_b128 v[106:109], off, off offset:288
	ds_load_2addr_b64 v[110:113], v2 offset0:71 offset1:72
	ds_load_2addr_b64 v[114:117], v2 offset0:73 offset1:74
	s_wait_dscnt 0x1
	v_fmac_f64_e32 v[128:129], v[126:127], v[110:111]
	s_wait_loadcnt 0x4
	s_delay_alu instid0(VALU_DEP_1)
	v_fmac_f64_e32 v[128:129], v[94:95], v[112:113]
	scratch_load_b128 v[110:113], off, off offset:304
	s_wait_dscnt 0x0
	v_fmac_f64_e32 v[128:129], v[96:97], v[114:115]
	scratch_load_b128 v[94:97], off, off offset:320
	s_wait_loadcnt 0x5
	v_fmac_f64_e32 v[128:129], v[120:121], v[116:117]
	ds_load_2addr_b64 v[114:117], v2 offset0:75 offset1:76
	ds_load_2addr_b64 v[118:121], v2 offset0:77 offset1:78
	s_wait_dscnt 0x1
	v_fmac_f64_e32 v[128:129], v[122:123], v[114:115]
	s_wait_loadcnt 0x4
	s_delay_alu instid0(VALU_DEP_1) | instskip(SKIP_4) | instid1(VALU_DEP_1)
	v_fmac_f64_e32 v[128:129], v[98:99], v[116:117]
	scratch_load_b128 v[114:117], off, off offset:336
	s_wait_dscnt 0x0
	v_fmac_f64_e32 v[128:129], v[100:101], v[118:119]
	s_wait_loadcnt 0x4
	v_fmac_f64_e32 v[128:129], v[102:103], v[120:121]
	ds_load_2addr_b64 v[98:101], v2 offset0:79 offset1:80
	ds_load_2addr_b64 v[118:121], v2 offset0:81 offset1:82
	s_wait_dscnt 0x1
	v_fmac_f64_e32 v[128:129], v[104:105], v[98:99]
	s_wait_loadcnt 0x3
	s_delay_alu instid0(VALU_DEP_1)
	v_fmac_f64_e32 v[128:129], v[106:107], v[100:101]
	ds_load_2addr_b64 v[98:101], v2 offset0:83 offset1:84
	ds_load_2addr_b64 v[102:105], v2 offset0:85 offset1:86
	s_wait_dscnt 0x2
	v_fmac_f64_e32 v[128:129], v[108:109], v[118:119]
	s_wait_loadcnt 0x2
	s_delay_alu instid0(VALU_DEP_1) | instskip(SKIP_1) | instid1(VALU_DEP_1)
	v_fmac_f64_e32 v[128:129], v[110:111], v[120:121]
	s_wait_dscnt 0x1
	v_fmac_f64_e32 v[128:129], v[112:113], v[98:99]
	s_wait_loadcnt 0x1
	s_delay_alu instid0(VALU_DEP_1) | instskip(SKIP_4) | instid1(VALU_DEP_1)
	v_fmac_f64_e32 v[128:129], v[94:95], v[100:101]
	ds_load_b64 v[94:95], v2 offset:696
	s_wait_dscnt 0x1
	v_fmac_f64_e32 v[128:129], v[96:97], v[102:103]
	s_wait_loadcnt 0x0
	v_fmac_f64_e32 v[128:129], v[114:115], v[104:105]
	s_wait_dscnt 0x0
	s_delay_alu instid0(VALU_DEP_1) | instskip(NEXT) | instid1(VALU_DEP_1)
	v_fmac_f64_e32 v[128:129], v[116:117], v[94:95]
	v_add_f64_e64 v[92:93], v[92:93], -v[128:129]
	scratch_store_b64 off, v[92:93], off offset:112
	s_wait_xcnt 0x0
	v_cmpx_lt_u32_e32 13, v0
	s_cbranch_execz .LBB107_247
; %bb.246:
	scratch_load_b64 v[92:93], off, off offset:104
	v_mov_b64_e32 v[94:95], 0
	scratch_store_b64 off, v[94:95], off offset:104
	s_wait_loadcnt 0x0
	ds_store_b64 v1, v[92:93]
.LBB107_247:
	s_wait_xcnt 0x0
	s_or_b32 exec_lo, exec_lo, s0
	s_wait_storecnt_dscnt 0x0
	s_barrier_signal -1
	s_barrier_wait -1
	s_clause 0x5
	scratch_load_b128 v[92:95], off, off offset:104
	scratch_load_b128 v[96:99], off, off offset:120
	;; [unrolled: 1-line block ×6, first 2 shown]
	ds_load_b128 v[116:119], v2 offset:464
	ds_load_b128 v[120:123], v2 offset:480
	scratch_load_b128 v[124:127], off, off offset:200
	s_mov_b32 s0, exec_lo
	s_wait_loadcnt_dscnt 0x601
	v_fma_f64 v[128:129], v[94:95], v[116:117], 0
	s_wait_loadcnt 0x5
	s_delay_alu instid0(VALU_DEP_1) | instskip(SKIP_4) | instid1(VALU_DEP_1)
	v_fmac_f64_e32 v[128:129], v[96:97], v[118:119]
	scratch_load_b128 v[94:97], off, off offset:216
	s_wait_dscnt 0x0
	v_fmac_f64_e32 v[128:129], v[98:99], v[120:121]
	s_wait_loadcnt 0x5
	v_fmac_f64_e32 v[128:129], v[100:101], v[122:123]
	ds_load_b128 v[98:101], v2 offset:496
	ds_load_b128 v[116:119], v2 offset:512
	scratch_load_b128 v[120:123], off, off offset:232
	s_wait_dscnt 0x1
	v_fmac_f64_e32 v[128:129], v[102:103], v[98:99]
	s_wait_loadcnt 0x5
	s_delay_alu instid0(VALU_DEP_1) | instskip(SKIP_4) | instid1(VALU_DEP_1)
	v_fmac_f64_e32 v[128:129], v[104:105], v[100:101]
	scratch_load_b128 v[98:101], off, off offset:248
	s_wait_dscnt 0x0
	v_fmac_f64_e32 v[128:129], v[106:107], v[116:117]
	s_wait_loadcnt 0x5
	v_fmac_f64_e32 v[128:129], v[108:109], v[118:119]
	ds_load_b128 v[102:105], v2 offset:528
	ds_load_b128 v[106:109], v2 offset:544
	scratch_load_b128 v[116:119], off, off offset:264
	s_wait_dscnt 0x1
	v_fmac_f64_e32 v[128:129], v[110:111], v[102:103]
	s_wait_loadcnt 0x5
	s_delay_alu instid0(VALU_DEP_1) | instskip(SKIP_4) | instid1(VALU_DEP_1)
	v_fmac_f64_e32 v[128:129], v[112:113], v[104:105]
	scratch_load_b128 v[102:105], off, off offset:280
	s_wait_dscnt 0x0
	v_fmac_f64_e32 v[128:129], v[114:115], v[106:107]
	s_wait_loadcnt 0x5
	v_fmac_f64_e32 v[128:129], v[124:125], v[108:109]
	ds_load_b128 v[106:109], v2 offset:560
	ds_load_b128 v[110:113], v2 offset:576
	s_wait_dscnt 0x1
	v_fmac_f64_e32 v[128:129], v[126:127], v[106:107]
	s_wait_loadcnt 0x4
	s_delay_alu instid0(VALU_DEP_1)
	v_fmac_f64_e32 v[128:129], v[94:95], v[108:109]
	scratch_load_b128 v[106:109], off, off offset:296
	s_wait_dscnt 0x0
	v_fmac_f64_e32 v[128:129], v[96:97], v[110:111]
	scratch_load_b128 v[94:97], off, off offset:312
	s_wait_loadcnt 0x5
	v_fmac_f64_e32 v[128:129], v[120:121], v[112:113]
	ds_load_b128 v[110:113], v2 offset:592
	ds_load_b128 v[124:127], v2 offset:608
	scratch_load_b64 v[120:121], off, off offset:344
	s_wait_dscnt 0x1
	v_fmac_f64_e32 v[128:129], v[122:123], v[110:111]
	s_wait_loadcnt 0x5
	s_delay_alu instid0(VALU_DEP_1) | instskip(SKIP_4) | instid1(VALU_DEP_1)
	v_fmac_f64_e32 v[128:129], v[98:99], v[112:113]
	scratch_load_b128 v[110:113], off, off offset:328
	s_wait_dscnt 0x0
	v_fmac_f64_e32 v[128:129], v[100:101], v[124:125]
	s_wait_loadcnt 0x5
	v_fmac_f64_e32 v[128:129], v[116:117], v[126:127]
	ds_load_b128 v[98:101], v2 offset:624
	ds_load_b128 v[114:117], v2 offset:640
	s_wait_dscnt 0x1
	v_fmac_f64_e32 v[128:129], v[118:119], v[98:99]
	s_wait_loadcnt 0x4
	s_delay_alu instid0(VALU_DEP_1) | instskip(SKIP_1) | instid1(VALU_DEP_1)
	v_fmac_f64_e32 v[128:129], v[102:103], v[100:101]
	s_wait_dscnt 0x0
	v_fmac_f64_e32 v[128:129], v[104:105], v[114:115]
	ds_load_b128 v[98:101], v2 offset:656
	ds_load_b128 v[102:105], v2 offset:672
	s_wait_loadcnt 0x3
	v_fmac_f64_e32 v[128:129], v[106:107], v[116:117]
	s_wait_dscnt 0x1
	s_delay_alu instid0(VALU_DEP_1) | instskip(SKIP_1) | instid1(VALU_DEP_1)
	v_fmac_f64_e32 v[128:129], v[108:109], v[98:99]
	s_wait_loadcnt 0x2
	v_fmac_f64_e32 v[128:129], v[94:95], v[100:101]
	s_wait_dscnt 0x0
	s_delay_alu instid0(VALU_DEP_1) | instskip(SKIP_4) | instid1(VALU_DEP_1)
	v_fmac_f64_e32 v[128:129], v[96:97], v[102:103]
	ds_load_b128 v[94:97], v2 offset:688
	s_wait_loadcnt 0x0
	v_fmac_f64_e32 v[128:129], v[110:111], v[104:105]
	s_wait_dscnt 0x0
	v_fmac_f64_e32 v[128:129], v[112:113], v[94:95]
	s_delay_alu instid0(VALU_DEP_1) | instskip(NEXT) | instid1(VALU_DEP_1)
	v_fmac_f64_e32 v[128:129], v[120:121], v[96:97]
	v_add_f64_e64 v[2:3], v[92:93], -v[128:129]
	scratch_store_b64 off, v[2:3], off offset:104
	s_wait_xcnt 0x0
	v_cmpx_lt_u32_e32 12, v0
	s_cbranch_execz .LBB107_249
; %bb.248:
	scratch_load_b64 v[2:3], off, off offset:96
	v_mov_b64_e32 v[92:93], 0
	scratch_store_b64 off, v[92:93], off offset:96
	s_wait_loadcnt 0x0
	ds_store_b64 v1, v[2:3]
.LBB107_249:
	s_wait_xcnt 0x0
	s_or_b32 exec_lo, exec_lo, s0
	s_wait_storecnt_dscnt 0x0
	s_barrier_signal -1
	s_barrier_wait -1
	s_clause 0x5
	scratch_load_b128 v[92:95], off, off offset:96
	scratch_load_b128 v[96:99], off, off offset:112
	;; [unrolled: 1-line block ×6, first 2 shown]
	v_mov_b32_e32 v2, 0
	ds_load_2addr_b64 v[116:119], v2 offset0:57 offset1:58
	ds_load_2addr_b64 v[120:123], v2 offset0:59 offset1:60
	scratch_load_b128 v[124:127], off, off offset:192
	s_mov_b32 s0, exec_lo
	s_wait_loadcnt_dscnt 0x601
	v_fma_f64 v[128:129], v[94:95], v[116:117], 0
	s_wait_loadcnt 0x5
	s_delay_alu instid0(VALU_DEP_1) | instskip(SKIP_4) | instid1(VALU_DEP_1)
	v_fmac_f64_e32 v[128:129], v[96:97], v[118:119]
	scratch_load_b128 v[94:97], off, off offset:208
	s_wait_dscnt 0x0
	v_fmac_f64_e32 v[128:129], v[98:99], v[120:121]
	s_wait_loadcnt 0x5
	v_fmac_f64_e32 v[128:129], v[100:101], v[122:123]
	ds_load_2addr_b64 v[98:101], v2 offset0:61 offset1:62
	ds_load_2addr_b64 v[116:119], v2 offset0:63 offset1:64
	scratch_load_b128 v[120:123], off, off offset:224
	s_wait_dscnt 0x1
	v_fmac_f64_e32 v[128:129], v[102:103], v[98:99]
	s_wait_loadcnt 0x5
	s_delay_alu instid0(VALU_DEP_1) | instskip(SKIP_4) | instid1(VALU_DEP_1)
	v_fmac_f64_e32 v[128:129], v[104:105], v[100:101]
	scratch_load_b128 v[98:101], off, off offset:240
	s_wait_dscnt 0x0
	v_fmac_f64_e32 v[128:129], v[106:107], v[116:117]
	s_wait_loadcnt 0x5
	v_fmac_f64_e32 v[128:129], v[108:109], v[118:119]
	ds_load_2addr_b64 v[102:105], v2 offset0:65 offset1:66
	ds_load_2addr_b64 v[106:109], v2 offset0:67 offset1:68
	scratch_load_b128 v[116:119], off, off offset:256
	s_wait_dscnt 0x1
	v_fmac_f64_e32 v[128:129], v[110:111], v[102:103]
	s_wait_loadcnt 0x5
	s_delay_alu instid0(VALU_DEP_1) | instskip(SKIP_4) | instid1(VALU_DEP_1)
	v_fmac_f64_e32 v[128:129], v[112:113], v[104:105]
	scratch_load_b128 v[102:105], off, off offset:272
	s_wait_dscnt 0x0
	v_fmac_f64_e32 v[128:129], v[114:115], v[106:107]
	s_wait_loadcnt 0x5
	v_fmac_f64_e32 v[128:129], v[124:125], v[108:109]
	ds_load_2addr_b64 v[106:109], v2 offset0:69 offset1:70
	ds_load_2addr_b64 v[110:113], v2 offset0:71 offset1:72
	s_wait_dscnt 0x1
	v_fmac_f64_e32 v[128:129], v[126:127], v[106:107]
	s_wait_loadcnt 0x4
	s_delay_alu instid0(VALU_DEP_1)
	v_fmac_f64_e32 v[128:129], v[94:95], v[108:109]
	scratch_load_b128 v[106:109], off, off offset:288
	s_wait_dscnt 0x0
	v_fmac_f64_e32 v[128:129], v[96:97], v[110:111]
	scratch_load_b128 v[94:97], off, off offset:304
	s_wait_loadcnt 0x5
	v_fmac_f64_e32 v[128:129], v[120:121], v[112:113]
	ds_load_2addr_b64 v[110:113], v2 offset0:73 offset1:74
	ds_load_2addr_b64 v[124:127], v2 offset0:75 offset1:76
	s_wait_dscnt 0x1
	v_fmac_f64_e32 v[128:129], v[122:123], v[110:111]
	s_wait_loadcnt 0x4
	s_delay_alu instid0(VALU_DEP_1)
	v_fmac_f64_e32 v[128:129], v[98:99], v[112:113]
	scratch_load_b128 v[110:113], off, off offset:320
	s_wait_dscnt 0x0
	v_fmac_f64_e32 v[128:129], v[100:101], v[124:125]
	scratch_load_b128 v[98:101], off, off offset:336
	s_wait_loadcnt 0x5
	v_fmac_f64_e32 v[128:129], v[116:117], v[126:127]
	ds_load_2addr_b64 v[114:117], v2 offset0:77 offset1:78
	ds_load_2addr_b64 v[120:123], v2 offset0:79 offset1:80
	s_wait_dscnt 0x1
	v_fmac_f64_e32 v[128:129], v[118:119], v[114:115]
	s_wait_loadcnt 0x4
	s_delay_alu instid0(VALU_DEP_1) | instskip(SKIP_1) | instid1(VALU_DEP_1)
	v_fmac_f64_e32 v[128:129], v[102:103], v[116:117]
	s_wait_dscnt 0x0
	v_fmac_f64_e32 v[128:129], v[104:105], v[120:121]
	ds_load_2addr_b64 v[102:105], v2 offset0:81 offset1:82
	ds_load_2addr_b64 v[114:117], v2 offset0:83 offset1:84
	s_wait_loadcnt 0x3
	v_fmac_f64_e32 v[128:129], v[106:107], v[122:123]
	s_wait_dscnt 0x1
	s_delay_alu instid0(VALU_DEP_1) | instskip(SKIP_1) | instid1(VALU_DEP_1)
	v_fmac_f64_e32 v[128:129], v[108:109], v[102:103]
	s_wait_loadcnt 0x2
	v_fmac_f64_e32 v[128:129], v[94:95], v[104:105]
	s_wait_dscnt 0x0
	s_delay_alu instid0(VALU_DEP_1)
	v_fmac_f64_e32 v[128:129], v[96:97], v[114:115]
	ds_load_2addr_b64 v[94:97], v2 offset0:85 offset1:86
	ds_load_b64 v[102:103], v2 offset:696
	s_wait_loadcnt 0x1
	v_fmac_f64_e32 v[128:129], v[110:111], v[116:117]
	s_wait_dscnt 0x1
	s_delay_alu instid0(VALU_DEP_1) | instskip(SKIP_1) | instid1(VALU_DEP_1)
	v_fmac_f64_e32 v[128:129], v[112:113], v[94:95]
	s_wait_loadcnt 0x0
	v_fmac_f64_e32 v[128:129], v[98:99], v[96:97]
	s_wait_dscnt 0x0
	s_delay_alu instid0(VALU_DEP_1) | instskip(NEXT) | instid1(VALU_DEP_1)
	v_fmac_f64_e32 v[128:129], v[100:101], v[102:103]
	v_add_f64_e64 v[92:93], v[92:93], -v[128:129]
	scratch_store_b64 off, v[92:93], off offset:96
	s_wait_xcnt 0x0
	v_cmpx_lt_u32_e32 11, v0
	s_cbranch_execz .LBB107_251
; %bb.250:
	scratch_load_b64 v[92:93], off, off offset:88
	v_mov_b64_e32 v[94:95], 0
	scratch_store_b64 off, v[94:95], off offset:88
	s_wait_loadcnt 0x0
	ds_store_b64 v1, v[92:93]
.LBB107_251:
	s_wait_xcnt 0x0
	s_or_b32 exec_lo, exec_lo, s0
	s_wait_storecnt_dscnt 0x0
	s_barrier_signal -1
	s_barrier_wait -1
	s_clause 0x5
	scratch_load_b128 v[92:95], off, off offset:88
	scratch_load_b128 v[96:99], off, off offset:104
	;; [unrolled: 1-line block ×6, first 2 shown]
	ds_load_b128 v[116:119], v2 offset:448
	ds_load_b128 v[120:123], v2 offset:464
	scratch_load_b128 v[124:127], off, off offset:184
	s_mov_b32 s0, exec_lo
	s_wait_loadcnt_dscnt 0x601
	v_fma_f64 v[128:129], v[94:95], v[116:117], 0
	s_wait_loadcnt 0x5
	s_delay_alu instid0(VALU_DEP_1) | instskip(SKIP_4) | instid1(VALU_DEP_1)
	v_fmac_f64_e32 v[128:129], v[96:97], v[118:119]
	scratch_load_b128 v[94:97], off, off offset:200
	s_wait_dscnt 0x0
	v_fmac_f64_e32 v[128:129], v[98:99], v[120:121]
	s_wait_loadcnt 0x5
	v_fmac_f64_e32 v[128:129], v[100:101], v[122:123]
	ds_load_b128 v[98:101], v2 offset:480
	ds_load_b128 v[116:119], v2 offset:496
	scratch_load_b128 v[120:123], off, off offset:216
	s_wait_dscnt 0x1
	v_fmac_f64_e32 v[128:129], v[102:103], v[98:99]
	s_wait_loadcnt 0x5
	s_delay_alu instid0(VALU_DEP_1) | instskip(SKIP_4) | instid1(VALU_DEP_1)
	v_fmac_f64_e32 v[128:129], v[104:105], v[100:101]
	scratch_load_b128 v[98:101], off, off offset:232
	s_wait_dscnt 0x0
	v_fmac_f64_e32 v[128:129], v[106:107], v[116:117]
	s_wait_loadcnt 0x5
	v_fmac_f64_e32 v[128:129], v[108:109], v[118:119]
	ds_load_b128 v[102:105], v2 offset:512
	ds_load_b128 v[106:109], v2 offset:528
	scratch_load_b128 v[116:119], off, off offset:248
	s_wait_dscnt 0x1
	v_fmac_f64_e32 v[128:129], v[110:111], v[102:103]
	s_wait_loadcnt 0x5
	s_delay_alu instid0(VALU_DEP_1) | instskip(SKIP_4) | instid1(VALU_DEP_1)
	v_fmac_f64_e32 v[128:129], v[112:113], v[104:105]
	scratch_load_b128 v[102:105], off, off offset:264
	s_wait_dscnt 0x0
	v_fmac_f64_e32 v[128:129], v[114:115], v[106:107]
	s_wait_loadcnt 0x5
	v_fmac_f64_e32 v[128:129], v[124:125], v[108:109]
	ds_load_b128 v[106:109], v2 offset:544
	ds_load_b128 v[110:113], v2 offset:560
	s_wait_dscnt 0x1
	v_fmac_f64_e32 v[128:129], v[126:127], v[106:107]
	s_wait_loadcnt 0x4
	s_delay_alu instid0(VALU_DEP_1)
	v_fmac_f64_e32 v[128:129], v[94:95], v[108:109]
	scratch_load_b128 v[106:109], off, off offset:280
	s_wait_dscnt 0x0
	v_fmac_f64_e32 v[128:129], v[96:97], v[110:111]
	scratch_load_b128 v[94:97], off, off offset:296
	s_wait_loadcnt 0x5
	v_fmac_f64_e32 v[128:129], v[120:121], v[112:113]
	ds_load_b128 v[110:113], v2 offset:576
	ds_load_b128 v[124:127], v2 offset:592
	s_wait_dscnt 0x1
	v_fmac_f64_e32 v[128:129], v[122:123], v[110:111]
	s_wait_loadcnt 0x4
	s_delay_alu instid0(VALU_DEP_1)
	v_fmac_f64_e32 v[128:129], v[98:99], v[112:113]
	scratch_load_b128 v[110:113], off, off offset:312
	s_wait_dscnt 0x0
	v_fmac_f64_e32 v[128:129], v[100:101], v[124:125]
	scratch_load_b128 v[98:101], off, off offset:328
	s_wait_loadcnt 0x5
	v_fmac_f64_e32 v[128:129], v[116:117], v[126:127]
	ds_load_b128 v[114:117], v2 offset:608
	ds_load_b128 v[120:123], v2 offset:624
	s_wait_dscnt 0x1
	v_fmac_f64_e32 v[128:129], v[118:119], v[114:115]
	scratch_load_b64 v[118:119], off, off offset:344
	s_wait_loadcnt 0x5
	v_fmac_f64_e32 v[128:129], v[102:103], v[116:117]
	s_wait_dscnt 0x0
	s_delay_alu instid0(VALU_DEP_1)
	v_fmac_f64_e32 v[128:129], v[104:105], v[120:121]
	ds_load_b128 v[102:105], v2 offset:640
	ds_load_b128 v[114:117], v2 offset:656
	s_wait_loadcnt 0x4
	v_fmac_f64_e32 v[128:129], v[106:107], v[122:123]
	s_wait_dscnt 0x1
	s_delay_alu instid0(VALU_DEP_1) | instskip(SKIP_1) | instid1(VALU_DEP_1)
	v_fmac_f64_e32 v[128:129], v[108:109], v[102:103]
	s_wait_loadcnt 0x3
	v_fmac_f64_e32 v[128:129], v[94:95], v[104:105]
	s_wait_dscnt 0x0
	s_delay_alu instid0(VALU_DEP_1)
	v_fmac_f64_e32 v[128:129], v[96:97], v[114:115]
	ds_load_b128 v[94:97], v2 offset:672
	ds_load_b128 v[102:105], v2 offset:688
	s_wait_loadcnt 0x2
	v_fmac_f64_e32 v[128:129], v[110:111], v[116:117]
	s_wait_dscnt 0x1
	s_delay_alu instid0(VALU_DEP_1) | instskip(SKIP_1) | instid1(VALU_DEP_1)
	v_fmac_f64_e32 v[128:129], v[112:113], v[94:95]
	s_wait_loadcnt 0x1
	v_fmac_f64_e32 v[128:129], v[98:99], v[96:97]
	s_wait_dscnt 0x0
	s_delay_alu instid0(VALU_DEP_1) | instskip(SKIP_1) | instid1(VALU_DEP_1)
	v_fmac_f64_e32 v[128:129], v[100:101], v[102:103]
	s_wait_loadcnt 0x0
	v_fmac_f64_e32 v[128:129], v[118:119], v[104:105]
	s_delay_alu instid0(VALU_DEP_1)
	v_add_f64_e64 v[2:3], v[92:93], -v[128:129]
	scratch_store_b64 off, v[2:3], off offset:88
	s_wait_xcnt 0x0
	v_cmpx_lt_u32_e32 10, v0
	s_cbranch_execz .LBB107_253
; %bb.252:
	scratch_load_b64 v[2:3], off, off offset:80
	v_mov_b64_e32 v[92:93], 0
	scratch_store_b64 off, v[92:93], off offset:80
	s_wait_loadcnt 0x0
	ds_store_b64 v1, v[2:3]
.LBB107_253:
	s_wait_xcnt 0x0
	s_or_b32 exec_lo, exec_lo, s0
	s_wait_storecnt_dscnt 0x0
	s_barrier_signal -1
	s_barrier_wait -1
	s_clause 0x5
	scratch_load_b128 v[92:95], off, off offset:80
	scratch_load_b128 v[96:99], off, off offset:96
	;; [unrolled: 1-line block ×6, first 2 shown]
	v_mov_b32_e32 v2, 0
	ds_load_2addr_b64 v[116:119], v2 offset0:55 offset1:56
	ds_load_2addr_b64 v[120:123], v2 offset0:57 offset1:58
	scratch_load_b128 v[124:127], off, off offset:176
	s_mov_b32 s0, exec_lo
	s_wait_loadcnt_dscnt 0x601
	v_fma_f64 v[128:129], v[94:95], v[116:117], 0
	s_wait_loadcnt 0x5
	s_delay_alu instid0(VALU_DEP_1) | instskip(SKIP_4) | instid1(VALU_DEP_1)
	v_fmac_f64_e32 v[128:129], v[96:97], v[118:119]
	scratch_load_b128 v[94:97], off, off offset:192
	s_wait_dscnt 0x0
	v_fmac_f64_e32 v[128:129], v[98:99], v[120:121]
	s_wait_loadcnt 0x5
	v_fmac_f64_e32 v[128:129], v[100:101], v[122:123]
	ds_load_2addr_b64 v[98:101], v2 offset0:59 offset1:60
	ds_load_2addr_b64 v[116:119], v2 offset0:61 offset1:62
	scratch_load_b128 v[120:123], off, off offset:208
	s_wait_dscnt 0x1
	v_fmac_f64_e32 v[128:129], v[102:103], v[98:99]
	s_wait_loadcnt 0x5
	s_delay_alu instid0(VALU_DEP_1) | instskip(SKIP_4) | instid1(VALU_DEP_1)
	v_fmac_f64_e32 v[128:129], v[104:105], v[100:101]
	scratch_load_b128 v[98:101], off, off offset:224
	s_wait_dscnt 0x0
	v_fmac_f64_e32 v[128:129], v[106:107], v[116:117]
	s_wait_loadcnt 0x5
	v_fmac_f64_e32 v[128:129], v[108:109], v[118:119]
	ds_load_2addr_b64 v[102:105], v2 offset0:63 offset1:64
	ds_load_2addr_b64 v[106:109], v2 offset0:65 offset1:66
	scratch_load_b128 v[116:119], off, off offset:240
	s_wait_dscnt 0x1
	v_fmac_f64_e32 v[128:129], v[110:111], v[102:103]
	s_wait_loadcnt 0x5
	s_delay_alu instid0(VALU_DEP_1) | instskip(SKIP_4) | instid1(VALU_DEP_1)
	v_fmac_f64_e32 v[128:129], v[112:113], v[104:105]
	scratch_load_b128 v[102:105], off, off offset:256
	s_wait_dscnt 0x0
	v_fmac_f64_e32 v[128:129], v[114:115], v[106:107]
	s_wait_loadcnt 0x5
	v_fmac_f64_e32 v[128:129], v[124:125], v[108:109]
	ds_load_2addr_b64 v[106:109], v2 offset0:67 offset1:68
	ds_load_2addr_b64 v[110:113], v2 offset0:69 offset1:70
	s_wait_dscnt 0x1
	v_fmac_f64_e32 v[128:129], v[126:127], v[106:107]
	s_wait_loadcnt 0x4
	s_delay_alu instid0(VALU_DEP_1)
	v_fmac_f64_e32 v[128:129], v[94:95], v[108:109]
	scratch_load_b128 v[106:109], off, off offset:272
	s_wait_dscnt 0x0
	v_fmac_f64_e32 v[128:129], v[96:97], v[110:111]
	scratch_load_b128 v[94:97], off, off offset:288
	s_wait_loadcnt 0x5
	v_fmac_f64_e32 v[128:129], v[120:121], v[112:113]
	ds_load_2addr_b64 v[110:113], v2 offset0:71 offset1:72
	ds_load_2addr_b64 v[124:127], v2 offset0:73 offset1:74
	s_wait_dscnt 0x1
	v_fmac_f64_e32 v[128:129], v[122:123], v[110:111]
	s_wait_loadcnt 0x4
	s_delay_alu instid0(VALU_DEP_1)
	v_fmac_f64_e32 v[128:129], v[98:99], v[112:113]
	scratch_load_b128 v[110:113], off, off offset:304
	s_wait_dscnt 0x0
	v_fmac_f64_e32 v[128:129], v[100:101], v[124:125]
	scratch_load_b128 v[98:101], off, off offset:320
	s_wait_loadcnt 0x5
	v_fmac_f64_e32 v[128:129], v[116:117], v[126:127]
	ds_load_2addr_b64 v[114:117], v2 offset0:75 offset1:76
	ds_load_2addr_b64 v[120:123], v2 offset0:77 offset1:78
	s_wait_dscnt 0x1
	v_fmac_f64_e32 v[128:129], v[118:119], v[114:115]
	s_wait_loadcnt 0x4
	s_delay_alu instid0(VALU_DEP_1)
	v_fmac_f64_e32 v[128:129], v[102:103], v[116:117]
	scratch_load_b128 v[114:117], off, off offset:336
	s_wait_dscnt 0x0
	v_fmac_f64_e32 v[128:129], v[104:105], v[120:121]
	ds_load_2addr_b64 v[102:105], v2 offset0:79 offset1:80
	ds_load_2addr_b64 v[118:121], v2 offset0:81 offset1:82
	s_wait_loadcnt 0x4
	v_fmac_f64_e32 v[128:129], v[106:107], v[122:123]
	s_wait_dscnt 0x1
	s_delay_alu instid0(VALU_DEP_1) | instskip(SKIP_1) | instid1(VALU_DEP_1)
	v_fmac_f64_e32 v[128:129], v[108:109], v[102:103]
	s_wait_loadcnt 0x3
	v_fmac_f64_e32 v[128:129], v[94:95], v[104:105]
	s_wait_dscnt 0x0
	s_delay_alu instid0(VALU_DEP_1)
	v_fmac_f64_e32 v[128:129], v[96:97], v[118:119]
	ds_load_2addr_b64 v[94:97], v2 offset0:83 offset1:84
	ds_load_2addr_b64 v[102:105], v2 offset0:85 offset1:86
	s_wait_loadcnt 0x2
	v_fmac_f64_e32 v[128:129], v[110:111], v[120:121]
	s_wait_dscnt 0x1
	s_delay_alu instid0(VALU_DEP_1) | instskip(SKIP_4) | instid1(VALU_DEP_1)
	v_fmac_f64_e32 v[128:129], v[112:113], v[94:95]
	ds_load_b64 v[94:95], v2 offset:696
	s_wait_loadcnt 0x1
	v_fmac_f64_e32 v[128:129], v[98:99], v[96:97]
	s_wait_dscnt 0x1
	v_fmac_f64_e32 v[128:129], v[100:101], v[102:103]
	s_wait_loadcnt 0x0
	s_delay_alu instid0(VALU_DEP_1) | instskip(SKIP_1) | instid1(VALU_DEP_1)
	v_fmac_f64_e32 v[128:129], v[114:115], v[104:105]
	s_wait_dscnt 0x0
	v_fmac_f64_e32 v[128:129], v[116:117], v[94:95]
	s_delay_alu instid0(VALU_DEP_1)
	v_add_f64_e64 v[92:93], v[92:93], -v[128:129]
	scratch_store_b64 off, v[92:93], off offset:80
	s_wait_xcnt 0x0
	v_cmpx_lt_u32_e32 9, v0
	s_cbranch_execz .LBB107_255
; %bb.254:
	scratch_load_b64 v[92:93], off, off offset:72
	v_mov_b64_e32 v[94:95], 0
	scratch_store_b64 off, v[94:95], off offset:72
	s_wait_loadcnt 0x0
	ds_store_b64 v1, v[92:93]
.LBB107_255:
	s_wait_xcnt 0x0
	s_or_b32 exec_lo, exec_lo, s0
	s_wait_storecnt_dscnt 0x0
	s_barrier_signal -1
	s_barrier_wait -1
	s_clause 0x5
	scratch_load_b128 v[92:95], off, off offset:72
	scratch_load_b128 v[96:99], off, off offset:88
	;; [unrolled: 1-line block ×6, first 2 shown]
	ds_load_b128 v[116:119], v2 offset:432
	ds_load_b128 v[120:123], v2 offset:448
	scratch_load_b128 v[124:127], off, off offset:168
	s_mov_b32 s0, exec_lo
	s_wait_loadcnt_dscnt 0x601
	v_fma_f64 v[128:129], v[94:95], v[116:117], 0
	s_wait_loadcnt 0x5
	s_delay_alu instid0(VALU_DEP_1) | instskip(SKIP_4) | instid1(VALU_DEP_1)
	v_fmac_f64_e32 v[128:129], v[96:97], v[118:119]
	scratch_load_b128 v[94:97], off, off offset:184
	s_wait_dscnt 0x0
	v_fmac_f64_e32 v[128:129], v[98:99], v[120:121]
	s_wait_loadcnt 0x5
	v_fmac_f64_e32 v[128:129], v[100:101], v[122:123]
	ds_load_b128 v[98:101], v2 offset:464
	ds_load_b128 v[116:119], v2 offset:480
	scratch_load_b128 v[120:123], off, off offset:200
	s_wait_dscnt 0x1
	v_fmac_f64_e32 v[128:129], v[102:103], v[98:99]
	s_wait_loadcnt 0x5
	s_delay_alu instid0(VALU_DEP_1) | instskip(SKIP_4) | instid1(VALU_DEP_1)
	v_fmac_f64_e32 v[128:129], v[104:105], v[100:101]
	scratch_load_b128 v[98:101], off, off offset:216
	s_wait_dscnt 0x0
	v_fmac_f64_e32 v[128:129], v[106:107], v[116:117]
	s_wait_loadcnt 0x5
	v_fmac_f64_e32 v[128:129], v[108:109], v[118:119]
	ds_load_b128 v[102:105], v2 offset:496
	ds_load_b128 v[106:109], v2 offset:512
	scratch_load_b128 v[116:119], off, off offset:232
	s_wait_dscnt 0x1
	v_fmac_f64_e32 v[128:129], v[110:111], v[102:103]
	s_wait_loadcnt 0x5
	s_delay_alu instid0(VALU_DEP_1) | instskip(SKIP_4) | instid1(VALU_DEP_1)
	v_fmac_f64_e32 v[128:129], v[112:113], v[104:105]
	scratch_load_b128 v[102:105], off, off offset:248
	s_wait_dscnt 0x0
	v_fmac_f64_e32 v[128:129], v[114:115], v[106:107]
	s_wait_loadcnt 0x5
	v_fmac_f64_e32 v[128:129], v[124:125], v[108:109]
	ds_load_b128 v[106:109], v2 offset:528
	ds_load_b128 v[110:113], v2 offset:544
	s_wait_dscnt 0x1
	v_fmac_f64_e32 v[128:129], v[126:127], v[106:107]
	scratch_load_b128 v[124:127], off, off offset:264
	s_wait_loadcnt 0x5
	v_fmac_f64_e32 v[128:129], v[94:95], v[108:109]
	s_wait_dscnt 0x0
	s_delay_alu instid0(VALU_DEP_1)
	v_fmac_f64_e32 v[128:129], v[96:97], v[110:111]
	scratch_load_b128 v[94:97], off, off offset:280
	s_wait_loadcnt 0x5
	v_fmac_f64_e32 v[128:129], v[120:121], v[112:113]
	ds_load_b128 v[106:109], v2 offset:560
	ds_load_b128 v[110:113], v2 offset:576
	s_wait_dscnt 0x1
	v_fmac_f64_e32 v[128:129], v[122:123], v[106:107]
	s_wait_loadcnt 0x4
	s_delay_alu instid0(VALU_DEP_1)
	v_fmac_f64_e32 v[128:129], v[98:99], v[108:109]
	scratch_load_b128 v[106:109], off, off offset:296
	s_wait_dscnt 0x0
	v_fmac_f64_e32 v[128:129], v[100:101], v[110:111]
	scratch_load_b128 v[98:101], off, off offset:312
	s_wait_loadcnt 0x5
	v_fmac_f64_e32 v[128:129], v[116:117], v[112:113]
	ds_load_b128 v[110:113], v2 offset:592
	ds_load_b128 v[114:117], v2 offset:608
	s_wait_dscnt 0x1
	v_fmac_f64_e32 v[128:129], v[118:119], v[110:111]
	scratch_load_b64 v[118:119], off, off offset:344
	s_wait_loadcnt 0x5
	v_fmac_f64_e32 v[128:129], v[102:103], v[112:113]
	scratch_load_b128 v[110:113], off, off offset:328
	s_wait_dscnt 0x0
	v_fmac_f64_e32 v[128:129], v[104:105], v[114:115]
	s_wait_loadcnt 0x5
	s_delay_alu instid0(VALU_DEP_1)
	v_fmac_f64_e32 v[128:129], v[124:125], v[116:117]
	ds_load_b128 v[102:105], v2 offset:624
	ds_load_b128 v[114:117], v2 offset:640
	s_wait_dscnt 0x1
	v_fmac_f64_e32 v[128:129], v[126:127], v[102:103]
	s_wait_loadcnt 0x4
	s_delay_alu instid0(VALU_DEP_1) | instskip(SKIP_1) | instid1(VALU_DEP_1)
	v_fmac_f64_e32 v[128:129], v[94:95], v[104:105]
	s_wait_dscnt 0x0
	v_fmac_f64_e32 v[128:129], v[96:97], v[114:115]
	ds_load_b128 v[94:97], v2 offset:656
	ds_load_b128 v[102:105], v2 offset:672
	s_wait_loadcnt 0x3
	v_fmac_f64_e32 v[128:129], v[106:107], v[116:117]
	s_wait_dscnt 0x1
	s_delay_alu instid0(VALU_DEP_1) | instskip(SKIP_1) | instid1(VALU_DEP_1)
	v_fmac_f64_e32 v[128:129], v[108:109], v[94:95]
	s_wait_loadcnt 0x2
	v_fmac_f64_e32 v[128:129], v[98:99], v[96:97]
	ds_load_b128 v[94:97], v2 offset:688
	s_wait_dscnt 0x1
	v_fmac_f64_e32 v[128:129], v[100:101], v[102:103]
	s_wait_loadcnt 0x0
	s_delay_alu instid0(VALU_DEP_1) | instskip(SKIP_1) | instid1(VALU_DEP_1)
	v_fmac_f64_e32 v[128:129], v[110:111], v[104:105]
	s_wait_dscnt 0x0
	v_fmac_f64_e32 v[128:129], v[112:113], v[94:95]
	s_delay_alu instid0(VALU_DEP_1) | instskip(NEXT) | instid1(VALU_DEP_1)
	v_fmac_f64_e32 v[128:129], v[118:119], v[96:97]
	v_add_f64_e64 v[2:3], v[92:93], -v[128:129]
	scratch_store_b64 off, v[2:3], off offset:72
	s_wait_xcnt 0x0
	v_cmpx_lt_u32_e32 8, v0
	s_cbranch_execz .LBB107_257
; %bb.256:
	scratch_load_b64 v[2:3], off, off offset:64
	v_mov_b64_e32 v[92:93], 0
	scratch_store_b64 off, v[92:93], off offset:64
	s_wait_loadcnt 0x0
	ds_store_b64 v1, v[2:3]
.LBB107_257:
	s_wait_xcnt 0x0
	s_or_b32 exec_lo, exec_lo, s0
	s_wait_storecnt_dscnt 0x0
	s_barrier_signal -1
	s_barrier_wait -1
	s_clause 0x5
	scratch_load_b128 v[92:95], off, off offset:64
	scratch_load_b128 v[96:99], off, off offset:80
	;; [unrolled: 1-line block ×6, first 2 shown]
	v_mov_b32_e32 v2, 0
	ds_load_2addr_b64 v[116:119], v2 offset0:53 offset1:54
	ds_load_2addr_b64 v[120:123], v2 offset0:55 offset1:56
	scratch_load_b128 v[124:127], off, off offset:160
	s_mov_b32 s0, exec_lo
	s_wait_loadcnt_dscnt 0x601
	v_fma_f64 v[128:129], v[94:95], v[116:117], 0
	s_wait_loadcnt 0x5
	s_delay_alu instid0(VALU_DEP_1) | instskip(SKIP_4) | instid1(VALU_DEP_1)
	v_fmac_f64_e32 v[128:129], v[96:97], v[118:119]
	scratch_load_b128 v[94:97], off, off offset:176
	s_wait_dscnt 0x0
	v_fmac_f64_e32 v[128:129], v[98:99], v[120:121]
	s_wait_loadcnt 0x5
	v_fmac_f64_e32 v[128:129], v[100:101], v[122:123]
	ds_load_2addr_b64 v[98:101], v2 offset0:57 offset1:58
	ds_load_2addr_b64 v[116:119], v2 offset0:59 offset1:60
	scratch_load_b128 v[120:123], off, off offset:192
	s_wait_dscnt 0x1
	v_fmac_f64_e32 v[128:129], v[102:103], v[98:99]
	s_wait_loadcnt 0x5
	s_delay_alu instid0(VALU_DEP_1) | instskip(SKIP_4) | instid1(VALU_DEP_1)
	v_fmac_f64_e32 v[128:129], v[104:105], v[100:101]
	scratch_load_b128 v[98:101], off, off offset:208
	s_wait_dscnt 0x0
	v_fmac_f64_e32 v[128:129], v[106:107], v[116:117]
	s_wait_loadcnt 0x5
	v_fmac_f64_e32 v[128:129], v[108:109], v[118:119]
	ds_load_2addr_b64 v[102:105], v2 offset0:61 offset1:62
	ds_load_2addr_b64 v[106:109], v2 offset0:63 offset1:64
	scratch_load_b128 v[116:119], off, off offset:224
	s_wait_dscnt 0x1
	v_fmac_f64_e32 v[128:129], v[110:111], v[102:103]
	s_wait_loadcnt 0x5
	s_delay_alu instid0(VALU_DEP_1) | instskip(SKIP_4) | instid1(VALU_DEP_1)
	v_fmac_f64_e32 v[128:129], v[112:113], v[104:105]
	scratch_load_b128 v[102:105], off, off offset:240
	s_wait_dscnt 0x0
	v_fmac_f64_e32 v[128:129], v[114:115], v[106:107]
	s_wait_loadcnt 0x5
	v_fmac_f64_e32 v[128:129], v[124:125], v[108:109]
	ds_load_2addr_b64 v[106:109], v2 offset0:65 offset1:66
	ds_load_2addr_b64 v[110:113], v2 offset0:67 offset1:68
	s_wait_dscnt 0x1
	v_fmac_f64_e32 v[128:129], v[126:127], v[106:107]
	scratch_load_b128 v[124:127], off, off offset:256
	s_wait_loadcnt 0x5
	v_fmac_f64_e32 v[128:129], v[94:95], v[108:109]
	s_wait_dscnt 0x0
	s_delay_alu instid0(VALU_DEP_1)
	v_fmac_f64_e32 v[128:129], v[96:97], v[110:111]
	scratch_load_b128 v[94:97], off, off offset:272
	s_wait_loadcnt 0x5
	v_fmac_f64_e32 v[128:129], v[120:121], v[112:113]
	ds_load_2addr_b64 v[106:109], v2 offset0:69 offset1:70
	ds_load_2addr_b64 v[110:113], v2 offset0:71 offset1:72
	s_wait_dscnt 0x1
	v_fmac_f64_e32 v[128:129], v[122:123], v[106:107]
	s_wait_loadcnt 0x4
	s_delay_alu instid0(VALU_DEP_1)
	v_fmac_f64_e32 v[128:129], v[98:99], v[108:109]
	scratch_load_b128 v[106:109], off, off offset:288
	s_wait_dscnt 0x0
	v_fmac_f64_e32 v[128:129], v[100:101], v[110:111]
	scratch_load_b128 v[98:101], off, off offset:304
	s_wait_loadcnt 0x5
	v_fmac_f64_e32 v[128:129], v[116:117], v[112:113]
	ds_load_2addr_b64 v[110:113], v2 offset0:73 offset1:74
	ds_load_2addr_b64 v[114:117], v2 offset0:75 offset1:76
	s_wait_dscnt 0x1
	v_fmac_f64_e32 v[128:129], v[118:119], v[110:111]
	s_wait_loadcnt 0x4
	s_delay_alu instid0(VALU_DEP_1)
	v_fmac_f64_e32 v[128:129], v[102:103], v[112:113]
	scratch_load_b128 v[110:113], off, off offset:320
	s_wait_dscnt 0x0
	v_fmac_f64_e32 v[128:129], v[104:105], v[114:115]
	scratch_load_b128 v[102:105], off, off offset:336
	s_wait_loadcnt 0x5
	v_fmac_f64_e32 v[128:129], v[124:125], v[116:117]
	ds_load_2addr_b64 v[114:117], v2 offset0:77 offset1:78
	ds_load_2addr_b64 v[118:121], v2 offset0:79 offset1:80
	s_wait_dscnt 0x1
	v_fmac_f64_e32 v[128:129], v[126:127], v[114:115]
	s_wait_loadcnt 0x4
	s_delay_alu instid0(VALU_DEP_1) | instskip(SKIP_1) | instid1(VALU_DEP_1)
	v_fmac_f64_e32 v[128:129], v[94:95], v[116:117]
	s_wait_dscnt 0x0
	v_fmac_f64_e32 v[128:129], v[96:97], v[118:119]
	ds_load_2addr_b64 v[94:97], v2 offset0:81 offset1:82
	ds_load_2addr_b64 v[114:117], v2 offset0:83 offset1:84
	s_wait_loadcnt 0x3
	v_fmac_f64_e32 v[128:129], v[106:107], v[120:121]
	s_wait_dscnt 0x1
	s_delay_alu instid0(VALU_DEP_1) | instskip(SKIP_1) | instid1(VALU_DEP_1)
	v_fmac_f64_e32 v[128:129], v[108:109], v[94:95]
	s_wait_loadcnt 0x2
	v_fmac_f64_e32 v[128:129], v[98:99], v[96:97]
	ds_load_2addr_b64 v[94:97], v2 offset0:85 offset1:86
	ds_load_b64 v[98:99], v2 offset:696
	s_wait_dscnt 0x2
	v_fmac_f64_e32 v[128:129], v[100:101], v[114:115]
	s_wait_loadcnt 0x1
	s_delay_alu instid0(VALU_DEP_1) | instskip(SKIP_1) | instid1(VALU_DEP_1)
	v_fmac_f64_e32 v[128:129], v[110:111], v[116:117]
	s_wait_dscnt 0x1
	v_fmac_f64_e32 v[128:129], v[112:113], v[94:95]
	s_wait_loadcnt 0x0
	s_delay_alu instid0(VALU_DEP_1) | instskip(SKIP_1) | instid1(VALU_DEP_1)
	v_fmac_f64_e32 v[128:129], v[102:103], v[96:97]
	s_wait_dscnt 0x0
	v_fmac_f64_e32 v[128:129], v[104:105], v[98:99]
	s_delay_alu instid0(VALU_DEP_1)
	v_add_f64_e64 v[92:93], v[92:93], -v[128:129]
	scratch_store_b64 off, v[92:93], off offset:64
	s_wait_xcnt 0x0
	v_cmpx_lt_u32_e32 7, v0
	s_cbranch_execz .LBB107_259
; %bb.258:
	scratch_load_b64 v[92:93], off, off offset:56
	v_mov_b64_e32 v[94:95], 0
	scratch_store_b64 off, v[94:95], off offset:56
	s_wait_loadcnt 0x0
	ds_store_b64 v1, v[92:93]
.LBB107_259:
	s_wait_xcnt 0x0
	s_or_b32 exec_lo, exec_lo, s0
	s_wait_storecnt_dscnt 0x0
	s_barrier_signal -1
	s_barrier_wait -1
	s_clause 0x5
	scratch_load_b128 v[92:95], off, off offset:56
	scratch_load_b128 v[96:99], off, off offset:72
	;; [unrolled: 1-line block ×6, first 2 shown]
	ds_load_b128 v[116:119], v2 offset:416
	ds_load_b128 v[120:123], v2 offset:432
	scratch_load_b128 v[124:127], off, off offset:152
	s_mov_b32 s0, exec_lo
	s_wait_loadcnt_dscnt 0x601
	v_fma_f64 v[128:129], v[94:95], v[116:117], 0
	s_wait_loadcnt 0x5
	s_delay_alu instid0(VALU_DEP_1) | instskip(SKIP_4) | instid1(VALU_DEP_1)
	v_fmac_f64_e32 v[128:129], v[96:97], v[118:119]
	scratch_load_b128 v[94:97], off, off offset:168
	s_wait_dscnt 0x0
	v_fmac_f64_e32 v[128:129], v[98:99], v[120:121]
	s_wait_loadcnt 0x5
	v_fmac_f64_e32 v[128:129], v[100:101], v[122:123]
	ds_load_b128 v[98:101], v2 offset:448
	ds_load_b128 v[116:119], v2 offset:464
	scratch_load_b128 v[120:123], off, off offset:184
	s_wait_dscnt 0x1
	v_fmac_f64_e32 v[128:129], v[102:103], v[98:99]
	s_wait_loadcnt 0x5
	s_delay_alu instid0(VALU_DEP_1) | instskip(SKIP_4) | instid1(VALU_DEP_1)
	v_fmac_f64_e32 v[128:129], v[104:105], v[100:101]
	scratch_load_b128 v[98:101], off, off offset:200
	s_wait_dscnt 0x0
	v_fmac_f64_e32 v[128:129], v[106:107], v[116:117]
	s_wait_loadcnt 0x5
	v_fmac_f64_e32 v[128:129], v[108:109], v[118:119]
	ds_load_b128 v[102:105], v2 offset:480
	ds_load_b128 v[106:109], v2 offset:496
	scratch_load_b128 v[116:119], off, off offset:216
	s_wait_dscnt 0x1
	v_fmac_f64_e32 v[128:129], v[110:111], v[102:103]
	s_wait_loadcnt 0x5
	s_delay_alu instid0(VALU_DEP_1) | instskip(SKIP_4) | instid1(VALU_DEP_1)
	v_fmac_f64_e32 v[128:129], v[112:113], v[104:105]
	scratch_load_b128 v[102:105], off, off offset:232
	s_wait_dscnt 0x0
	v_fmac_f64_e32 v[128:129], v[114:115], v[106:107]
	s_wait_loadcnt 0x5
	v_fmac_f64_e32 v[128:129], v[124:125], v[108:109]
	ds_load_b128 v[106:109], v2 offset:512
	ds_load_b128 v[110:113], v2 offset:528
	s_wait_dscnt 0x1
	v_fmac_f64_e32 v[128:129], v[126:127], v[106:107]
	scratch_load_b128 v[124:127], off, off offset:248
	s_wait_loadcnt 0x5
	v_fmac_f64_e32 v[128:129], v[94:95], v[108:109]
	s_wait_dscnt 0x0
	s_delay_alu instid0(VALU_DEP_1)
	v_fmac_f64_e32 v[128:129], v[96:97], v[110:111]
	scratch_load_b128 v[94:97], off, off offset:264
	s_wait_loadcnt 0x5
	v_fmac_f64_e32 v[128:129], v[120:121], v[112:113]
	ds_load_b128 v[106:109], v2 offset:544
	ds_load_b128 v[110:113], v2 offset:560
	s_wait_dscnt 0x1
	v_fmac_f64_e32 v[128:129], v[122:123], v[106:107]
	s_wait_loadcnt 0x4
	s_delay_alu instid0(VALU_DEP_1)
	v_fmac_f64_e32 v[128:129], v[98:99], v[108:109]
	scratch_load_b128 v[106:109], off, off offset:280
	s_wait_dscnt 0x0
	v_fmac_f64_e32 v[128:129], v[100:101], v[110:111]
	scratch_load_b128 v[98:101], off, off offset:296
	s_wait_loadcnt 0x5
	v_fmac_f64_e32 v[128:129], v[116:117], v[112:113]
	ds_load_b128 v[110:113], v2 offset:576
	ds_load_b128 v[114:117], v2 offset:592
	s_wait_dscnt 0x1
	v_fmac_f64_e32 v[128:129], v[118:119], v[110:111]
	s_wait_loadcnt 0x4
	s_delay_alu instid0(VALU_DEP_1)
	v_fmac_f64_e32 v[128:129], v[102:103], v[112:113]
	scratch_load_b128 v[110:113], off, off offset:312
	s_wait_dscnt 0x0
	v_fmac_f64_e32 v[128:129], v[104:105], v[114:115]
	scratch_load_b128 v[102:105], off, off offset:328
	s_wait_loadcnt 0x5
	v_fmac_f64_e32 v[128:129], v[124:125], v[116:117]
	ds_load_b128 v[114:117], v2 offset:608
	ds_load_b128 v[118:121], v2 offset:624
	scratch_load_b64 v[122:123], off, off offset:344
	s_wait_dscnt 0x1
	v_fmac_f64_e32 v[128:129], v[126:127], v[114:115]
	s_wait_loadcnt 0x5
	s_delay_alu instid0(VALU_DEP_1) | instskip(SKIP_1) | instid1(VALU_DEP_1)
	v_fmac_f64_e32 v[128:129], v[94:95], v[116:117]
	s_wait_dscnt 0x0
	v_fmac_f64_e32 v[128:129], v[96:97], v[118:119]
	ds_load_b128 v[94:97], v2 offset:640
	ds_load_b128 v[114:117], v2 offset:656
	s_wait_loadcnt 0x4
	v_fmac_f64_e32 v[128:129], v[106:107], v[120:121]
	s_wait_dscnt 0x1
	s_delay_alu instid0(VALU_DEP_1) | instskip(SKIP_1) | instid1(VALU_DEP_1)
	v_fmac_f64_e32 v[128:129], v[108:109], v[94:95]
	s_wait_loadcnt 0x3
	v_fmac_f64_e32 v[128:129], v[98:99], v[96:97]
	s_wait_dscnt 0x0
	s_delay_alu instid0(VALU_DEP_1)
	v_fmac_f64_e32 v[128:129], v[100:101], v[114:115]
	ds_load_b128 v[94:97], v2 offset:672
	ds_load_b128 v[98:101], v2 offset:688
	s_wait_loadcnt 0x2
	v_fmac_f64_e32 v[128:129], v[110:111], v[116:117]
	s_wait_dscnt 0x1
	s_delay_alu instid0(VALU_DEP_1) | instskip(SKIP_1) | instid1(VALU_DEP_1)
	v_fmac_f64_e32 v[128:129], v[112:113], v[94:95]
	s_wait_loadcnt 0x1
	v_fmac_f64_e32 v[128:129], v[102:103], v[96:97]
	s_wait_dscnt 0x0
	s_delay_alu instid0(VALU_DEP_1) | instskip(SKIP_1) | instid1(VALU_DEP_1)
	v_fmac_f64_e32 v[128:129], v[104:105], v[98:99]
	s_wait_loadcnt 0x0
	v_fmac_f64_e32 v[128:129], v[122:123], v[100:101]
	s_delay_alu instid0(VALU_DEP_1)
	v_add_f64_e64 v[2:3], v[92:93], -v[128:129]
	scratch_store_b64 off, v[2:3], off offset:56
	s_wait_xcnt 0x0
	v_cmpx_lt_u32_e32 6, v0
	s_cbranch_execz .LBB107_261
; %bb.260:
	scratch_load_b64 v[2:3], off, off offset:48
	v_mov_b64_e32 v[92:93], 0
	scratch_store_b64 off, v[92:93], off offset:48
	s_wait_loadcnt 0x0
	ds_store_b64 v1, v[2:3]
.LBB107_261:
	s_wait_xcnt 0x0
	s_or_b32 exec_lo, exec_lo, s0
	s_wait_storecnt_dscnt 0x0
	s_barrier_signal -1
	s_barrier_wait -1
	s_clause 0x5
	scratch_load_b128 v[92:95], off, off offset:48
	scratch_load_b128 v[96:99], off, off offset:64
	;; [unrolled: 1-line block ×6, first 2 shown]
	v_mov_b32_e32 v2, 0
	ds_load_2addr_b64 v[116:119], v2 offset0:51 offset1:52
	ds_load_2addr_b64 v[120:123], v2 offset0:53 offset1:54
	scratch_load_b128 v[124:127], off, off offset:144
	s_mov_b32 s0, exec_lo
	s_wait_loadcnt_dscnt 0x601
	v_fma_f64 v[128:129], v[94:95], v[116:117], 0
	s_wait_loadcnt 0x5
	s_delay_alu instid0(VALU_DEP_1) | instskip(SKIP_4) | instid1(VALU_DEP_1)
	v_fmac_f64_e32 v[128:129], v[96:97], v[118:119]
	scratch_load_b128 v[94:97], off, off offset:160
	s_wait_dscnt 0x0
	v_fmac_f64_e32 v[128:129], v[98:99], v[120:121]
	s_wait_loadcnt 0x5
	v_fmac_f64_e32 v[128:129], v[100:101], v[122:123]
	ds_load_2addr_b64 v[98:101], v2 offset0:55 offset1:56
	ds_load_2addr_b64 v[116:119], v2 offset0:57 offset1:58
	scratch_load_b128 v[120:123], off, off offset:176
	s_wait_dscnt 0x1
	v_fmac_f64_e32 v[128:129], v[102:103], v[98:99]
	s_wait_loadcnt 0x5
	s_delay_alu instid0(VALU_DEP_1) | instskip(SKIP_4) | instid1(VALU_DEP_1)
	v_fmac_f64_e32 v[128:129], v[104:105], v[100:101]
	scratch_load_b128 v[98:101], off, off offset:192
	s_wait_dscnt 0x0
	v_fmac_f64_e32 v[128:129], v[106:107], v[116:117]
	s_wait_loadcnt 0x5
	v_fmac_f64_e32 v[128:129], v[108:109], v[118:119]
	ds_load_2addr_b64 v[102:105], v2 offset0:59 offset1:60
	ds_load_2addr_b64 v[106:109], v2 offset0:61 offset1:62
	scratch_load_b128 v[116:119], off, off offset:208
	s_wait_dscnt 0x1
	v_fmac_f64_e32 v[128:129], v[110:111], v[102:103]
	s_wait_loadcnt 0x5
	s_delay_alu instid0(VALU_DEP_1) | instskip(SKIP_4) | instid1(VALU_DEP_1)
	v_fmac_f64_e32 v[128:129], v[112:113], v[104:105]
	scratch_load_b128 v[102:105], off, off offset:224
	s_wait_dscnt 0x0
	v_fmac_f64_e32 v[128:129], v[114:115], v[106:107]
	s_wait_loadcnt 0x5
	v_fmac_f64_e32 v[128:129], v[124:125], v[108:109]
	ds_load_2addr_b64 v[106:109], v2 offset0:63 offset1:64
	ds_load_2addr_b64 v[110:113], v2 offset0:65 offset1:66
	s_wait_dscnt 0x1
	v_fmac_f64_e32 v[128:129], v[126:127], v[106:107]
	scratch_load_b128 v[124:127], off, off offset:240
	s_wait_loadcnt 0x5
	v_fmac_f64_e32 v[128:129], v[94:95], v[108:109]
	s_wait_dscnt 0x0
	s_delay_alu instid0(VALU_DEP_1)
	v_fmac_f64_e32 v[128:129], v[96:97], v[110:111]
	scratch_load_b128 v[94:97], off, off offset:256
	s_wait_loadcnt 0x5
	v_fmac_f64_e32 v[128:129], v[120:121], v[112:113]
	ds_load_2addr_b64 v[106:109], v2 offset0:67 offset1:68
	ds_load_2addr_b64 v[110:113], v2 offset0:69 offset1:70
	s_wait_dscnt 0x1
	v_fmac_f64_e32 v[128:129], v[122:123], v[106:107]
	s_wait_loadcnt 0x4
	s_delay_alu instid0(VALU_DEP_1)
	v_fmac_f64_e32 v[128:129], v[98:99], v[108:109]
	scratch_load_b128 v[106:109], off, off offset:272
	s_wait_dscnt 0x0
	v_fmac_f64_e32 v[128:129], v[100:101], v[110:111]
	scratch_load_b128 v[98:101], off, off offset:288
	s_wait_loadcnt 0x5
	v_fmac_f64_e32 v[128:129], v[116:117], v[112:113]
	ds_load_2addr_b64 v[110:113], v2 offset0:71 offset1:72
	ds_load_2addr_b64 v[114:117], v2 offset0:73 offset1:74
	s_wait_dscnt 0x1
	v_fmac_f64_e32 v[128:129], v[118:119], v[110:111]
	s_wait_loadcnt 0x4
	s_delay_alu instid0(VALU_DEP_1)
	v_fmac_f64_e32 v[128:129], v[102:103], v[112:113]
	scratch_load_b128 v[110:113], off, off offset:304
	s_wait_dscnt 0x0
	v_fmac_f64_e32 v[128:129], v[104:105], v[114:115]
	scratch_load_b128 v[102:105], off, off offset:320
	s_wait_loadcnt 0x5
	v_fmac_f64_e32 v[128:129], v[124:125], v[116:117]
	ds_load_2addr_b64 v[114:117], v2 offset0:75 offset1:76
	ds_load_2addr_b64 v[118:121], v2 offset0:77 offset1:78
	s_wait_dscnt 0x1
	v_fmac_f64_e32 v[128:129], v[126:127], v[114:115]
	s_wait_loadcnt 0x4
	s_delay_alu instid0(VALU_DEP_1) | instskip(SKIP_4) | instid1(VALU_DEP_1)
	v_fmac_f64_e32 v[128:129], v[94:95], v[116:117]
	scratch_load_b128 v[114:117], off, off offset:336
	s_wait_dscnt 0x0
	v_fmac_f64_e32 v[128:129], v[96:97], v[118:119]
	s_wait_loadcnt 0x4
	v_fmac_f64_e32 v[128:129], v[106:107], v[120:121]
	ds_load_2addr_b64 v[94:97], v2 offset0:79 offset1:80
	ds_load_2addr_b64 v[118:121], v2 offset0:81 offset1:82
	s_wait_dscnt 0x1
	v_fmac_f64_e32 v[128:129], v[108:109], v[94:95]
	s_wait_loadcnt 0x3
	s_delay_alu instid0(VALU_DEP_1) | instskip(SKIP_1) | instid1(VALU_DEP_1)
	v_fmac_f64_e32 v[128:129], v[98:99], v[96:97]
	s_wait_dscnt 0x0
	v_fmac_f64_e32 v[128:129], v[100:101], v[118:119]
	ds_load_2addr_b64 v[94:97], v2 offset0:83 offset1:84
	ds_load_2addr_b64 v[98:101], v2 offset0:85 offset1:86
	s_wait_loadcnt 0x2
	v_fmac_f64_e32 v[128:129], v[110:111], v[120:121]
	s_wait_dscnt 0x1
	s_delay_alu instid0(VALU_DEP_1) | instskip(SKIP_4) | instid1(VALU_DEP_1)
	v_fmac_f64_e32 v[128:129], v[112:113], v[94:95]
	ds_load_b64 v[94:95], v2 offset:696
	s_wait_loadcnt 0x1
	v_fmac_f64_e32 v[128:129], v[102:103], v[96:97]
	s_wait_dscnt 0x1
	v_fmac_f64_e32 v[128:129], v[104:105], v[98:99]
	s_wait_loadcnt 0x0
	s_delay_alu instid0(VALU_DEP_1) | instskip(SKIP_1) | instid1(VALU_DEP_1)
	v_fmac_f64_e32 v[128:129], v[114:115], v[100:101]
	s_wait_dscnt 0x0
	v_fmac_f64_e32 v[128:129], v[116:117], v[94:95]
	s_delay_alu instid0(VALU_DEP_1)
	v_add_f64_e64 v[92:93], v[92:93], -v[128:129]
	scratch_store_b64 off, v[92:93], off offset:48
	s_wait_xcnt 0x0
	v_cmpx_lt_u32_e32 5, v0
	s_cbranch_execz .LBB107_263
; %bb.262:
	scratch_load_b64 v[92:93], off, off offset:40
	v_mov_b64_e32 v[94:95], 0
	scratch_store_b64 off, v[94:95], off offset:40
	s_wait_loadcnt 0x0
	ds_store_b64 v1, v[92:93]
.LBB107_263:
	s_wait_xcnt 0x0
	s_or_b32 exec_lo, exec_lo, s0
	s_wait_storecnt_dscnt 0x0
	s_barrier_signal -1
	s_barrier_wait -1
	s_clause 0x5
	scratch_load_b128 v[92:95], off, off offset:40
	scratch_load_b128 v[96:99], off, off offset:56
	;; [unrolled: 1-line block ×6, first 2 shown]
	ds_load_b128 v[116:119], v2 offset:400
	ds_load_b128 v[120:123], v2 offset:416
	scratch_load_b128 v[124:127], off, off offset:136
	s_mov_b32 s0, exec_lo
	s_wait_loadcnt_dscnt 0x601
	v_fma_f64 v[128:129], v[94:95], v[116:117], 0
	s_wait_loadcnt 0x5
	s_delay_alu instid0(VALU_DEP_1) | instskip(SKIP_4) | instid1(VALU_DEP_1)
	v_fmac_f64_e32 v[128:129], v[96:97], v[118:119]
	scratch_load_b128 v[94:97], off, off offset:152
	s_wait_dscnt 0x0
	v_fmac_f64_e32 v[128:129], v[98:99], v[120:121]
	s_wait_loadcnt 0x5
	v_fmac_f64_e32 v[128:129], v[100:101], v[122:123]
	ds_load_b128 v[98:101], v2 offset:432
	ds_load_b128 v[116:119], v2 offset:448
	scratch_load_b128 v[120:123], off, off offset:168
	s_wait_dscnt 0x1
	v_fmac_f64_e32 v[128:129], v[102:103], v[98:99]
	s_wait_loadcnt 0x5
	s_delay_alu instid0(VALU_DEP_1) | instskip(SKIP_4) | instid1(VALU_DEP_1)
	v_fmac_f64_e32 v[128:129], v[104:105], v[100:101]
	scratch_load_b128 v[98:101], off, off offset:184
	s_wait_dscnt 0x0
	v_fmac_f64_e32 v[128:129], v[106:107], v[116:117]
	s_wait_loadcnt 0x5
	v_fmac_f64_e32 v[128:129], v[108:109], v[118:119]
	ds_load_b128 v[102:105], v2 offset:464
	ds_load_b128 v[106:109], v2 offset:480
	scratch_load_b128 v[116:119], off, off offset:200
	s_wait_dscnt 0x1
	v_fmac_f64_e32 v[128:129], v[110:111], v[102:103]
	s_wait_loadcnt 0x5
	s_delay_alu instid0(VALU_DEP_1) | instskip(SKIP_4) | instid1(VALU_DEP_1)
	v_fmac_f64_e32 v[128:129], v[112:113], v[104:105]
	scratch_load_b128 v[102:105], off, off offset:216
	s_wait_dscnt 0x0
	v_fmac_f64_e32 v[128:129], v[114:115], v[106:107]
	s_wait_loadcnt 0x5
	v_fmac_f64_e32 v[128:129], v[124:125], v[108:109]
	ds_load_b128 v[106:109], v2 offset:496
	ds_load_b128 v[110:113], v2 offset:512
	s_wait_dscnt 0x1
	v_fmac_f64_e32 v[128:129], v[126:127], v[106:107]
	scratch_load_b128 v[124:127], off, off offset:232
	s_wait_loadcnt 0x5
	v_fmac_f64_e32 v[128:129], v[94:95], v[108:109]
	s_wait_dscnt 0x0
	s_delay_alu instid0(VALU_DEP_1)
	v_fmac_f64_e32 v[128:129], v[96:97], v[110:111]
	scratch_load_b128 v[94:97], off, off offset:248
	s_wait_loadcnt 0x5
	v_fmac_f64_e32 v[128:129], v[120:121], v[112:113]
	ds_load_b128 v[106:109], v2 offset:528
	ds_load_b128 v[110:113], v2 offset:544
	s_wait_dscnt 0x1
	v_fmac_f64_e32 v[128:129], v[122:123], v[106:107]
	scratch_load_b128 v[120:123], off, off offset:264
	s_wait_loadcnt 0x5
	v_fmac_f64_e32 v[128:129], v[98:99], v[108:109]
	s_wait_dscnt 0x0
	s_delay_alu instid0(VALU_DEP_1)
	v_fmac_f64_e32 v[128:129], v[100:101], v[110:111]
	scratch_load_b128 v[98:101], off, off offset:280
	s_wait_loadcnt 0x5
	v_fmac_f64_e32 v[128:129], v[116:117], v[112:113]
	ds_load_b128 v[106:109], v2 offset:560
	ds_load_b128 v[110:113], v2 offset:576
	s_wait_dscnt 0x1
	v_fmac_f64_e32 v[128:129], v[118:119], v[106:107]
	s_wait_loadcnt 0x4
	s_delay_alu instid0(VALU_DEP_1)
	v_fmac_f64_e32 v[128:129], v[102:103], v[108:109]
	scratch_load_b128 v[106:109], off, off offset:296
	s_wait_dscnt 0x0
	v_fmac_f64_e32 v[128:129], v[104:105], v[110:111]
	scratch_load_b128 v[102:105], off, off offset:312
	s_wait_loadcnt 0x5
	v_fmac_f64_e32 v[128:129], v[124:125], v[112:113]
	ds_load_b128 v[110:113], v2 offset:592
	ds_load_b128 v[114:117], v2 offset:608
	scratch_load_b64 v[118:119], off, off offset:344
	s_wait_dscnt 0x1
	v_fmac_f64_e32 v[128:129], v[126:127], v[110:111]
	s_wait_loadcnt 0x5
	s_delay_alu instid0(VALU_DEP_1) | instskip(SKIP_4) | instid1(VALU_DEP_1)
	v_fmac_f64_e32 v[128:129], v[94:95], v[112:113]
	scratch_load_b128 v[110:113], off, off offset:328
	s_wait_dscnt 0x0
	v_fmac_f64_e32 v[128:129], v[96:97], v[114:115]
	s_wait_loadcnt 0x5
	v_fmac_f64_e32 v[128:129], v[120:121], v[116:117]
	ds_load_b128 v[94:97], v2 offset:624
	ds_load_b128 v[114:117], v2 offset:640
	s_wait_dscnt 0x1
	v_fmac_f64_e32 v[128:129], v[122:123], v[94:95]
	s_wait_loadcnt 0x4
	s_delay_alu instid0(VALU_DEP_1) | instskip(SKIP_1) | instid1(VALU_DEP_1)
	v_fmac_f64_e32 v[128:129], v[98:99], v[96:97]
	s_wait_dscnt 0x0
	v_fmac_f64_e32 v[128:129], v[100:101], v[114:115]
	ds_load_b128 v[94:97], v2 offset:656
	ds_load_b128 v[98:101], v2 offset:672
	s_wait_loadcnt 0x3
	v_fmac_f64_e32 v[128:129], v[106:107], v[116:117]
	s_wait_dscnt 0x1
	s_delay_alu instid0(VALU_DEP_1) | instskip(SKIP_1) | instid1(VALU_DEP_1)
	v_fmac_f64_e32 v[128:129], v[108:109], v[94:95]
	s_wait_loadcnt 0x2
	v_fmac_f64_e32 v[128:129], v[102:103], v[96:97]
	ds_load_b128 v[94:97], v2 offset:688
	s_wait_dscnt 0x1
	v_fmac_f64_e32 v[128:129], v[104:105], v[98:99]
	s_wait_loadcnt 0x0
	s_delay_alu instid0(VALU_DEP_1) | instskip(SKIP_1) | instid1(VALU_DEP_1)
	v_fmac_f64_e32 v[128:129], v[110:111], v[100:101]
	s_wait_dscnt 0x0
	v_fmac_f64_e32 v[128:129], v[112:113], v[94:95]
	s_delay_alu instid0(VALU_DEP_1) | instskip(NEXT) | instid1(VALU_DEP_1)
	v_fmac_f64_e32 v[128:129], v[118:119], v[96:97]
	v_add_f64_e64 v[2:3], v[92:93], -v[128:129]
	scratch_store_b64 off, v[2:3], off offset:40
	s_wait_xcnt 0x0
	v_cmpx_lt_u32_e32 4, v0
	s_cbranch_execz .LBB107_265
; %bb.264:
	scratch_load_b64 v[2:3], off, off offset:32
	v_mov_b64_e32 v[92:93], 0
	scratch_store_b64 off, v[92:93], off offset:32
	s_wait_loadcnt 0x0
	ds_store_b64 v1, v[2:3]
.LBB107_265:
	s_wait_xcnt 0x0
	s_or_b32 exec_lo, exec_lo, s0
	s_wait_storecnt_dscnt 0x0
	s_barrier_signal -1
	s_barrier_wait -1
	s_clause 0x5
	scratch_load_b128 v[92:95], off, off offset:32
	scratch_load_b128 v[96:99], off, off offset:48
	;; [unrolled: 1-line block ×6, first 2 shown]
	v_mov_b32_e32 v2, 0
	ds_load_2addr_b64 v[116:119], v2 offset0:49 offset1:50
	ds_load_2addr_b64 v[120:123], v2 offset0:51 offset1:52
	scratch_load_b128 v[124:127], off, off offset:128
	s_mov_b32 s0, exec_lo
	s_wait_loadcnt_dscnt 0x601
	v_fma_f64 v[128:129], v[94:95], v[116:117], 0
	s_wait_loadcnt 0x5
	s_delay_alu instid0(VALU_DEP_1) | instskip(SKIP_4) | instid1(VALU_DEP_1)
	v_fmac_f64_e32 v[128:129], v[96:97], v[118:119]
	scratch_load_b128 v[94:97], off, off offset:144
	s_wait_dscnt 0x0
	v_fmac_f64_e32 v[128:129], v[98:99], v[120:121]
	s_wait_loadcnt 0x5
	v_fmac_f64_e32 v[128:129], v[100:101], v[122:123]
	ds_load_2addr_b64 v[98:101], v2 offset0:53 offset1:54
	ds_load_2addr_b64 v[116:119], v2 offset0:55 offset1:56
	scratch_load_b128 v[120:123], off, off offset:160
	s_wait_dscnt 0x1
	v_fmac_f64_e32 v[128:129], v[102:103], v[98:99]
	s_wait_loadcnt 0x5
	s_delay_alu instid0(VALU_DEP_1) | instskip(SKIP_4) | instid1(VALU_DEP_1)
	v_fmac_f64_e32 v[128:129], v[104:105], v[100:101]
	scratch_load_b128 v[98:101], off, off offset:176
	s_wait_dscnt 0x0
	v_fmac_f64_e32 v[128:129], v[106:107], v[116:117]
	s_wait_loadcnt 0x5
	v_fmac_f64_e32 v[128:129], v[108:109], v[118:119]
	ds_load_2addr_b64 v[102:105], v2 offset0:57 offset1:58
	ds_load_2addr_b64 v[106:109], v2 offset0:59 offset1:60
	scratch_load_b128 v[116:119], off, off offset:192
	s_wait_dscnt 0x1
	v_fmac_f64_e32 v[128:129], v[110:111], v[102:103]
	s_wait_loadcnt 0x5
	s_delay_alu instid0(VALU_DEP_1) | instskip(SKIP_4) | instid1(VALU_DEP_1)
	v_fmac_f64_e32 v[128:129], v[112:113], v[104:105]
	scratch_load_b128 v[102:105], off, off offset:208
	s_wait_dscnt 0x0
	v_fmac_f64_e32 v[128:129], v[114:115], v[106:107]
	s_wait_loadcnt 0x5
	v_fmac_f64_e32 v[128:129], v[124:125], v[108:109]
	ds_load_2addr_b64 v[106:109], v2 offset0:61 offset1:62
	ds_load_2addr_b64 v[110:113], v2 offset0:63 offset1:64
	s_wait_dscnt 0x1
	v_fmac_f64_e32 v[128:129], v[126:127], v[106:107]
	scratch_load_b128 v[124:127], off, off offset:224
	s_wait_loadcnt 0x5
	v_fmac_f64_e32 v[128:129], v[94:95], v[108:109]
	s_wait_dscnt 0x0
	s_delay_alu instid0(VALU_DEP_1)
	v_fmac_f64_e32 v[128:129], v[96:97], v[110:111]
	scratch_load_b128 v[94:97], off, off offset:240
	s_wait_loadcnt 0x5
	v_fmac_f64_e32 v[128:129], v[120:121], v[112:113]
	ds_load_2addr_b64 v[106:109], v2 offset0:65 offset1:66
	ds_load_2addr_b64 v[110:113], v2 offset0:67 offset1:68
	s_wait_dscnt 0x1
	v_fmac_f64_e32 v[128:129], v[122:123], v[106:107]
	scratch_load_b128 v[120:123], off, off offset:256
	s_wait_loadcnt 0x5
	v_fmac_f64_e32 v[128:129], v[98:99], v[108:109]
	s_wait_dscnt 0x0
	s_delay_alu instid0(VALU_DEP_1)
	v_fmac_f64_e32 v[128:129], v[100:101], v[110:111]
	scratch_load_b128 v[98:101], off, off offset:272
	s_wait_loadcnt 0x5
	v_fmac_f64_e32 v[128:129], v[116:117], v[112:113]
	ds_load_2addr_b64 v[106:109], v2 offset0:69 offset1:70
	ds_load_2addr_b64 v[110:113], v2 offset0:71 offset1:72
	s_wait_dscnt 0x1
	v_fmac_f64_e32 v[128:129], v[118:119], v[106:107]
	s_wait_loadcnt 0x4
	s_delay_alu instid0(VALU_DEP_1)
	v_fmac_f64_e32 v[128:129], v[102:103], v[108:109]
	scratch_load_b128 v[106:109], off, off offset:288
	s_wait_dscnt 0x0
	v_fmac_f64_e32 v[128:129], v[104:105], v[110:111]
	scratch_load_b128 v[102:105], off, off offset:304
	s_wait_loadcnt 0x5
	v_fmac_f64_e32 v[128:129], v[124:125], v[112:113]
	ds_load_2addr_b64 v[110:113], v2 offset0:73 offset1:74
	ds_load_2addr_b64 v[114:117], v2 offset0:75 offset1:76
	s_wait_dscnt 0x1
	v_fmac_f64_e32 v[128:129], v[126:127], v[110:111]
	s_wait_loadcnt 0x4
	s_delay_alu instid0(VALU_DEP_1)
	v_fmac_f64_e32 v[128:129], v[94:95], v[112:113]
	scratch_load_b128 v[110:113], off, off offset:320
	s_wait_dscnt 0x0
	v_fmac_f64_e32 v[128:129], v[96:97], v[114:115]
	scratch_load_b128 v[94:97], off, off offset:336
	s_wait_loadcnt 0x5
	v_fmac_f64_e32 v[128:129], v[120:121], v[116:117]
	ds_load_2addr_b64 v[114:117], v2 offset0:77 offset1:78
	ds_load_2addr_b64 v[118:121], v2 offset0:79 offset1:80
	s_wait_dscnt 0x1
	v_fmac_f64_e32 v[128:129], v[122:123], v[114:115]
	s_wait_loadcnt 0x4
	s_delay_alu instid0(VALU_DEP_1) | instskip(SKIP_1) | instid1(VALU_DEP_1)
	v_fmac_f64_e32 v[128:129], v[98:99], v[116:117]
	s_wait_dscnt 0x0
	v_fmac_f64_e32 v[128:129], v[100:101], v[118:119]
	ds_load_2addr_b64 v[98:101], v2 offset0:81 offset1:82
	ds_load_2addr_b64 v[114:117], v2 offset0:83 offset1:84
	s_wait_loadcnt 0x3
	v_fmac_f64_e32 v[128:129], v[106:107], v[120:121]
	s_wait_dscnt 0x1
	s_delay_alu instid0(VALU_DEP_1) | instskip(SKIP_1) | instid1(VALU_DEP_1)
	v_fmac_f64_e32 v[128:129], v[108:109], v[98:99]
	s_wait_loadcnt 0x2
	v_fmac_f64_e32 v[128:129], v[102:103], v[100:101]
	ds_load_2addr_b64 v[98:101], v2 offset0:85 offset1:86
	ds_load_b64 v[102:103], v2 offset:696
	s_wait_dscnt 0x2
	v_fmac_f64_e32 v[128:129], v[104:105], v[114:115]
	s_wait_loadcnt 0x1
	s_delay_alu instid0(VALU_DEP_1) | instskip(SKIP_1) | instid1(VALU_DEP_1)
	v_fmac_f64_e32 v[128:129], v[110:111], v[116:117]
	s_wait_dscnt 0x1
	v_fmac_f64_e32 v[128:129], v[112:113], v[98:99]
	s_wait_loadcnt 0x0
	s_delay_alu instid0(VALU_DEP_1) | instskip(SKIP_1) | instid1(VALU_DEP_1)
	v_fmac_f64_e32 v[128:129], v[94:95], v[100:101]
	s_wait_dscnt 0x0
	v_fmac_f64_e32 v[128:129], v[96:97], v[102:103]
	s_delay_alu instid0(VALU_DEP_1)
	v_add_f64_e64 v[92:93], v[92:93], -v[128:129]
	scratch_store_b64 off, v[92:93], off offset:32
	s_wait_xcnt 0x0
	v_cmpx_lt_u32_e32 3, v0
	s_cbranch_execz .LBB107_267
; %bb.266:
	scratch_load_b64 v[92:93], off, off offset:24
	v_mov_b64_e32 v[94:95], 0
	scratch_store_b64 off, v[94:95], off offset:24
	s_wait_loadcnt 0x0
	ds_store_b64 v1, v[92:93]
.LBB107_267:
	s_wait_xcnt 0x0
	s_or_b32 exec_lo, exec_lo, s0
	s_wait_storecnt_dscnt 0x0
	s_barrier_signal -1
	s_barrier_wait -1
	s_clause 0x5
	scratch_load_b128 v[92:95], off, off offset:24
	scratch_load_b128 v[96:99], off, off offset:40
	;; [unrolled: 1-line block ×6, first 2 shown]
	ds_load_b128 v[116:119], v2 offset:384
	ds_load_b128 v[120:123], v2 offset:400
	scratch_load_b128 v[124:127], off, off offset:120
	s_mov_b32 s0, exec_lo
	s_wait_loadcnt_dscnt 0x601
	v_fma_f64 v[128:129], v[94:95], v[116:117], 0
	s_wait_loadcnt 0x5
	s_delay_alu instid0(VALU_DEP_1) | instskip(SKIP_4) | instid1(VALU_DEP_1)
	v_fmac_f64_e32 v[128:129], v[96:97], v[118:119]
	scratch_load_b128 v[94:97], off, off offset:136
	s_wait_dscnt 0x0
	v_fmac_f64_e32 v[128:129], v[98:99], v[120:121]
	s_wait_loadcnt 0x5
	v_fmac_f64_e32 v[128:129], v[100:101], v[122:123]
	ds_load_b128 v[98:101], v2 offset:416
	ds_load_b128 v[116:119], v2 offset:432
	scratch_load_b128 v[120:123], off, off offset:152
	s_wait_dscnt 0x1
	v_fmac_f64_e32 v[128:129], v[102:103], v[98:99]
	s_wait_loadcnt 0x5
	s_delay_alu instid0(VALU_DEP_1) | instskip(SKIP_4) | instid1(VALU_DEP_1)
	v_fmac_f64_e32 v[128:129], v[104:105], v[100:101]
	scratch_load_b128 v[98:101], off, off offset:168
	s_wait_dscnt 0x0
	v_fmac_f64_e32 v[128:129], v[106:107], v[116:117]
	s_wait_loadcnt 0x5
	v_fmac_f64_e32 v[128:129], v[108:109], v[118:119]
	ds_load_b128 v[102:105], v2 offset:448
	ds_load_b128 v[106:109], v2 offset:464
	scratch_load_b128 v[116:119], off, off offset:184
	s_wait_dscnt 0x1
	v_fmac_f64_e32 v[128:129], v[110:111], v[102:103]
	s_wait_loadcnt 0x5
	s_delay_alu instid0(VALU_DEP_1) | instskip(SKIP_4) | instid1(VALU_DEP_1)
	v_fmac_f64_e32 v[128:129], v[112:113], v[104:105]
	scratch_load_b128 v[102:105], off, off offset:200
	s_wait_dscnt 0x0
	v_fmac_f64_e32 v[128:129], v[114:115], v[106:107]
	s_wait_loadcnt 0x5
	v_fmac_f64_e32 v[128:129], v[124:125], v[108:109]
	ds_load_b128 v[106:109], v2 offset:480
	ds_load_b128 v[110:113], v2 offset:496
	s_wait_dscnt 0x1
	v_fmac_f64_e32 v[128:129], v[126:127], v[106:107]
	scratch_load_b128 v[124:127], off, off offset:216
	s_wait_loadcnt 0x5
	v_fmac_f64_e32 v[128:129], v[94:95], v[108:109]
	s_wait_dscnt 0x0
	s_delay_alu instid0(VALU_DEP_1)
	v_fmac_f64_e32 v[128:129], v[96:97], v[110:111]
	scratch_load_b128 v[94:97], off, off offset:232
	s_wait_loadcnt 0x5
	v_fmac_f64_e32 v[128:129], v[120:121], v[112:113]
	ds_load_b128 v[106:109], v2 offset:512
	ds_load_b128 v[110:113], v2 offset:528
	s_wait_dscnt 0x1
	v_fmac_f64_e32 v[128:129], v[122:123], v[106:107]
	scratch_load_b128 v[120:123], off, off offset:248
	s_wait_loadcnt 0x5
	v_fmac_f64_e32 v[128:129], v[98:99], v[108:109]
	s_wait_dscnt 0x0
	s_delay_alu instid0(VALU_DEP_1)
	v_fmac_f64_e32 v[128:129], v[100:101], v[110:111]
	scratch_load_b128 v[98:101], off, off offset:264
	s_wait_loadcnt 0x5
	v_fmac_f64_e32 v[128:129], v[116:117], v[112:113]
	ds_load_b128 v[106:109], v2 offset:544
	ds_load_b128 v[110:113], v2 offset:560
	s_wait_dscnt 0x1
	v_fmac_f64_e32 v[128:129], v[118:119], v[106:107]
	s_wait_loadcnt 0x4
	s_delay_alu instid0(VALU_DEP_1)
	v_fmac_f64_e32 v[128:129], v[102:103], v[108:109]
	scratch_load_b128 v[106:109], off, off offset:280
	s_wait_dscnt 0x0
	v_fmac_f64_e32 v[128:129], v[104:105], v[110:111]
	scratch_load_b128 v[102:105], off, off offset:296
	s_wait_loadcnt 0x5
	v_fmac_f64_e32 v[128:129], v[124:125], v[112:113]
	ds_load_b128 v[110:113], v2 offset:576
	ds_load_b128 v[114:117], v2 offset:592
	s_wait_dscnt 0x1
	v_fmac_f64_e32 v[128:129], v[126:127], v[110:111]
	s_wait_loadcnt 0x4
	s_delay_alu instid0(VALU_DEP_1)
	v_fmac_f64_e32 v[128:129], v[94:95], v[112:113]
	scratch_load_b128 v[110:113], off, off offset:312
	s_wait_dscnt 0x0
	v_fmac_f64_e32 v[128:129], v[96:97], v[114:115]
	scratch_load_b128 v[94:97], off, off offset:328
	s_wait_loadcnt 0x5
	v_fmac_f64_e32 v[128:129], v[120:121], v[116:117]
	ds_load_b128 v[114:117], v2 offset:608
	ds_load_b128 v[118:121], v2 offset:624
	s_wait_dscnt 0x1
	v_fmac_f64_e32 v[128:129], v[122:123], v[114:115]
	scratch_load_b64 v[122:123], off, off offset:344
	s_wait_loadcnt 0x5
	v_fmac_f64_e32 v[128:129], v[98:99], v[116:117]
	s_wait_dscnt 0x0
	s_delay_alu instid0(VALU_DEP_1)
	v_fmac_f64_e32 v[128:129], v[100:101], v[118:119]
	ds_load_b128 v[98:101], v2 offset:640
	ds_load_b128 v[114:117], v2 offset:656
	s_wait_loadcnt 0x4
	v_fmac_f64_e32 v[128:129], v[106:107], v[120:121]
	s_wait_dscnt 0x1
	s_delay_alu instid0(VALU_DEP_1) | instskip(SKIP_1) | instid1(VALU_DEP_1)
	v_fmac_f64_e32 v[128:129], v[108:109], v[98:99]
	s_wait_loadcnt 0x3
	v_fmac_f64_e32 v[128:129], v[102:103], v[100:101]
	s_wait_dscnt 0x0
	s_delay_alu instid0(VALU_DEP_1)
	v_fmac_f64_e32 v[128:129], v[104:105], v[114:115]
	ds_load_b128 v[98:101], v2 offset:672
	ds_load_b128 v[102:105], v2 offset:688
	s_wait_loadcnt 0x2
	v_fmac_f64_e32 v[128:129], v[110:111], v[116:117]
	s_wait_dscnt 0x1
	s_delay_alu instid0(VALU_DEP_1) | instskip(SKIP_1) | instid1(VALU_DEP_1)
	v_fmac_f64_e32 v[128:129], v[112:113], v[98:99]
	s_wait_loadcnt 0x1
	v_fmac_f64_e32 v[128:129], v[94:95], v[100:101]
	s_wait_dscnt 0x0
	s_delay_alu instid0(VALU_DEP_1) | instskip(SKIP_1) | instid1(VALU_DEP_1)
	v_fmac_f64_e32 v[128:129], v[96:97], v[102:103]
	s_wait_loadcnt 0x0
	v_fmac_f64_e32 v[128:129], v[122:123], v[104:105]
	s_delay_alu instid0(VALU_DEP_1)
	v_add_f64_e64 v[2:3], v[92:93], -v[128:129]
	scratch_store_b64 off, v[2:3], off offset:24
	s_wait_xcnt 0x0
	v_cmpx_lt_u32_e32 2, v0
	s_cbranch_execz .LBB107_269
; %bb.268:
	scratch_load_b64 v[2:3], off, off offset:16
	v_mov_b64_e32 v[92:93], 0
	scratch_store_b64 off, v[92:93], off offset:16
	s_wait_loadcnt 0x0
	ds_store_b64 v1, v[2:3]
.LBB107_269:
	s_wait_xcnt 0x0
	s_or_b32 exec_lo, exec_lo, s0
	s_wait_storecnt_dscnt 0x0
	s_barrier_signal -1
	s_barrier_wait -1
	s_clause 0x5
	scratch_load_b128 v[92:95], off, off offset:16
	scratch_load_b128 v[96:99], off, off offset:32
	;; [unrolled: 1-line block ×6, first 2 shown]
	v_mov_b32_e32 v2, 0
	ds_load_2addr_b64 v[116:119], v2 offset0:47 offset1:48
	ds_load_2addr_b64 v[120:123], v2 offset0:49 offset1:50
	scratch_load_b128 v[124:127], off, off offset:112
	s_mov_b32 s0, exec_lo
	s_wait_loadcnt_dscnt 0x601
	v_fma_f64 v[128:129], v[94:95], v[116:117], 0
	s_wait_loadcnt 0x5
	s_delay_alu instid0(VALU_DEP_1) | instskip(SKIP_4) | instid1(VALU_DEP_1)
	v_fmac_f64_e32 v[128:129], v[96:97], v[118:119]
	scratch_load_b128 v[94:97], off, off offset:128
	s_wait_dscnt 0x0
	v_fmac_f64_e32 v[128:129], v[98:99], v[120:121]
	s_wait_loadcnt 0x5
	v_fmac_f64_e32 v[128:129], v[100:101], v[122:123]
	ds_load_2addr_b64 v[98:101], v2 offset0:51 offset1:52
	ds_load_2addr_b64 v[116:119], v2 offset0:53 offset1:54
	scratch_load_b128 v[120:123], off, off offset:144
	s_wait_dscnt 0x1
	v_fmac_f64_e32 v[128:129], v[102:103], v[98:99]
	s_wait_loadcnt 0x5
	s_delay_alu instid0(VALU_DEP_1) | instskip(SKIP_4) | instid1(VALU_DEP_1)
	v_fmac_f64_e32 v[128:129], v[104:105], v[100:101]
	scratch_load_b128 v[98:101], off, off offset:160
	s_wait_dscnt 0x0
	v_fmac_f64_e32 v[128:129], v[106:107], v[116:117]
	s_wait_loadcnt 0x5
	v_fmac_f64_e32 v[128:129], v[108:109], v[118:119]
	ds_load_2addr_b64 v[102:105], v2 offset0:55 offset1:56
	ds_load_2addr_b64 v[106:109], v2 offset0:57 offset1:58
	scratch_load_b128 v[116:119], off, off offset:176
	s_wait_dscnt 0x1
	v_fmac_f64_e32 v[128:129], v[110:111], v[102:103]
	s_wait_loadcnt 0x5
	s_delay_alu instid0(VALU_DEP_1) | instskip(SKIP_4) | instid1(VALU_DEP_1)
	v_fmac_f64_e32 v[128:129], v[112:113], v[104:105]
	scratch_load_b128 v[102:105], off, off offset:192
	s_wait_dscnt 0x0
	v_fmac_f64_e32 v[128:129], v[114:115], v[106:107]
	s_wait_loadcnt 0x5
	v_fmac_f64_e32 v[128:129], v[124:125], v[108:109]
	ds_load_2addr_b64 v[106:109], v2 offset0:59 offset1:60
	ds_load_2addr_b64 v[110:113], v2 offset0:61 offset1:62
	s_wait_dscnt 0x1
	v_fmac_f64_e32 v[128:129], v[126:127], v[106:107]
	scratch_load_b128 v[124:127], off, off offset:208
	s_wait_loadcnt 0x5
	v_fmac_f64_e32 v[128:129], v[94:95], v[108:109]
	s_wait_dscnt 0x0
	s_delay_alu instid0(VALU_DEP_1)
	v_fmac_f64_e32 v[128:129], v[96:97], v[110:111]
	scratch_load_b128 v[94:97], off, off offset:224
	s_wait_loadcnt 0x5
	v_fmac_f64_e32 v[128:129], v[120:121], v[112:113]
	ds_load_2addr_b64 v[106:109], v2 offset0:63 offset1:64
	ds_load_2addr_b64 v[110:113], v2 offset0:65 offset1:66
	s_wait_dscnt 0x1
	v_fmac_f64_e32 v[128:129], v[122:123], v[106:107]
	scratch_load_b128 v[120:123], off, off offset:240
	s_wait_loadcnt 0x5
	v_fmac_f64_e32 v[128:129], v[98:99], v[108:109]
	s_wait_dscnt 0x0
	s_delay_alu instid0(VALU_DEP_1)
	v_fmac_f64_e32 v[128:129], v[100:101], v[110:111]
	scratch_load_b128 v[98:101], off, off offset:256
	s_wait_loadcnt 0x5
	v_fmac_f64_e32 v[128:129], v[116:117], v[112:113]
	ds_load_2addr_b64 v[106:109], v2 offset0:67 offset1:68
	ds_load_2addr_b64 v[110:113], v2 offset0:69 offset1:70
	s_wait_dscnt 0x1
	v_fmac_f64_e32 v[128:129], v[118:119], v[106:107]
	s_wait_loadcnt 0x4
	s_delay_alu instid0(VALU_DEP_1)
	v_fmac_f64_e32 v[128:129], v[102:103], v[108:109]
	scratch_load_b128 v[106:109], off, off offset:272
	s_wait_dscnt 0x0
	v_fmac_f64_e32 v[128:129], v[104:105], v[110:111]
	scratch_load_b128 v[102:105], off, off offset:288
	s_wait_loadcnt 0x5
	v_fmac_f64_e32 v[128:129], v[124:125], v[112:113]
	ds_load_2addr_b64 v[110:113], v2 offset0:71 offset1:72
	ds_load_2addr_b64 v[114:117], v2 offset0:73 offset1:74
	s_wait_dscnt 0x1
	v_fmac_f64_e32 v[128:129], v[126:127], v[110:111]
	s_wait_loadcnt 0x4
	s_delay_alu instid0(VALU_DEP_1)
	v_fmac_f64_e32 v[128:129], v[94:95], v[112:113]
	scratch_load_b128 v[110:113], off, off offset:304
	s_wait_dscnt 0x0
	v_fmac_f64_e32 v[128:129], v[96:97], v[114:115]
	scratch_load_b128 v[94:97], off, off offset:320
	s_wait_loadcnt 0x5
	v_fmac_f64_e32 v[128:129], v[120:121], v[116:117]
	ds_load_2addr_b64 v[114:117], v2 offset0:75 offset1:76
	ds_load_2addr_b64 v[118:121], v2 offset0:77 offset1:78
	s_wait_dscnt 0x1
	v_fmac_f64_e32 v[128:129], v[122:123], v[114:115]
	s_wait_loadcnt 0x4
	s_delay_alu instid0(VALU_DEP_1) | instskip(SKIP_4) | instid1(VALU_DEP_1)
	v_fmac_f64_e32 v[128:129], v[98:99], v[116:117]
	scratch_load_b128 v[114:117], off, off offset:336
	s_wait_dscnt 0x0
	v_fmac_f64_e32 v[128:129], v[100:101], v[118:119]
	s_wait_loadcnt 0x4
	v_fmac_f64_e32 v[128:129], v[106:107], v[120:121]
	ds_load_2addr_b64 v[98:101], v2 offset0:79 offset1:80
	ds_load_2addr_b64 v[118:121], v2 offset0:81 offset1:82
	s_wait_dscnt 0x1
	v_fmac_f64_e32 v[128:129], v[108:109], v[98:99]
	s_wait_loadcnt 0x3
	s_delay_alu instid0(VALU_DEP_1) | instskip(SKIP_1) | instid1(VALU_DEP_1)
	v_fmac_f64_e32 v[128:129], v[102:103], v[100:101]
	s_wait_dscnt 0x0
	v_fmac_f64_e32 v[128:129], v[104:105], v[118:119]
	ds_load_2addr_b64 v[98:101], v2 offset0:83 offset1:84
	ds_load_2addr_b64 v[102:105], v2 offset0:85 offset1:86
	s_wait_loadcnt 0x2
	v_fmac_f64_e32 v[128:129], v[110:111], v[120:121]
	s_wait_dscnt 0x1
	s_delay_alu instid0(VALU_DEP_1) | instskip(SKIP_1) | instid1(VALU_DEP_1)
	v_fmac_f64_e32 v[128:129], v[112:113], v[98:99]
	s_wait_loadcnt 0x1
	v_fmac_f64_e32 v[128:129], v[94:95], v[100:101]
	ds_load_b64 v[94:95], v2 offset:696
	s_wait_dscnt 0x1
	v_fmac_f64_e32 v[128:129], v[96:97], v[102:103]
	s_wait_loadcnt 0x0
	s_delay_alu instid0(VALU_DEP_1) | instskip(SKIP_1) | instid1(VALU_DEP_1)
	v_fmac_f64_e32 v[128:129], v[114:115], v[104:105]
	s_wait_dscnt 0x0
	v_fmac_f64_e32 v[128:129], v[116:117], v[94:95]
	s_delay_alu instid0(VALU_DEP_1)
	v_add_f64_e64 v[92:93], v[92:93], -v[128:129]
	scratch_store_b64 off, v[92:93], off offset:16
	s_wait_xcnt 0x0
	v_cmpx_lt_u32_e32 1, v0
	s_cbranch_execz .LBB107_271
; %bb.270:
	scratch_load_b64 v[92:93], off, off offset:8
	v_mov_b64_e32 v[94:95], 0
	scratch_store_b64 off, v[94:95], off offset:8
	s_wait_loadcnt 0x0
	ds_store_b64 v1, v[92:93]
.LBB107_271:
	s_wait_xcnt 0x0
	s_or_b32 exec_lo, exec_lo, s0
	s_wait_storecnt_dscnt 0x0
	s_barrier_signal -1
	s_barrier_wait -1
	s_clause 0x5
	scratch_load_b128 v[92:95], off, off offset:8
	scratch_load_b128 v[96:99], off, off offset:24
	;; [unrolled: 1-line block ×6, first 2 shown]
	ds_load_b128 v[116:119], v2 offset:368
	ds_load_b128 v[120:123], v2 offset:384
	scratch_load_b128 v[124:127], off, off offset:104
	v_dual_ashrrev_i32 v9, 31, v8 :: v_dual_ashrrev_i32 v11, 31, v10
	v_dual_ashrrev_i32 v13, 31, v12 :: v_dual_ashrrev_i32 v15, 31, v14
	;; [unrolled: 1-line block ×20, first 2 shown]
	v_ashrrev_i32_e32 v89, 31, v88
	s_mov_b32 s0, exec_lo
	v_ashrrev_i32_e32 v43, 31, v42
	s_wait_loadcnt_dscnt 0x601
	v_fma_f64 v[128:129], v[94:95], v[116:117], 0
	s_wait_loadcnt 0x5
	s_delay_alu instid0(VALU_DEP_1) | instskip(SKIP_4) | instid1(VALU_DEP_1)
	v_fmac_f64_e32 v[128:129], v[96:97], v[118:119]
	scratch_load_b128 v[94:97], off, off offset:120
	s_wait_dscnt 0x0
	v_fmac_f64_e32 v[128:129], v[98:99], v[120:121]
	s_wait_loadcnt 0x5
	v_fmac_f64_e32 v[128:129], v[100:101], v[122:123]
	ds_load_b128 v[98:101], v2 offset:400
	ds_load_b128 v[116:119], v2 offset:416
	scratch_load_b128 v[120:123], off, off offset:136
	s_wait_dscnt 0x1
	v_fmac_f64_e32 v[128:129], v[102:103], v[98:99]
	s_wait_loadcnt 0x5
	s_delay_alu instid0(VALU_DEP_1) | instskip(SKIP_4) | instid1(VALU_DEP_1)
	v_fmac_f64_e32 v[128:129], v[104:105], v[100:101]
	scratch_load_b128 v[98:101], off, off offset:152
	s_wait_dscnt 0x0
	v_fmac_f64_e32 v[128:129], v[106:107], v[116:117]
	s_wait_loadcnt 0x5
	v_fmac_f64_e32 v[128:129], v[108:109], v[118:119]
	ds_load_b128 v[102:105], v2 offset:432
	ds_load_b128 v[106:109], v2 offset:448
	scratch_load_b128 v[116:119], off, off offset:168
	s_wait_dscnt 0x1
	v_fmac_f64_e32 v[128:129], v[110:111], v[102:103]
	s_wait_loadcnt 0x5
	s_delay_alu instid0(VALU_DEP_1) | instskip(SKIP_4) | instid1(VALU_DEP_1)
	v_fmac_f64_e32 v[128:129], v[112:113], v[104:105]
	scratch_load_b128 v[102:105], off, off offset:184
	s_wait_dscnt 0x0
	v_fmac_f64_e32 v[128:129], v[114:115], v[106:107]
	s_wait_loadcnt 0x5
	v_fmac_f64_e32 v[128:129], v[124:125], v[108:109]
	ds_load_b128 v[106:109], v2 offset:464
	ds_load_b128 v[110:113], v2 offset:480
	s_wait_dscnt 0x1
	v_fmac_f64_e32 v[128:129], v[126:127], v[106:107]
	scratch_load_b128 v[124:127], off, off offset:200
	s_wait_loadcnt 0x5
	v_fmac_f64_e32 v[128:129], v[94:95], v[108:109]
	s_wait_dscnt 0x0
	s_delay_alu instid0(VALU_DEP_1)
	v_fmac_f64_e32 v[128:129], v[96:97], v[110:111]
	scratch_load_b128 v[94:97], off, off offset:216
	s_wait_loadcnt 0x5
	v_fmac_f64_e32 v[128:129], v[120:121], v[112:113]
	ds_load_b128 v[106:109], v2 offset:496
	ds_load_b128 v[110:113], v2 offset:512
	s_wait_dscnt 0x1
	v_fmac_f64_e32 v[128:129], v[122:123], v[106:107]
	scratch_load_b128 v[120:123], off, off offset:232
	s_wait_loadcnt 0x5
	v_fmac_f64_e32 v[128:129], v[98:99], v[108:109]
	s_wait_dscnt 0x0
	s_delay_alu instid0(VALU_DEP_1)
	v_fmac_f64_e32 v[128:129], v[100:101], v[110:111]
	scratch_load_b128 v[98:101], off, off offset:248
	s_wait_loadcnt 0x5
	v_fmac_f64_e32 v[128:129], v[116:117], v[112:113]
	ds_load_b128 v[106:109], v2 offset:528
	ds_load_b128 v[110:113], v2 offset:544
	s_wait_dscnt 0x1
	v_fmac_f64_e32 v[128:129], v[118:119], v[106:107]
	s_wait_loadcnt 0x4
	s_delay_alu instid0(VALU_DEP_1)
	v_fmac_f64_e32 v[128:129], v[102:103], v[108:109]
	scratch_load_b128 v[106:109], off, off offset:264
	s_wait_dscnt 0x0
	v_fmac_f64_e32 v[128:129], v[104:105], v[110:111]
	scratch_load_b128 v[102:105], off, off offset:280
	s_wait_loadcnt 0x5
	v_fmac_f64_e32 v[128:129], v[124:125], v[112:113]
	ds_load_b128 v[110:113], v2 offset:560
	ds_load_b128 v[114:117], v2 offset:576
	s_wait_dscnt 0x1
	v_fmac_f64_e32 v[128:129], v[126:127], v[110:111]
	s_wait_loadcnt 0x4
	s_delay_alu instid0(VALU_DEP_1)
	v_fmac_f64_e32 v[128:129], v[94:95], v[112:113]
	scratch_load_b128 v[110:113], off, off offset:296
	s_wait_dscnt 0x0
	v_fmac_f64_e32 v[128:129], v[96:97], v[114:115]
	scratch_load_b128 v[94:97], off, off offset:312
	s_wait_loadcnt 0x5
	v_fmac_f64_e32 v[128:129], v[120:121], v[116:117]
	ds_load_b128 v[114:117], v2 offset:592
	ds_load_b128 v[118:121], v2 offset:608
	s_wait_dscnt 0x1
	v_fmac_f64_e32 v[128:129], v[122:123], v[114:115]
	scratch_load_b64 v[122:123], off, off offset:344
	s_wait_loadcnt 0x5
	v_fmac_f64_e32 v[128:129], v[98:99], v[116:117]
	scratch_load_b128 v[114:117], off, off offset:328
	s_wait_dscnt 0x0
	v_fmac_f64_e32 v[128:129], v[100:101], v[118:119]
	s_wait_loadcnt 0x5
	s_delay_alu instid0(VALU_DEP_1)
	v_fmac_f64_e32 v[128:129], v[106:107], v[120:121]
	ds_load_b128 v[98:101], v2 offset:624
	ds_load_b128 v[118:121], v2 offset:640
	s_wait_dscnt 0x1
	v_fmac_f64_e32 v[128:129], v[108:109], v[98:99]
	s_wait_loadcnt 0x4
	s_delay_alu instid0(VALU_DEP_1) | instskip(SKIP_1) | instid1(VALU_DEP_1)
	v_fmac_f64_e32 v[128:129], v[102:103], v[100:101]
	s_wait_dscnt 0x0
	v_fmac_f64_e32 v[128:129], v[104:105], v[118:119]
	ds_load_b128 v[98:101], v2 offset:656
	ds_load_b128 v[102:105], v2 offset:672
	s_wait_loadcnt 0x3
	v_fmac_f64_e32 v[128:129], v[110:111], v[120:121]
	s_wait_dscnt 0x1
	s_delay_alu instid0(VALU_DEP_1) | instskip(SKIP_1) | instid1(VALU_DEP_1)
	v_fmac_f64_e32 v[128:129], v[112:113], v[98:99]
	s_wait_loadcnt 0x2
	v_fmac_f64_e32 v[128:129], v[94:95], v[100:101]
	s_wait_dscnt 0x0
	s_delay_alu instid0(VALU_DEP_1) | instskip(SKIP_4) | instid1(VALU_DEP_1)
	v_fmac_f64_e32 v[128:129], v[96:97], v[102:103]
	ds_load_b128 v[94:97], v2 offset:688
	s_wait_loadcnt 0x0
	v_fmac_f64_e32 v[128:129], v[114:115], v[104:105]
	s_wait_dscnt 0x0
	v_fmac_f64_e32 v[128:129], v[116:117], v[94:95]
	s_delay_alu instid0(VALU_DEP_1) | instskip(NEXT) | instid1(VALU_DEP_1)
	v_fmac_f64_e32 v[128:129], v[122:123], v[96:97]
	v_add_f64_e64 v[2:3], v[92:93], -v[128:129]
	scratch_store_b64 off, v[2:3], off offset:8
	s_wait_xcnt 0x0
	v_cmpx_ne_u32_e32 0, v0
	s_cbranch_execz .LBB107_273
; %bb.272:
	scratch_load_b64 v[2:3], off, off
	v_mov_b64_e32 v[92:93], 0
	scratch_store_b64 off, v[92:93], off
	s_wait_loadcnt 0x0
	ds_store_b64 v1, v[2:3]
.LBB107_273:
	s_wait_xcnt 0x0
	s_or_b32 exec_lo, exec_lo, s0
	s_wait_storecnt_dscnt 0x0
	s_barrier_signal -1
	s_barrier_wait -1
	s_clause 0x5
	scratch_load_b128 v[96:99], off, off
	scratch_load_b128 v[0:3], off, off offset:16
	scratch_load_b128 v[100:103], off, off offset:32
	;; [unrolled: 1-line block ×5, first 2 shown]
	v_mov_b32_e32 v94, 0
	scratch_load_b128 v[120:123], off, off offset:96
	s_and_b32 vcc_lo, exec_lo, s12
	ds_load_2addr_b64 v[116:119], v94 offset0:45 offset1:46
	s_wait_loadcnt_dscnt 0x600
	v_fma_f64 v[92:93], v[98:99], v[116:117], 0
	s_wait_loadcnt 0x5
	s_delay_alu instid0(VALU_DEP_1)
	v_fmac_f64_e32 v[92:93], v[0:1], v[118:119]
	ds_load_2addr_b64 v[116:119], v94 offset0:47 offset1:48
	s_wait_dscnt 0x0
	v_fmac_f64_e32 v[92:93], v[2:3], v[116:117]
	scratch_load_b128 v[0:3], off, off offset:112
	s_wait_loadcnt 0x5
	v_fmac_f64_e32 v[92:93], v[100:101], v[118:119]
	ds_load_2addr_b64 v[98:101], v94 offset0:49 offset1:50
	scratch_load_b128 v[116:119], off, off offset:128
	s_wait_dscnt 0x0
	v_fmac_f64_e32 v[92:93], v[102:103], v[98:99]
	s_wait_loadcnt 0x5
	s_delay_alu instid0(VALU_DEP_1)
	v_fmac_f64_e32 v[92:93], v[104:105], v[100:101]
	ds_load_2addr_b64 v[98:101], v94 offset0:51 offset1:52
	scratch_load_b128 v[102:105], off, off offset:144
	s_wait_dscnt 0x0
	v_fmac_f64_e32 v[92:93], v[106:107], v[98:99]
	s_wait_loadcnt 0x5
	s_delay_alu instid0(VALU_DEP_1)
	;; [unrolled: 7-line block ×4, first 2 shown]
	v_fmac_f64_e32 v[92:93], v[120:121], v[100:101]
	ds_load_2addr_b64 v[98:101], v94 offset0:57 offset1:58
	s_wait_dscnt 0x0
	v_fmac_f64_e32 v[92:93], v[122:123], v[98:99]
	scratch_load_b128 v[120:123], off, off offset:192
	s_wait_loadcnt 0x5
	v_fmac_f64_e32 v[92:93], v[0:1], v[100:101]
	ds_load_2addr_b64 v[98:101], v94 offset0:59 offset1:60
	s_wait_dscnt 0x0
	v_fmac_f64_e32 v[92:93], v[2:3], v[98:99]
	scratch_load_b128 v[0:3], off, off offset:208
	s_wait_loadcnt 0x5
	v_fmac_f64_e32 v[92:93], v[116:117], v[100:101]
	ds_load_2addr_b64 v[98:101], v94 offset0:61 offset1:62
	scratch_load_b128 v[114:117], off, off offset:224
	s_wait_dscnt 0x0
	v_fmac_f64_e32 v[92:93], v[118:119], v[98:99]
	s_wait_loadcnt 0x5
	s_delay_alu instid0(VALU_DEP_1)
	v_fmac_f64_e32 v[92:93], v[102:103], v[100:101]
	ds_load_2addr_b64 v[98:101], v94 offset0:63 offset1:64
	s_wait_dscnt 0x0
	v_fmac_f64_e32 v[92:93], v[104:105], v[98:99]
	scratch_load_b128 v[102:105], off, off offset:240
	s_wait_loadcnt 0x5
	v_fmac_f64_e32 v[92:93], v[106:107], v[100:101]
	ds_load_2addr_b64 v[98:101], v94 offset0:65 offset1:66
	s_wait_dscnt 0x0
	v_fmac_f64_e32 v[92:93], v[108:109], v[98:99]
	scratch_load_b128 v[106:109], off, off offset:256
	s_wait_loadcnt 0x5
	;; [unrolled: 6-line block ×3, first 2 shown]
	v_fmac_f64_e32 v[92:93], v[120:121], v[100:101]
	ds_load_2addr_b64 v[98:101], v94 offset0:69 offset1:70
	scratch_load_b128 v[118:121], off, off offset:288
	s_wait_dscnt 0x0
	v_fmac_f64_e32 v[92:93], v[122:123], v[98:99]
	scratch_load_b128 v[122:125], off, off offset:304
	s_wait_loadcnt 0x6
	v_fmac_f64_e32 v[92:93], v[0:1], v[100:101]
	ds_load_2addr_b64 v[98:101], v94 offset0:71 offset1:72
	s_wait_dscnt 0x0
	v_fmac_f64_e32 v[92:93], v[2:3], v[98:99]
	ds_load_2addr_b64 v[0:3], v94 offset0:73 offset1:74
	s_wait_loadcnt 0x5
	v_fmac_f64_e32 v[92:93], v[114:115], v[100:101]
	scratch_load_b128 v[98:101], off, off offset:320
	s_wait_dscnt 0x0
	v_fmac_f64_e32 v[92:93], v[116:117], v[0:1]
	ds_load_2addr_b64 v[114:117], v94 offset0:75 offset1:76
	s_wait_loadcnt 0x5
	v_fmac_f64_e32 v[92:93], v[102:103], v[2:3]
	scratch_load_b128 v[0:3], off, off offset:336
	s_wait_dscnt 0x0
	v_fmac_f64_e32 v[92:93], v[104:105], v[114:115]
	ds_load_2addr_b64 v[102:105], v94 offset0:77 offset1:78
	s_wait_loadcnt 0x5
	v_fmac_f64_e32 v[92:93], v[106:107], v[116:117]
	s_wait_dscnt 0x0
	s_delay_alu instid0(VALU_DEP_1) | instskip(SKIP_1) | instid1(VALU_DEP_1)
	v_fmac_f64_e32 v[92:93], v[108:109], v[102:103]
	s_wait_loadcnt 0x4
	v_fmac_f64_e32 v[92:93], v[110:111], v[104:105]
	ds_load_2addr_b64 v[102:105], v94 offset0:79 offset1:80
	s_wait_dscnt 0x0
	v_fmac_f64_e32 v[92:93], v[112:113], v[102:103]
	s_wait_loadcnt 0x3
	s_delay_alu instid0(VALU_DEP_1) | instskip(SKIP_4) | instid1(VALU_DEP_1)
	v_fmac_f64_e32 v[92:93], v[118:119], v[104:105]
	ds_load_2addr_b64 v[102:105], v94 offset0:81 offset1:82
	s_wait_dscnt 0x0
	v_fmac_f64_e32 v[92:93], v[120:121], v[102:103]
	s_wait_loadcnt 0x2
	v_fmac_f64_e32 v[92:93], v[122:123], v[104:105]
	ds_load_2addr_b64 v[102:105], v94 offset0:83 offset1:84
	s_wait_dscnt 0x0
	v_fmac_f64_e32 v[92:93], v[124:125], v[102:103]
	s_wait_loadcnt 0x1
	s_delay_alu instid0(VALU_DEP_1)
	v_fmac_f64_e32 v[92:93], v[98:99], v[104:105]
	ds_load_2addr_b64 v[102:105], v94 offset0:85 offset1:86
	ds_load_b64 v[98:99], v94 offset:696
	s_wait_dscnt 0x1
	v_fmac_f64_e32 v[92:93], v[100:101], v[102:103]
	s_wait_loadcnt 0x0
	s_delay_alu instid0(VALU_DEP_1) | instskip(SKIP_1) | instid1(VALU_DEP_1)
	v_fmac_f64_e32 v[92:93], v[0:1], v[104:105]
	s_wait_dscnt 0x0
	v_fmac_f64_e32 v[92:93], v[2:3], v[98:99]
	s_delay_alu instid0(VALU_DEP_1)
	v_add_f64_e64 v[92:93], v[96:97], -v[92:93]
	scratch_store_b64 off, v[92:93], off
	s_cbranch_vccz .LBB107_360
; %bb.274:
	global_load_b32 v2, v94, s[8:9] offset:168
	s_wait_loadcnt 0x0
	v_cmp_ne_u32_e32 vcc_lo, 43, v2
	s_cbranch_vccz .LBB107_276
; %bb.275:
	v_lshlrev_b32_e32 v2, 3, v2
	s_wait_xcnt 0x1
	s_delay_alu instid0(VALU_DEP_1)
	v_mov_b32_e32 v92, v2
	scratch_load_b64 v[2:3], v92, off offset:-8
	s_wait_loadcnt 0x0
	scratch_store_b64 off, v[2:3], off offset:336
	scratch_store_b64 v92, v[0:1], off offset:-8
.LBB107_276:
	s_wait_xcnt 0x0
	v_mov_b32_e32 v0, 0
	global_load_b32 v1, v0, s[8:9] offset:164
	s_wait_loadcnt 0x0
	v_cmp_eq_u32_e32 vcc_lo, 42, v1
	s_cbranch_vccnz .LBB107_278
; %bb.277:
	v_lshlrev_b32_e32 v1, 3, v1
	scratch_load_b64 v[2:3], v1, off offset:-8
	scratch_load_b64 v[92:93], off, off offset:328
	s_wait_loadcnt 0x1
	scratch_store_b64 off, v[2:3], off offset:328
	s_wait_loadcnt 0x0
	scratch_store_b64 v1, v[92:93], off offset:-8
.LBB107_278:
	global_load_b32 v0, v0, s[8:9] offset:160
	s_wait_loadcnt 0x0
	v_cmp_eq_u32_e32 vcc_lo, 41, v0
	s_cbranch_vccnz .LBB107_280
; %bb.279:
	s_wait_xcnt 0x0
	v_lshlrev_b32_e32 v0, 3, v0
	s_delay_alu instid0(VALU_DEP_1)
	v_mov_b32_e32 v92, v0
	scratch_load_b64 v[0:1], v92, off offset:-8
	scratch_load_b64 v[2:3], off, off offset:320
	s_wait_loadcnt 0x1
	scratch_store_b64 off, v[0:1], off offset:320
	s_wait_loadcnt 0x0
	scratch_store_b64 v92, v[2:3], off offset:-8
.LBB107_280:
	s_wait_xcnt 0x0
	v_mov_b32_e32 v0, 0
	global_load_b32 v1, v0, s[8:9] offset:156
	s_wait_loadcnt 0x0
	v_cmp_eq_u32_e32 vcc_lo, 40, v1
	s_cbranch_vccnz .LBB107_282
; %bb.281:
	v_lshlrev_b32_e32 v1, 3, v1
	scratch_load_b64 v[2:3], v1, off offset:-8
	scratch_load_b64 v[92:93], off, off offset:312
	s_wait_loadcnt 0x1
	scratch_store_b64 off, v[2:3], off offset:312
	s_wait_loadcnt 0x0
	scratch_store_b64 v1, v[92:93], off offset:-8
.LBB107_282:
	global_load_b32 v0, v0, s[8:9] offset:152
	s_wait_loadcnt 0x0
	v_cmp_eq_u32_e32 vcc_lo, 39, v0
	s_cbranch_vccnz .LBB107_284
; %bb.283:
	s_wait_xcnt 0x0
	v_lshlrev_b32_e32 v0, 3, v0
	s_delay_alu instid0(VALU_DEP_1)
	v_mov_b32_e32 v92, v0
	scratch_load_b64 v[0:1], v92, off offset:-8
	scratch_load_b64 v[2:3], off, off offset:304
	s_wait_loadcnt 0x1
	scratch_store_b64 off, v[0:1], off offset:304
	s_wait_loadcnt 0x0
	scratch_store_b64 v92, v[2:3], off offset:-8
.LBB107_284:
	;; [unrolled: 31-line block ×20, first 2 shown]
	s_wait_xcnt 0x0
	v_mov_b32_e32 v0, 0
	global_load_b32 v1, v0, s[8:9] offset:4
	s_wait_loadcnt 0x0
	v_cmp_eq_u32_e32 vcc_lo, 2, v1
	s_cbranch_vccnz .LBB107_358
; %bb.357:
	v_lshlrev_b32_e32 v1, 3, v1
	scratch_load_b64 v[2:3], v1, off offset:-8
	scratch_load_b64 v[92:93], off, off offset:8
	s_wait_loadcnt 0x1
	scratch_store_b64 off, v[2:3], off offset:8
	s_wait_loadcnt 0x0
	scratch_store_b64 v1, v[92:93], off offset:-8
.LBB107_358:
	global_load_b32 v0, v0, s[8:9]
	scratch_load_b64 v[92:93], off, off
	s_wait_loadcnt 0x1
	v_cmp_eq_u32_e32 vcc_lo, 1, v0
	s_cbranch_vccnz .LBB107_360
; %bb.359:
	s_wait_xcnt 0x1
	v_lshlrev_b32_e32 v0, 3, v0
	s_delay_alu instid0(VALU_DEP_1)
	v_mov_b32_e32 v2, v0
	scratch_load_b64 v[0:1], v2, off offset:-8
	s_wait_loadcnt 0x0
	scratch_store_b64 off, v[0:1], off
	scratch_store_b64 v2, v[92:93], off offset:-8
	scratch_load_b64 v[92:93], off, off
.LBB107_360:
	s_wait_loadcnt 0x0
	flat_store_b64 v[4:5], v[92:93]
	scratch_load_b64 v[4:5], off, off offset:8
	v_lshl_add_u64 v[132:133], v[8:9], 3, s[2:3]
	v_lshl_add_u64 v[130:131], v[10:11], 3, s[2:3]
	;; [unrolled: 1-line block ×42, first 2 shown]
	s_wait_loadcnt 0x0
	flat_store_b64 v[6:7], v[4:5]
	scratch_load_b64 v[4:5], off, off offset:16
	s_wait_loadcnt 0x0
	flat_store_b64 v[132:133], v[4:5]
	scratch_load_b64 v[4:5], off, off offset:24
	;; [unrolled: 3-line block ×42, first 2 shown]
	s_wait_loadcnt 0x0
	flat_store_b64 v[0:1], v[2:3]
	s_sendmsg sendmsg(MSG_DEALLOC_VGPRS)
	s_endpgm
	.section	.rodata,"a",@progbits
	.p2align	6, 0x0
	.amdhsa_kernel _ZN9rocsolver6v33100L18getri_kernel_smallILi44EdPKPdEEvT1_iilPiilS6_bb
		.amdhsa_group_segment_fixed_size 712
		.amdhsa_private_segment_fixed_size 368
		.amdhsa_kernarg_size 60
		.amdhsa_user_sgpr_count 2
		.amdhsa_user_sgpr_dispatch_ptr 0
		.amdhsa_user_sgpr_queue_ptr 0
		.amdhsa_user_sgpr_kernarg_segment_ptr 1
		.amdhsa_user_sgpr_dispatch_id 0
		.amdhsa_user_sgpr_kernarg_preload_length 0
		.amdhsa_user_sgpr_kernarg_preload_offset 0
		.amdhsa_user_sgpr_private_segment_size 0
		.amdhsa_wavefront_size32 1
		.amdhsa_uses_dynamic_stack 0
		.amdhsa_enable_private_segment 1
		.amdhsa_system_sgpr_workgroup_id_x 1
		.amdhsa_system_sgpr_workgroup_id_y 0
		.amdhsa_system_sgpr_workgroup_id_z 0
		.amdhsa_system_sgpr_workgroup_info 0
		.amdhsa_system_vgpr_workitem_id 0
		.amdhsa_next_free_vgpr 134
		.amdhsa_next_free_sgpr 19
		.amdhsa_named_barrier_count 0
		.amdhsa_reserve_vcc 1
		.amdhsa_float_round_mode_32 0
		.amdhsa_float_round_mode_16_64 0
		.amdhsa_float_denorm_mode_32 3
		.amdhsa_float_denorm_mode_16_64 3
		.amdhsa_fp16_overflow 0
		.amdhsa_memory_ordered 1
		.amdhsa_forward_progress 1
		.amdhsa_inst_pref_size 255
		.amdhsa_round_robin_scheduling 0
		.amdhsa_exception_fp_ieee_invalid_op 0
		.amdhsa_exception_fp_denorm_src 0
		.amdhsa_exception_fp_ieee_div_zero 0
		.amdhsa_exception_fp_ieee_overflow 0
		.amdhsa_exception_fp_ieee_underflow 0
		.amdhsa_exception_fp_ieee_inexact 0
		.amdhsa_exception_int_div_zero 0
	.end_amdhsa_kernel
	.section	.text._ZN9rocsolver6v33100L18getri_kernel_smallILi44EdPKPdEEvT1_iilPiilS6_bb,"axG",@progbits,_ZN9rocsolver6v33100L18getri_kernel_smallILi44EdPKPdEEvT1_iilPiilS6_bb,comdat
.Lfunc_end107:
	.size	_ZN9rocsolver6v33100L18getri_kernel_smallILi44EdPKPdEEvT1_iilPiilS6_bb, .Lfunc_end107-_ZN9rocsolver6v33100L18getri_kernel_smallILi44EdPKPdEEvT1_iilPiilS6_bb
                                        ; -- End function
	.set _ZN9rocsolver6v33100L18getri_kernel_smallILi44EdPKPdEEvT1_iilPiilS6_bb.num_vgpr, 134
	.set _ZN9rocsolver6v33100L18getri_kernel_smallILi44EdPKPdEEvT1_iilPiilS6_bb.num_agpr, 0
	.set _ZN9rocsolver6v33100L18getri_kernel_smallILi44EdPKPdEEvT1_iilPiilS6_bb.numbered_sgpr, 19
	.set _ZN9rocsolver6v33100L18getri_kernel_smallILi44EdPKPdEEvT1_iilPiilS6_bb.num_named_barrier, 0
	.set _ZN9rocsolver6v33100L18getri_kernel_smallILi44EdPKPdEEvT1_iilPiilS6_bb.private_seg_size, 368
	.set _ZN9rocsolver6v33100L18getri_kernel_smallILi44EdPKPdEEvT1_iilPiilS6_bb.uses_vcc, 1
	.set _ZN9rocsolver6v33100L18getri_kernel_smallILi44EdPKPdEEvT1_iilPiilS6_bb.uses_flat_scratch, 1
	.set _ZN9rocsolver6v33100L18getri_kernel_smallILi44EdPKPdEEvT1_iilPiilS6_bb.has_dyn_sized_stack, 0
	.set _ZN9rocsolver6v33100L18getri_kernel_smallILi44EdPKPdEEvT1_iilPiilS6_bb.has_recursion, 0
	.set _ZN9rocsolver6v33100L18getri_kernel_smallILi44EdPKPdEEvT1_iilPiilS6_bb.has_indirect_call, 0
	.section	.AMDGPU.csdata,"",@progbits
; Kernel info:
; codeLenInByte = 40052
; TotalNumSgprs: 21
; NumVgprs: 134
; ScratchSize: 368
; MemoryBound: 0
; FloatMode: 240
; IeeeMode: 1
; LDSByteSize: 712 bytes/workgroup (compile time only)
; SGPRBlocks: 0
; VGPRBlocks: 8
; NumSGPRsForWavesPerEU: 21
; NumVGPRsForWavesPerEU: 134
; NamedBarCnt: 0
; Occupancy: 7
; WaveLimiterHint : 1
; COMPUTE_PGM_RSRC2:SCRATCH_EN: 1
; COMPUTE_PGM_RSRC2:USER_SGPR: 2
; COMPUTE_PGM_RSRC2:TRAP_HANDLER: 0
; COMPUTE_PGM_RSRC2:TGID_X_EN: 1
; COMPUTE_PGM_RSRC2:TGID_Y_EN: 0
; COMPUTE_PGM_RSRC2:TGID_Z_EN: 0
; COMPUTE_PGM_RSRC2:TIDIG_COMP_CNT: 0
	.section	.text._ZN9rocsolver6v33100L18getri_kernel_smallILi45EdPKPdEEvT1_iilPiilS6_bb,"axG",@progbits,_ZN9rocsolver6v33100L18getri_kernel_smallILi45EdPKPdEEvT1_iilPiilS6_bb,comdat
	.globl	_ZN9rocsolver6v33100L18getri_kernel_smallILi45EdPKPdEEvT1_iilPiilS6_bb ; -- Begin function _ZN9rocsolver6v33100L18getri_kernel_smallILi45EdPKPdEEvT1_iilPiilS6_bb
	.p2align	8
	.type	_ZN9rocsolver6v33100L18getri_kernel_smallILi45EdPKPdEEvT1_iilPiilS6_bb,@function
_ZN9rocsolver6v33100L18getri_kernel_smallILi45EdPKPdEEvT1_iilPiilS6_bb: ; @_ZN9rocsolver6v33100L18getri_kernel_smallILi45EdPKPdEEvT1_iilPiilS6_bb
; %bb.0:
	s_mov_b32 s2, exec_lo
	v_cmpx_gt_u32_e32 45, v0
	s_cbranch_execz .LBB108_190
; %bb.1:
	s_clause 0x1
	s_load_b32 s13, s[0:1], 0x38
	s_load_b64 s[2:3], s[0:1], 0x0
	s_getreg_b32 s6, hwreg(HW_REG_IB_STS2, 6, 4)
	s_wait_kmcnt 0x0
	s_bitcmp1_b32 s13, 8
	s_cselect_b32 s12, -1, 0
	s_bfe_u32 s4, ttmp6, 0x4000c
	s_and_b32 s5, ttmp6, 15
	s_add_co_i32 s4, s4, 1
	s_delay_alu instid0(SALU_CYCLE_1) | instskip(NEXT) | instid1(SALU_CYCLE_1)
	s_mul_i32 s4, ttmp9, s4
	s_add_co_i32 s5, s5, s4
	s_cmp_eq_u32 s6, 0
	s_cselect_b32 s10, ttmp9, s5
	s_load_b128 s[4:7], s[0:1], 0x28
	s_ashr_i32 s11, s10, 31
	s_delay_alu instid0(SALU_CYCLE_1) | instskip(NEXT) | instid1(SALU_CYCLE_1)
	s_lshl_b64 s[8:9], s[10:11], 3
	s_add_nc_u64 s[2:3], s[2:3], s[8:9]
	s_bfe_u32 s8, s13, 0x10008
	s_load_b64 s[2:3], s[2:3], 0x0
	s_cmp_eq_u32 s8, 0
                                        ; implicit-def: $sgpr8_sgpr9
	s_cbranch_scc1 .LBB108_3
; %bb.2:
	s_load_b96 s[16:18], s[0:1], 0x18
	s_wait_kmcnt 0x0
	s_mul_u64 s[4:5], s[4:5], s[10:11]
	s_delay_alu instid0(SALU_CYCLE_1) | instskip(SKIP_4) | instid1(SALU_CYCLE_1)
	s_lshl_b64 s[4:5], s[4:5], 2
	s_ashr_i32 s9, s18, 31
	s_mov_b32 s8, s18
	s_add_nc_u64 s[4:5], s[16:17], s[4:5]
	s_lshl_b64 s[8:9], s[8:9], 2
	s_add_nc_u64 s[8:9], s[4:5], s[8:9]
.LBB108_3:
	s_wait_kmcnt 0x0
	s_clause 0x1
	s_load_b64 s[4:5], s[0:1], 0x8
	s_load_b32 s13, s[0:1], 0x38
	v_dual_mov_b32 v3, 0 :: v_dual_lshlrev_b32 v2, 3, v0
	s_wait_kmcnt 0x0
	s_ashr_i32 s1, s4, 31
	s_mov_b32 s0, s4
	s_delay_alu instid0(SALU_CYCLE_1) | instskip(NEXT) | instid1(SALU_CYCLE_1)
	s_lshl_b64 s[0:1], s[0:1], 3
	s_add_nc_u64 s[2:3], s[2:3], s[0:1]
	s_ashr_i32 s1, s5, 31
	flat_load_b64 v[8:9], v0, s[2:3] scale_offset
	v_add_nc_u64_e32 v[4:5], s[2:3], v[2:3]
	s_mov_b32 s0, s5
	s_bitcmp0_b32 s13, 0
	s_delay_alu instid0(VALU_DEP_1)
	v_lshl_add_u64 v[6:7], s[0:1], 3, v[4:5]
	s_mov_b32 s1, -1
	s_wait_loadcnt_dscnt 0x0
	scratch_store_b64 off, v[8:9], off
	flat_load_b64 v[10:11], v[6:7]
	s_wait_xcnt 0x1
	v_add3_u32 v8, s5, s5, v0
	s_wait_loadcnt_dscnt 0x0
	scratch_store_b64 off, v[10:11], off offset:8
	flat_load_b64 v[12:13], v8, s[2:3] scale_offset
	s_wait_xcnt 0x1
	v_add_nc_u32_e32 v10, s5, v8
	s_wait_loadcnt_dscnt 0x0
	scratch_store_b64 off, v[12:13], off offset:16
	flat_load_b64 v[14:15], v10, s[2:3] scale_offset
	s_wait_xcnt 0x1
	v_add_nc_u32_e32 v12, s5, v10
	s_wait_loadcnt_dscnt 0x0
	scratch_store_b64 off, v[14:15], off offset:24
	flat_load_b64 v[16:17], v12, s[2:3] scale_offset
	s_wait_xcnt 0x1
	v_add_nc_u32_e32 v14, s5, v12
	s_wait_loadcnt_dscnt 0x0
	scratch_store_b64 off, v[16:17], off offset:32
	flat_load_b64 v[18:19], v14, s[2:3] scale_offset
	s_wait_xcnt 0x1
	v_add_nc_u32_e32 v16, s5, v14
	s_wait_loadcnt_dscnt 0x0
	scratch_store_b64 off, v[18:19], off offset:40
	flat_load_b64 v[20:21], v16, s[2:3] scale_offset
	s_wait_xcnt 0x1
	v_add_nc_u32_e32 v18, s5, v16
	s_wait_loadcnt_dscnt 0x0
	scratch_store_b64 off, v[20:21], off offset:48
	flat_load_b64 v[22:23], v18, s[2:3] scale_offset
	s_wait_xcnt 0x1
	v_add_nc_u32_e32 v20, s5, v18
	s_wait_loadcnt_dscnt 0x0
	scratch_store_b64 off, v[22:23], off offset:56
	flat_load_b64 v[24:25], v20, s[2:3] scale_offset
	s_wait_xcnt 0x1
	v_add_nc_u32_e32 v22, s5, v20
	s_wait_loadcnt_dscnt 0x0
	scratch_store_b64 off, v[24:25], off offset:64
	flat_load_b64 v[26:27], v22, s[2:3] scale_offset
	s_wait_xcnt 0x1
	v_add_nc_u32_e32 v24, s5, v22
	s_wait_loadcnt_dscnt 0x0
	scratch_store_b64 off, v[26:27], off offset:72
	flat_load_b64 v[28:29], v24, s[2:3] scale_offset
	s_wait_xcnt 0x1
	v_add_nc_u32_e32 v26, s5, v24
	s_wait_loadcnt_dscnt 0x0
	scratch_store_b64 off, v[28:29], off offset:80
	flat_load_b64 v[30:31], v26, s[2:3] scale_offset
	s_wait_xcnt 0x1
	v_add_nc_u32_e32 v28, s5, v26
	s_wait_loadcnt_dscnt 0x0
	scratch_store_b64 off, v[30:31], off offset:88
	flat_load_b64 v[32:33], v28, s[2:3] scale_offset
	s_wait_xcnt 0x1
	v_add_nc_u32_e32 v30, s5, v28
	s_wait_loadcnt_dscnt 0x0
	scratch_store_b64 off, v[32:33], off offset:96
	flat_load_b64 v[34:35], v30, s[2:3] scale_offset
	s_wait_xcnt 0x1
	v_add_nc_u32_e32 v32, s5, v30
	s_wait_loadcnt_dscnt 0x0
	scratch_store_b64 off, v[34:35], off offset:104
	flat_load_b64 v[36:37], v32, s[2:3] scale_offset
	s_wait_xcnt 0x1
	v_add_nc_u32_e32 v34, s5, v32
	s_wait_loadcnt_dscnt 0x0
	scratch_store_b64 off, v[36:37], off offset:112
	flat_load_b64 v[38:39], v34, s[2:3] scale_offset
	s_wait_xcnt 0x1
	v_add_nc_u32_e32 v36, s5, v34
	s_wait_loadcnt_dscnt 0x0
	scratch_store_b64 off, v[38:39], off offset:120
	flat_load_b64 v[40:41], v36, s[2:3] scale_offset
	s_wait_xcnt 0x1
	v_add_nc_u32_e32 v38, s5, v36
	s_wait_loadcnt_dscnt 0x0
	scratch_store_b64 off, v[40:41], off offset:128
	flat_load_b64 v[42:43], v38, s[2:3] scale_offset
	s_wait_xcnt 0x1
	v_add_nc_u32_e32 v40, s5, v38
	s_wait_loadcnt_dscnt 0x0
	scratch_store_b64 off, v[42:43], off offset:136
	flat_load_b64 v[44:45], v40, s[2:3] scale_offset
	s_wait_xcnt 0x1
	v_add_nc_u32_e32 v42, s5, v40
	s_wait_loadcnt_dscnt 0x0
	scratch_store_b64 off, v[44:45], off offset:144
	flat_load_b64 v[46:47], v42, s[2:3] scale_offset
	s_wait_xcnt 0x1
	v_add_nc_u32_e32 v44, s5, v42
	s_wait_loadcnt_dscnt 0x0
	scratch_store_b64 off, v[46:47], off offset:152
	flat_load_b64 v[48:49], v44, s[2:3] scale_offset
	s_wait_xcnt 0x1
	v_add_nc_u32_e32 v46, s5, v44
	s_wait_loadcnt_dscnt 0x0
	scratch_store_b64 off, v[48:49], off offset:160
	flat_load_b64 v[50:51], v46, s[2:3] scale_offset
	s_wait_xcnt 0x1
	v_add_nc_u32_e32 v48, s5, v46
	s_wait_loadcnt_dscnt 0x0
	scratch_store_b64 off, v[50:51], off offset:168
	flat_load_b64 v[52:53], v48, s[2:3] scale_offset
	s_wait_xcnt 0x1
	v_add_nc_u32_e32 v50, s5, v48
	s_wait_loadcnt_dscnt 0x0
	scratch_store_b64 off, v[52:53], off offset:176
	flat_load_b64 v[54:55], v50, s[2:3] scale_offset
	s_wait_xcnt 0x1
	v_add_nc_u32_e32 v52, s5, v50
	s_wait_loadcnt_dscnt 0x0
	scratch_store_b64 off, v[54:55], off offset:184
	flat_load_b64 v[56:57], v52, s[2:3] scale_offset
	s_wait_xcnt 0x1
	v_add_nc_u32_e32 v54, s5, v52
	s_wait_loadcnt_dscnt 0x0
	scratch_store_b64 off, v[56:57], off offset:192
	flat_load_b64 v[58:59], v54, s[2:3] scale_offset
	s_wait_xcnt 0x1
	v_add_nc_u32_e32 v56, s5, v54
	s_wait_loadcnt_dscnt 0x0
	scratch_store_b64 off, v[58:59], off offset:200
	flat_load_b64 v[60:61], v56, s[2:3] scale_offset
	s_wait_xcnt 0x1
	v_add_nc_u32_e32 v58, s5, v56
	s_wait_loadcnt_dscnt 0x0
	scratch_store_b64 off, v[60:61], off offset:208
	flat_load_b64 v[62:63], v58, s[2:3] scale_offset
	s_wait_xcnt 0x1
	v_add_nc_u32_e32 v60, s5, v58
	s_wait_loadcnt_dscnt 0x0
	scratch_store_b64 off, v[62:63], off offset:216
	flat_load_b64 v[64:65], v60, s[2:3] scale_offset
	s_wait_xcnt 0x1
	v_add_nc_u32_e32 v62, s5, v60
	s_wait_loadcnt_dscnt 0x0
	scratch_store_b64 off, v[64:65], off offset:224
	flat_load_b64 v[66:67], v62, s[2:3] scale_offset
	s_wait_xcnt 0x1
	v_add_nc_u32_e32 v64, s5, v62
	s_wait_loadcnt_dscnt 0x0
	scratch_store_b64 off, v[66:67], off offset:232
	flat_load_b64 v[68:69], v64, s[2:3] scale_offset
	s_wait_xcnt 0x1
	v_add_nc_u32_e32 v66, s5, v64
	s_wait_loadcnt_dscnt 0x0
	scratch_store_b64 off, v[68:69], off offset:240
	flat_load_b64 v[70:71], v66, s[2:3] scale_offset
	s_wait_xcnt 0x1
	v_add_nc_u32_e32 v68, s5, v66
	s_wait_loadcnt_dscnt 0x0
	scratch_store_b64 off, v[70:71], off offset:248
	flat_load_b64 v[72:73], v68, s[2:3] scale_offset
	s_wait_xcnt 0x1
	v_add_nc_u32_e32 v70, s5, v68
	s_wait_loadcnt_dscnt 0x0
	scratch_store_b64 off, v[72:73], off offset:256
	flat_load_b64 v[74:75], v70, s[2:3] scale_offset
	s_wait_xcnt 0x1
	v_add_nc_u32_e32 v72, s5, v70
	s_wait_loadcnt_dscnt 0x0
	scratch_store_b64 off, v[74:75], off offset:264
	flat_load_b64 v[76:77], v72, s[2:3] scale_offset
	s_wait_xcnt 0x1
	v_add_nc_u32_e32 v74, s5, v72
	s_wait_loadcnt_dscnt 0x0
	scratch_store_b64 off, v[76:77], off offset:272
	flat_load_b64 v[78:79], v74, s[2:3] scale_offset
	s_wait_xcnt 0x1
	v_add_nc_u32_e32 v76, s5, v74
	s_wait_loadcnt_dscnt 0x0
	scratch_store_b64 off, v[78:79], off offset:280
	flat_load_b64 v[80:81], v76, s[2:3] scale_offset
	s_wait_xcnt 0x1
	v_add_nc_u32_e32 v78, s5, v76
	s_wait_loadcnt_dscnt 0x0
	scratch_store_b64 off, v[80:81], off offset:288
	flat_load_b64 v[82:83], v78, s[2:3] scale_offset
	s_wait_xcnt 0x1
	v_add_nc_u32_e32 v80, s5, v78
	s_wait_loadcnt_dscnt 0x0
	scratch_store_b64 off, v[82:83], off offset:296
	flat_load_b64 v[84:85], v80, s[2:3] scale_offset
	s_wait_xcnt 0x1
	v_add_nc_u32_e32 v82, s5, v80
	s_wait_loadcnt_dscnt 0x0
	scratch_store_b64 off, v[84:85], off offset:304
	flat_load_b64 v[86:87], v82, s[2:3] scale_offset
	s_wait_xcnt 0x1
	v_add_nc_u32_e32 v84, s5, v82
	s_wait_loadcnt_dscnt 0x0
	scratch_store_b64 off, v[86:87], off offset:312
	flat_load_b64 v[88:89], v84, s[2:3] scale_offset
	s_wait_xcnt 0x1
	v_add_nc_u32_e32 v86, s5, v84
	s_wait_loadcnt_dscnt 0x0
	scratch_store_b64 off, v[88:89], off offset:320
	flat_load_b64 v[90:91], v86, s[2:3] scale_offset
	s_wait_xcnt 0x1
	v_add_nc_u32_e32 v88, s5, v86
	s_wait_loadcnt_dscnt 0x0
	scratch_store_b64 off, v[90:91], off offset:328
	flat_load_b64 v[92:93], v88, s[2:3] scale_offset
	s_wait_xcnt 0x1
	v_add_nc_u32_e32 v90, s5, v88
	s_wait_loadcnt_dscnt 0x0
	scratch_store_b64 off, v[92:93], off offset:336
	flat_load_b64 v[94:95], v90, s[2:3] scale_offset
	s_wait_xcnt 0x1
	v_add_nc_u32_e32 v92, s5, v90
	s_wait_loadcnt_dscnt 0x0
	scratch_store_b64 off, v[94:95], off offset:344
	flat_load_b64 v[94:95], v92, s[2:3] scale_offset
	s_wait_loadcnt_dscnt 0x0
	scratch_store_b64 off, v[94:95], off offset:352
	s_cbranch_scc1 .LBB108_188
; %bb.4:
	v_cmp_eq_u32_e64 s0, 0, v0
	s_wait_xcnt 0x0
	s_and_saveexec_b32 s1, s0
; %bb.5:
	v_mov_b32_e32 v1, 0
	ds_store_b32 v1, v1 offset:360
; %bb.6:
	s_or_b32 exec_lo, exec_lo, s1
	s_wait_storecnt_dscnt 0x0
	s_barrier_signal -1
	s_barrier_wait -1
	scratch_load_b64 v[94:95], v0, off scale_offset
	s_mov_b32 s4, exec_lo
	s_wait_loadcnt 0x0
	v_cmpx_eq_f64_e32 0, v[94:95]
	s_cbranch_execz .LBB108_10
; %bb.7:
	v_mov_b32_e32 v1, 0
	s_mov_b32 s5, 0
	ds_load_b32 v3, v1 offset:360
	s_wait_dscnt 0x0
	v_readfirstlane_b32 s1, v3
	v_add_nc_u32_e32 v3, 1, v0
	s_cmp_eq_u32 s1, 0
	s_delay_alu instid0(VALU_DEP_1) | instskip(SKIP_1) | instid1(SALU_CYCLE_1)
	v_cmp_gt_i32_e32 vcc_lo, s1, v3
	s_cselect_b32 s13, -1, 0
	s_or_b32 s13, s13, vcc_lo
	s_delay_alu instid0(SALU_CYCLE_1)
	s_and_b32 exec_lo, exec_lo, s13
	s_cbranch_execz .LBB108_10
; %bb.8:
	v_mov_b32_e32 v9, s1
.LBB108_9:                              ; =>This Inner Loop Header: Depth=1
	ds_cmpstore_rtn_b32 v9, v1, v3, v9 offset:360
	s_wait_dscnt 0x0
	v_cmp_ne_u32_e32 vcc_lo, 0, v9
	v_cmp_le_i32_e64 s1, v9, v3
	s_and_b32 s1, vcc_lo, s1
	s_delay_alu instid0(SALU_CYCLE_1) | instskip(NEXT) | instid1(SALU_CYCLE_1)
	s_and_b32 s1, exec_lo, s1
	s_or_b32 s5, s1, s5
	s_delay_alu instid0(SALU_CYCLE_1)
	s_and_not1_b32 exec_lo, exec_lo, s5
	s_cbranch_execnz .LBB108_9
.LBB108_10:
	s_or_b32 exec_lo, exec_lo, s4
	v_mov_b32_e32 v1, 0
	s_barrier_signal -1
	s_barrier_wait -1
	ds_load_b32 v3, v1 offset:360
	s_and_saveexec_b32 s1, s0
	s_cbranch_execz .LBB108_12
; %bb.11:
	s_lshl_b64 s[4:5], s[10:11], 2
	s_delay_alu instid0(SALU_CYCLE_1)
	s_add_nc_u64 s[4:5], s[6:7], s[4:5]
	s_wait_dscnt 0x0
	global_store_b32 v1, v3, s[4:5]
.LBB108_12:
	s_wait_xcnt 0x0
	s_or_b32 exec_lo, exec_lo, s1
	s_wait_dscnt 0x0
	v_cmp_ne_u32_e32 vcc_lo, 0, v3
	s_mov_b32 s1, 0
	s_cbranch_vccnz .LBB108_188
; %bb.13:
	v_lshl_add_u32 v3, v0, 3, 0
	v_add_nc_u32_e32 v1, 0x170, v2
	scratch_load_b64 v[94:95], v3, off
	s_wait_loadcnt 0x0
	v_div_scale_f64 v[96:97], null, v[94:95], v[94:95], 1.0
	v_div_scale_f64 v[102:103], vcc_lo, 1.0, v[94:95], 1.0
	s_delay_alu instid0(VALU_DEP_2) | instskip(SKIP_1) | instid1(TRANS32_DEP_1)
	v_rcp_f64_e32 v[98:99], v[96:97]
	v_nop
	v_fma_f64 v[100:101], -v[96:97], v[98:99], 1.0
	s_delay_alu instid0(VALU_DEP_1) | instskip(NEXT) | instid1(VALU_DEP_1)
	v_fmac_f64_e32 v[98:99], v[98:99], v[100:101]
	v_fma_f64 v[100:101], -v[96:97], v[98:99], 1.0
	s_delay_alu instid0(VALU_DEP_1) | instskip(NEXT) | instid1(VALU_DEP_1)
	v_fmac_f64_e32 v[98:99], v[98:99], v[100:101]
	v_mul_f64_e32 v[100:101], v[102:103], v[98:99]
	s_delay_alu instid0(VALU_DEP_1) | instskip(NEXT) | instid1(VALU_DEP_1)
	v_fma_f64 v[96:97], -v[96:97], v[100:101], v[102:103]
	v_div_fmas_f64 v[96:97], v[96:97], v[98:99], v[100:101]
	s_delay_alu instid0(VALU_DEP_1)
	v_div_fixup_f64 v[94:95], v[96:97], v[94:95], 1.0
	scratch_store_b64 v3, v[94:95], off
	scratch_load_b64 v[96:97], off, off offset:8
	s_wait_xcnt 0x1
	v_xor_b32_e32 v95, 0x80000000, v95
	s_wait_loadcnt 0x0
	ds_store_2addr_b64 v2, v[94:95], v[96:97] offset1:46
	s_wait_storecnt_dscnt 0x0
	s_barrier_signal -1
	s_barrier_wait -1
	s_wait_xcnt 0x0
	s_and_saveexec_b32 s1, s0
	s_cbranch_execz .LBB108_15
; %bb.14:
	scratch_load_b64 v[94:95], v3, off
	ds_load_b64 v[96:97], v1
	s_wait_loadcnt_dscnt 0x0
	v_fma_f64 v[94:95], v[94:95], v[96:97], 0
	v_mov_b32_e32 v9, 0
	ds_load_b64 v[98:99], v9 offset:8
	s_wait_dscnt 0x0
	v_mul_f64_e32 v[94:95], v[94:95], v[98:99]
	scratch_store_b64 off, v[94:95], off offset:8
.LBB108_15:
	s_wait_xcnt 0x0
	s_or_b32 exec_lo, exec_lo, s1
	s_wait_storecnt 0x0
	s_barrier_signal -1
	s_barrier_wait -1
	scratch_load_b64 v[94:95], off, off offset:16
	s_mov_b32 s1, exec_lo
	s_wait_loadcnt 0x0
	ds_store_b64 v1, v[94:95]
	s_wait_dscnt 0x0
	s_barrier_signal -1
	s_barrier_wait -1
	v_cmpx_gt_u32_e32 2, v0
	s_cbranch_execz .LBB108_19
; %bb.16:
	scratch_load_b64 v[94:95], v3, off
	ds_load_b64 v[96:97], v1
	s_wait_loadcnt_dscnt 0x0
	v_fma_f64 v[94:95], v[94:95], v[96:97], 0
	s_and_saveexec_b32 s4, s0
	s_cbranch_execz .LBB108_18
; %bb.17:
	scratch_load_b64 v[96:97], off, off offset:8
	v_mov_b32_e32 v3, 0
	ds_load_b64 v[98:99], v3 offset:376
	s_wait_loadcnt_dscnt 0x0
	v_fmac_f64_e32 v[94:95], v[96:97], v[98:99]
.LBB108_18:
	s_or_b32 exec_lo, exec_lo, s4
	v_mov_b32_e32 v3, 0
	ds_load_b64 v[96:97], v3 offset:16
	s_wait_dscnt 0x0
	v_mul_f64_e32 v[94:95], v[94:95], v[96:97]
	scratch_store_b64 off, v[94:95], off offset:16
.LBB108_19:
	s_wait_xcnt 0x0
	s_or_b32 exec_lo, exec_lo, s1
	s_wait_storecnt 0x0
	s_barrier_signal -1
	s_barrier_wait -1
	scratch_load_b64 v[94:95], off, off offset:24
	v_add_nc_u32_e32 v3, -1, v0
	s_mov_b32 s0, exec_lo
	s_wait_loadcnt 0x0
	ds_store_b64 v1, v[94:95]
	s_wait_dscnt 0x0
	s_barrier_signal -1
	s_barrier_wait -1
	v_cmpx_gt_u32_e32 3, v0
	s_cbranch_execz .LBB108_23
; %bb.20:
	v_mov_b64_e32 v[94:95], 0
	v_dual_add_nc_u32 v9, -1, v0 :: v_dual_mov_b32 v13, v2
	v_add_nc_u32_e32 v11, 0x170, v2
	s_mov_b32 s1, 0
.LBB108_21:                             ; =>This Inner Loop Header: Depth=1
	scratch_load_b64 v[96:97], v13, off
	ds_load_b64 v[98:99], v11
	v_dual_add_nc_u32 v9, 1, v9 :: v_dual_add_nc_u32 v11, 8, v11
	s_wait_xcnt 0x0
	v_add_nc_u32_e32 v13, 8, v13
	s_delay_alu instid0(VALU_DEP_2)
	v_cmp_lt_u32_e32 vcc_lo, 1, v9
	s_or_b32 s1, vcc_lo, s1
	s_wait_loadcnt_dscnt 0x0
	v_fmac_f64_e32 v[94:95], v[96:97], v[98:99]
	s_and_not1_b32 exec_lo, exec_lo, s1
	s_cbranch_execnz .LBB108_21
; %bb.22:
	s_or_b32 exec_lo, exec_lo, s1
	v_mov_b32_e32 v9, 0
	ds_load_b64 v[96:97], v9 offset:24
	s_wait_dscnt 0x0
	v_mul_f64_e32 v[94:95], v[94:95], v[96:97]
	scratch_store_b64 off, v[94:95], off offset:24
.LBB108_23:
	s_wait_xcnt 0x0
	s_or_b32 exec_lo, exec_lo, s0
	s_wait_storecnt 0x0
	s_barrier_signal -1
	s_barrier_wait -1
	scratch_load_b64 v[94:95], off, off offset:32
	s_mov_b32 s0, exec_lo
	s_wait_loadcnt 0x0
	ds_store_b64 v1, v[94:95]
	s_wait_dscnt 0x0
	s_barrier_signal -1
	s_barrier_wait -1
	v_cmpx_gt_u32_e32 4, v0
	s_cbranch_execz .LBB108_27
; %bb.24:
	v_mov_b64_e32 v[94:95], 0
	v_dual_add_nc_u32 v9, -1, v0 :: v_dual_mov_b32 v13, v2
	v_add_nc_u32_e32 v11, 0x170, v2
	s_mov_b32 s1, 0
.LBB108_25:                             ; =>This Inner Loop Header: Depth=1
	scratch_load_b64 v[96:97], v13, off
	ds_load_b64 v[98:99], v11
	v_dual_add_nc_u32 v9, 1, v9 :: v_dual_add_nc_u32 v11, 8, v11
	s_wait_xcnt 0x0
	v_add_nc_u32_e32 v13, 8, v13
	s_delay_alu instid0(VALU_DEP_2)
	v_cmp_lt_u32_e32 vcc_lo, 2, v9
	s_or_b32 s1, vcc_lo, s1
	s_wait_loadcnt_dscnt 0x0
	v_fmac_f64_e32 v[94:95], v[96:97], v[98:99]
	s_and_not1_b32 exec_lo, exec_lo, s1
	s_cbranch_execnz .LBB108_25
; %bb.26:
	s_or_b32 exec_lo, exec_lo, s1
	v_mov_b32_e32 v9, 0
	ds_load_b64 v[96:97], v9 offset:32
	s_wait_dscnt 0x0
	v_mul_f64_e32 v[94:95], v[94:95], v[96:97]
	scratch_store_b64 off, v[94:95], off offset:32
.LBB108_27:
	s_wait_xcnt 0x0
	s_or_b32 exec_lo, exec_lo, s0
	s_wait_storecnt 0x0
	s_barrier_signal -1
	s_barrier_wait -1
	scratch_load_b64 v[94:95], off, off offset:40
	s_mov_b32 s0, exec_lo
	s_wait_loadcnt 0x0
	ds_store_b64 v1, v[94:95]
	s_wait_dscnt 0x0
	s_barrier_signal -1
	s_barrier_wait -1
	v_cmpx_gt_u32_e32 5, v0
	s_cbranch_execz .LBB108_31
; %bb.28:
	v_mov_b64_e32 v[94:95], 0
	v_dual_add_nc_u32 v9, -1, v0 :: v_dual_mov_b32 v13, v2
	v_add_nc_u32_e32 v11, 0x170, v2
	s_mov_b32 s1, 0
.LBB108_29:                             ; =>This Inner Loop Header: Depth=1
	scratch_load_b64 v[96:97], v13, off
	ds_load_b64 v[98:99], v11
	v_dual_add_nc_u32 v9, 1, v9 :: v_dual_add_nc_u32 v11, 8, v11
	s_wait_xcnt 0x0
	v_add_nc_u32_e32 v13, 8, v13
	s_delay_alu instid0(VALU_DEP_2)
	v_cmp_lt_u32_e32 vcc_lo, 3, v9
	s_or_b32 s1, vcc_lo, s1
	s_wait_loadcnt_dscnt 0x0
	v_fmac_f64_e32 v[94:95], v[96:97], v[98:99]
	s_and_not1_b32 exec_lo, exec_lo, s1
	s_cbranch_execnz .LBB108_29
; %bb.30:
	s_or_b32 exec_lo, exec_lo, s1
	v_mov_b32_e32 v9, 0
	ds_load_b64 v[96:97], v9 offset:40
	s_wait_dscnt 0x0
	v_mul_f64_e32 v[94:95], v[94:95], v[96:97]
	scratch_store_b64 off, v[94:95], off offset:40
.LBB108_31:
	s_wait_xcnt 0x0
	s_or_b32 exec_lo, exec_lo, s0
	s_wait_storecnt 0x0
	s_barrier_signal -1
	s_barrier_wait -1
	scratch_load_b64 v[94:95], off, off offset:48
	s_mov_b32 s0, exec_lo
	s_wait_loadcnt 0x0
	ds_store_b64 v1, v[94:95]
	s_wait_dscnt 0x0
	s_barrier_signal -1
	s_barrier_wait -1
	v_cmpx_gt_u32_e32 6, v0
	s_cbranch_execz .LBB108_35
; %bb.32:
	v_mov_b64_e32 v[94:95], 0
	v_dual_add_nc_u32 v9, -1, v0 :: v_dual_mov_b32 v13, v2
	v_add_nc_u32_e32 v11, 0x170, v2
	s_mov_b32 s1, 0
.LBB108_33:                             ; =>This Inner Loop Header: Depth=1
	scratch_load_b64 v[96:97], v13, off
	ds_load_b64 v[98:99], v11
	v_dual_add_nc_u32 v9, 1, v9 :: v_dual_add_nc_u32 v11, 8, v11
	s_wait_xcnt 0x0
	v_add_nc_u32_e32 v13, 8, v13
	s_delay_alu instid0(VALU_DEP_2)
	v_cmp_lt_u32_e32 vcc_lo, 4, v9
	s_or_b32 s1, vcc_lo, s1
	s_wait_loadcnt_dscnt 0x0
	v_fmac_f64_e32 v[94:95], v[96:97], v[98:99]
	s_and_not1_b32 exec_lo, exec_lo, s1
	s_cbranch_execnz .LBB108_33
; %bb.34:
	s_or_b32 exec_lo, exec_lo, s1
	v_mov_b32_e32 v9, 0
	ds_load_b64 v[96:97], v9 offset:48
	s_wait_dscnt 0x0
	v_mul_f64_e32 v[94:95], v[94:95], v[96:97]
	scratch_store_b64 off, v[94:95], off offset:48
.LBB108_35:
	s_wait_xcnt 0x0
	s_or_b32 exec_lo, exec_lo, s0
	s_wait_storecnt 0x0
	s_barrier_signal -1
	s_barrier_wait -1
	scratch_load_b64 v[94:95], off, off offset:56
	s_mov_b32 s0, exec_lo
	s_wait_loadcnt 0x0
	ds_store_b64 v1, v[94:95]
	s_wait_dscnt 0x0
	s_barrier_signal -1
	s_barrier_wait -1
	v_cmpx_gt_u32_e32 7, v0
	s_cbranch_execz .LBB108_39
; %bb.36:
	v_mov_b64_e32 v[94:95], 0
	v_dual_add_nc_u32 v9, -1, v0 :: v_dual_mov_b32 v13, v2
	v_add_nc_u32_e32 v11, 0x170, v2
	s_mov_b32 s1, 0
.LBB108_37:                             ; =>This Inner Loop Header: Depth=1
	scratch_load_b64 v[96:97], v13, off
	ds_load_b64 v[98:99], v11
	v_dual_add_nc_u32 v9, 1, v9 :: v_dual_add_nc_u32 v11, 8, v11
	s_wait_xcnt 0x0
	v_add_nc_u32_e32 v13, 8, v13
	s_delay_alu instid0(VALU_DEP_2)
	v_cmp_lt_u32_e32 vcc_lo, 5, v9
	s_or_b32 s1, vcc_lo, s1
	s_wait_loadcnt_dscnt 0x0
	v_fmac_f64_e32 v[94:95], v[96:97], v[98:99]
	s_and_not1_b32 exec_lo, exec_lo, s1
	s_cbranch_execnz .LBB108_37
; %bb.38:
	s_or_b32 exec_lo, exec_lo, s1
	v_mov_b32_e32 v9, 0
	ds_load_b64 v[96:97], v9 offset:56
	s_wait_dscnt 0x0
	v_mul_f64_e32 v[94:95], v[94:95], v[96:97]
	scratch_store_b64 off, v[94:95], off offset:56
.LBB108_39:
	s_wait_xcnt 0x0
	s_or_b32 exec_lo, exec_lo, s0
	s_wait_storecnt 0x0
	s_barrier_signal -1
	s_barrier_wait -1
	scratch_load_b64 v[94:95], off, off offset:64
	s_mov_b32 s0, exec_lo
	s_wait_loadcnt 0x0
	ds_store_b64 v1, v[94:95]
	s_wait_dscnt 0x0
	s_barrier_signal -1
	s_barrier_wait -1
	v_cmpx_gt_u32_e32 8, v0
	s_cbranch_execz .LBB108_43
; %bb.40:
	v_mov_b64_e32 v[94:95], 0
	v_dual_add_nc_u32 v9, -1, v0 :: v_dual_mov_b32 v13, v2
	v_add_nc_u32_e32 v11, 0x170, v2
	s_mov_b32 s1, 0
.LBB108_41:                             ; =>This Inner Loop Header: Depth=1
	scratch_load_b64 v[96:97], v13, off
	ds_load_b64 v[98:99], v11
	v_dual_add_nc_u32 v9, 1, v9 :: v_dual_add_nc_u32 v11, 8, v11
	s_wait_xcnt 0x0
	v_add_nc_u32_e32 v13, 8, v13
	s_delay_alu instid0(VALU_DEP_2)
	v_cmp_lt_u32_e32 vcc_lo, 6, v9
	s_or_b32 s1, vcc_lo, s1
	s_wait_loadcnt_dscnt 0x0
	v_fmac_f64_e32 v[94:95], v[96:97], v[98:99]
	s_and_not1_b32 exec_lo, exec_lo, s1
	s_cbranch_execnz .LBB108_41
; %bb.42:
	s_or_b32 exec_lo, exec_lo, s1
	v_mov_b32_e32 v9, 0
	ds_load_b64 v[96:97], v9 offset:64
	s_wait_dscnt 0x0
	v_mul_f64_e32 v[94:95], v[94:95], v[96:97]
	scratch_store_b64 off, v[94:95], off offset:64
.LBB108_43:
	s_wait_xcnt 0x0
	s_or_b32 exec_lo, exec_lo, s0
	s_wait_storecnt 0x0
	s_barrier_signal -1
	s_barrier_wait -1
	scratch_load_b64 v[94:95], off, off offset:72
	s_mov_b32 s0, exec_lo
	s_wait_loadcnt 0x0
	ds_store_b64 v1, v[94:95]
	s_wait_dscnt 0x0
	s_barrier_signal -1
	s_barrier_wait -1
	v_cmpx_gt_u32_e32 9, v0
	s_cbranch_execz .LBB108_47
; %bb.44:
	v_mov_b64_e32 v[94:95], 0
	v_dual_add_nc_u32 v9, -1, v0 :: v_dual_mov_b32 v13, v2
	v_add_nc_u32_e32 v11, 0x170, v2
	s_mov_b32 s1, 0
.LBB108_45:                             ; =>This Inner Loop Header: Depth=1
	scratch_load_b64 v[96:97], v13, off
	ds_load_b64 v[98:99], v11
	v_dual_add_nc_u32 v9, 1, v9 :: v_dual_add_nc_u32 v11, 8, v11
	s_wait_xcnt 0x0
	v_add_nc_u32_e32 v13, 8, v13
	s_delay_alu instid0(VALU_DEP_2)
	v_cmp_lt_u32_e32 vcc_lo, 7, v9
	s_or_b32 s1, vcc_lo, s1
	s_wait_loadcnt_dscnt 0x0
	v_fmac_f64_e32 v[94:95], v[96:97], v[98:99]
	s_and_not1_b32 exec_lo, exec_lo, s1
	s_cbranch_execnz .LBB108_45
; %bb.46:
	s_or_b32 exec_lo, exec_lo, s1
	v_mov_b32_e32 v9, 0
	ds_load_b64 v[96:97], v9 offset:72
	s_wait_dscnt 0x0
	v_mul_f64_e32 v[94:95], v[94:95], v[96:97]
	scratch_store_b64 off, v[94:95], off offset:72
.LBB108_47:
	s_wait_xcnt 0x0
	s_or_b32 exec_lo, exec_lo, s0
	s_wait_storecnt 0x0
	s_barrier_signal -1
	s_barrier_wait -1
	scratch_load_b64 v[94:95], off, off offset:80
	s_mov_b32 s0, exec_lo
	s_wait_loadcnt 0x0
	ds_store_b64 v1, v[94:95]
	s_wait_dscnt 0x0
	s_barrier_signal -1
	s_barrier_wait -1
	v_cmpx_gt_u32_e32 10, v0
	s_cbranch_execz .LBB108_51
; %bb.48:
	v_mov_b64_e32 v[94:95], 0
	v_dual_add_nc_u32 v9, -1, v0 :: v_dual_mov_b32 v13, v2
	v_add_nc_u32_e32 v11, 0x170, v2
	s_mov_b32 s1, 0
.LBB108_49:                             ; =>This Inner Loop Header: Depth=1
	scratch_load_b64 v[96:97], v13, off
	ds_load_b64 v[98:99], v11
	v_dual_add_nc_u32 v9, 1, v9 :: v_dual_add_nc_u32 v11, 8, v11
	s_wait_xcnt 0x0
	v_add_nc_u32_e32 v13, 8, v13
	s_delay_alu instid0(VALU_DEP_2)
	v_cmp_lt_u32_e32 vcc_lo, 8, v9
	s_or_b32 s1, vcc_lo, s1
	s_wait_loadcnt_dscnt 0x0
	v_fmac_f64_e32 v[94:95], v[96:97], v[98:99]
	s_and_not1_b32 exec_lo, exec_lo, s1
	s_cbranch_execnz .LBB108_49
; %bb.50:
	s_or_b32 exec_lo, exec_lo, s1
	v_mov_b32_e32 v9, 0
	ds_load_b64 v[96:97], v9 offset:80
	s_wait_dscnt 0x0
	v_mul_f64_e32 v[94:95], v[94:95], v[96:97]
	scratch_store_b64 off, v[94:95], off offset:80
.LBB108_51:
	s_wait_xcnt 0x0
	s_or_b32 exec_lo, exec_lo, s0
	s_wait_storecnt 0x0
	s_barrier_signal -1
	s_barrier_wait -1
	scratch_load_b64 v[94:95], off, off offset:88
	s_mov_b32 s0, exec_lo
	s_wait_loadcnt 0x0
	ds_store_b64 v1, v[94:95]
	s_wait_dscnt 0x0
	s_barrier_signal -1
	s_barrier_wait -1
	v_cmpx_gt_u32_e32 11, v0
	s_cbranch_execz .LBB108_55
; %bb.52:
	v_mov_b64_e32 v[94:95], 0
	v_dual_add_nc_u32 v9, -1, v0 :: v_dual_mov_b32 v13, v2
	v_add_nc_u32_e32 v11, 0x170, v2
	s_mov_b32 s1, 0
.LBB108_53:                             ; =>This Inner Loop Header: Depth=1
	scratch_load_b64 v[96:97], v13, off
	ds_load_b64 v[98:99], v11
	v_dual_add_nc_u32 v9, 1, v9 :: v_dual_add_nc_u32 v11, 8, v11
	s_wait_xcnt 0x0
	v_add_nc_u32_e32 v13, 8, v13
	s_delay_alu instid0(VALU_DEP_2)
	v_cmp_lt_u32_e32 vcc_lo, 9, v9
	s_or_b32 s1, vcc_lo, s1
	s_wait_loadcnt_dscnt 0x0
	v_fmac_f64_e32 v[94:95], v[96:97], v[98:99]
	s_and_not1_b32 exec_lo, exec_lo, s1
	s_cbranch_execnz .LBB108_53
; %bb.54:
	s_or_b32 exec_lo, exec_lo, s1
	v_mov_b32_e32 v9, 0
	ds_load_b64 v[96:97], v9 offset:88
	s_wait_dscnt 0x0
	v_mul_f64_e32 v[94:95], v[94:95], v[96:97]
	scratch_store_b64 off, v[94:95], off offset:88
.LBB108_55:
	s_wait_xcnt 0x0
	s_or_b32 exec_lo, exec_lo, s0
	s_wait_storecnt 0x0
	s_barrier_signal -1
	s_barrier_wait -1
	scratch_load_b64 v[94:95], off, off offset:96
	s_mov_b32 s0, exec_lo
	s_wait_loadcnt 0x0
	ds_store_b64 v1, v[94:95]
	s_wait_dscnt 0x0
	s_barrier_signal -1
	s_barrier_wait -1
	v_cmpx_gt_u32_e32 12, v0
	s_cbranch_execz .LBB108_59
; %bb.56:
	v_mov_b64_e32 v[94:95], 0
	v_dual_add_nc_u32 v9, -1, v0 :: v_dual_mov_b32 v13, v2
	v_add_nc_u32_e32 v11, 0x170, v2
	s_mov_b32 s1, 0
.LBB108_57:                             ; =>This Inner Loop Header: Depth=1
	scratch_load_b64 v[96:97], v13, off
	ds_load_b64 v[98:99], v11
	v_dual_add_nc_u32 v9, 1, v9 :: v_dual_add_nc_u32 v11, 8, v11
	s_wait_xcnt 0x0
	v_add_nc_u32_e32 v13, 8, v13
	s_delay_alu instid0(VALU_DEP_2)
	v_cmp_lt_u32_e32 vcc_lo, 10, v9
	s_or_b32 s1, vcc_lo, s1
	s_wait_loadcnt_dscnt 0x0
	v_fmac_f64_e32 v[94:95], v[96:97], v[98:99]
	s_and_not1_b32 exec_lo, exec_lo, s1
	s_cbranch_execnz .LBB108_57
; %bb.58:
	s_or_b32 exec_lo, exec_lo, s1
	v_mov_b32_e32 v9, 0
	ds_load_b64 v[96:97], v9 offset:96
	s_wait_dscnt 0x0
	v_mul_f64_e32 v[94:95], v[94:95], v[96:97]
	scratch_store_b64 off, v[94:95], off offset:96
.LBB108_59:
	s_wait_xcnt 0x0
	s_or_b32 exec_lo, exec_lo, s0
	s_wait_storecnt 0x0
	s_barrier_signal -1
	s_barrier_wait -1
	scratch_load_b64 v[94:95], off, off offset:104
	s_mov_b32 s0, exec_lo
	s_wait_loadcnt 0x0
	ds_store_b64 v1, v[94:95]
	s_wait_dscnt 0x0
	s_barrier_signal -1
	s_barrier_wait -1
	v_cmpx_gt_u32_e32 13, v0
	s_cbranch_execz .LBB108_63
; %bb.60:
	v_mov_b64_e32 v[94:95], 0
	v_dual_add_nc_u32 v9, -1, v0 :: v_dual_mov_b32 v13, v2
	v_add_nc_u32_e32 v11, 0x170, v2
	s_mov_b32 s1, 0
.LBB108_61:                             ; =>This Inner Loop Header: Depth=1
	scratch_load_b64 v[96:97], v13, off
	ds_load_b64 v[98:99], v11
	v_dual_add_nc_u32 v9, 1, v9 :: v_dual_add_nc_u32 v11, 8, v11
	s_wait_xcnt 0x0
	v_add_nc_u32_e32 v13, 8, v13
	s_delay_alu instid0(VALU_DEP_2)
	v_cmp_lt_u32_e32 vcc_lo, 11, v9
	s_or_b32 s1, vcc_lo, s1
	s_wait_loadcnt_dscnt 0x0
	v_fmac_f64_e32 v[94:95], v[96:97], v[98:99]
	s_and_not1_b32 exec_lo, exec_lo, s1
	s_cbranch_execnz .LBB108_61
; %bb.62:
	s_or_b32 exec_lo, exec_lo, s1
	v_mov_b32_e32 v9, 0
	ds_load_b64 v[96:97], v9 offset:104
	s_wait_dscnt 0x0
	v_mul_f64_e32 v[94:95], v[94:95], v[96:97]
	scratch_store_b64 off, v[94:95], off offset:104
.LBB108_63:
	s_wait_xcnt 0x0
	s_or_b32 exec_lo, exec_lo, s0
	s_wait_storecnt 0x0
	s_barrier_signal -1
	s_barrier_wait -1
	scratch_load_b64 v[94:95], off, off offset:112
	s_mov_b32 s0, exec_lo
	s_wait_loadcnt 0x0
	ds_store_b64 v1, v[94:95]
	s_wait_dscnt 0x0
	s_barrier_signal -1
	s_barrier_wait -1
	v_cmpx_gt_u32_e32 14, v0
	s_cbranch_execz .LBB108_67
; %bb.64:
	v_mov_b64_e32 v[94:95], 0
	v_dual_add_nc_u32 v9, -1, v0 :: v_dual_mov_b32 v13, v2
	v_add_nc_u32_e32 v11, 0x170, v2
	s_mov_b32 s1, 0
.LBB108_65:                             ; =>This Inner Loop Header: Depth=1
	scratch_load_b64 v[96:97], v13, off
	ds_load_b64 v[98:99], v11
	v_dual_add_nc_u32 v9, 1, v9 :: v_dual_add_nc_u32 v11, 8, v11
	s_wait_xcnt 0x0
	v_add_nc_u32_e32 v13, 8, v13
	s_delay_alu instid0(VALU_DEP_2)
	v_cmp_lt_u32_e32 vcc_lo, 12, v9
	s_or_b32 s1, vcc_lo, s1
	s_wait_loadcnt_dscnt 0x0
	v_fmac_f64_e32 v[94:95], v[96:97], v[98:99]
	s_and_not1_b32 exec_lo, exec_lo, s1
	s_cbranch_execnz .LBB108_65
; %bb.66:
	s_or_b32 exec_lo, exec_lo, s1
	v_mov_b32_e32 v9, 0
	ds_load_b64 v[96:97], v9 offset:112
	s_wait_dscnt 0x0
	v_mul_f64_e32 v[94:95], v[94:95], v[96:97]
	scratch_store_b64 off, v[94:95], off offset:112
.LBB108_67:
	s_wait_xcnt 0x0
	s_or_b32 exec_lo, exec_lo, s0
	s_wait_storecnt 0x0
	s_barrier_signal -1
	s_barrier_wait -1
	scratch_load_b64 v[94:95], off, off offset:120
	s_mov_b32 s0, exec_lo
	s_wait_loadcnt 0x0
	ds_store_b64 v1, v[94:95]
	s_wait_dscnt 0x0
	s_barrier_signal -1
	s_barrier_wait -1
	v_cmpx_gt_u32_e32 15, v0
	s_cbranch_execz .LBB108_71
; %bb.68:
	v_mov_b64_e32 v[94:95], 0
	v_dual_add_nc_u32 v9, -1, v0 :: v_dual_mov_b32 v13, v2
	v_add_nc_u32_e32 v11, 0x170, v2
	s_mov_b32 s1, 0
.LBB108_69:                             ; =>This Inner Loop Header: Depth=1
	scratch_load_b64 v[96:97], v13, off
	ds_load_b64 v[98:99], v11
	v_dual_add_nc_u32 v9, 1, v9 :: v_dual_add_nc_u32 v11, 8, v11
	s_wait_xcnt 0x0
	v_add_nc_u32_e32 v13, 8, v13
	s_delay_alu instid0(VALU_DEP_2)
	v_cmp_lt_u32_e32 vcc_lo, 13, v9
	s_or_b32 s1, vcc_lo, s1
	s_wait_loadcnt_dscnt 0x0
	v_fmac_f64_e32 v[94:95], v[96:97], v[98:99]
	s_and_not1_b32 exec_lo, exec_lo, s1
	s_cbranch_execnz .LBB108_69
; %bb.70:
	s_or_b32 exec_lo, exec_lo, s1
	v_mov_b32_e32 v9, 0
	ds_load_b64 v[96:97], v9 offset:120
	s_wait_dscnt 0x0
	v_mul_f64_e32 v[94:95], v[94:95], v[96:97]
	scratch_store_b64 off, v[94:95], off offset:120
.LBB108_71:
	s_wait_xcnt 0x0
	s_or_b32 exec_lo, exec_lo, s0
	s_wait_storecnt 0x0
	s_barrier_signal -1
	s_barrier_wait -1
	scratch_load_b64 v[94:95], off, off offset:128
	s_mov_b32 s0, exec_lo
	s_wait_loadcnt 0x0
	ds_store_b64 v1, v[94:95]
	s_wait_dscnt 0x0
	s_barrier_signal -1
	s_barrier_wait -1
	v_cmpx_gt_u32_e32 16, v0
	s_cbranch_execz .LBB108_75
; %bb.72:
	v_mov_b64_e32 v[94:95], 0
	v_dual_add_nc_u32 v9, -1, v0 :: v_dual_mov_b32 v13, v2
	v_add_nc_u32_e32 v11, 0x170, v2
	s_mov_b32 s1, 0
.LBB108_73:                             ; =>This Inner Loop Header: Depth=1
	scratch_load_b64 v[96:97], v13, off
	ds_load_b64 v[98:99], v11
	v_dual_add_nc_u32 v9, 1, v9 :: v_dual_add_nc_u32 v11, 8, v11
	s_wait_xcnt 0x0
	v_add_nc_u32_e32 v13, 8, v13
	s_delay_alu instid0(VALU_DEP_2)
	v_cmp_lt_u32_e32 vcc_lo, 14, v9
	s_or_b32 s1, vcc_lo, s1
	s_wait_loadcnt_dscnt 0x0
	v_fmac_f64_e32 v[94:95], v[96:97], v[98:99]
	s_and_not1_b32 exec_lo, exec_lo, s1
	s_cbranch_execnz .LBB108_73
; %bb.74:
	s_or_b32 exec_lo, exec_lo, s1
	v_mov_b32_e32 v9, 0
	ds_load_b64 v[96:97], v9 offset:128
	s_wait_dscnt 0x0
	v_mul_f64_e32 v[94:95], v[94:95], v[96:97]
	scratch_store_b64 off, v[94:95], off offset:128
.LBB108_75:
	s_wait_xcnt 0x0
	s_or_b32 exec_lo, exec_lo, s0
	s_wait_storecnt 0x0
	s_barrier_signal -1
	s_barrier_wait -1
	scratch_load_b64 v[94:95], off, off offset:136
	s_mov_b32 s0, exec_lo
	s_wait_loadcnt 0x0
	ds_store_b64 v1, v[94:95]
	s_wait_dscnt 0x0
	s_barrier_signal -1
	s_barrier_wait -1
	v_cmpx_gt_u32_e32 17, v0
	s_cbranch_execz .LBB108_79
; %bb.76:
	v_mov_b64_e32 v[94:95], 0
	v_dual_add_nc_u32 v9, -1, v0 :: v_dual_mov_b32 v13, v2
	v_add_nc_u32_e32 v11, 0x170, v2
	s_mov_b32 s1, 0
.LBB108_77:                             ; =>This Inner Loop Header: Depth=1
	scratch_load_b64 v[96:97], v13, off
	ds_load_b64 v[98:99], v11
	v_dual_add_nc_u32 v9, 1, v9 :: v_dual_add_nc_u32 v11, 8, v11
	s_wait_xcnt 0x0
	v_add_nc_u32_e32 v13, 8, v13
	s_delay_alu instid0(VALU_DEP_2)
	v_cmp_lt_u32_e32 vcc_lo, 15, v9
	s_or_b32 s1, vcc_lo, s1
	s_wait_loadcnt_dscnt 0x0
	v_fmac_f64_e32 v[94:95], v[96:97], v[98:99]
	s_and_not1_b32 exec_lo, exec_lo, s1
	s_cbranch_execnz .LBB108_77
; %bb.78:
	s_or_b32 exec_lo, exec_lo, s1
	v_mov_b32_e32 v9, 0
	ds_load_b64 v[96:97], v9 offset:136
	s_wait_dscnt 0x0
	v_mul_f64_e32 v[94:95], v[94:95], v[96:97]
	scratch_store_b64 off, v[94:95], off offset:136
.LBB108_79:
	s_wait_xcnt 0x0
	s_or_b32 exec_lo, exec_lo, s0
	s_wait_storecnt 0x0
	s_barrier_signal -1
	s_barrier_wait -1
	scratch_load_b64 v[94:95], off, off offset:144
	s_mov_b32 s0, exec_lo
	s_wait_loadcnt 0x0
	ds_store_b64 v1, v[94:95]
	s_wait_dscnt 0x0
	s_barrier_signal -1
	s_barrier_wait -1
	v_cmpx_gt_u32_e32 18, v0
	s_cbranch_execz .LBB108_83
; %bb.80:
	v_mov_b64_e32 v[94:95], 0
	v_dual_add_nc_u32 v9, -1, v0 :: v_dual_mov_b32 v13, v2
	v_add_nc_u32_e32 v11, 0x170, v2
	s_mov_b32 s1, 0
.LBB108_81:                             ; =>This Inner Loop Header: Depth=1
	scratch_load_b64 v[96:97], v13, off
	ds_load_b64 v[98:99], v11
	v_dual_add_nc_u32 v9, 1, v9 :: v_dual_add_nc_u32 v11, 8, v11
	s_wait_xcnt 0x0
	v_add_nc_u32_e32 v13, 8, v13
	s_delay_alu instid0(VALU_DEP_2)
	v_cmp_lt_u32_e32 vcc_lo, 16, v9
	s_or_b32 s1, vcc_lo, s1
	s_wait_loadcnt_dscnt 0x0
	v_fmac_f64_e32 v[94:95], v[96:97], v[98:99]
	s_and_not1_b32 exec_lo, exec_lo, s1
	s_cbranch_execnz .LBB108_81
; %bb.82:
	s_or_b32 exec_lo, exec_lo, s1
	v_mov_b32_e32 v9, 0
	ds_load_b64 v[96:97], v9 offset:144
	s_wait_dscnt 0x0
	v_mul_f64_e32 v[94:95], v[94:95], v[96:97]
	scratch_store_b64 off, v[94:95], off offset:144
.LBB108_83:
	s_wait_xcnt 0x0
	s_or_b32 exec_lo, exec_lo, s0
	s_wait_storecnt 0x0
	s_barrier_signal -1
	s_barrier_wait -1
	scratch_load_b64 v[94:95], off, off offset:152
	s_mov_b32 s0, exec_lo
	s_wait_loadcnt 0x0
	ds_store_b64 v1, v[94:95]
	s_wait_dscnt 0x0
	s_barrier_signal -1
	s_barrier_wait -1
	v_cmpx_gt_u32_e32 19, v0
	s_cbranch_execz .LBB108_87
; %bb.84:
	v_mov_b64_e32 v[94:95], 0
	v_dual_add_nc_u32 v9, -1, v0 :: v_dual_mov_b32 v13, v2
	v_add_nc_u32_e32 v11, 0x170, v2
	s_mov_b32 s1, 0
.LBB108_85:                             ; =>This Inner Loop Header: Depth=1
	scratch_load_b64 v[96:97], v13, off
	ds_load_b64 v[98:99], v11
	v_dual_add_nc_u32 v9, 1, v9 :: v_dual_add_nc_u32 v11, 8, v11
	s_wait_xcnt 0x0
	v_add_nc_u32_e32 v13, 8, v13
	s_delay_alu instid0(VALU_DEP_2)
	v_cmp_lt_u32_e32 vcc_lo, 17, v9
	s_or_b32 s1, vcc_lo, s1
	s_wait_loadcnt_dscnt 0x0
	v_fmac_f64_e32 v[94:95], v[96:97], v[98:99]
	s_and_not1_b32 exec_lo, exec_lo, s1
	s_cbranch_execnz .LBB108_85
; %bb.86:
	s_or_b32 exec_lo, exec_lo, s1
	v_mov_b32_e32 v9, 0
	ds_load_b64 v[96:97], v9 offset:152
	s_wait_dscnt 0x0
	v_mul_f64_e32 v[94:95], v[94:95], v[96:97]
	scratch_store_b64 off, v[94:95], off offset:152
.LBB108_87:
	s_wait_xcnt 0x0
	s_or_b32 exec_lo, exec_lo, s0
	s_wait_storecnt 0x0
	s_barrier_signal -1
	s_barrier_wait -1
	scratch_load_b64 v[94:95], off, off offset:160
	s_mov_b32 s0, exec_lo
	s_wait_loadcnt 0x0
	ds_store_b64 v1, v[94:95]
	s_wait_dscnt 0x0
	s_barrier_signal -1
	s_barrier_wait -1
	v_cmpx_gt_u32_e32 20, v0
	s_cbranch_execz .LBB108_91
; %bb.88:
	v_mov_b64_e32 v[94:95], 0
	v_dual_add_nc_u32 v9, -1, v0 :: v_dual_mov_b32 v13, v2
	v_add_nc_u32_e32 v11, 0x170, v2
	s_mov_b32 s1, 0
.LBB108_89:                             ; =>This Inner Loop Header: Depth=1
	scratch_load_b64 v[96:97], v13, off
	ds_load_b64 v[98:99], v11
	v_dual_add_nc_u32 v9, 1, v9 :: v_dual_add_nc_u32 v11, 8, v11
	s_wait_xcnt 0x0
	v_add_nc_u32_e32 v13, 8, v13
	s_delay_alu instid0(VALU_DEP_2)
	v_cmp_lt_u32_e32 vcc_lo, 18, v9
	s_or_b32 s1, vcc_lo, s1
	s_wait_loadcnt_dscnt 0x0
	v_fmac_f64_e32 v[94:95], v[96:97], v[98:99]
	s_and_not1_b32 exec_lo, exec_lo, s1
	s_cbranch_execnz .LBB108_89
; %bb.90:
	s_or_b32 exec_lo, exec_lo, s1
	v_mov_b32_e32 v9, 0
	ds_load_b64 v[96:97], v9 offset:160
	s_wait_dscnt 0x0
	v_mul_f64_e32 v[94:95], v[94:95], v[96:97]
	scratch_store_b64 off, v[94:95], off offset:160
.LBB108_91:
	s_wait_xcnt 0x0
	s_or_b32 exec_lo, exec_lo, s0
	s_wait_storecnt 0x0
	s_barrier_signal -1
	s_barrier_wait -1
	scratch_load_b64 v[94:95], off, off offset:168
	s_mov_b32 s0, exec_lo
	s_wait_loadcnt 0x0
	ds_store_b64 v1, v[94:95]
	s_wait_dscnt 0x0
	s_barrier_signal -1
	s_barrier_wait -1
	v_cmpx_gt_u32_e32 21, v0
	s_cbranch_execz .LBB108_95
; %bb.92:
	v_mov_b64_e32 v[94:95], 0
	v_dual_add_nc_u32 v9, -1, v0 :: v_dual_mov_b32 v13, v2
	v_add_nc_u32_e32 v11, 0x170, v2
	s_mov_b32 s1, 0
.LBB108_93:                             ; =>This Inner Loop Header: Depth=1
	scratch_load_b64 v[96:97], v13, off
	ds_load_b64 v[98:99], v11
	v_dual_add_nc_u32 v9, 1, v9 :: v_dual_add_nc_u32 v11, 8, v11
	s_wait_xcnt 0x0
	v_add_nc_u32_e32 v13, 8, v13
	s_delay_alu instid0(VALU_DEP_2)
	v_cmp_lt_u32_e32 vcc_lo, 19, v9
	s_or_b32 s1, vcc_lo, s1
	s_wait_loadcnt_dscnt 0x0
	v_fmac_f64_e32 v[94:95], v[96:97], v[98:99]
	s_and_not1_b32 exec_lo, exec_lo, s1
	s_cbranch_execnz .LBB108_93
; %bb.94:
	s_or_b32 exec_lo, exec_lo, s1
	v_mov_b32_e32 v9, 0
	ds_load_b64 v[96:97], v9 offset:168
	s_wait_dscnt 0x0
	v_mul_f64_e32 v[94:95], v[94:95], v[96:97]
	scratch_store_b64 off, v[94:95], off offset:168
.LBB108_95:
	s_wait_xcnt 0x0
	s_or_b32 exec_lo, exec_lo, s0
	s_wait_storecnt 0x0
	s_barrier_signal -1
	s_barrier_wait -1
	scratch_load_b64 v[94:95], off, off offset:176
	s_mov_b32 s0, exec_lo
	s_wait_loadcnt 0x0
	ds_store_b64 v1, v[94:95]
	s_wait_dscnt 0x0
	s_barrier_signal -1
	s_barrier_wait -1
	v_cmpx_gt_u32_e32 22, v0
	s_cbranch_execz .LBB108_99
; %bb.96:
	v_mov_b64_e32 v[94:95], 0
	v_dual_add_nc_u32 v9, -1, v0 :: v_dual_mov_b32 v13, v2
	v_add_nc_u32_e32 v11, 0x170, v2
	s_mov_b32 s1, 0
.LBB108_97:                             ; =>This Inner Loop Header: Depth=1
	scratch_load_b64 v[96:97], v13, off
	ds_load_b64 v[98:99], v11
	v_dual_add_nc_u32 v9, 1, v9 :: v_dual_add_nc_u32 v11, 8, v11
	s_wait_xcnt 0x0
	v_add_nc_u32_e32 v13, 8, v13
	s_delay_alu instid0(VALU_DEP_2)
	v_cmp_lt_u32_e32 vcc_lo, 20, v9
	s_or_b32 s1, vcc_lo, s1
	s_wait_loadcnt_dscnt 0x0
	v_fmac_f64_e32 v[94:95], v[96:97], v[98:99]
	s_and_not1_b32 exec_lo, exec_lo, s1
	s_cbranch_execnz .LBB108_97
; %bb.98:
	s_or_b32 exec_lo, exec_lo, s1
	v_mov_b32_e32 v9, 0
	ds_load_b64 v[96:97], v9 offset:176
	s_wait_dscnt 0x0
	v_mul_f64_e32 v[94:95], v[94:95], v[96:97]
	scratch_store_b64 off, v[94:95], off offset:176
.LBB108_99:
	s_wait_xcnt 0x0
	s_or_b32 exec_lo, exec_lo, s0
	s_wait_storecnt 0x0
	s_barrier_signal -1
	s_barrier_wait -1
	scratch_load_b64 v[94:95], off, off offset:184
	s_mov_b32 s0, exec_lo
	s_wait_loadcnt 0x0
	ds_store_b64 v1, v[94:95]
	s_wait_dscnt 0x0
	s_barrier_signal -1
	s_barrier_wait -1
	v_cmpx_gt_u32_e32 23, v0
	s_cbranch_execz .LBB108_103
; %bb.100:
	v_mov_b64_e32 v[94:95], 0
	v_dual_add_nc_u32 v9, -1, v0 :: v_dual_mov_b32 v13, v2
	v_add_nc_u32_e32 v11, 0x170, v2
	s_mov_b32 s1, 0
.LBB108_101:                            ; =>This Inner Loop Header: Depth=1
	scratch_load_b64 v[96:97], v13, off
	ds_load_b64 v[98:99], v11
	v_dual_add_nc_u32 v9, 1, v9 :: v_dual_add_nc_u32 v11, 8, v11
	s_wait_xcnt 0x0
	v_add_nc_u32_e32 v13, 8, v13
	s_delay_alu instid0(VALU_DEP_2)
	v_cmp_lt_u32_e32 vcc_lo, 21, v9
	s_or_b32 s1, vcc_lo, s1
	s_wait_loadcnt_dscnt 0x0
	v_fmac_f64_e32 v[94:95], v[96:97], v[98:99]
	s_and_not1_b32 exec_lo, exec_lo, s1
	s_cbranch_execnz .LBB108_101
; %bb.102:
	s_or_b32 exec_lo, exec_lo, s1
	v_mov_b32_e32 v9, 0
	ds_load_b64 v[96:97], v9 offset:184
	s_wait_dscnt 0x0
	v_mul_f64_e32 v[94:95], v[94:95], v[96:97]
	scratch_store_b64 off, v[94:95], off offset:184
.LBB108_103:
	s_wait_xcnt 0x0
	s_or_b32 exec_lo, exec_lo, s0
	s_wait_storecnt 0x0
	s_barrier_signal -1
	s_barrier_wait -1
	scratch_load_b64 v[94:95], off, off offset:192
	s_mov_b32 s0, exec_lo
	s_wait_loadcnt 0x0
	ds_store_b64 v1, v[94:95]
	s_wait_dscnt 0x0
	s_barrier_signal -1
	s_barrier_wait -1
	v_cmpx_gt_u32_e32 24, v0
	s_cbranch_execz .LBB108_107
; %bb.104:
	v_mov_b64_e32 v[94:95], 0
	v_dual_add_nc_u32 v9, -1, v0 :: v_dual_mov_b32 v13, v2
	v_add_nc_u32_e32 v11, 0x170, v2
	s_mov_b32 s1, 0
.LBB108_105:                            ; =>This Inner Loop Header: Depth=1
	scratch_load_b64 v[96:97], v13, off
	ds_load_b64 v[98:99], v11
	v_dual_add_nc_u32 v9, 1, v9 :: v_dual_add_nc_u32 v11, 8, v11
	s_wait_xcnt 0x0
	v_add_nc_u32_e32 v13, 8, v13
	s_delay_alu instid0(VALU_DEP_2)
	v_cmp_lt_u32_e32 vcc_lo, 22, v9
	s_or_b32 s1, vcc_lo, s1
	s_wait_loadcnt_dscnt 0x0
	v_fmac_f64_e32 v[94:95], v[96:97], v[98:99]
	s_and_not1_b32 exec_lo, exec_lo, s1
	s_cbranch_execnz .LBB108_105
; %bb.106:
	s_or_b32 exec_lo, exec_lo, s1
	v_mov_b32_e32 v9, 0
	ds_load_b64 v[96:97], v9 offset:192
	s_wait_dscnt 0x0
	v_mul_f64_e32 v[94:95], v[94:95], v[96:97]
	scratch_store_b64 off, v[94:95], off offset:192
.LBB108_107:
	s_wait_xcnt 0x0
	s_or_b32 exec_lo, exec_lo, s0
	s_wait_storecnt 0x0
	s_barrier_signal -1
	s_barrier_wait -1
	scratch_load_b64 v[94:95], off, off offset:200
	s_mov_b32 s0, exec_lo
	s_wait_loadcnt 0x0
	ds_store_b64 v1, v[94:95]
	s_wait_dscnt 0x0
	s_barrier_signal -1
	s_barrier_wait -1
	v_cmpx_gt_u32_e32 25, v0
	s_cbranch_execz .LBB108_111
; %bb.108:
	v_mov_b64_e32 v[94:95], 0
	v_dual_add_nc_u32 v9, -1, v0 :: v_dual_mov_b32 v13, v2
	v_add_nc_u32_e32 v11, 0x170, v2
	s_mov_b32 s1, 0
.LBB108_109:                            ; =>This Inner Loop Header: Depth=1
	scratch_load_b64 v[96:97], v13, off
	ds_load_b64 v[98:99], v11
	v_dual_add_nc_u32 v9, 1, v9 :: v_dual_add_nc_u32 v11, 8, v11
	s_wait_xcnt 0x0
	v_add_nc_u32_e32 v13, 8, v13
	s_delay_alu instid0(VALU_DEP_2)
	v_cmp_lt_u32_e32 vcc_lo, 23, v9
	s_or_b32 s1, vcc_lo, s1
	s_wait_loadcnt_dscnt 0x0
	v_fmac_f64_e32 v[94:95], v[96:97], v[98:99]
	s_and_not1_b32 exec_lo, exec_lo, s1
	s_cbranch_execnz .LBB108_109
; %bb.110:
	s_or_b32 exec_lo, exec_lo, s1
	v_mov_b32_e32 v9, 0
	ds_load_b64 v[96:97], v9 offset:200
	s_wait_dscnt 0x0
	v_mul_f64_e32 v[94:95], v[94:95], v[96:97]
	scratch_store_b64 off, v[94:95], off offset:200
.LBB108_111:
	s_wait_xcnt 0x0
	s_or_b32 exec_lo, exec_lo, s0
	s_wait_storecnt 0x0
	s_barrier_signal -1
	s_barrier_wait -1
	scratch_load_b64 v[94:95], off, off offset:208
	s_mov_b32 s0, exec_lo
	s_wait_loadcnt 0x0
	ds_store_b64 v1, v[94:95]
	s_wait_dscnt 0x0
	s_barrier_signal -1
	s_barrier_wait -1
	v_cmpx_gt_u32_e32 26, v0
	s_cbranch_execz .LBB108_115
; %bb.112:
	v_mov_b64_e32 v[94:95], 0
	v_dual_add_nc_u32 v9, -1, v0 :: v_dual_mov_b32 v13, v2
	v_add_nc_u32_e32 v11, 0x170, v2
	s_mov_b32 s1, 0
.LBB108_113:                            ; =>This Inner Loop Header: Depth=1
	scratch_load_b64 v[96:97], v13, off
	ds_load_b64 v[98:99], v11
	v_dual_add_nc_u32 v9, 1, v9 :: v_dual_add_nc_u32 v11, 8, v11
	s_wait_xcnt 0x0
	v_add_nc_u32_e32 v13, 8, v13
	s_delay_alu instid0(VALU_DEP_2)
	v_cmp_lt_u32_e32 vcc_lo, 24, v9
	s_or_b32 s1, vcc_lo, s1
	s_wait_loadcnt_dscnt 0x0
	v_fmac_f64_e32 v[94:95], v[96:97], v[98:99]
	s_and_not1_b32 exec_lo, exec_lo, s1
	s_cbranch_execnz .LBB108_113
; %bb.114:
	s_or_b32 exec_lo, exec_lo, s1
	v_mov_b32_e32 v9, 0
	ds_load_b64 v[96:97], v9 offset:208
	s_wait_dscnt 0x0
	v_mul_f64_e32 v[94:95], v[94:95], v[96:97]
	scratch_store_b64 off, v[94:95], off offset:208
.LBB108_115:
	s_wait_xcnt 0x0
	s_or_b32 exec_lo, exec_lo, s0
	s_wait_storecnt 0x0
	s_barrier_signal -1
	s_barrier_wait -1
	scratch_load_b64 v[94:95], off, off offset:216
	s_mov_b32 s0, exec_lo
	s_wait_loadcnt 0x0
	ds_store_b64 v1, v[94:95]
	s_wait_dscnt 0x0
	s_barrier_signal -1
	s_barrier_wait -1
	v_cmpx_gt_u32_e32 27, v0
	s_cbranch_execz .LBB108_119
; %bb.116:
	v_mov_b64_e32 v[94:95], 0
	v_dual_add_nc_u32 v9, -1, v0 :: v_dual_mov_b32 v13, v2
	v_add_nc_u32_e32 v11, 0x170, v2
	s_mov_b32 s1, 0
.LBB108_117:                            ; =>This Inner Loop Header: Depth=1
	scratch_load_b64 v[96:97], v13, off
	ds_load_b64 v[98:99], v11
	v_dual_add_nc_u32 v9, 1, v9 :: v_dual_add_nc_u32 v11, 8, v11
	s_wait_xcnt 0x0
	v_add_nc_u32_e32 v13, 8, v13
	s_delay_alu instid0(VALU_DEP_2)
	v_cmp_lt_u32_e32 vcc_lo, 25, v9
	s_or_b32 s1, vcc_lo, s1
	s_wait_loadcnt_dscnt 0x0
	v_fmac_f64_e32 v[94:95], v[96:97], v[98:99]
	s_and_not1_b32 exec_lo, exec_lo, s1
	s_cbranch_execnz .LBB108_117
; %bb.118:
	s_or_b32 exec_lo, exec_lo, s1
	v_mov_b32_e32 v9, 0
	ds_load_b64 v[96:97], v9 offset:216
	s_wait_dscnt 0x0
	v_mul_f64_e32 v[94:95], v[94:95], v[96:97]
	scratch_store_b64 off, v[94:95], off offset:216
.LBB108_119:
	s_wait_xcnt 0x0
	s_or_b32 exec_lo, exec_lo, s0
	s_wait_storecnt 0x0
	s_barrier_signal -1
	s_barrier_wait -1
	scratch_load_b64 v[94:95], off, off offset:224
	s_mov_b32 s0, exec_lo
	s_wait_loadcnt 0x0
	ds_store_b64 v1, v[94:95]
	s_wait_dscnt 0x0
	s_barrier_signal -1
	s_barrier_wait -1
	v_cmpx_gt_u32_e32 28, v0
	s_cbranch_execz .LBB108_123
; %bb.120:
	v_mov_b64_e32 v[94:95], 0
	v_dual_add_nc_u32 v9, -1, v0 :: v_dual_mov_b32 v13, v2
	v_add_nc_u32_e32 v11, 0x170, v2
	s_mov_b32 s1, 0
.LBB108_121:                            ; =>This Inner Loop Header: Depth=1
	scratch_load_b64 v[96:97], v13, off
	ds_load_b64 v[98:99], v11
	v_dual_add_nc_u32 v9, 1, v9 :: v_dual_add_nc_u32 v11, 8, v11
	s_wait_xcnt 0x0
	v_add_nc_u32_e32 v13, 8, v13
	s_delay_alu instid0(VALU_DEP_2)
	v_cmp_lt_u32_e32 vcc_lo, 26, v9
	s_or_b32 s1, vcc_lo, s1
	s_wait_loadcnt_dscnt 0x0
	v_fmac_f64_e32 v[94:95], v[96:97], v[98:99]
	s_and_not1_b32 exec_lo, exec_lo, s1
	s_cbranch_execnz .LBB108_121
; %bb.122:
	s_or_b32 exec_lo, exec_lo, s1
	v_mov_b32_e32 v9, 0
	ds_load_b64 v[96:97], v9 offset:224
	s_wait_dscnt 0x0
	v_mul_f64_e32 v[94:95], v[94:95], v[96:97]
	scratch_store_b64 off, v[94:95], off offset:224
.LBB108_123:
	s_wait_xcnt 0x0
	s_or_b32 exec_lo, exec_lo, s0
	s_wait_storecnt 0x0
	s_barrier_signal -1
	s_barrier_wait -1
	scratch_load_b64 v[94:95], off, off offset:232
	s_mov_b32 s0, exec_lo
	s_wait_loadcnt 0x0
	ds_store_b64 v1, v[94:95]
	s_wait_dscnt 0x0
	s_barrier_signal -1
	s_barrier_wait -1
	v_cmpx_gt_u32_e32 29, v0
	s_cbranch_execz .LBB108_127
; %bb.124:
	v_mov_b64_e32 v[94:95], 0
	v_dual_add_nc_u32 v9, -1, v0 :: v_dual_mov_b32 v13, v2
	v_add_nc_u32_e32 v11, 0x170, v2
	s_mov_b32 s1, 0
.LBB108_125:                            ; =>This Inner Loop Header: Depth=1
	scratch_load_b64 v[96:97], v13, off
	ds_load_b64 v[98:99], v11
	v_dual_add_nc_u32 v9, 1, v9 :: v_dual_add_nc_u32 v11, 8, v11
	s_wait_xcnt 0x0
	v_add_nc_u32_e32 v13, 8, v13
	s_delay_alu instid0(VALU_DEP_2)
	v_cmp_lt_u32_e32 vcc_lo, 27, v9
	s_or_b32 s1, vcc_lo, s1
	s_wait_loadcnt_dscnt 0x0
	v_fmac_f64_e32 v[94:95], v[96:97], v[98:99]
	s_and_not1_b32 exec_lo, exec_lo, s1
	s_cbranch_execnz .LBB108_125
; %bb.126:
	s_or_b32 exec_lo, exec_lo, s1
	v_mov_b32_e32 v9, 0
	ds_load_b64 v[96:97], v9 offset:232
	s_wait_dscnt 0x0
	v_mul_f64_e32 v[94:95], v[94:95], v[96:97]
	scratch_store_b64 off, v[94:95], off offset:232
.LBB108_127:
	s_wait_xcnt 0x0
	s_or_b32 exec_lo, exec_lo, s0
	s_wait_storecnt 0x0
	s_barrier_signal -1
	s_barrier_wait -1
	scratch_load_b64 v[94:95], off, off offset:240
	s_mov_b32 s0, exec_lo
	s_wait_loadcnt 0x0
	ds_store_b64 v1, v[94:95]
	s_wait_dscnt 0x0
	s_barrier_signal -1
	s_barrier_wait -1
	v_cmpx_gt_u32_e32 30, v0
	s_cbranch_execz .LBB108_131
; %bb.128:
	v_mov_b64_e32 v[94:95], 0
	v_dual_add_nc_u32 v9, -1, v0 :: v_dual_mov_b32 v13, v2
	v_add_nc_u32_e32 v11, 0x170, v2
	s_mov_b32 s1, 0
.LBB108_129:                            ; =>This Inner Loop Header: Depth=1
	scratch_load_b64 v[96:97], v13, off
	ds_load_b64 v[98:99], v11
	v_dual_add_nc_u32 v9, 1, v9 :: v_dual_add_nc_u32 v11, 8, v11
	s_wait_xcnt 0x0
	v_add_nc_u32_e32 v13, 8, v13
	s_delay_alu instid0(VALU_DEP_2)
	v_cmp_lt_u32_e32 vcc_lo, 28, v9
	s_or_b32 s1, vcc_lo, s1
	s_wait_loadcnt_dscnt 0x0
	v_fmac_f64_e32 v[94:95], v[96:97], v[98:99]
	s_and_not1_b32 exec_lo, exec_lo, s1
	s_cbranch_execnz .LBB108_129
; %bb.130:
	s_or_b32 exec_lo, exec_lo, s1
	v_mov_b32_e32 v9, 0
	ds_load_b64 v[96:97], v9 offset:240
	s_wait_dscnt 0x0
	v_mul_f64_e32 v[94:95], v[94:95], v[96:97]
	scratch_store_b64 off, v[94:95], off offset:240
.LBB108_131:
	s_wait_xcnt 0x0
	s_or_b32 exec_lo, exec_lo, s0
	s_wait_storecnt 0x0
	s_barrier_signal -1
	s_barrier_wait -1
	scratch_load_b64 v[94:95], off, off offset:248
	s_mov_b32 s0, exec_lo
	s_wait_loadcnt 0x0
	ds_store_b64 v1, v[94:95]
	s_wait_dscnt 0x0
	s_barrier_signal -1
	s_barrier_wait -1
	v_cmpx_gt_u32_e32 31, v0
	s_cbranch_execz .LBB108_135
; %bb.132:
	v_mov_b64_e32 v[94:95], 0
	v_dual_add_nc_u32 v9, -1, v0 :: v_dual_mov_b32 v13, v2
	v_add_nc_u32_e32 v11, 0x170, v2
	s_mov_b32 s1, 0
.LBB108_133:                            ; =>This Inner Loop Header: Depth=1
	scratch_load_b64 v[96:97], v13, off
	ds_load_b64 v[98:99], v11
	v_dual_add_nc_u32 v9, 1, v9 :: v_dual_add_nc_u32 v11, 8, v11
	s_wait_xcnt 0x0
	v_add_nc_u32_e32 v13, 8, v13
	s_delay_alu instid0(VALU_DEP_2)
	v_cmp_lt_u32_e32 vcc_lo, 29, v9
	s_or_b32 s1, vcc_lo, s1
	s_wait_loadcnt_dscnt 0x0
	v_fmac_f64_e32 v[94:95], v[96:97], v[98:99]
	s_and_not1_b32 exec_lo, exec_lo, s1
	s_cbranch_execnz .LBB108_133
; %bb.134:
	s_or_b32 exec_lo, exec_lo, s1
	v_mov_b32_e32 v9, 0
	ds_load_b64 v[96:97], v9 offset:248
	s_wait_dscnt 0x0
	v_mul_f64_e32 v[94:95], v[94:95], v[96:97]
	scratch_store_b64 off, v[94:95], off offset:248
.LBB108_135:
	s_wait_xcnt 0x0
	s_or_b32 exec_lo, exec_lo, s0
	s_wait_storecnt 0x0
	s_barrier_signal -1
	s_barrier_wait -1
	scratch_load_b64 v[94:95], off, off offset:256
	s_mov_b32 s0, exec_lo
	s_wait_loadcnt 0x0
	ds_store_b64 v1, v[94:95]
	s_wait_dscnt 0x0
	s_barrier_signal -1
	s_barrier_wait -1
	v_cmpx_gt_u32_e32 32, v0
	s_cbranch_execz .LBB108_139
; %bb.136:
	v_mov_b64_e32 v[94:95], 0
	v_dual_add_nc_u32 v9, -1, v0 :: v_dual_mov_b32 v13, v2
	v_add_nc_u32_e32 v11, 0x170, v2
	s_mov_b32 s1, 0
.LBB108_137:                            ; =>This Inner Loop Header: Depth=1
	scratch_load_b64 v[96:97], v13, off
	ds_load_b64 v[98:99], v11
	v_dual_add_nc_u32 v9, 1, v9 :: v_dual_add_nc_u32 v11, 8, v11
	s_wait_xcnt 0x0
	v_add_nc_u32_e32 v13, 8, v13
	s_delay_alu instid0(VALU_DEP_2)
	v_cmp_lt_u32_e32 vcc_lo, 30, v9
	s_or_b32 s1, vcc_lo, s1
	s_wait_loadcnt_dscnt 0x0
	v_fmac_f64_e32 v[94:95], v[96:97], v[98:99]
	s_and_not1_b32 exec_lo, exec_lo, s1
	s_cbranch_execnz .LBB108_137
; %bb.138:
	s_or_b32 exec_lo, exec_lo, s1
	v_mov_b32_e32 v9, 0
	ds_load_b64 v[96:97], v9 offset:256
	s_wait_dscnt 0x0
	v_mul_f64_e32 v[94:95], v[94:95], v[96:97]
	scratch_store_b64 off, v[94:95], off offset:256
.LBB108_139:
	s_wait_xcnt 0x0
	s_or_b32 exec_lo, exec_lo, s0
	s_wait_storecnt 0x0
	s_barrier_signal -1
	s_barrier_wait -1
	scratch_load_b64 v[94:95], off, off offset:264
	s_mov_b32 s0, exec_lo
	s_wait_loadcnt 0x0
	ds_store_b64 v1, v[94:95]
	s_wait_dscnt 0x0
	s_barrier_signal -1
	s_barrier_wait -1
	v_cmpx_gt_u32_e32 33, v0
	s_cbranch_execz .LBB108_143
; %bb.140:
	v_mov_b64_e32 v[94:95], 0
	v_dual_add_nc_u32 v9, -1, v0 :: v_dual_mov_b32 v13, v2
	v_add_nc_u32_e32 v11, 0x170, v2
	s_mov_b32 s1, 0
.LBB108_141:                            ; =>This Inner Loop Header: Depth=1
	scratch_load_b64 v[96:97], v13, off
	ds_load_b64 v[98:99], v11
	v_dual_add_nc_u32 v9, 1, v9 :: v_dual_add_nc_u32 v11, 8, v11
	s_wait_xcnt 0x0
	v_add_nc_u32_e32 v13, 8, v13
	s_delay_alu instid0(VALU_DEP_2)
	v_cmp_lt_u32_e32 vcc_lo, 31, v9
	s_or_b32 s1, vcc_lo, s1
	s_wait_loadcnt_dscnt 0x0
	v_fmac_f64_e32 v[94:95], v[96:97], v[98:99]
	s_and_not1_b32 exec_lo, exec_lo, s1
	s_cbranch_execnz .LBB108_141
; %bb.142:
	s_or_b32 exec_lo, exec_lo, s1
	v_mov_b32_e32 v9, 0
	ds_load_b64 v[96:97], v9 offset:264
	s_wait_dscnt 0x0
	v_mul_f64_e32 v[94:95], v[94:95], v[96:97]
	scratch_store_b64 off, v[94:95], off offset:264
.LBB108_143:
	s_wait_xcnt 0x0
	s_or_b32 exec_lo, exec_lo, s0
	s_wait_storecnt 0x0
	s_barrier_signal -1
	s_barrier_wait -1
	scratch_load_b64 v[94:95], off, off offset:272
	s_mov_b32 s0, exec_lo
	s_wait_loadcnt 0x0
	ds_store_b64 v1, v[94:95]
	s_wait_dscnt 0x0
	s_barrier_signal -1
	s_barrier_wait -1
	v_cmpx_gt_u32_e32 34, v0
	s_cbranch_execz .LBB108_147
; %bb.144:
	v_mov_b64_e32 v[94:95], 0
	v_dual_add_nc_u32 v9, -1, v0 :: v_dual_mov_b32 v13, v2
	v_add_nc_u32_e32 v11, 0x170, v2
	s_mov_b32 s1, 0
.LBB108_145:                            ; =>This Inner Loop Header: Depth=1
	scratch_load_b64 v[96:97], v13, off
	ds_load_b64 v[98:99], v11
	v_dual_add_nc_u32 v9, 1, v9 :: v_dual_add_nc_u32 v11, 8, v11
	s_wait_xcnt 0x0
	v_add_nc_u32_e32 v13, 8, v13
	s_delay_alu instid0(VALU_DEP_2)
	v_cmp_lt_u32_e32 vcc_lo, 32, v9
	s_or_b32 s1, vcc_lo, s1
	s_wait_loadcnt_dscnt 0x0
	v_fmac_f64_e32 v[94:95], v[96:97], v[98:99]
	s_and_not1_b32 exec_lo, exec_lo, s1
	s_cbranch_execnz .LBB108_145
; %bb.146:
	s_or_b32 exec_lo, exec_lo, s1
	v_mov_b32_e32 v9, 0
	ds_load_b64 v[96:97], v9 offset:272
	s_wait_dscnt 0x0
	v_mul_f64_e32 v[94:95], v[94:95], v[96:97]
	scratch_store_b64 off, v[94:95], off offset:272
.LBB108_147:
	s_wait_xcnt 0x0
	s_or_b32 exec_lo, exec_lo, s0
	s_wait_storecnt 0x0
	s_barrier_signal -1
	s_barrier_wait -1
	scratch_load_b64 v[94:95], off, off offset:280
	s_mov_b32 s0, exec_lo
	s_wait_loadcnt 0x0
	ds_store_b64 v1, v[94:95]
	s_wait_dscnt 0x0
	s_barrier_signal -1
	s_barrier_wait -1
	v_cmpx_gt_u32_e32 35, v0
	s_cbranch_execz .LBB108_151
; %bb.148:
	v_mov_b64_e32 v[94:95], 0
	v_dual_add_nc_u32 v9, -1, v0 :: v_dual_mov_b32 v13, v2
	v_add_nc_u32_e32 v11, 0x170, v2
	s_mov_b32 s1, 0
.LBB108_149:                            ; =>This Inner Loop Header: Depth=1
	scratch_load_b64 v[96:97], v13, off
	ds_load_b64 v[98:99], v11
	v_dual_add_nc_u32 v9, 1, v9 :: v_dual_add_nc_u32 v11, 8, v11
	s_wait_xcnt 0x0
	v_add_nc_u32_e32 v13, 8, v13
	s_delay_alu instid0(VALU_DEP_2)
	v_cmp_lt_u32_e32 vcc_lo, 33, v9
	s_or_b32 s1, vcc_lo, s1
	s_wait_loadcnt_dscnt 0x0
	v_fmac_f64_e32 v[94:95], v[96:97], v[98:99]
	s_and_not1_b32 exec_lo, exec_lo, s1
	s_cbranch_execnz .LBB108_149
; %bb.150:
	s_or_b32 exec_lo, exec_lo, s1
	v_mov_b32_e32 v9, 0
	ds_load_b64 v[96:97], v9 offset:280
	s_wait_dscnt 0x0
	v_mul_f64_e32 v[94:95], v[94:95], v[96:97]
	scratch_store_b64 off, v[94:95], off offset:280
.LBB108_151:
	s_wait_xcnt 0x0
	s_or_b32 exec_lo, exec_lo, s0
	s_wait_storecnt 0x0
	s_barrier_signal -1
	s_barrier_wait -1
	scratch_load_b64 v[94:95], off, off offset:288
	s_mov_b32 s0, exec_lo
	s_wait_loadcnt 0x0
	ds_store_b64 v1, v[94:95]
	s_wait_dscnt 0x0
	s_barrier_signal -1
	s_barrier_wait -1
	v_cmpx_gt_u32_e32 36, v0
	s_cbranch_execz .LBB108_155
; %bb.152:
	v_mov_b64_e32 v[94:95], 0
	v_dual_add_nc_u32 v9, -1, v0 :: v_dual_mov_b32 v13, v2
	v_add_nc_u32_e32 v11, 0x170, v2
	s_mov_b32 s1, 0
.LBB108_153:                            ; =>This Inner Loop Header: Depth=1
	scratch_load_b64 v[96:97], v13, off
	ds_load_b64 v[98:99], v11
	v_dual_add_nc_u32 v9, 1, v9 :: v_dual_add_nc_u32 v11, 8, v11
	s_wait_xcnt 0x0
	v_add_nc_u32_e32 v13, 8, v13
	s_delay_alu instid0(VALU_DEP_2)
	v_cmp_lt_u32_e32 vcc_lo, 34, v9
	s_or_b32 s1, vcc_lo, s1
	s_wait_loadcnt_dscnt 0x0
	v_fmac_f64_e32 v[94:95], v[96:97], v[98:99]
	s_and_not1_b32 exec_lo, exec_lo, s1
	s_cbranch_execnz .LBB108_153
; %bb.154:
	s_or_b32 exec_lo, exec_lo, s1
	v_mov_b32_e32 v9, 0
	ds_load_b64 v[96:97], v9 offset:288
	s_wait_dscnt 0x0
	v_mul_f64_e32 v[94:95], v[94:95], v[96:97]
	scratch_store_b64 off, v[94:95], off offset:288
.LBB108_155:
	s_wait_xcnt 0x0
	s_or_b32 exec_lo, exec_lo, s0
	s_wait_storecnt 0x0
	s_barrier_signal -1
	s_barrier_wait -1
	scratch_load_b64 v[94:95], off, off offset:296
	s_mov_b32 s0, exec_lo
	s_wait_loadcnt 0x0
	ds_store_b64 v1, v[94:95]
	s_wait_dscnt 0x0
	s_barrier_signal -1
	s_barrier_wait -1
	v_cmpx_gt_u32_e32 37, v0
	s_cbranch_execz .LBB108_159
; %bb.156:
	v_mov_b64_e32 v[94:95], 0
	v_dual_add_nc_u32 v9, -1, v0 :: v_dual_mov_b32 v13, v2
	v_add_nc_u32_e32 v11, 0x170, v2
	s_mov_b32 s1, 0
.LBB108_157:                            ; =>This Inner Loop Header: Depth=1
	scratch_load_b64 v[96:97], v13, off
	ds_load_b64 v[98:99], v11
	v_dual_add_nc_u32 v9, 1, v9 :: v_dual_add_nc_u32 v11, 8, v11
	s_wait_xcnt 0x0
	v_add_nc_u32_e32 v13, 8, v13
	s_delay_alu instid0(VALU_DEP_2)
	v_cmp_lt_u32_e32 vcc_lo, 35, v9
	s_or_b32 s1, vcc_lo, s1
	s_wait_loadcnt_dscnt 0x0
	v_fmac_f64_e32 v[94:95], v[96:97], v[98:99]
	s_and_not1_b32 exec_lo, exec_lo, s1
	s_cbranch_execnz .LBB108_157
; %bb.158:
	s_or_b32 exec_lo, exec_lo, s1
	v_mov_b32_e32 v9, 0
	ds_load_b64 v[96:97], v9 offset:296
	s_wait_dscnt 0x0
	v_mul_f64_e32 v[94:95], v[94:95], v[96:97]
	scratch_store_b64 off, v[94:95], off offset:296
.LBB108_159:
	s_wait_xcnt 0x0
	s_or_b32 exec_lo, exec_lo, s0
	s_wait_storecnt 0x0
	s_barrier_signal -1
	s_barrier_wait -1
	scratch_load_b64 v[94:95], off, off offset:304
	s_mov_b32 s0, exec_lo
	s_wait_loadcnt 0x0
	ds_store_b64 v1, v[94:95]
	s_wait_dscnt 0x0
	s_barrier_signal -1
	s_barrier_wait -1
	v_cmpx_gt_u32_e32 38, v0
	s_cbranch_execz .LBB108_163
; %bb.160:
	v_mov_b64_e32 v[94:95], 0
	v_dual_add_nc_u32 v9, -1, v0 :: v_dual_mov_b32 v13, v2
	v_add_nc_u32_e32 v11, 0x170, v2
	s_mov_b32 s1, 0
.LBB108_161:                            ; =>This Inner Loop Header: Depth=1
	scratch_load_b64 v[96:97], v13, off
	ds_load_b64 v[98:99], v11
	v_dual_add_nc_u32 v9, 1, v9 :: v_dual_add_nc_u32 v11, 8, v11
	s_wait_xcnt 0x0
	v_add_nc_u32_e32 v13, 8, v13
	s_delay_alu instid0(VALU_DEP_2)
	v_cmp_lt_u32_e32 vcc_lo, 36, v9
	s_or_b32 s1, vcc_lo, s1
	s_wait_loadcnt_dscnt 0x0
	v_fmac_f64_e32 v[94:95], v[96:97], v[98:99]
	s_and_not1_b32 exec_lo, exec_lo, s1
	s_cbranch_execnz .LBB108_161
; %bb.162:
	s_or_b32 exec_lo, exec_lo, s1
	v_mov_b32_e32 v9, 0
	ds_load_b64 v[96:97], v9 offset:304
	s_wait_dscnt 0x0
	v_mul_f64_e32 v[94:95], v[94:95], v[96:97]
	scratch_store_b64 off, v[94:95], off offset:304
.LBB108_163:
	s_wait_xcnt 0x0
	s_or_b32 exec_lo, exec_lo, s0
	s_wait_storecnt 0x0
	s_barrier_signal -1
	s_barrier_wait -1
	scratch_load_b64 v[94:95], off, off offset:312
	s_mov_b32 s0, exec_lo
	s_wait_loadcnt 0x0
	ds_store_b64 v1, v[94:95]
	s_wait_dscnt 0x0
	s_barrier_signal -1
	s_barrier_wait -1
	v_cmpx_gt_u32_e32 39, v0
	s_cbranch_execz .LBB108_167
; %bb.164:
	v_mov_b64_e32 v[94:95], 0
	v_dual_add_nc_u32 v9, -1, v0 :: v_dual_mov_b32 v13, v2
	v_add_nc_u32_e32 v11, 0x170, v2
	s_mov_b32 s1, 0
.LBB108_165:                            ; =>This Inner Loop Header: Depth=1
	scratch_load_b64 v[96:97], v13, off
	ds_load_b64 v[98:99], v11
	v_dual_add_nc_u32 v9, 1, v9 :: v_dual_add_nc_u32 v11, 8, v11
	s_wait_xcnt 0x0
	v_add_nc_u32_e32 v13, 8, v13
	s_delay_alu instid0(VALU_DEP_2)
	v_cmp_lt_u32_e32 vcc_lo, 37, v9
	s_or_b32 s1, vcc_lo, s1
	s_wait_loadcnt_dscnt 0x0
	v_fmac_f64_e32 v[94:95], v[96:97], v[98:99]
	s_and_not1_b32 exec_lo, exec_lo, s1
	s_cbranch_execnz .LBB108_165
; %bb.166:
	s_or_b32 exec_lo, exec_lo, s1
	v_mov_b32_e32 v9, 0
	ds_load_b64 v[96:97], v9 offset:312
	s_wait_dscnt 0x0
	v_mul_f64_e32 v[94:95], v[94:95], v[96:97]
	scratch_store_b64 off, v[94:95], off offset:312
.LBB108_167:
	s_wait_xcnt 0x0
	s_or_b32 exec_lo, exec_lo, s0
	s_wait_storecnt 0x0
	s_barrier_signal -1
	s_barrier_wait -1
	scratch_load_b64 v[94:95], off, off offset:320
	s_mov_b32 s0, exec_lo
	s_wait_loadcnt 0x0
	ds_store_b64 v1, v[94:95]
	s_wait_dscnt 0x0
	s_barrier_signal -1
	s_barrier_wait -1
	v_cmpx_gt_u32_e32 40, v0
	s_cbranch_execz .LBB108_171
; %bb.168:
	v_mov_b64_e32 v[94:95], 0
	v_dual_add_nc_u32 v9, -1, v0 :: v_dual_mov_b32 v13, v2
	v_add_nc_u32_e32 v11, 0x170, v2
	s_mov_b32 s1, 0
.LBB108_169:                            ; =>This Inner Loop Header: Depth=1
	scratch_load_b64 v[96:97], v13, off
	ds_load_b64 v[98:99], v11
	v_dual_add_nc_u32 v9, 1, v9 :: v_dual_add_nc_u32 v11, 8, v11
	s_wait_xcnt 0x0
	v_add_nc_u32_e32 v13, 8, v13
	s_delay_alu instid0(VALU_DEP_2)
	v_cmp_lt_u32_e32 vcc_lo, 38, v9
	s_or_b32 s1, vcc_lo, s1
	s_wait_loadcnt_dscnt 0x0
	v_fmac_f64_e32 v[94:95], v[96:97], v[98:99]
	s_and_not1_b32 exec_lo, exec_lo, s1
	s_cbranch_execnz .LBB108_169
; %bb.170:
	s_or_b32 exec_lo, exec_lo, s1
	v_mov_b32_e32 v9, 0
	ds_load_b64 v[96:97], v9 offset:320
	s_wait_dscnt 0x0
	v_mul_f64_e32 v[94:95], v[94:95], v[96:97]
	scratch_store_b64 off, v[94:95], off offset:320
.LBB108_171:
	s_wait_xcnt 0x0
	s_or_b32 exec_lo, exec_lo, s0
	s_wait_storecnt 0x0
	s_barrier_signal -1
	s_barrier_wait -1
	scratch_load_b64 v[94:95], off, off offset:328
	s_mov_b32 s0, exec_lo
	s_wait_loadcnt 0x0
	ds_store_b64 v1, v[94:95]
	s_wait_dscnt 0x0
	s_barrier_signal -1
	s_barrier_wait -1
	v_cmpx_gt_u32_e32 41, v0
	s_cbranch_execz .LBB108_175
; %bb.172:
	v_mov_b64_e32 v[94:95], 0
	v_dual_add_nc_u32 v9, -1, v0 :: v_dual_mov_b32 v13, v2
	v_add_nc_u32_e32 v11, 0x170, v2
	s_mov_b32 s1, 0
.LBB108_173:                            ; =>This Inner Loop Header: Depth=1
	scratch_load_b64 v[96:97], v13, off
	ds_load_b64 v[98:99], v11
	v_dual_add_nc_u32 v9, 1, v9 :: v_dual_add_nc_u32 v11, 8, v11
	s_wait_xcnt 0x0
	v_add_nc_u32_e32 v13, 8, v13
	s_delay_alu instid0(VALU_DEP_2)
	v_cmp_lt_u32_e32 vcc_lo, 39, v9
	s_or_b32 s1, vcc_lo, s1
	s_wait_loadcnt_dscnt 0x0
	v_fmac_f64_e32 v[94:95], v[96:97], v[98:99]
	s_and_not1_b32 exec_lo, exec_lo, s1
	s_cbranch_execnz .LBB108_173
; %bb.174:
	s_or_b32 exec_lo, exec_lo, s1
	v_mov_b32_e32 v9, 0
	ds_load_b64 v[96:97], v9 offset:328
	s_wait_dscnt 0x0
	v_mul_f64_e32 v[94:95], v[94:95], v[96:97]
	scratch_store_b64 off, v[94:95], off offset:328
.LBB108_175:
	s_wait_xcnt 0x0
	s_or_b32 exec_lo, exec_lo, s0
	s_wait_storecnt 0x0
	s_barrier_signal -1
	s_barrier_wait -1
	scratch_load_b64 v[94:95], off, off offset:336
	s_mov_b32 s0, exec_lo
	s_wait_loadcnt 0x0
	ds_store_b64 v1, v[94:95]
	s_wait_dscnt 0x0
	s_barrier_signal -1
	s_barrier_wait -1
	v_cmpx_gt_u32_e32 42, v0
	s_cbranch_execz .LBB108_179
; %bb.176:
	v_mov_b64_e32 v[94:95], 0
	v_dual_add_nc_u32 v9, -1, v0 :: v_dual_mov_b32 v13, v2
	v_add_nc_u32_e32 v11, 0x170, v2
	s_mov_b32 s1, 0
.LBB108_177:                            ; =>This Inner Loop Header: Depth=1
	scratch_load_b64 v[96:97], v13, off
	ds_load_b64 v[98:99], v11
	v_dual_add_nc_u32 v9, 1, v9 :: v_dual_add_nc_u32 v11, 8, v11
	s_wait_xcnt 0x0
	v_add_nc_u32_e32 v13, 8, v13
	s_delay_alu instid0(VALU_DEP_2)
	v_cmp_lt_u32_e32 vcc_lo, 40, v9
	s_or_b32 s1, vcc_lo, s1
	s_wait_loadcnt_dscnt 0x0
	v_fmac_f64_e32 v[94:95], v[96:97], v[98:99]
	s_and_not1_b32 exec_lo, exec_lo, s1
	s_cbranch_execnz .LBB108_177
; %bb.178:
	s_or_b32 exec_lo, exec_lo, s1
	v_mov_b32_e32 v9, 0
	ds_load_b64 v[96:97], v9 offset:336
	s_wait_dscnt 0x0
	v_mul_f64_e32 v[94:95], v[94:95], v[96:97]
	scratch_store_b64 off, v[94:95], off offset:336
.LBB108_179:
	s_wait_xcnt 0x0
	s_or_b32 exec_lo, exec_lo, s0
	s_wait_storecnt 0x0
	s_barrier_signal -1
	s_barrier_wait -1
	scratch_load_b64 v[94:95], off, off offset:344
	s_mov_b32 s0, exec_lo
	s_wait_loadcnt 0x0
	ds_store_b64 v1, v[94:95]
	s_wait_dscnt 0x0
	s_barrier_signal -1
	s_barrier_wait -1
	v_cmpx_gt_u32_e32 43, v0
	s_cbranch_execz .LBB108_183
; %bb.180:
	v_mov_b64_e32 v[94:95], 0
	v_dual_add_nc_u32 v9, -1, v0 :: v_dual_mov_b32 v13, v2
	v_add_nc_u32_e32 v11, 0x170, v2
	s_mov_b32 s1, 0
.LBB108_181:                            ; =>This Inner Loop Header: Depth=1
	scratch_load_b64 v[96:97], v13, off
	ds_load_b64 v[98:99], v11
	v_dual_add_nc_u32 v9, 1, v9 :: v_dual_add_nc_u32 v11, 8, v11
	s_wait_xcnt 0x0
	v_add_nc_u32_e32 v13, 8, v13
	s_delay_alu instid0(VALU_DEP_2)
	v_cmp_lt_u32_e32 vcc_lo, 41, v9
	s_or_b32 s1, vcc_lo, s1
	s_wait_loadcnt_dscnt 0x0
	v_fmac_f64_e32 v[94:95], v[96:97], v[98:99]
	s_and_not1_b32 exec_lo, exec_lo, s1
	s_cbranch_execnz .LBB108_181
; %bb.182:
	s_or_b32 exec_lo, exec_lo, s1
	v_mov_b32_e32 v9, 0
	ds_load_b64 v[96:97], v9 offset:344
	s_wait_dscnt 0x0
	v_mul_f64_e32 v[94:95], v[94:95], v[96:97]
	scratch_store_b64 off, v[94:95], off offset:344
.LBB108_183:
	s_wait_xcnt 0x0
	s_or_b32 exec_lo, exec_lo, s0
	s_wait_storecnt 0x0
	s_barrier_signal -1
	s_barrier_wait -1
	scratch_load_b64 v[94:95], off, off offset:352
	s_mov_b32 s0, exec_lo
	s_wait_loadcnt 0x0
	ds_store_b64 v1, v[94:95]
	s_wait_dscnt 0x0
	s_barrier_signal -1
	s_barrier_wait -1
	v_cmpx_ne_u32_e32 44, v0
	s_cbranch_execz .LBB108_187
; %bb.184:
	v_mov_b64_e32 v[94:95], 0
	s_mov_b32 s1, 0
.LBB108_185:                            ; =>This Inner Loop Header: Depth=1
	scratch_load_b64 v[96:97], v2, off
	ds_load_b64 v[98:99], v1
	v_dual_add_nc_u32 v3, 1, v3 :: v_dual_add_nc_u32 v1, 8, v1
	s_wait_xcnt 0x0
	v_add_nc_u32_e32 v2, 8, v2
	s_delay_alu instid0(VALU_DEP_2)
	v_cmp_lt_u32_e32 vcc_lo, 42, v3
	s_or_b32 s1, vcc_lo, s1
	s_wait_loadcnt_dscnt 0x0
	v_fmac_f64_e32 v[94:95], v[96:97], v[98:99]
	s_and_not1_b32 exec_lo, exec_lo, s1
	s_cbranch_execnz .LBB108_185
; %bb.186:
	s_or_b32 exec_lo, exec_lo, s1
	v_mov_b32_e32 v1, 0
	ds_load_b64 v[2:3], v1 offset:352
	s_wait_dscnt 0x0
	v_mul_f64_e32 v[2:3], v[94:95], v[2:3]
	scratch_store_b64 off, v[2:3], off offset:352
.LBB108_187:
	s_wait_xcnt 0x0
	s_or_b32 exec_lo, exec_lo, s0
	s_mov_b32 s1, -1
	s_wait_storecnt 0x0
	s_barrier_signal -1
	s_barrier_wait -1
.LBB108_188:
	s_and_b32 vcc_lo, exec_lo, s1
	s_cbranch_vccz .LBB108_190
; %bb.189:
	v_mov_b32_e32 v1, 0
	s_lshl_b64 s[0:1], s[10:11], 2
	s_delay_alu instid0(SALU_CYCLE_1)
	s_add_nc_u64 s[0:1], s[6:7], s[0:1]
	global_load_b32 v1, v1, s[0:1]
	s_wait_loadcnt 0x0
	v_cmp_ne_u32_e32 vcc_lo, 0, v1
	s_cbranch_vccz .LBB108_191
.LBB108_190:
	s_sendmsg sendmsg(MSG_DEALLOC_VGPRS)
	s_endpgm
.LBB108_191:
	s_wait_xcnt 0x0
	v_lshl_add_u32 v1, v0, 3, 0x170
	s_mov_b32 s0, exec_lo
	v_cmpx_eq_u32_e32 44, v0
	s_cbranch_execz .LBB108_193
; %bb.192:
	scratch_load_b64 v[2:3], off, off offset:344
	v_mov_b64_e32 v[94:95], 0
	scratch_store_b64 off, v[94:95], off offset:344
	s_wait_loadcnt 0x0
	ds_store_b64 v1, v[2:3]
.LBB108_193:
	s_wait_xcnt 0x0
	s_or_b32 exec_lo, exec_lo, s0
	s_wait_storecnt_dscnt 0x0
	s_barrier_signal -1
	s_barrier_wait -1
	scratch_load_b128 v[94:97], off, off offset:344
	v_mov_b32_e32 v2, 0
	s_mov_b32 s0, exec_lo
	ds_load_b64 v[98:99], v2 offset:720
	s_wait_loadcnt_dscnt 0x0
	v_fma_f64 v[96:97], v[96:97], v[98:99], 0
	s_delay_alu instid0(VALU_DEP_1)
	v_add_f64_e64 v[94:95], v[94:95], -v[96:97]
	scratch_store_b64 off, v[94:95], off offset:344
	s_wait_xcnt 0x0
	v_cmpx_lt_u32_e32 42, v0
	s_cbranch_execz .LBB108_195
; %bb.194:
	scratch_load_b64 v[94:95], off, off offset:336
	v_mov_b64_e32 v[96:97], 0
	scratch_store_b64 off, v[96:97], off offset:336
	s_wait_loadcnt 0x0
	ds_store_b64 v1, v[94:95]
.LBB108_195:
	s_wait_xcnt 0x0
	s_or_b32 exec_lo, exec_lo, s0
	s_wait_storecnt_dscnt 0x0
	s_barrier_signal -1
	s_barrier_wait -1
	s_clause 0x1
	scratch_load_b128 v[94:97], off, off offset:336
	scratch_load_b64 v[102:103], off, off offset:352
	ds_load_2addr_b64 v[98:101], v2 offset0:89 offset1:90
	s_mov_b32 s0, exec_lo
	s_wait_loadcnt_dscnt 0x100
	v_fma_f64 v[2:3], v[96:97], v[98:99], 0
	s_wait_loadcnt 0x0
	s_delay_alu instid0(VALU_DEP_1) | instskip(NEXT) | instid1(VALU_DEP_1)
	v_fmac_f64_e32 v[2:3], v[102:103], v[100:101]
	v_add_f64_e64 v[2:3], v[94:95], -v[2:3]
	scratch_store_b64 off, v[2:3], off offset:336
	s_wait_xcnt 0x0
	v_cmpx_lt_u32_e32 41, v0
	s_cbranch_execz .LBB108_197
; %bb.196:
	scratch_load_b64 v[2:3], off, off offset:328
	v_mov_b64_e32 v[94:95], 0
	scratch_store_b64 off, v[94:95], off offset:328
	s_wait_loadcnt 0x0
	ds_store_b64 v1, v[2:3]
.LBB108_197:
	s_wait_xcnt 0x0
	s_or_b32 exec_lo, exec_lo, s0
	s_wait_storecnt_dscnt 0x0
	s_barrier_signal -1
	s_barrier_wait -1
	s_clause 0x1
	scratch_load_b128 v[94:97], off, off offset:328
	scratch_load_b128 v[98:101], off, off offset:344
	v_mov_b32_e32 v2, 0
	ds_load_b128 v[102:105], v2 offset:704
	ds_load_b64 v[106:107], v2 offset:720
	s_mov_b32 s0, exec_lo
	s_wait_loadcnt_dscnt 0x101
	v_fma_f64 v[96:97], v[96:97], v[102:103], 0
	s_wait_loadcnt 0x0
	s_delay_alu instid0(VALU_DEP_1) | instskip(SKIP_1) | instid1(VALU_DEP_1)
	v_fmac_f64_e32 v[96:97], v[98:99], v[104:105]
	s_wait_dscnt 0x0
	v_fmac_f64_e32 v[96:97], v[100:101], v[106:107]
	s_delay_alu instid0(VALU_DEP_1)
	v_add_f64_e64 v[94:95], v[94:95], -v[96:97]
	scratch_store_b64 off, v[94:95], off offset:328
	s_wait_xcnt 0x0
	v_cmpx_lt_u32_e32 40, v0
	s_cbranch_execz .LBB108_199
; %bb.198:
	scratch_load_b64 v[94:95], off, off offset:320
	v_mov_b64_e32 v[96:97], 0
	scratch_store_b64 off, v[96:97], off offset:320
	s_wait_loadcnt 0x0
	ds_store_b64 v1, v[94:95]
.LBB108_199:
	s_wait_xcnt 0x0
	s_or_b32 exec_lo, exec_lo, s0
	s_wait_storecnt_dscnt 0x0
	s_barrier_signal -1
	s_barrier_wait -1
	s_clause 0x2
	scratch_load_b128 v[94:97], off, off offset:320
	scratch_load_b128 v[98:101], off, off offset:336
	scratch_load_b64 v[110:111], off, off offset:352
	ds_load_2addr_b64 v[102:105], v2 offset0:87 offset1:88
	ds_load_2addr_b64 v[106:109], v2 offset0:89 offset1:90
	s_mov_b32 s0, exec_lo
	s_wait_loadcnt_dscnt 0x201
	v_fma_f64 v[2:3], v[96:97], v[102:103], 0
	s_wait_loadcnt 0x1
	s_delay_alu instid0(VALU_DEP_1) | instskip(SKIP_1) | instid1(VALU_DEP_1)
	v_fmac_f64_e32 v[2:3], v[98:99], v[104:105]
	s_wait_dscnt 0x0
	v_fmac_f64_e32 v[2:3], v[100:101], v[106:107]
	s_wait_loadcnt 0x0
	s_delay_alu instid0(VALU_DEP_1) | instskip(NEXT) | instid1(VALU_DEP_1)
	v_fmac_f64_e32 v[2:3], v[110:111], v[108:109]
	v_add_f64_e64 v[2:3], v[94:95], -v[2:3]
	scratch_store_b64 off, v[2:3], off offset:320
	s_wait_xcnt 0x0
	v_cmpx_lt_u32_e32 39, v0
	s_cbranch_execz .LBB108_201
; %bb.200:
	scratch_load_b64 v[2:3], off, off offset:312
	v_mov_b64_e32 v[94:95], 0
	scratch_store_b64 off, v[94:95], off offset:312
	s_wait_loadcnt 0x0
	ds_store_b64 v1, v[2:3]
.LBB108_201:
	s_wait_xcnt 0x0
	s_or_b32 exec_lo, exec_lo, s0
	s_wait_storecnt_dscnt 0x0
	s_barrier_signal -1
	s_barrier_wait -1
	s_clause 0x2
	scratch_load_b128 v[94:97], off, off offset:312
	scratch_load_b128 v[98:101], off, off offset:328
	scratch_load_b128 v[102:105], off, off offset:344
	v_mov_b32_e32 v2, 0
	ds_load_b128 v[106:109], v2 offset:688
	ds_load_b128 v[110:113], v2 offset:704
	s_mov_b32 s0, exec_lo
	s_wait_loadcnt_dscnt 0x201
	v_fma_f64 v[96:97], v[96:97], v[106:107], 0
	s_wait_loadcnt 0x1
	s_delay_alu instid0(VALU_DEP_1) | instskip(SKIP_4) | instid1(VALU_DEP_1)
	v_fmac_f64_e32 v[96:97], v[98:99], v[108:109]
	ds_load_b64 v[98:99], v2 offset:720
	s_wait_dscnt 0x1
	v_fmac_f64_e32 v[96:97], v[100:101], v[110:111]
	s_wait_loadcnt 0x0
	v_fmac_f64_e32 v[96:97], v[102:103], v[112:113]
	s_wait_dscnt 0x0
	s_delay_alu instid0(VALU_DEP_1) | instskip(NEXT) | instid1(VALU_DEP_1)
	v_fmac_f64_e32 v[96:97], v[104:105], v[98:99]
	v_add_f64_e64 v[94:95], v[94:95], -v[96:97]
	scratch_store_b64 off, v[94:95], off offset:312
	s_wait_xcnt 0x0
	v_cmpx_lt_u32_e32 38, v0
	s_cbranch_execz .LBB108_203
; %bb.202:
	scratch_load_b64 v[94:95], off, off offset:304
	v_mov_b64_e32 v[96:97], 0
	scratch_store_b64 off, v[96:97], off offset:304
	s_wait_loadcnt 0x0
	ds_store_b64 v1, v[94:95]
.LBB108_203:
	s_wait_xcnt 0x0
	s_or_b32 exec_lo, exec_lo, s0
	s_wait_storecnt_dscnt 0x0
	s_barrier_signal -1
	s_barrier_wait -1
	s_clause 0x3
	scratch_load_b128 v[94:97], off, off offset:304
	scratch_load_b128 v[98:101], off, off offset:320
	;; [unrolled: 1-line block ×3, first 2 shown]
	scratch_load_b64 v[114:115], off, off offset:352
	ds_load_2addr_b64 v[106:109], v2 offset0:85 offset1:86
	ds_load_2addr_b64 v[110:113], v2 offset0:87 offset1:88
	s_mov_b32 s0, exec_lo
	s_wait_loadcnt_dscnt 0x301
	v_fma_f64 v[106:107], v[96:97], v[106:107], 0
	s_wait_loadcnt 0x2
	s_delay_alu instid0(VALU_DEP_1) | instskip(SKIP_4) | instid1(VALU_DEP_1)
	v_fmac_f64_e32 v[106:107], v[98:99], v[108:109]
	ds_load_2addr_b64 v[96:99], v2 offset0:89 offset1:90
	s_wait_dscnt 0x1
	v_fmac_f64_e32 v[106:107], v[100:101], v[110:111]
	s_wait_loadcnt 0x1
	v_fmac_f64_e32 v[106:107], v[102:103], v[112:113]
	s_wait_dscnt 0x0
	s_delay_alu instid0(VALU_DEP_1) | instskip(SKIP_1) | instid1(VALU_DEP_1)
	v_fmac_f64_e32 v[106:107], v[104:105], v[96:97]
	s_wait_loadcnt 0x0
	v_fmac_f64_e32 v[106:107], v[114:115], v[98:99]
	s_delay_alu instid0(VALU_DEP_1)
	v_add_f64_e64 v[2:3], v[94:95], -v[106:107]
	scratch_store_b64 off, v[2:3], off offset:304
	s_wait_xcnt 0x0
	v_cmpx_lt_u32_e32 37, v0
	s_cbranch_execz .LBB108_205
; %bb.204:
	scratch_load_b64 v[2:3], off, off offset:296
	v_mov_b64_e32 v[94:95], 0
	scratch_store_b64 off, v[94:95], off offset:296
	s_wait_loadcnt 0x0
	ds_store_b64 v1, v[2:3]
.LBB108_205:
	s_wait_xcnt 0x0
	s_or_b32 exec_lo, exec_lo, s0
	s_wait_storecnt_dscnt 0x0
	s_barrier_signal -1
	s_barrier_wait -1
	s_clause 0x3
	scratch_load_b128 v[94:97], off, off offset:296
	scratch_load_b128 v[98:101], off, off offset:312
	;; [unrolled: 1-line block ×4, first 2 shown]
	v_mov_b32_e32 v2, 0
	ds_load_b128 v[110:113], v2 offset:672
	ds_load_b128 v[114:117], v2 offset:688
	s_mov_b32 s0, exec_lo
	s_wait_loadcnt_dscnt 0x301
	v_fma_f64 v[110:111], v[96:97], v[110:111], 0
	s_wait_loadcnt 0x2
	s_delay_alu instid0(VALU_DEP_1) | instskip(SKIP_1) | instid1(VALU_DEP_1)
	v_fmac_f64_e32 v[110:111], v[98:99], v[112:113]
	s_wait_dscnt 0x0
	v_fmac_f64_e32 v[110:111], v[100:101], v[114:115]
	ds_load_b128 v[96:99], v2 offset:704
	ds_load_b64 v[100:101], v2 offset:720
	s_wait_loadcnt 0x1
	v_fmac_f64_e32 v[110:111], v[102:103], v[116:117]
	s_wait_dscnt 0x1
	s_delay_alu instid0(VALU_DEP_1) | instskip(SKIP_1) | instid1(VALU_DEP_1)
	v_fmac_f64_e32 v[110:111], v[104:105], v[96:97]
	s_wait_loadcnt 0x0
	v_fmac_f64_e32 v[110:111], v[106:107], v[98:99]
	s_wait_dscnt 0x0
	s_delay_alu instid0(VALU_DEP_1) | instskip(NEXT) | instid1(VALU_DEP_1)
	v_fmac_f64_e32 v[110:111], v[108:109], v[100:101]
	v_add_f64_e64 v[94:95], v[94:95], -v[110:111]
	scratch_store_b64 off, v[94:95], off offset:296
	s_wait_xcnt 0x0
	v_cmpx_lt_u32_e32 36, v0
	s_cbranch_execz .LBB108_207
; %bb.206:
	scratch_load_b64 v[94:95], off, off offset:288
	v_mov_b64_e32 v[96:97], 0
	scratch_store_b64 off, v[96:97], off offset:288
	s_wait_loadcnt 0x0
	ds_store_b64 v1, v[94:95]
.LBB108_207:
	s_wait_xcnt 0x0
	s_or_b32 exec_lo, exec_lo, s0
	s_wait_storecnt_dscnt 0x0
	s_barrier_signal -1
	s_barrier_wait -1
	s_clause 0x4
	scratch_load_b128 v[94:97], off, off offset:288
	scratch_load_b128 v[98:101], off, off offset:304
	;; [unrolled: 1-line block ×4, first 2 shown]
	scratch_load_b64 v[118:119], off, off offset:352
	ds_load_2addr_b64 v[110:113], v2 offset0:83 offset1:84
	ds_load_2addr_b64 v[114:117], v2 offset0:85 offset1:86
	s_mov_b32 s0, exec_lo
	s_wait_loadcnt_dscnt 0x401
	v_fma_f64 v[110:111], v[96:97], v[110:111], 0
	s_wait_loadcnt 0x3
	s_delay_alu instid0(VALU_DEP_1) | instskip(SKIP_1) | instid1(VALU_DEP_1)
	v_fmac_f64_e32 v[110:111], v[98:99], v[112:113]
	s_wait_dscnt 0x0
	v_fmac_f64_e32 v[110:111], v[100:101], v[114:115]
	s_wait_loadcnt 0x2
	s_delay_alu instid0(VALU_DEP_1)
	v_fmac_f64_e32 v[110:111], v[102:103], v[116:117]
	ds_load_2addr_b64 v[96:99], v2 offset0:87 offset1:88
	ds_load_2addr_b64 v[100:103], v2 offset0:89 offset1:90
	s_wait_dscnt 0x1
	v_fmac_f64_e32 v[110:111], v[104:105], v[96:97]
	s_wait_loadcnt 0x1
	s_delay_alu instid0(VALU_DEP_1) | instskip(SKIP_1) | instid1(VALU_DEP_1)
	v_fmac_f64_e32 v[110:111], v[106:107], v[98:99]
	s_wait_dscnt 0x0
	v_fmac_f64_e32 v[110:111], v[108:109], v[100:101]
	s_wait_loadcnt 0x0
	s_delay_alu instid0(VALU_DEP_1) | instskip(NEXT) | instid1(VALU_DEP_1)
	v_fmac_f64_e32 v[110:111], v[118:119], v[102:103]
	v_add_f64_e64 v[2:3], v[94:95], -v[110:111]
	scratch_store_b64 off, v[2:3], off offset:288
	s_wait_xcnt 0x0
	v_cmpx_lt_u32_e32 35, v0
	s_cbranch_execz .LBB108_209
; %bb.208:
	scratch_load_b64 v[2:3], off, off offset:280
	v_mov_b64_e32 v[94:95], 0
	scratch_store_b64 off, v[94:95], off offset:280
	s_wait_loadcnt 0x0
	ds_store_b64 v1, v[2:3]
.LBB108_209:
	s_wait_xcnt 0x0
	s_or_b32 exec_lo, exec_lo, s0
	s_wait_storecnt_dscnt 0x0
	s_barrier_signal -1
	s_barrier_wait -1
	s_clause 0x4
	scratch_load_b128 v[94:97], off, off offset:280
	scratch_load_b128 v[98:101], off, off offset:296
	;; [unrolled: 1-line block ×5, first 2 shown]
	v_mov_b32_e32 v2, 0
	ds_load_b128 v[114:117], v2 offset:656
	ds_load_b128 v[118:121], v2 offset:672
	s_mov_b32 s0, exec_lo
	s_wait_loadcnt_dscnt 0x401
	v_fma_f64 v[114:115], v[96:97], v[114:115], 0
	s_wait_loadcnt 0x3
	s_delay_alu instid0(VALU_DEP_1) | instskip(SKIP_1) | instid1(VALU_DEP_1)
	v_fmac_f64_e32 v[114:115], v[98:99], v[116:117]
	s_wait_dscnt 0x0
	v_fmac_f64_e32 v[114:115], v[100:101], v[118:119]
	s_wait_loadcnt 0x2
	s_delay_alu instid0(VALU_DEP_1)
	v_fmac_f64_e32 v[114:115], v[102:103], v[120:121]
	ds_load_b128 v[96:99], v2 offset:688
	ds_load_b128 v[100:103], v2 offset:704
	s_wait_dscnt 0x1
	v_fmac_f64_e32 v[114:115], v[104:105], v[96:97]
	ds_load_b64 v[96:97], v2 offset:720
	s_wait_loadcnt 0x1
	v_fmac_f64_e32 v[114:115], v[106:107], v[98:99]
	s_wait_dscnt 0x1
	s_delay_alu instid0(VALU_DEP_1) | instskip(SKIP_1) | instid1(VALU_DEP_1)
	v_fmac_f64_e32 v[114:115], v[108:109], v[100:101]
	s_wait_loadcnt 0x0
	v_fmac_f64_e32 v[114:115], v[110:111], v[102:103]
	s_wait_dscnt 0x0
	s_delay_alu instid0(VALU_DEP_1) | instskip(NEXT) | instid1(VALU_DEP_1)
	v_fmac_f64_e32 v[114:115], v[112:113], v[96:97]
	v_add_f64_e64 v[94:95], v[94:95], -v[114:115]
	scratch_store_b64 off, v[94:95], off offset:280
	s_wait_xcnt 0x0
	v_cmpx_lt_u32_e32 34, v0
	s_cbranch_execz .LBB108_211
; %bb.210:
	scratch_load_b64 v[94:95], off, off offset:272
	v_mov_b64_e32 v[96:97], 0
	scratch_store_b64 off, v[96:97], off offset:272
	s_wait_loadcnt 0x0
	ds_store_b64 v1, v[94:95]
.LBB108_211:
	s_wait_xcnt 0x0
	s_or_b32 exec_lo, exec_lo, s0
	s_wait_storecnt_dscnt 0x0
	s_barrier_signal -1
	s_barrier_wait -1
	s_clause 0x5
	scratch_load_b128 v[94:97], off, off offset:272
	scratch_load_b128 v[98:101], off, off offset:288
	;; [unrolled: 1-line block ×5, first 2 shown]
	scratch_load_b64 v[122:123], off, off offset:352
	ds_load_2addr_b64 v[114:117], v2 offset0:81 offset1:82
	ds_load_2addr_b64 v[118:121], v2 offset0:83 offset1:84
	s_mov_b32 s0, exec_lo
	s_wait_loadcnt_dscnt 0x501
	v_fma_f64 v[114:115], v[96:97], v[114:115], 0
	s_wait_loadcnt 0x4
	s_delay_alu instid0(VALU_DEP_1) | instskip(SKIP_1) | instid1(VALU_DEP_1)
	v_fmac_f64_e32 v[114:115], v[98:99], v[116:117]
	s_wait_dscnt 0x0
	v_fmac_f64_e32 v[114:115], v[100:101], v[118:119]
	s_wait_loadcnt 0x3
	s_delay_alu instid0(VALU_DEP_1)
	v_fmac_f64_e32 v[114:115], v[102:103], v[120:121]
	ds_load_2addr_b64 v[96:99], v2 offset0:85 offset1:86
	ds_load_2addr_b64 v[100:103], v2 offset0:87 offset1:88
	s_wait_dscnt 0x1
	v_fmac_f64_e32 v[114:115], v[104:105], v[96:97]
	s_wait_loadcnt 0x2
	s_delay_alu instid0(VALU_DEP_1) | instskip(SKIP_4) | instid1(VALU_DEP_1)
	v_fmac_f64_e32 v[114:115], v[106:107], v[98:99]
	ds_load_2addr_b64 v[96:99], v2 offset0:89 offset1:90
	s_wait_dscnt 0x1
	v_fmac_f64_e32 v[114:115], v[108:109], v[100:101]
	s_wait_loadcnt 0x1
	v_fmac_f64_e32 v[114:115], v[110:111], v[102:103]
	s_wait_dscnt 0x0
	s_delay_alu instid0(VALU_DEP_1) | instskip(SKIP_1) | instid1(VALU_DEP_1)
	v_fmac_f64_e32 v[114:115], v[112:113], v[96:97]
	s_wait_loadcnt 0x0
	v_fmac_f64_e32 v[114:115], v[122:123], v[98:99]
	s_delay_alu instid0(VALU_DEP_1)
	v_add_f64_e64 v[2:3], v[94:95], -v[114:115]
	scratch_store_b64 off, v[2:3], off offset:272
	s_wait_xcnt 0x0
	v_cmpx_lt_u32_e32 33, v0
	s_cbranch_execz .LBB108_213
; %bb.212:
	scratch_load_b64 v[2:3], off, off offset:264
	v_mov_b64_e32 v[94:95], 0
	scratch_store_b64 off, v[94:95], off offset:264
	s_wait_loadcnt 0x0
	ds_store_b64 v1, v[2:3]
.LBB108_213:
	s_wait_xcnt 0x0
	s_or_b32 exec_lo, exec_lo, s0
	s_wait_storecnt_dscnt 0x0
	s_barrier_signal -1
	s_barrier_wait -1
	s_clause 0x5
	scratch_load_b128 v[94:97], off, off offset:264
	scratch_load_b128 v[98:101], off, off offset:280
	;; [unrolled: 1-line block ×6, first 2 shown]
	v_mov_b32_e32 v2, 0
	ds_load_b128 v[118:121], v2 offset:640
	ds_load_b128 v[122:125], v2 offset:656
	s_mov_b32 s0, exec_lo
	s_wait_loadcnt_dscnt 0x501
	v_fma_f64 v[118:119], v[96:97], v[118:119], 0
	s_wait_loadcnt 0x4
	s_delay_alu instid0(VALU_DEP_1) | instskip(SKIP_1) | instid1(VALU_DEP_1)
	v_fmac_f64_e32 v[118:119], v[98:99], v[120:121]
	s_wait_dscnt 0x0
	v_fmac_f64_e32 v[118:119], v[100:101], v[122:123]
	s_wait_loadcnt 0x3
	s_delay_alu instid0(VALU_DEP_1)
	v_fmac_f64_e32 v[118:119], v[102:103], v[124:125]
	ds_load_b128 v[96:99], v2 offset:672
	ds_load_b128 v[100:103], v2 offset:688
	s_wait_dscnt 0x1
	v_fmac_f64_e32 v[118:119], v[104:105], v[96:97]
	s_wait_loadcnt 0x2
	s_delay_alu instid0(VALU_DEP_1) | instskip(SKIP_1) | instid1(VALU_DEP_1)
	v_fmac_f64_e32 v[118:119], v[106:107], v[98:99]
	s_wait_dscnt 0x0
	v_fmac_f64_e32 v[118:119], v[108:109], v[100:101]
	ds_load_b128 v[96:99], v2 offset:704
	ds_load_b64 v[100:101], v2 offset:720
	s_wait_loadcnt 0x1
	v_fmac_f64_e32 v[118:119], v[110:111], v[102:103]
	s_wait_dscnt 0x1
	s_delay_alu instid0(VALU_DEP_1) | instskip(SKIP_1) | instid1(VALU_DEP_1)
	v_fmac_f64_e32 v[118:119], v[112:113], v[96:97]
	s_wait_loadcnt 0x0
	v_fmac_f64_e32 v[118:119], v[114:115], v[98:99]
	s_wait_dscnt 0x0
	s_delay_alu instid0(VALU_DEP_1) | instskip(NEXT) | instid1(VALU_DEP_1)
	v_fmac_f64_e32 v[118:119], v[116:117], v[100:101]
	v_add_f64_e64 v[94:95], v[94:95], -v[118:119]
	scratch_store_b64 off, v[94:95], off offset:264
	s_wait_xcnt 0x0
	v_cmpx_lt_u32_e32 32, v0
	s_cbranch_execz .LBB108_215
; %bb.214:
	scratch_load_b64 v[94:95], off, off offset:256
	v_mov_b64_e32 v[96:97], 0
	scratch_store_b64 off, v[96:97], off offset:256
	s_wait_loadcnt 0x0
	ds_store_b64 v1, v[94:95]
.LBB108_215:
	s_wait_xcnt 0x0
	s_or_b32 exec_lo, exec_lo, s0
	s_wait_storecnt_dscnt 0x0
	s_barrier_signal -1
	s_barrier_wait -1
	s_clause 0x5
	scratch_load_b128 v[94:97], off, off offset:256
	scratch_load_b128 v[98:101], off, off offset:272
	;; [unrolled: 1-line block ×6, first 2 shown]
	ds_load_2addr_b64 v[118:121], v2 offset0:79 offset1:80
	ds_load_2addr_b64 v[122:125], v2 offset0:81 offset1:82
	s_mov_b32 s0, exec_lo
	s_wait_loadcnt_dscnt 0x501
	v_fma_f64 v[118:119], v[96:97], v[118:119], 0
	s_wait_loadcnt 0x4
	s_delay_alu instid0(VALU_DEP_1) | instskip(SKIP_4) | instid1(VALU_DEP_1)
	v_fmac_f64_e32 v[118:119], v[98:99], v[120:121]
	scratch_load_b64 v[120:121], off, off offset:352
	s_wait_dscnt 0x0
	v_fmac_f64_e32 v[118:119], v[100:101], v[122:123]
	s_wait_loadcnt 0x4
	v_fmac_f64_e32 v[118:119], v[102:103], v[124:125]
	ds_load_2addr_b64 v[96:99], v2 offset0:83 offset1:84
	ds_load_2addr_b64 v[100:103], v2 offset0:85 offset1:86
	s_wait_dscnt 0x1
	v_fmac_f64_e32 v[118:119], v[104:105], v[96:97]
	s_wait_loadcnt 0x3
	s_delay_alu instid0(VALU_DEP_1) | instskip(SKIP_1) | instid1(VALU_DEP_1)
	v_fmac_f64_e32 v[118:119], v[106:107], v[98:99]
	s_wait_dscnt 0x0
	v_fmac_f64_e32 v[118:119], v[108:109], v[100:101]
	s_wait_loadcnt 0x2
	s_delay_alu instid0(VALU_DEP_1)
	v_fmac_f64_e32 v[118:119], v[110:111], v[102:103]
	ds_load_2addr_b64 v[96:99], v2 offset0:87 offset1:88
	ds_load_2addr_b64 v[100:103], v2 offset0:89 offset1:90
	s_wait_dscnt 0x1
	v_fmac_f64_e32 v[118:119], v[112:113], v[96:97]
	s_wait_loadcnt 0x1
	s_delay_alu instid0(VALU_DEP_1) | instskip(SKIP_1) | instid1(VALU_DEP_1)
	v_fmac_f64_e32 v[118:119], v[114:115], v[98:99]
	s_wait_dscnt 0x0
	v_fmac_f64_e32 v[118:119], v[116:117], v[100:101]
	s_wait_loadcnt 0x0
	s_delay_alu instid0(VALU_DEP_1) | instskip(NEXT) | instid1(VALU_DEP_1)
	v_fmac_f64_e32 v[118:119], v[120:121], v[102:103]
	v_add_f64_e64 v[2:3], v[94:95], -v[118:119]
	scratch_store_b64 off, v[2:3], off offset:256
	s_wait_xcnt 0x0
	v_cmpx_lt_u32_e32 31, v0
	s_cbranch_execz .LBB108_217
; %bb.216:
	scratch_load_b64 v[2:3], off, off offset:248
	v_mov_b64_e32 v[94:95], 0
	scratch_store_b64 off, v[94:95], off offset:248
	s_wait_loadcnt 0x0
	ds_store_b64 v1, v[2:3]
.LBB108_217:
	s_wait_xcnt 0x0
	s_or_b32 exec_lo, exec_lo, s0
	s_wait_storecnt_dscnt 0x0
	s_barrier_signal -1
	s_barrier_wait -1
	s_clause 0x5
	scratch_load_b128 v[94:97], off, off offset:248
	scratch_load_b128 v[98:101], off, off offset:264
	;; [unrolled: 1-line block ×6, first 2 shown]
	v_mov_b32_e32 v2, 0
	ds_load_b128 v[118:121], v2 offset:624
	ds_load_b128 v[122:125], v2 offset:640
	s_mov_b32 s0, exec_lo
	s_wait_loadcnt_dscnt 0x501
	v_fma_f64 v[126:127], v[96:97], v[118:119], 0
	s_wait_loadcnt 0x4
	s_delay_alu instid0(VALU_DEP_1) | instskip(SKIP_4) | instid1(VALU_DEP_1)
	v_fmac_f64_e32 v[126:127], v[98:99], v[120:121]
	scratch_load_b128 v[96:99], off, off offset:344
	s_wait_dscnt 0x0
	v_fmac_f64_e32 v[126:127], v[100:101], v[122:123]
	s_wait_loadcnt 0x4
	v_fmac_f64_e32 v[126:127], v[102:103], v[124:125]
	ds_load_b128 v[100:103], v2 offset:656
	ds_load_b128 v[118:121], v2 offset:672
	s_wait_dscnt 0x1
	v_fmac_f64_e32 v[126:127], v[104:105], v[100:101]
	s_wait_loadcnt 0x3
	s_delay_alu instid0(VALU_DEP_1)
	v_fmac_f64_e32 v[126:127], v[106:107], v[102:103]
	ds_load_b128 v[100:103], v2 offset:688
	ds_load_b128 v[104:107], v2 offset:704
	s_wait_dscnt 0x2
	v_fmac_f64_e32 v[126:127], v[108:109], v[118:119]
	s_wait_loadcnt 0x2
	s_delay_alu instid0(VALU_DEP_1) | instskip(SKIP_1) | instid1(VALU_DEP_1)
	v_fmac_f64_e32 v[126:127], v[110:111], v[120:121]
	s_wait_dscnt 0x1
	v_fmac_f64_e32 v[126:127], v[112:113], v[100:101]
	s_wait_loadcnt 0x1
	s_delay_alu instid0(VALU_DEP_1) | instskip(SKIP_1) | instid1(VALU_DEP_1)
	v_fmac_f64_e32 v[126:127], v[114:115], v[102:103]
	s_wait_dscnt 0x0
	v_fmac_f64_e32 v[126:127], v[116:117], v[104:105]
	s_wait_loadcnt 0x0
	s_delay_alu instid0(VALU_DEP_1) | instskip(SKIP_3) | instid1(VALU_DEP_1)
	v_fmac_f64_e32 v[126:127], v[96:97], v[106:107]
	ds_load_b64 v[96:97], v2 offset:720
	s_wait_dscnt 0x0
	v_fmac_f64_e32 v[126:127], v[98:99], v[96:97]
	v_add_f64_e64 v[94:95], v[94:95], -v[126:127]
	scratch_store_b64 off, v[94:95], off offset:248
	s_wait_xcnt 0x0
	v_cmpx_lt_u32_e32 30, v0
	s_cbranch_execz .LBB108_219
; %bb.218:
	scratch_load_b64 v[94:95], off, off offset:240
	v_mov_b64_e32 v[96:97], 0
	scratch_store_b64 off, v[96:97], off offset:240
	s_wait_loadcnt 0x0
	ds_store_b64 v1, v[94:95]
.LBB108_219:
	s_wait_xcnt 0x0
	s_or_b32 exec_lo, exec_lo, s0
	s_wait_storecnt_dscnt 0x0
	s_barrier_signal -1
	s_barrier_wait -1
	s_clause 0x5
	scratch_load_b128 v[94:97], off, off offset:240
	scratch_load_b128 v[98:101], off, off offset:256
	;; [unrolled: 1-line block ×6, first 2 shown]
	ds_load_2addr_b64 v[118:121], v2 offset0:77 offset1:78
	ds_load_2addr_b64 v[122:125], v2 offset0:79 offset1:80
	s_mov_b32 s0, exec_lo
	s_wait_loadcnt_dscnt 0x501
	v_fma_f64 v[126:127], v[96:97], v[118:119], 0
	s_wait_loadcnt 0x4
	s_delay_alu instid0(VALU_DEP_1)
	v_fmac_f64_e32 v[126:127], v[98:99], v[120:121]
	scratch_load_b128 v[96:99], off, off offset:336
	s_wait_dscnt 0x0
	v_fmac_f64_e32 v[126:127], v[100:101], v[122:123]
	scratch_load_b64 v[122:123], off, off offset:352
	s_wait_loadcnt 0x5
	v_fmac_f64_e32 v[126:127], v[102:103], v[124:125]
	ds_load_2addr_b64 v[100:103], v2 offset0:81 offset1:82
	ds_load_2addr_b64 v[118:121], v2 offset0:83 offset1:84
	s_wait_dscnt 0x1
	v_fmac_f64_e32 v[126:127], v[104:105], v[100:101]
	s_wait_loadcnt 0x4
	s_delay_alu instid0(VALU_DEP_1)
	v_fmac_f64_e32 v[126:127], v[106:107], v[102:103]
	ds_load_2addr_b64 v[100:103], v2 offset0:85 offset1:86
	ds_load_2addr_b64 v[104:107], v2 offset0:87 offset1:88
	s_wait_dscnt 0x2
	v_fmac_f64_e32 v[126:127], v[108:109], v[118:119]
	s_wait_loadcnt 0x3
	s_delay_alu instid0(VALU_DEP_1) | instskip(SKIP_1) | instid1(VALU_DEP_1)
	v_fmac_f64_e32 v[126:127], v[110:111], v[120:121]
	s_wait_dscnt 0x1
	v_fmac_f64_e32 v[126:127], v[112:113], v[100:101]
	s_wait_loadcnt 0x2
	s_delay_alu instid0(VALU_DEP_1) | instskip(SKIP_4) | instid1(VALU_DEP_1)
	v_fmac_f64_e32 v[126:127], v[114:115], v[102:103]
	ds_load_2addr_b64 v[100:103], v2 offset0:89 offset1:90
	s_wait_dscnt 0x1
	v_fmac_f64_e32 v[126:127], v[116:117], v[104:105]
	s_wait_loadcnt 0x1
	v_fmac_f64_e32 v[126:127], v[96:97], v[106:107]
	s_wait_dscnt 0x0
	s_delay_alu instid0(VALU_DEP_1) | instskip(SKIP_1) | instid1(VALU_DEP_1)
	v_fmac_f64_e32 v[126:127], v[98:99], v[100:101]
	s_wait_loadcnt 0x0
	v_fmac_f64_e32 v[126:127], v[122:123], v[102:103]
	s_delay_alu instid0(VALU_DEP_1)
	v_add_f64_e64 v[2:3], v[94:95], -v[126:127]
	scratch_store_b64 off, v[2:3], off offset:240
	s_wait_xcnt 0x0
	v_cmpx_lt_u32_e32 29, v0
	s_cbranch_execz .LBB108_221
; %bb.220:
	scratch_load_b64 v[2:3], off, off offset:232
	v_mov_b64_e32 v[94:95], 0
	scratch_store_b64 off, v[94:95], off offset:232
	s_wait_loadcnt 0x0
	ds_store_b64 v1, v[2:3]
.LBB108_221:
	s_wait_xcnt 0x0
	s_or_b32 exec_lo, exec_lo, s0
	s_wait_storecnt_dscnt 0x0
	s_barrier_signal -1
	s_barrier_wait -1
	s_clause 0x5
	scratch_load_b128 v[94:97], off, off offset:232
	scratch_load_b128 v[98:101], off, off offset:248
	;; [unrolled: 1-line block ×6, first 2 shown]
	v_mov_b32_e32 v2, 0
	ds_load_b128 v[118:121], v2 offset:608
	ds_load_b128 v[122:125], v2 offset:624
	s_mov_b32 s0, exec_lo
	s_wait_loadcnt_dscnt 0x501
	v_fma_f64 v[126:127], v[96:97], v[118:119], 0
	s_wait_loadcnt 0x4
	s_delay_alu instid0(VALU_DEP_1) | instskip(SKIP_4) | instid1(VALU_DEP_1)
	v_fmac_f64_e32 v[126:127], v[98:99], v[120:121]
	scratch_load_b128 v[96:99], off, off offset:328
	s_wait_dscnt 0x0
	v_fmac_f64_e32 v[126:127], v[100:101], v[122:123]
	s_wait_loadcnt 0x4
	v_fmac_f64_e32 v[126:127], v[102:103], v[124:125]
	scratch_load_b128 v[100:103], off, off offset:344
	ds_load_b128 v[118:121], v2 offset:640
	ds_load_b128 v[122:125], v2 offset:656
	s_wait_dscnt 0x1
	v_fmac_f64_e32 v[126:127], v[104:105], v[118:119]
	s_wait_loadcnt 0x4
	s_delay_alu instid0(VALU_DEP_1) | instskip(SKIP_1) | instid1(VALU_DEP_1)
	v_fmac_f64_e32 v[126:127], v[106:107], v[120:121]
	s_wait_dscnt 0x0
	v_fmac_f64_e32 v[126:127], v[108:109], v[122:123]
	s_wait_loadcnt 0x3
	s_delay_alu instid0(VALU_DEP_1)
	v_fmac_f64_e32 v[126:127], v[110:111], v[124:125]
	ds_load_b128 v[104:107], v2 offset:672
	ds_load_b128 v[108:111], v2 offset:688
	s_wait_dscnt 0x1
	v_fmac_f64_e32 v[126:127], v[112:113], v[104:105]
	s_wait_loadcnt 0x2
	s_delay_alu instid0(VALU_DEP_1) | instskip(SKIP_1) | instid1(VALU_DEP_1)
	v_fmac_f64_e32 v[126:127], v[114:115], v[106:107]
	s_wait_dscnt 0x0
	v_fmac_f64_e32 v[126:127], v[116:117], v[108:109]
	s_wait_loadcnt 0x1
	s_delay_alu instid0(VALU_DEP_1)
	v_fmac_f64_e32 v[126:127], v[96:97], v[110:111]
	ds_load_b128 v[104:107], v2 offset:704
	ds_load_b64 v[96:97], v2 offset:720
	s_wait_dscnt 0x1
	v_fmac_f64_e32 v[126:127], v[98:99], v[104:105]
	s_wait_loadcnt 0x0
	s_delay_alu instid0(VALU_DEP_1) | instskip(SKIP_1) | instid1(VALU_DEP_1)
	v_fmac_f64_e32 v[126:127], v[100:101], v[106:107]
	s_wait_dscnt 0x0
	v_fmac_f64_e32 v[126:127], v[102:103], v[96:97]
	s_delay_alu instid0(VALU_DEP_1)
	v_add_f64_e64 v[94:95], v[94:95], -v[126:127]
	scratch_store_b64 off, v[94:95], off offset:232
	s_wait_xcnt 0x0
	v_cmpx_lt_u32_e32 28, v0
	s_cbranch_execz .LBB108_223
; %bb.222:
	scratch_load_b64 v[94:95], off, off offset:224
	v_mov_b64_e32 v[96:97], 0
	scratch_store_b64 off, v[96:97], off offset:224
	s_wait_loadcnt 0x0
	ds_store_b64 v1, v[94:95]
.LBB108_223:
	s_wait_xcnt 0x0
	s_or_b32 exec_lo, exec_lo, s0
	s_wait_storecnt_dscnt 0x0
	s_barrier_signal -1
	s_barrier_wait -1
	s_clause 0x5
	scratch_load_b128 v[94:97], off, off offset:224
	scratch_load_b128 v[98:101], off, off offset:240
	scratch_load_b128 v[102:105], off, off offset:256
	scratch_load_b128 v[106:109], off, off offset:272
	scratch_load_b128 v[110:113], off, off offset:288
	scratch_load_b128 v[114:117], off, off offset:304
	ds_load_2addr_b64 v[118:121], v2 offset0:75 offset1:76
	ds_load_2addr_b64 v[122:125], v2 offset0:77 offset1:78
	s_mov_b32 s0, exec_lo
	s_wait_loadcnt_dscnt 0x501
	v_fma_f64 v[126:127], v[96:97], v[118:119], 0
	s_wait_loadcnt 0x4
	s_delay_alu instid0(VALU_DEP_1) | instskip(SKIP_4) | instid1(VALU_DEP_1)
	v_fmac_f64_e32 v[126:127], v[98:99], v[120:121]
	scratch_load_b128 v[96:99], off, off offset:320
	s_wait_dscnt 0x0
	v_fmac_f64_e32 v[126:127], v[100:101], v[122:123]
	s_wait_loadcnt 0x4
	v_fmac_f64_e32 v[126:127], v[102:103], v[124:125]
	scratch_load_b128 v[100:103], off, off offset:336
	ds_load_2addr_b64 v[118:121], v2 offset0:79 offset1:80
	ds_load_2addr_b64 v[122:125], v2 offset0:81 offset1:82
	s_wait_dscnt 0x1
	v_fmac_f64_e32 v[126:127], v[104:105], v[118:119]
	scratch_load_b64 v[118:119], off, off offset:352
	s_wait_loadcnt 0x5
	v_fmac_f64_e32 v[126:127], v[106:107], v[120:121]
	s_wait_dscnt 0x0
	s_delay_alu instid0(VALU_DEP_1) | instskip(SKIP_1) | instid1(VALU_DEP_1)
	v_fmac_f64_e32 v[126:127], v[108:109], v[122:123]
	s_wait_loadcnt 0x4
	v_fmac_f64_e32 v[126:127], v[110:111], v[124:125]
	ds_load_2addr_b64 v[104:107], v2 offset0:83 offset1:84
	ds_load_2addr_b64 v[108:111], v2 offset0:85 offset1:86
	s_wait_dscnt 0x1
	v_fmac_f64_e32 v[126:127], v[112:113], v[104:105]
	s_wait_loadcnt 0x3
	s_delay_alu instid0(VALU_DEP_1) | instskip(SKIP_1) | instid1(VALU_DEP_1)
	v_fmac_f64_e32 v[126:127], v[114:115], v[106:107]
	s_wait_dscnt 0x0
	v_fmac_f64_e32 v[126:127], v[116:117], v[108:109]
	s_wait_loadcnt 0x2
	s_delay_alu instid0(VALU_DEP_1)
	v_fmac_f64_e32 v[126:127], v[96:97], v[110:111]
	ds_load_2addr_b64 v[104:107], v2 offset0:87 offset1:88
	ds_load_2addr_b64 v[108:111], v2 offset0:89 offset1:90
	s_wait_dscnt 0x1
	v_fmac_f64_e32 v[126:127], v[98:99], v[104:105]
	s_wait_loadcnt 0x1
	s_delay_alu instid0(VALU_DEP_1) | instskip(SKIP_1) | instid1(VALU_DEP_1)
	v_fmac_f64_e32 v[126:127], v[100:101], v[106:107]
	s_wait_dscnt 0x0
	v_fmac_f64_e32 v[126:127], v[102:103], v[108:109]
	s_wait_loadcnt 0x0
	s_delay_alu instid0(VALU_DEP_1) | instskip(NEXT) | instid1(VALU_DEP_1)
	v_fmac_f64_e32 v[126:127], v[118:119], v[110:111]
	v_add_f64_e64 v[2:3], v[94:95], -v[126:127]
	scratch_store_b64 off, v[2:3], off offset:224
	s_wait_xcnt 0x0
	v_cmpx_lt_u32_e32 27, v0
	s_cbranch_execz .LBB108_225
; %bb.224:
	scratch_load_b64 v[2:3], off, off offset:216
	v_mov_b64_e32 v[94:95], 0
	scratch_store_b64 off, v[94:95], off offset:216
	s_wait_loadcnt 0x0
	ds_store_b64 v1, v[2:3]
.LBB108_225:
	s_wait_xcnt 0x0
	s_or_b32 exec_lo, exec_lo, s0
	s_wait_storecnt_dscnt 0x0
	s_barrier_signal -1
	s_barrier_wait -1
	s_clause 0x5
	scratch_load_b128 v[94:97], off, off offset:216
	scratch_load_b128 v[98:101], off, off offset:232
	;; [unrolled: 1-line block ×6, first 2 shown]
	v_mov_b32_e32 v2, 0
	ds_load_b128 v[118:121], v2 offset:592
	ds_load_b128 v[122:125], v2 offset:608
	s_mov_b32 s0, exec_lo
	s_wait_loadcnt_dscnt 0x501
	v_fma_f64 v[126:127], v[96:97], v[118:119], 0
	s_wait_loadcnt 0x4
	s_delay_alu instid0(VALU_DEP_1) | instskip(SKIP_4) | instid1(VALU_DEP_1)
	v_fmac_f64_e32 v[126:127], v[98:99], v[120:121]
	scratch_load_b128 v[96:99], off, off offset:312
	s_wait_dscnt 0x0
	v_fmac_f64_e32 v[126:127], v[100:101], v[122:123]
	s_wait_loadcnt 0x4
	v_fmac_f64_e32 v[126:127], v[102:103], v[124:125]
	scratch_load_b128 v[100:103], off, off offset:328
	ds_load_b128 v[118:121], v2 offset:624
	ds_load_b128 v[122:125], v2 offset:640
	s_wait_dscnt 0x1
	v_fmac_f64_e32 v[126:127], v[104:105], v[118:119]
	s_wait_loadcnt 0x4
	s_delay_alu instid0(VALU_DEP_1) | instskip(SKIP_4) | instid1(VALU_DEP_1)
	v_fmac_f64_e32 v[126:127], v[106:107], v[120:121]
	scratch_load_b128 v[104:107], off, off offset:344
	s_wait_dscnt 0x0
	v_fmac_f64_e32 v[126:127], v[108:109], v[122:123]
	s_wait_loadcnt 0x4
	v_fmac_f64_e32 v[126:127], v[110:111], v[124:125]
	ds_load_b128 v[108:111], v2 offset:656
	ds_load_b128 v[118:121], v2 offset:672
	s_wait_dscnt 0x1
	v_fmac_f64_e32 v[126:127], v[112:113], v[108:109]
	s_wait_loadcnt 0x3
	s_delay_alu instid0(VALU_DEP_1)
	v_fmac_f64_e32 v[126:127], v[114:115], v[110:111]
	ds_load_b128 v[108:111], v2 offset:688
	ds_load_b128 v[112:115], v2 offset:704
	s_wait_dscnt 0x2
	v_fmac_f64_e32 v[126:127], v[116:117], v[118:119]
	s_wait_loadcnt 0x2
	s_delay_alu instid0(VALU_DEP_1) | instskip(SKIP_4) | instid1(VALU_DEP_1)
	v_fmac_f64_e32 v[126:127], v[96:97], v[120:121]
	ds_load_b64 v[96:97], v2 offset:720
	s_wait_dscnt 0x2
	v_fmac_f64_e32 v[126:127], v[98:99], v[108:109]
	s_wait_loadcnt 0x1
	v_fmac_f64_e32 v[126:127], v[100:101], v[110:111]
	s_wait_dscnt 0x1
	s_delay_alu instid0(VALU_DEP_1) | instskip(SKIP_1) | instid1(VALU_DEP_1)
	v_fmac_f64_e32 v[126:127], v[102:103], v[112:113]
	s_wait_loadcnt 0x0
	v_fmac_f64_e32 v[126:127], v[104:105], v[114:115]
	s_wait_dscnt 0x0
	s_delay_alu instid0(VALU_DEP_1) | instskip(NEXT) | instid1(VALU_DEP_1)
	v_fmac_f64_e32 v[126:127], v[106:107], v[96:97]
	v_add_f64_e64 v[94:95], v[94:95], -v[126:127]
	scratch_store_b64 off, v[94:95], off offset:216
	s_wait_xcnt 0x0
	v_cmpx_lt_u32_e32 26, v0
	s_cbranch_execz .LBB108_227
; %bb.226:
	scratch_load_b64 v[94:95], off, off offset:208
	v_mov_b64_e32 v[96:97], 0
	scratch_store_b64 off, v[96:97], off offset:208
	s_wait_loadcnt 0x0
	ds_store_b64 v1, v[94:95]
.LBB108_227:
	s_wait_xcnt 0x0
	s_or_b32 exec_lo, exec_lo, s0
	s_wait_storecnt_dscnt 0x0
	s_barrier_signal -1
	s_barrier_wait -1
	s_clause 0x5
	scratch_load_b128 v[94:97], off, off offset:208
	scratch_load_b128 v[98:101], off, off offset:224
	;; [unrolled: 1-line block ×6, first 2 shown]
	ds_load_2addr_b64 v[118:121], v2 offset0:73 offset1:74
	ds_load_2addr_b64 v[122:125], v2 offset0:75 offset1:76
	s_mov_b32 s0, exec_lo
	s_wait_loadcnt_dscnt 0x501
	v_fma_f64 v[126:127], v[96:97], v[118:119], 0
	s_wait_loadcnt 0x4
	s_delay_alu instid0(VALU_DEP_1) | instskip(SKIP_4) | instid1(VALU_DEP_1)
	v_fmac_f64_e32 v[126:127], v[98:99], v[120:121]
	scratch_load_b128 v[96:99], off, off offset:304
	s_wait_dscnt 0x0
	v_fmac_f64_e32 v[126:127], v[100:101], v[122:123]
	s_wait_loadcnt 0x4
	v_fmac_f64_e32 v[126:127], v[102:103], v[124:125]
	scratch_load_b128 v[100:103], off, off offset:320
	ds_load_2addr_b64 v[118:121], v2 offset0:77 offset1:78
	ds_load_2addr_b64 v[122:125], v2 offset0:79 offset1:80
	s_wait_dscnt 0x1
	v_fmac_f64_e32 v[126:127], v[104:105], v[118:119]
	s_wait_loadcnt 0x4
	s_delay_alu instid0(VALU_DEP_1)
	v_fmac_f64_e32 v[126:127], v[106:107], v[120:121]
	scratch_load_b128 v[104:107], off, off offset:336
	s_wait_dscnt 0x0
	v_fmac_f64_e32 v[126:127], v[108:109], v[122:123]
	scratch_load_b64 v[122:123], off, off offset:352
	s_wait_loadcnt 0x5
	v_fmac_f64_e32 v[126:127], v[110:111], v[124:125]
	ds_load_2addr_b64 v[108:111], v2 offset0:81 offset1:82
	ds_load_2addr_b64 v[118:121], v2 offset0:83 offset1:84
	s_wait_dscnt 0x1
	v_fmac_f64_e32 v[126:127], v[112:113], v[108:109]
	s_wait_loadcnt 0x4
	s_delay_alu instid0(VALU_DEP_1)
	v_fmac_f64_e32 v[126:127], v[114:115], v[110:111]
	ds_load_2addr_b64 v[108:111], v2 offset0:85 offset1:86
	ds_load_2addr_b64 v[112:115], v2 offset0:87 offset1:88
	s_wait_dscnt 0x2
	v_fmac_f64_e32 v[126:127], v[116:117], v[118:119]
	s_wait_loadcnt 0x3
	s_delay_alu instid0(VALU_DEP_1) | instskip(SKIP_1) | instid1(VALU_DEP_1)
	v_fmac_f64_e32 v[126:127], v[96:97], v[120:121]
	s_wait_dscnt 0x1
	v_fmac_f64_e32 v[126:127], v[98:99], v[108:109]
	ds_load_2addr_b64 v[96:99], v2 offset0:89 offset1:90
	s_wait_loadcnt 0x2
	v_fmac_f64_e32 v[126:127], v[100:101], v[110:111]
	s_wait_dscnt 0x1
	s_delay_alu instid0(VALU_DEP_1) | instskip(SKIP_1) | instid1(VALU_DEP_1)
	v_fmac_f64_e32 v[126:127], v[102:103], v[112:113]
	s_wait_loadcnt 0x1
	v_fmac_f64_e32 v[126:127], v[104:105], v[114:115]
	s_wait_dscnt 0x0
	s_delay_alu instid0(VALU_DEP_1) | instskip(SKIP_1) | instid1(VALU_DEP_1)
	v_fmac_f64_e32 v[126:127], v[106:107], v[96:97]
	s_wait_loadcnt 0x0
	v_fmac_f64_e32 v[126:127], v[122:123], v[98:99]
	s_delay_alu instid0(VALU_DEP_1)
	v_add_f64_e64 v[2:3], v[94:95], -v[126:127]
	scratch_store_b64 off, v[2:3], off offset:208
	s_wait_xcnt 0x0
	v_cmpx_lt_u32_e32 25, v0
	s_cbranch_execz .LBB108_229
; %bb.228:
	scratch_load_b64 v[2:3], off, off offset:200
	v_mov_b64_e32 v[94:95], 0
	scratch_store_b64 off, v[94:95], off offset:200
	s_wait_loadcnt 0x0
	ds_store_b64 v1, v[2:3]
.LBB108_229:
	s_wait_xcnt 0x0
	s_or_b32 exec_lo, exec_lo, s0
	s_wait_storecnt_dscnt 0x0
	s_barrier_signal -1
	s_barrier_wait -1
	s_clause 0x5
	scratch_load_b128 v[94:97], off, off offset:200
	scratch_load_b128 v[98:101], off, off offset:216
	;; [unrolled: 1-line block ×6, first 2 shown]
	v_mov_b32_e32 v2, 0
	ds_load_b128 v[118:121], v2 offset:576
	ds_load_b128 v[122:125], v2 offset:592
	s_mov_b32 s0, exec_lo
	s_wait_loadcnt_dscnt 0x501
	v_fma_f64 v[126:127], v[96:97], v[118:119], 0
	s_wait_loadcnt 0x4
	s_delay_alu instid0(VALU_DEP_1) | instskip(SKIP_4) | instid1(VALU_DEP_1)
	v_fmac_f64_e32 v[126:127], v[98:99], v[120:121]
	scratch_load_b128 v[96:99], off, off offset:296
	s_wait_dscnt 0x0
	v_fmac_f64_e32 v[126:127], v[100:101], v[122:123]
	s_wait_loadcnt 0x4
	v_fmac_f64_e32 v[126:127], v[102:103], v[124:125]
	scratch_load_b128 v[100:103], off, off offset:312
	ds_load_b128 v[118:121], v2 offset:608
	ds_load_b128 v[122:125], v2 offset:624
	s_wait_dscnt 0x1
	v_fmac_f64_e32 v[126:127], v[104:105], v[118:119]
	s_wait_loadcnt 0x4
	s_delay_alu instid0(VALU_DEP_1) | instskip(SKIP_4) | instid1(VALU_DEP_1)
	v_fmac_f64_e32 v[126:127], v[106:107], v[120:121]
	scratch_load_b128 v[104:107], off, off offset:328
	s_wait_dscnt 0x0
	v_fmac_f64_e32 v[126:127], v[108:109], v[122:123]
	s_wait_loadcnt 0x4
	v_fmac_f64_e32 v[126:127], v[110:111], v[124:125]
	scratch_load_b128 v[108:111], off, off offset:344
	ds_load_b128 v[118:121], v2 offset:640
	ds_load_b128 v[122:125], v2 offset:656
	s_wait_dscnt 0x1
	v_fmac_f64_e32 v[126:127], v[112:113], v[118:119]
	s_wait_loadcnt 0x4
	s_delay_alu instid0(VALU_DEP_1) | instskip(SKIP_1) | instid1(VALU_DEP_1)
	v_fmac_f64_e32 v[126:127], v[114:115], v[120:121]
	s_wait_dscnt 0x0
	v_fmac_f64_e32 v[126:127], v[116:117], v[122:123]
	ds_load_b128 v[112:115], v2 offset:672
	ds_load_b128 v[116:119], v2 offset:688
	s_wait_loadcnt 0x3
	v_fmac_f64_e32 v[126:127], v[96:97], v[124:125]
	s_wait_dscnt 0x1
	s_delay_alu instid0(VALU_DEP_1) | instskip(SKIP_1) | instid1(VALU_DEP_1)
	v_fmac_f64_e32 v[126:127], v[98:99], v[112:113]
	s_wait_loadcnt 0x2
	v_fmac_f64_e32 v[126:127], v[100:101], v[114:115]
	ds_load_b128 v[96:99], v2 offset:704
	ds_load_b64 v[100:101], v2 offset:720
	s_wait_dscnt 0x2
	v_fmac_f64_e32 v[126:127], v[102:103], v[116:117]
	s_wait_loadcnt 0x1
	s_delay_alu instid0(VALU_DEP_1) | instskip(SKIP_1) | instid1(VALU_DEP_1)
	v_fmac_f64_e32 v[126:127], v[104:105], v[118:119]
	s_wait_dscnt 0x1
	v_fmac_f64_e32 v[126:127], v[106:107], v[96:97]
	s_wait_loadcnt 0x0
	s_delay_alu instid0(VALU_DEP_1) | instskip(SKIP_1) | instid1(VALU_DEP_1)
	v_fmac_f64_e32 v[126:127], v[108:109], v[98:99]
	s_wait_dscnt 0x0
	v_fmac_f64_e32 v[126:127], v[110:111], v[100:101]
	s_delay_alu instid0(VALU_DEP_1)
	v_add_f64_e64 v[94:95], v[94:95], -v[126:127]
	scratch_store_b64 off, v[94:95], off offset:200
	s_wait_xcnt 0x0
	v_cmpx_lt_u32_e32 24, v0
	s_cbranch_execz .LBB108_231
; %bb.230:
	scratch_load_b64 v[94:95], off, off offset:192
	v_mov_b64_e32 v[96:97], 0
	scratch_store_b64 off, v[96:97], off offset:192
	s_wait_loadcnt 0x0
	ds_store_b64 v1, v[94:95]
.LBB108_231:
	s_wait_xcnt 0x0
	s_or_b32 exec_lo, exec_lo, s0
	s_wait_storecnt_dscnt 0x0
	s_barrier_signal -1
	s_barrier_wait -1
	s_clause 0x5
	scratch_load_b128 v[94:97], off, off offset:192
	scratch_load_b128 v[98:101], off, off offset:208
	;; [unrolled: 1-line block ×6, first 2 shown]
	ds_load_2addr_b64 v[118:121], v2 offset0:71 offset1:72
	ds_load_2addr_b64 v[122:125], v2 offset0:73 offset1:74
	s_mov_b32 s0, exec_lo
	s_wait_loadcnt_dscnt 0x501
	v_fma_f64 v[126:127], v[96:97], v[118:119], 0
	s_wait_loadcnt 0x4
	s_delay_alu instid0(VALU_DEP_1) | instskip(SKIP_4) | instid1(VALU_DEP_1)
	v_fmac_f64_e32 v[126:127], v[98:99], v[120:121]
	scratch_load_b128 v[96:99], off, off offset:288
	s_wait_dscnt 0x0
	v_fmac_f64_e32 v[126:127], v[100:101], v[122:123]
	s_wait_loadcnt 0x4
	v_fmac_f64_e32 v[126:127], v[102:103], v[124:125]
	scratch_load_b128 v[100:103], off, off offset:304
	ds_load_2addr_b64 v[118:121], v2 offset0:75 offset1:76
	ds_load_2addr_b64 v[122:125], v2 offset0:77 offset1:78
	s_wait_dscnt 0x1
	v_fmac_f64_e32 v[126:127], v[104:105], v[118:119]
	s_wait_loadcnt 0x4
	s_delay_alu instid0(VALU_DEP_1) | instskip(SKIP_4) | instid1(VALU_DEP_1)
	v_fmac_f64_e32 v[126:127], v[106:107], v[120:121]
	scratch_load_b128 v[104:107], off, off offset:320
	s_wait_dscnt 0x0
	v_fmac_f64_e32 v[126:127], v[108:109], v[122:123]
	s_wait_loadcnt 0x4
	v_fmac_f64_e32 v[126:127], v[110:111], v[124:125]
	scratch_load_b128 v[108:111], off, off offset:336
	ds_load_2addr_b64 v[118:121], v2 offset0:79 offset1:80
	ds_load_2addr_b64 v[122:125], v2 offset0:81 offset1:82
	s_wait_dscnt 0x1
	v_fmac_f64_e32 v[126:127], v[112:113], v[118:119]
	s_wait_loadcnt 0x4
	s_delay_alu instid0(VALU_DEP_1)
	v_fmac_f64_e32 v[126:127], v[114:115], v[120:121]
	scratch_load_b64 v[120:121], off, off offset:352
	s_wait_dscnt 0x0
	v_fmac_f64_e32 v[126:127], v[116:117], v[122:123]
	ds_load_2addr_b64 v[112:115], v2 offset0:83 offset1:84
	ds_load_2addr_b64 v[116:119], v2 offset0:85 offset1:86
	s_wait_loadcnt 0x4
	v_fmac_f64_e32 v[126:127], v[96:97], v[124:125]
	s_wait_dscnt 0x1
	s_delay_alu instid0(VALU_DEP_1) | instskip(SKIP_1) | instid1(VALU_DEP_1)
	v_fmac_f64_e32 v[126:127], v[98:99], v[112:113]
	s_wait_loadcnt 0x3
	v_fmac_f64_e32 v[126:127], v[100:101], v[114:115]
	s_wait_dscnt 0x0
	s_delay_alu instid0(VALU_DEP_1)
	v_fmac_f64_e32 v[126:127], v[102:103], v[116:117]
	ds_load_2addr_b64 v[96:99], v2 offset0:87 offset1:88
	ds_load_2addr_b64 v[100:103], v2 offset0:89 offset1:90
	s_wait_loadcnt 0x2
	v_fmac_f64_e32 v[126:127], v[104:105], v[118:119]
	s_wait_dscnt 0x1
	s_delay_alu instid0(VALU_DEP_1) | instskip(SKIP_1) | instid1(VALU_DEP_1)
	v_fmac_f64_e32 v[126:127], v[106:107], v[96:97]
	s_wait_loadcnt 0x1
	v_fmac_f64_e32 v[126:127], v[108:109], v[98:99]
	s_wait_dscnt 0x0
	s_delay_alu instid0(VALU_DEP_1) | instskip(SKIP_1) | instid1(VALU_DEP_1)
	v_fmac_f64_e32 v[126:127], v[110:111], v[100:101]
	s_wait_loadcnt 0x0
	v_fmac_f64_e32 v[126:127], v[120:121], v[102:103]
	s_delay_alu instid0(VALU_DEP_1)
	v_add_f64_e64 v[2:3], v[94:95], -v[126:127]
	scratch_store_b64 off, v[2:3], off offset:192
	s_wait_xcnt 0x0
	v_cmpx_lt_u32_e32 23, v0
	s_cbranch_execz .LBB108_233
; %bb.232:
	scratch_load_b64 v[2:3], off, off offset:184
	v_mov_b64_e32 v[94:95], 0
	scratch_store_b64 off, v[94:95], off offset:184
	s_wait_loadcnt 0x0
	ds_store_b64 v1, v[2:3]
.LBB108_233:
	s_wait_xcnt 0x0
	s_or_b32 exec_lo, exec_lo, s0
	s_wait_storecnt_dscnt 0x0
	s_barrier_signal -1
	s_barrier_wait -1
	s_clause 0x5
	scratch_load_b128 v[94:97], off, off offset:184
	scratch_load_b128 v[98:101], off, off offset:200
	;; [unrolled: 1-line block ×6, first 2 shown]
	v_mov_b32_e32 v2, 0
	ds_load_b128 v[118:121], v2 offset:560
	ds_load_b128 v[122:125], v2 offset:576
	s_mov_b32 s0, exec_lo
	s_wait_loadcnt_dscnt 0x501
	v_fma_f64 v[126:127], v[96:97], v[118:119], 0
	s_wait_loadcnt 0x4
	s_delay_alu instid0(VALU_DEP_1) | instskip(SKIP_4) | instid1(VALU_DEP_1)
	v_fmac_f64_e32 v[126:127], v[98:99], v[120:121]
	scratch_load_b128 v[96:99], off, off offset:280
	s_wait_dscnt 0x0
	v_fmac_f64_e32 v[126:127], v[100:101], v[122:123]
	s_wait_loadcnt 0x4
	v_fmac_f64_e32 v[126:127], v[102:103], v[124:125]
	scratch_load_b128 v[100:103], off, off offset:296
	ds_load_b128 v[118:121], v2 offset:592
	ds_load_b128 v[122:125], v2 offset:608
	s_wait_dscnt 0x1
	v_fmac_f64_e32 v[126:127], v[104:105], v[118:119]
	s_wait_loadcnt 0x4
	s_delay_alu instid0(VALU_DEP_1) | instskip(SKIP_4) | instid1(VALU_DEP_1)
	v_fmac_f64_e32 v[126:127], v[106:107], v[120:121]
	scratch_load_b128 v[104:107], off, off offset:312
	s_wait_dscnt 0x0
	v_fmac_f64_e32 v[126:127], v[108:109], v[122:123]
	s_wait_loadcnt 0x4
	v_fmac_f64_e32 v[126:127], v[110:111], v[124:125]
	scratch_load_b128 v[108:111], off, off offset:328
	ds_load_b128 v[118:121], v2 offset:624
	ds_load_b128 v[122:125], v2 offset:640
	s_wait_dscnt 0x1
	v_fmac_f64_e32 v[126:127], v[112:113], v[118:119]
	s_wait_loadcnt 0x4
	s_delay_alu instid0(VALU_DEP_1)
	v_fmac_f64_e32 v[126:127], v[114:115], v[120:121]
	scratch_load_b128 v[112:115], off, off offset:344
	s_wait_dscnt 0x0
	v_fmac_f64_e32 v[126:127], v[116:117], v[122:123]
	ds_load_b128 v[116:119], v2 offset:656
	ds_load_b128 v[120:123], v2 offset:672
	s_wait_loadcnt 0x4
	v_fmac_f64_e32 v[126:127], v[96:97], v[124:125]
	s_wait_dscnt 0x1
	s_delay_alu instid0(VALU_DEP_1) | instskip(SKIP_1) | instid1(VALU_DEP_1)
	v_fmac_f64_e32 v[126:127], v[98:99], v[116:117]
	s_wait_loadcnt 0x3
	v_fmac_f64_e32 v[126:127], v[100:101], v[118:119]
	s_wait_dscnt 0x0
	s_delay_alu instid0(VALU_DEP_1)
	v_fmac_f64_e32 v[126:127], v[102:103], v[120:121]
	ds_load_b128 v[96:99], v2 offset:688
	ds_load_b128 v[100:103], v2 offset:704
	s_wait_loadcnt 0x2
	v_fmac_f64_e32 v[126:127], v[104:105], v[122:123]
	s_wait_dscnt 0x1
	s_delay_alu instid0(VALU_DEP_1) | instskip(SKIP_4) | instid1(VALU_DEP_1)
	v_fmac_f64_e32 v[126:127], v[106:107], v[96:97]
	ds_load_b64 v[96:97], v2 offset:720
	s_wait_loadcnt 0x1
	v_fmac_f64_e32 v[126:127], v[108:109], v[98:99]
	s_wait_dscnt 0x1
	v_fmac_f64_e32 v[126:127], v[110:111], v[100:101]
	s_wait_loadcnt 0x0
	s_delay_alu instid0(VALU_DEP_1) | instskip(SKIP_1) | instid1(VALU_DEP_1)
	v_fmac_f64_e32 v[126:127], v[112:113], v[102:103]
	s_wait_dscnt 0x0
	v_fmac_f64_e32 v[126:127], v[114:115], v[96:97]
	s_delay_alu instid0(VALU_DEP_1)
	v_add_f64_e64 v[94:95], v[94:95], -v[126:127]
	scratch_store_b64 off, v[94:95], off offset:184
	s_wait_xcnt 0x0
	v_cmpx_lt_u32_e32 22, v0
	s_cbranch_execz .LBB108_235
; %bb.234:
	scratch_load_b64 v[94:95], off, off offset:176
	v_mov_b64_e32 v[96:97], 0
	scratch_store_b64 off, v[96:97], off offset:176
	s_wait_loadcnt 0x0
	ds_store_b64 v1, v[94:95]
.LBB108_235:
	s_wait_xcnt 0x0
	s_or_b32 exec_lo, exec_lo, s0
	s_wait_storecnt_dscnt 0x0
	s_barrier_signal -1
	s_barrier_wait -1
	s_clause 0x5
	scratch_load_b128 v[94:97], off, off offset:176
	scratch_load_b128 v[98:101], off, off offset:192
	;; [unrolled: 1-line block ×6, first 2 shown]
	ds_load_2addr_b64 v[118:121], v2 offset0:69 offset1:70
	ds_load_2addr_b64 v[122:125], v2 offset0:71 offset1:72
	scratch_load_b128 v[126:129], off, off offset:272
	s_mov_b32 s0, exec_lo
	s_wait_loadcnt_dscnt 0x601
	v_fma_f64 v[130:131], v[96:97], v[118:119], 0
	s_wait_loadcnt 0x5
	s_delay_alu instid0(VALU_DEP_1) | instskip(SKIP_4) | instid1(VALU_DEP_1)
	v_fmac_f64_e32 v[130:131], v[98:99], v[120:121]
	scratch_load_b128 v[96:99], off, off offset:288
	s_wait_dscnt 0x0
	v_fmac_f64_e32 v[130:131], v[100:101], v[122:123]
	s_wait_loadcnt 0x5
	v_fmac_f64_e32 v[130:131], v[102:103], v[124:125]
	ds_load_2addr_b64 v[100:103], v2 offset0:73 offset1:74
	ds_load_2addr_b64 v[118:121], v2 offset0:75 offset1:76
	s_wait_dscnt 0x1
	v_fmac_f64_e32 v[130:131], v[104:105], v[100:101]
	s_wait_loadcnt 0x4
	s_delay_alu instid0(VALU_DEP_1)
	v_fmac_f64_e32 v[130:131], v[106:107], v[102:103]
	s_clause 0x1
	scratch_load_b128 v[100:103], off, off offset:304
	scratch_load_b128 v[104:107], off, off offset:320
	s_wait_dscnt 0x0
	v_fmac_f64_e32 v[130:131], v[108:109], v[118:119]
	s_wait_loadcnt 0x5
	s_delay_alu instid0(VALU_DEP_1)
	v_fmac_f64_e32 v[130:131], v[110:111], v[120:121]
	ds_load_2addr_b64 v[108:111], v2 offset0:77 offset1:78
	ds_load_2addr_b64 v[118:121], v2 offset0:79 offset1:80
	s_wait_dscnt 0x1
	v_fmac_f64_e32 v[130:131], v[112:113], v[108:109]
	s_wait_loadcnt 0x4
	s_delay_alu instid0(VALU_DEP_1) | instskip(SKIP_4) | instid1(VALU_DEP_1)
	v_fmac_f64_e32 v[130:131], v[114:115], v[110:111]
	scratch_load_b128 v[108:111], off, off offset:336
	s_wait_dscnt 0x0
	v_fmac_f64_e32 v[130:131], v[116:117], v[118:119]
	s_wait_loadcnt 0x4
	v_fmac_f64_e32 v[130:131], v[126:127], v[120:121]
	scratch_load_b64 v[120:121], off, off offset:352
	ds_load_2addr_b64 v[112:115], v2 offset0:81 offset1:82
	ds_load_2addr_b64 v[116:119], v2 offset0:83 offset1:84
	s_wait_dscnt 0x1
	v_fmac_f64_e32 v[130:131], v[128:129], v[112:113]
	s_wait_loadcnt 0x4
	s_delay_alu instid0(VALU_DEP_1) | instskip(SKIP_1) | instid1(VALU_DEP_1)
	v_fmac_f64_e32 v[130:131], v[96:97], v[114:115]
	s_wait_dscnt 0x0
	v_fmac_f64_e32 v[130:131], v[98:99], v[116:117]
	ds_load_2addr_b64 v[96:99], v2 offset0:85 offset1:86
	ds_load_2addr_b64 v[112:115], v2 offset0:87 offset1:88
	s_wait_loadcnt 0x3
	v_fmac_f64_e32 v[130:131], v[100:101], v[118:119]
	s_wait_dscnt 0x1
	s_delay_alu instid0(VALU_DEP_1) | instskip(SKIP_1) | instid1(VALU_DEP_1)
	v_fmac_f64_e32 v[130:131], v[102:103], v[96:97]
	s_wait_loadcnt 0x2
	v_fmac_f64_e32 v[130:131], v[104:105], v[98:99]
	ds_load_2addr_b64 v[96:99], v2 offset0:89 offset1:90
	s_wait_dscnt 0x1
	v_fmac_f64_e32 v[130:131], v[106:107], v[112:113]
	s_wait_loadcnt 0x1
	s_delay_alu instid0(VALU_DEP_1) | instskip(SKIP_1) | instid1(VALU_DEP_1)
	v_fmac_f64_e32 v[130:131], v[108:109], v[114:115]
	s_wait_dscnt 0x0
	v_fmac_f64_e32 v[130:131], v[110:111], v[96:97]
	s_wait_loadcnt 0x0
	s_delay_alu instid0(VALU_DEP_1) | instskip(NEXT) | instid1(VALU_DEP_1)
	v_fmac_f64_e32 v[130:131], v[120:121], v[98:99]
	v_add_f64_e64 v[2:3], v[94:95], -v[130:131]
	scratch_store_b64 off, v[2:3], off offset:176
	s_wait_xcnt 0x0
	v_cmpx_lt_u32_e32 21, v0
	s_cbranch_execz .LBB108_237
; %bb.236:
	scratch_load_b64 v[2:3], off, off offset:168
	v_mov_b64_e32 v[94:95], 0
	scratch_store_b64 off, v[94:95], off offset:168
	s_wait_loadcnt 0x0
	ds_store_b64 v1, v[2:3]
.LBB108_237:
	s_wait_xcnt 0x0
	s_or_b32 exec_lo, exec_lo, s0
	s_wait_storecnt_dscnt 0x0
	s_barrier_signal -1
	s_barrier_wait -1
	s_clause 0x5
	scratch_load_b128 v[94:97], off, off offset:168
	scratch_load_b128 v[98:101], off, off offset:184
	;; [unrolled: 1-line block ×6, first 2 shown]
	v_mov_b32_e32 v2, 0
	ds_load_b128 v[118:121], v2 offset:544
	ds_load_b128 v[122:125], v2 offset:560
	scratch_load_b128 v[126:129], off, off offset:264
	s_mov_b32 s0, exec_lo
	s_wait_loadcnt_dscnt 0x601
	v_fma_f64 v[130:131], v[96:97], v[118:119], 0
	s_wait_loadcnt 0x5
	s_delay_alu instid0(VALU_DEP_1) | instskip(SKIP_4) | instid1(VALU_DEP_1)
	v_fmac_f64_e32 v[130:131], v[98:99], v[120:121]
	scratch_load_b128 v[96:99], off, off offset:280
	s_wait_dscnt 0x0
	v_fmac_f64_e32 v[130:131], v[100:101], v[122:123]
	s_wait_loadcnt 0x5
	v_fmac_f64_e32 v[130:131], v[102:103], v[124:125]
	ds_load_b128 v[100:103], v2 offset:576
	ds_load_b128 v[118:121], v2 offset:592
	s_wait_dscnt 0x1
	v_fmac_f64_e32 v[130:131], v[104:105], v[100:101]
	s_wait_loadcnt 0x4
	s_delay_alu instid0(VALU_DEP_1)
	v_fmac_f64_e32 v[130:131], v[106:107], v[102:103]
	s_clause 0x1
	scratch_load_b128 v[100:103], off, off offset:296
	scratch_load_b128 v[104:107], off, off offset:312
	s_wait_dscnt 0x0
	v_fmac_f64_e32 v[130:131], v[108:109], v[118:119]
	s_wait_loadcnt 0x5
	s_delay_alu instid0(VALU_DEP_1)
	v_fmac_f64_e32 v[130:131], v[110:111], v[120:121]
	ds_load_b128 v[108:111], v2 offset:608
	ds_load_b128 v[118:121], v2 offset:624
	s_wait_dscnt 0x1
	v_fmac_f64_e32 v[130:131], v[112:113], v[108:109]
	s_wait_loadcnt 0x4
	s_delay_alu instid0(VALU_DEP_1)
	v_fmac_f64_e32 v[130:131], v[114:115], v[110:111]
	s_clause 0x1
	scratch_load_b128 v[108:111], off, off offset:328
	scratch_load_b128 v[112:115], off, off offset:344
	s_wait_dscnt 0x0
	v_fmac_f64_e32 v[130:131], v[116:117], v[118:119]
	s_wait_loadcnt 0x5
	s_delay_alu instid0(VALU_DEP_1)
	v_fmac_f64_e32 v[130:131], v[126:127], v[120:121]
	ds_load_b128 v[116:119], v2 offset:640
	ds_load_b128 v[120:123], v2 offset:656
	s_wait_dscnt 0x1
	v_fmac_f64_e32 v[130:131], v[128:129], v[116:117]
	s_wait_loadcnt 0x4
	s_delay_alu instid0(VALU_DEP_1) | instskip(SKIP_1) | instid1(VALU_DEP_1)
	v_fmac_f64_e32 v[130:131], v[96:97], v[118:119]
	s_wait_dscnt 0x0
	v_fmac_f64_e32 v[130:131], v[98:99], v[120:121]
	ds_load_b128 v[96:99], v2 offset:672
	ds_load_b128 v[116:119], v2 offset:688
	s_wait_loadcnt 0x3
	v_fmac_f64_e32 v[130:131], v[100:101], v[122:123]
	s_wait_dscnt 0x1
	s_delay_alu instid0(VALU_DEP_1) | instskip(SKIP_1) | instid1(VALU_DEP_1)
	v_fmac_f64_e32 v[130:131], v[102:103], v[96:97]
	s_wait_loadcnt 0x2
	v_fmac_f64_e32 v[130:131], v[104:105], v[98:99]
	ds_load_b128 v[96:99], v2 offset:704
	ds_load_b64 v[100:101], v2 offset:720
	s_wait_dscnt 0x2
	v_fmac_f64_e32 v[130:131], v[106:107], v[116:117]
	s_wait_loadcnt 0x1
	s_delay_alu instid0(VALU_DEP_1) | instskip(SKIP_1) | instid1(VALU_DEP_1)
	v_fmac_f64_e32 v[130:131], v[108:109], v[118:119]
	s_wait_dscnt 0x1
	v_fmac_f64_e32 v[130:131], v[110:111], v[96:97]
	s_wait_loadcnt 0x0
	s_delay_alu instid0(VALU_DEP_1) | instskip(SKIP_1) | instid1(VALU_DEP_1)
	v_fmac_f64_e32 v[130:131], v[112:113], v[98:99]
	s_wait_dscnt 0x0
	v_fmac_f64_e32 v[130:131], v[114:115], v[100:101]
	s_delay_alu instid0(VALU_DEP_1)
	v_add_f64_e64 v[94:95], v[94:95], -v[130:131]
	scratch_store_b64 off, v[94:95], off offset:168
	s_wait_xcnt 0x0
	v_cmpx_lt_u32_e32 20, v0
	s_cbranch_execz .LBB108_239
; %bb.238:
	scratch_load_b64 v[94:95], off, off offset:160
	v_mov_b64_e32 v[96:97], 0
	scratch_store_b64 off, v[96:97], off offset:160
	s_wait_loadcnt 0x0
	ds_store_b64 v1, v[94:95]
.LBB108_239:
	s_wait_xcnt 0x0
	s_or_b32 exec_lo, exec_lo, s0
	s_wait_storecnt_dscnt 0x0
	s_barrier_signal -1
	s_barrier_wait -1
	s_clause 0x5
	scratch_load_b128 v[94:97], off, off offset:160
	scratch_load_b128 v[98:101], off, off offset:176
	;; [unrolled: 1-line block ×6, first 2 shown]
	ds_load_2addr_b64 v[118:121], v2 offset0:67 offset1:68
	ds_load_2addr_b64 v[122:125], v2 offset0:69 offset1:70
	scratch_load_b128 v[126:129], off, off offset:256
	s_mov_b32 s0, exec_lo
	s_wait_loadcnt_dscnt 0x601
	v_fma_f64 v[130:131], v[96:97], v[118:119], 0
	s_wait_loadcnt 0x5
	s_delay_alu instid0(VALU_DEP_1) | instskip(SKIP_4) | instid1(VALU_DEP_1)
	v_fmac_f64_e32 v[130:131], v[98:99], v[120:121]
	scratch_load_b128 v[96:99], off, off offset:272
	s_wait_dscnt 0x0
	v_fmac_f64_e32 v[130:131], v[100:101], v[122:123]
	s_wait_loadcnt 0x5
	v_fmac_f64_e32 v[130:131], v[102:103], v[124:125]
	ds_load_2addr_b64 v[100:103], v2 offset0:71 offset1:72
	ds_load_2addr_b64 v[118:121], v2 offset0:73 offset1:74
	s_wait_dscnt 0x1
	v_fmac_f64_e32 v[130:131], v[104:105], v[100:101]
	s_wait_loadcnt 0x4
	s_delay_alu instid0(VALU_DEP_1)
	v_fmac_f64_e32 v[130:131], v[106:107], v[102:103]
	s_clause 0x1
	scratch_load_b128 v[100:103], off, off offset:288
	scratch_load_b128 v[104:107], off, off offset:304
	s_wait_dscnt 0x0
	v_fmac_f64_e32 v[130:131], v[108:109], v[118:119]
	s_wait_loadcnt 0x5
	s_delay_alu instid0(VALU_DEP_1)
	v_fmac_f64_e32 v[130:131], v[110:111], v[120:121]
	ds_load_2addr_b64 v[108:111], v2 offset0:75 offset1:76
	ds_load_2addr_b64 v[118:121], v2 offset0:77 offset1:78
	s_wait_dscnt 0x1
	v_fmac_f64_e32 v[130:131], v[112:113], v[108:109]
	s_wait_loadcnt 0x4
	s_delay_alu instid0(VALU_DEP_1)
	v_fmac_f64_e32 v[130:131], v[114:115], v[110:111]
	s_clause 0x1
	scratch_load_b128 v[108:111], off, off offset:320
	scratch_load_b128 v[112:115], off, off offset:336
	s_wait_dscnt 0x0
	v_fmac_f64_e32 v[130:131], v[116:117], v[118:119]
	s_wait_loadcnt 0x5
	s_delay_alu instid0(VALU_DEP_1)
	v_fmac_f64_e32 v[130:131], v[126:127], v[120:121]
	ds_load_2addr_b64 v[116:119], v2 offset0:79 offset1:80
	ds_load_2addr_b64 v[120:123], v2 offset0:81 offset1:82
	scratch_load_b64 v[124:125], off, off offset:352
	s_wait_dscnt 0x1
	v_fmac_f64_e32 v[130:131], v[128:129], v[116:117]
	s_wait_loadcnt 0x5
	s_delay_alu instid0(VALU_DEP_1) | instskip(SKIP_1) | instid1(VALU_DEP_1)
	v_fmac_f64_e32 v[130:131], v[96:97], v[118:119]
	s_wait_dscnt 0x0
	v_fmac_f64_e32 v[130:131], v[98:99], v[120:121]
	ds_load_2addr_b64 v[96:99], v2 offset0:83 offset1:84
	ds_load_2addr_b64 v[116:119], v2 offset0:85 offset1:86
	s_wait_loadcnt 0x4
	v_fmac_f64_e32 v[130:131], v[100:101], v[122:123]
	s_wait_dscnt 0x1
	s_delay_alu instid0(VALU_DEP_1) | instskip(SKIP_1) | instid1(VALU_DEP_1)
	v_fmac_f64_e32 v[130:131], v[102:103], v[96:97]
	s_wait_loadcnt 0x3
	v_fmac_f64_e32 v[130:131], v[104:105], v[98:99]
	ds_load_2addr_b64 v[96:99], v2 offset0:87 offset1:88
	ds_load_2addr_b64 v[100:103], v2 offset0:89 offset1:90
	s_wait_dscnt 0x2
	v_fmac_f64_e32 v[130:131], v[106:107], v[116:117]
	s_wait_loadcnt 0x2
	s_delay_alu instid0(VALU_DEP_1) | instskip(SKIP_1) | instid1(VALU_DEP_1)
	v_fmac_f64_e32 v[130:131], v[108:109], v[118:119]
	s_wait_dscnt 0x1
	v_fmac_f64_e32 v[130:131], v[110:111], v[96:97]
	s_wait_loadcnt 0x1
	s_delay_alu instid0(VALU_DEP_1) | instskip(SKIP_1) | instid1(VALU_DEP_1)
	v_fmac_f64_e32 v[130:131], v[112:113], v[98:99]
	s_wait_dscnt 0x0
	v_fmac_f64_e32 v[130:131], v[114:115], v[100:101]
	s_wait_loadcnt 0x0
	s_delay_alu instid0(VALU_DEP_1) | instskip(NEXT) | instid1(VALU_DEP_1)
	v_fmac_f64_e32 v[130:131], v[124:125], v[102:103]
	v_add_f64_e64 v[2:3], v[94:95], -v[130:131]
	scratch_store_b64 off, v[2:3], off offset:160
	s_wait_xcnt 0x0
	v_cmpx_lt_u32_e32 19, v0
	s_cbranch_execz .LBB108_241
; %bb.240:
	scratch_load_b64 v[2:3], off, off offset:152
	v_mov_b64_e32 v[94:95], 0
	scratch_store_b64 off, v[94:95], off offset:152
	s_wait_loadcnt 0x0
	ds_store_b64 v1, v[2:3]
.LBB108_241:
	s_wait_xcnt 0x0
	s_or_b32 exec_lo, exec_lo, s0
	s_wait_storecnt_dscnt 0x0
	s_barrier_signal -1
	s_barrier_wait -1
	s_clause 0x5
	scratch_load_b128 v[94:97], off, off offset:152
	scratch_load_b128 v[98:101], off, off offset:168
	;; [unrolled: 1-line block ×6, first 2 shown]
	v_mov_b32_e32 v2, 0
	ds_load_b128 v[118:121], v2 offset:528
	ds_load_b128 v[122:125], v2 offset:544
	scratch_load_b128 v[126:129], off, off offset:248
	s_mov_b32 s0, exec_lo
	s_wait_loadcnt_dscnt 0x601
	v_fma_f64 v[130:131], v[96:97], v[118:119], 0
	s_wait_loadcnt 0x5
	s_delay_alu instid0(VALU_DEP_1) | instskip(SKIP_4) | instid1(VALU_DEP_1)
	v_fmac_f64_e32 v[130:131], v[98:99], v[120:121]
	scratch_load_b128 v[96:99], off, off offset:264
	s_wait_dscnt 0x0
	v_fmac_f64_e32 v[130:131], v[100:101], v[122:123]
	s_wait_loadcnt 0x5
	v_fmac_f64_e32 v[130:131], v[102:103], v[124:125]
	ds_load_b128 v[100:103], v2 offset:560
	ds_load_b128 v[118:121], v2 offset:576
	s_wait_dscnt 0x1
	v_fmac_f64_e32 v[130:131], v[104:105], v[100:101]
	s_wait_loadcnt 0x4
	s_delay_alu instid0(VALU_DEP_1)
	v_fmac_f64_e32 v[130:131], v[106:107], v[102:103]
	s_clause 0x1
	scratch_load_b128 v[100:103], off, off offset:280
	scratch_load_b128 v[104:107], off, off offset:296
	s_wait_dscnt 0x0
	v_fmac_f64_e32 v[130:131], v[108:109], v[118:119]
	s_wait_loadcnt 0x5
	s_delay_alu instid0(VALU_DEP_1)
	v_fmac_f64_e32 v[130:131], v[110:111], v[120:121]
	ds_load_b128 v[108:111], v2 offset:592
	ds_load_b128 v[118:121], v2 offset:608
	s_wait_dscnt 0x1
	v_fmac_f64_e32 v[130:131], v[112:113], v[108:109]
	s_wait_loadcnt 0x4
	s_delay_alu instid0(VALU_DEP_1)
	v_fmac_f64_e32 v[130:131], v[114:115], v[110:111]
	s_clause 0x1
	scratch_load_b128 v[108:111], off, off offset:312
	scratch_load_b128 v[112:115], off, off offset:328
	s_wait_dscnt 0x0
	v_fmac_f64_e32 v[130:131], v[116:117], v[118:119]
	s_wait_loadcnt 0x5
	s_delay_alu instid0(VALU_DEP_1)
	v_fmac_f64_e32 v[130:131], v[126:127], v[120:121]
	ds_load_b128 v[116:119], v2 offset:624
	ds_load_b128 v[120:123], v2 offset:640
	s_wait_dscnt 0x1
	v_fmac_f64_e32 v[130:131], v[128:129], v[116:117]
	s_wait_loadcnt 0x4
	s_delay_alu instid0(VALU_DEP_1) | instskip(SKIP_4) | instid1(VALU_DEP_1)
	v_fmac_f64_e32 v[130:131], v[96:97], v[118:119]
	scratch_load_b128 v[116:119], off, off offset:344
	s_wait_dscnt 0x0
	v_fmac_f64_e32 v[130:131], v[98:99], v[120:121]
	s_wait_loadcnt 0x4
	v_fmac_f64_e32 v[130:131], v[100:101], v[122:123]
	ds_load_b128 v[96:99], v2 offset:656
	ds_load_b128 v[120:123], v2 offset:672
	s_wait_dscnt 0x1
	v_fmac_f64_e32 v[130:131], v[102:103], v[96:97]
	s_wait_loadcnt 0x3
	s_delay_alu instid0(VALU_DEP_1)
	v_fmac_f64_e32 v[130:131], v[104:105], v[98:99]
	ds_load_b128 v[96:99], v2 offset:688
	ds_load_b128 v[100:103], v2 offset:704
	s_wait_dscnt 0x2
	v_fmac_f64_e32 v[130:131], v[106:107], v[120:121]
	s_wait_loadcnt 0x2
	s_delay_alu instid0(VALU_DEP_1) | instskip(SKIP_1) | instid1(VALU_DEP_1)
	v_fmac_f64_e32 v[130:131], v[108:109], v[122:123]
	s_wait_dscnt 0x1
	v_fmac_f64_e32 v[130:131], v[110:111], v[96:97]
	ds_load_b64 v[96:97], v2 offset:720
	s_wait_loadcnt 0x1
	v_fmac_f64_e32 v[130:131], v[112:113], v[98:99]
	s_wait_dscnt 0x1
	s_delay_alu instid0(VALU_DEP_1) | instskip(SKIP_1) | instid1(VALU_DEP_1)
	v_fmac_f64_e32 v[130:131], v[114:115], v[100:101]
	s_wait_loadcnt 0x0
	v_fmac_f64_e32 v[130:131], v[116:117], v[102:103]
	s_wait_dscnt 0x0
	s_delay_alu instid0(VALU_DEP_1) | instskip(NEXT) | instid1(VALU_DEP_1)
	v_fmac_f64_e32 v[130:131], v[118:119], v[96:97]
	v_add_f64_e64 v[94:95], v[94:95], -v[130:131]
	scratch_store_b64 off, v[94:95], off offset:152
	s_wait_xcnt 0x0
	v_cmpx_lt_u32_e32 18, v0
	s_cbranch_execz .LBB108_243
; %bb.242:
	scratch_load_b64 v[94:95], off, off offset:144
	v_mov_b64_e32 v[96:97], 0
	scratch_store_b64 off, v[96:97], off offset:144
	s_wait_loadcnt 0x0
	ds_store_b64 v1, v[94:95]
.LBB108_243:
	s_wait_xcnt 0x0
	s_or_b32 exec_lo, exec_lo, s0
	s_wait_storecnt_dscnt 0x0
	s_barrier_signal -1
	s_barrier_wait -1
	s_clause 0x5
	scratch_load_b128 v[94:97], off, off offset:144
	scratch_load_b128 v[98:101], off, off offset:160
	;; [unrolled: 1-line block ×6, first 2 shown]
	ds_load_2addr_b64 v[118:121], v2 offset0:65 offset1:66
	ds_load_2addr_b64 v[122:125], v2 offset0:67 offset1:68
	scratch_load_b128 v[126:129], off, off offset:240
	s_mov_b32 s0, exec_lo
	s_wait_loadcnt_dscnt 0x601
	v_fma_f64 v[130:131], v[96:97], v[118:119], 0
	s_wait_loadcnt 0x5
	s_delay_alu instid0(VALU_DEP_1) | instskip(SKIP_4) | instid1(VALU_DEP_1)
	v_fmac_f64_e32 v[130:131], v[98:99], v[120:121]
	scratch_load_b128 v[96:99], off, off offset:256
	s_wait_dscnt 0x0
	v_fmac_f64_e32 v[130:131], v[100:101], v[122:123]
	s_wait_loadcnt 0x5
	v_fmac_f64_e32 v[130:131], v[102:103], v[124:125]
	ds_load_2addr_b64 v[100:103], v2 offset0:69 offset1:70
	ds_load_2addr_b64 v[118:121], v2 offset0:71 offset1:72
	scratch_load_b128 v[122:125], off, off offset:272
	s_wait_dscnt 0x1
	v_fmac_f64_e32 v[130:131], v[104:105], v[100:101]
	s_wait_loadcnt 0x5
	s_delay_alu instid0(VALU_DEP_1) | instskip(SKIP_4) | instid1(VALU_DEP_1)
	v_fmac_f64_e32 v[130:131], v[106:107], v[102:103]
	scratch_load_b128 v[100:103], off, off offset:288
	s_wait_dscnt 0x0
	v_fmac_f64_e32 v[130:131], v[108:109], v[118:119]
	s_wait_loadcnt 0x5
	v_fmac_f64_e32 v[130:131], v[110:111], v[120:121]
	ds_load_2addr_b64 v[104:107], v2 offset0:73 offset1:74
	ds_load_2addr_b64 v[108:111], v2 offset0:75 offset1:76
	s_wait_dscnt 0x1
	v_fmac_f64_e32 v[130:131], v[112:113], v[104:105]
	s_wait_loadcnt 0x4
	s_delay_alu instid0(VALU_DEP_1) | instskip(SKIP_4) | instid1(VALU_DEP_1)
	v_fmac_f64_e32 v[130:131], v[114:115], v[106:107]
	scratch_load_b128 v[104:107], off, off offset:304
	s_wait_dscnt 0x0
	v_fmac_f64_e32 v[130:131], v[116:117], v[108:109]
	s_wait_loadcnt 0x4
	v_fmac_f64_e32 v[130:131], v[126:127], v[110:111]
	scratch_load_b128 v[108:111], off, off offset:320
	ds_load_2addr_b64 v[112:115], v2 offset0:77 offset1:78
	ds_load_2addr_b64 v[116:119], v2 offset0:79 offset1:80
	scratch_load_b64 v[120:121], off, off offset:352
	s_wait_dscnt 0x1
	v_fmac_f64_e32 v[130:131], v[128:129], v[112:113]
	s_wait_loadcnt 0x5
	s_delay_alu instid0(VALU_DEP_1) | instskip(SKIP_4) | instid1(VALU_DEP_1)
	v_fmac_f64_e32 v[130:131], v[96:97], v[114:115]
	scratch_load_b128 v[112:115], off, off offset:336
	s_wait_dscnt 0x0
	v_fmac_f64_e32 v[130:131], v[98:99], v[116:117]
	s_wait_loadcnt 0x5
	v_fmac_f64_e32 v[130:131], v[122:123], v[118:119]
	ds_load_2addr_b64 v[96:99], v2 offset0:81 offset1:82
	ds_load_2addr_b64 v[116:119], v2 offset0:83 offset1:84
	s_wait_dscnt 0x1
	v_fmac_f64_e32 v[130:131], v[124:125], v[96:97]
	s_wait_loadcnt 0x4
	s_delay_alu instid0(VALU_DEP_1) | instskip(SKIP_1) | instid1(VALU_DEP_1)
	v_fmac_f64_e32 v[130:131], v[100:101], v[98:99]
	s_wait_dscnt 0x0
	v_fmac_f64_e32 v[130:131], v[102:103], v[116:117]
	ds_load_2addr_b64 v[96:99], v2 offset0:85 offset1:86
	ds_load_2addr_b64 v[100:103], v2 offset0:87 offset1:88
	s_wait_loadcnt 0x3
	v_fmac_f64_e32 v[130:131], v[104:105], v[118:119]
	s_wait_dscnt 0x1
	s_delay_alu instid0(VALU_DEP_1) | instskip(SKIP_1) | instid1(VALU_DEP_1)
	v_fmac_f64_e32 v[130:131], v[106:107], v[96:97]
	s_wait_loadcnt 0x2
	v_fmac_f64_e32 v[130:131], v[108:109], v[98:99]
	ds_load_2addr_b64 v[96:99], v2 offset0:89 offset1:90
	s_wait_dscnt 0x1
	v_fmac_f64_e32 v[130:131], v[110:111], v[100:101]
	s_wait_loadcnt 0x0
	s_delay_alu instid0(VALU_DEP_1) | instskip(SKIP_1) | instid1(VALU_DEP_1)
	v_fmac_f64_e32 v[130:131], v[112:113], v[102:103]
	s_wait_dscnt 0x0
	v_fmac_f64_e32 v[130:131], v[114:115], v[96:97]
	s_delay_alu instid0(VALU_DEP_1) | instskip(NEXT) | instid1(VALU_DEP_1)
	v_fmac_f64_e32 v[130:131], v[120:121], v[98:99]
	v_add_f64_e64 v[2:3], v[94:95], -v[130:131]
	scratch_store_b64 off, v[2:3], off offset:144
	s_wait_xcnt 0x0
	v_cmpx_lt_u32_e32 17, v0
	s_cbranch_execz .LBB108_245
; %bb.244:
	scratch_load_b64 v[2:3], off, off offset:136
	v_mov_b64_e32 v[94:95], 0
	scratch_store_b64 off, v[94:95], off offset:136
	s_wait_loadcnt 0x0
	ds_store_b64 v1, v[2:3]
.LBB108_245:
	s_wait_xcnt 0x0
	s_or_b32 exec_lo, exec_lo, s0
	s_wait_storecnt_dscnt 0x0
	s_barrier_signal -1
	s_barrier_wait -1
	s_clause 0x5
	scratch_load_b128 v[94:97], off, off offset:136
	scratch_load_b128 v[98:101], off, off offset:152
	;; [unrolled: 1-line block ×6, first 2 shown]
	v_mov_b32_e32 v2, 0
	ds_load_b128 v[118:121], v2 offset:512
	ds_load_b128 v[122:125], v2 offset:528
	scratch_load_b128 v[126:129], off, off offset:232
	s_mov_b32 s0, exec_lo
	s_wait_loadcnt_dscnt 0x601
	v_fma_f64 v[130:131], v[96:97], v[118:119], 0
	s_wait_loadcnt 0x5
	s_delay_alu instid0(VALU_DEP_1) | instskip(SKIP_4) | instid1(VALU_DEP_1)
	v_fmac_f64_e32 v[130:131], v[98:99], v[120:121]
	scratch_load_b128 v[96:99], off, off offset:248
	s_wait_dscnt 0x0
	v_fmac_f64_e32 v[130:131], v[100:101], v[122:123]
	s_wait_loadcnt 0x5
	v_fmac_f64_e32 v[130:131], v[102:103], v[124:125]
	ds_load_b128 v[100:103], v2 offset:544
	ds_load_b128 v[118:121], v2 offset:560
	scratch_load_b128 v[122:125], off, off offset:264
	s_wait_dscnt 0x1
	v_fmac_f64_e32 v[130:131], v[104:105], v[100:101]
	s_wait_loadcnt 0x5
	s_delay_alu instid0(VALU_DEP_1) | instskip(SKIP_4) | instid1(VALU_DEP_1)
	v_fmac_f64_e32 v[130:131], v[106:107], v[102:103]
	scratch_load_b128 v[100:103], off, off offset:280
	s_wait_dscnt 0x0
	v_fmac_f64_e32 v[130:131], v[108:109], v[118:119]
	s_wait_loadcnt 0x5
	v_fmac_f64_e32 v[130:131], v[110:111], v[120:121]
	ds_load_b128 v[104:107], v2 offset:576
	ds_load_b128 v[108:111], v2 offset:592
	s_wait_dscnt 0x1
	v_fmac_f64_e32 v[130:131], v[112:113], v[104:105]
	s_wait_loadcnt 0x4
	s_delay_alu instid0(VALU_DEP_1) | instskip(SKIP_4) | instid1(VALU_DEP_1)
	v_fmac_f64_e32 v[130:131], v[114:115], v[106:107]
	scratch_load_b128 v[104:107], off, off offset:296
	s_wait_dscnt 0x0
	v_fmac_f64_e32 v[130:131], v[116:117], v[108:109]
	s_wait_loadcnt 0x4
	v_fmac_f64_e32 v[130:131], v[126:127], v[110:111]
	scratch_load_b128 v[108:111], off, off offset:312
	ds_load_b128 v[112:115], v2 offset:608
	ds_load_b128 v[116:119], v2 offset:624
	s_wait_dscnt 0x1
	v_fmac_f64_e32 v[130:131], v[128:129], v[112:113]
	s_wait_loadcnt 0x4
	s_delay_alu instid0(VALU_DEP_1)
	v_fmac_f64_e32 v[130:131], v[96:97], v[114:115]
	scratch_load_b128 v[112:115], off, off offset:328
	s_wait_dscnt 0x0
	v_fmac_f64_e32 v[130:131], v[98:99], v[116:117]
	scratch_load_b128 v[96:99], off, off offset:344
	s_wait_loadcnt 0x5
	v_fmac_f64_e32 v[130:131], v[122:123], v[118:119]
	ds_load_b128 v[116:119], v2 offset:640
	ds_load_b128 v[120:123], v2 offset:656
	s_wait_dscnt 0x1
	v_fmac_f64_e32 v[130:131], v[124:125], v[116:117]
	s_wait_loadcnt 0x4
	s_delay_alu instid0(VALU_DEP_1) | instskip(SKIP_1) | instid1(VALU_DEP_1)
	v_fmac_f64_e32 v[130:131], v[100:101], v[118:119]
	s_wait_dscnt 0x0
	v_fmac_f64_e32 v[130:131], v[102:103], v[120:121]
	ds_load_b128 v[100:103], v2 offset:672
	ds_load_b128 v[116:119], v2 offset:688
	s_wait_loadcnt 0x3
	v_fmac_f64_e32 v[130:131], v[104:105], v[122:123]
	s_wait_dscnt 0x1
	s_delay_alu instid0(VALU_DEP_1) | instskip(SKIP_1) | instid1(VALU_DEP_1)
	v_fmac_f64_e32 v[130:131], v[106:107], v[100:101]
	s_wait_loadcnt 0x2
	v_fmac_f64_e32 v[130:131], v[108:109], v[102:103]
	ds_load_b128 v[100:103], v2 offset:704
	ds_load_b64 v[104:105], v2 offset:720
	s_wait_dscnt 0x2
	v_fmac_f64_e32 v[130:131], v[110:111], v[116:117]
	s_wait_loadcnt 0x1
	s_delay_alu instid0(VALU_DEP_1) | instskip(SKIP_1) | instid1(VALU_DEP_1)
	v_fmac_f64_e32 v[130:131], v[112:113], v[118:119]
	s_wait_dscnt 0x1
	v_fmac_f64_e32 v[130:131], v[114:115], v[100:101]
	s_wait_loadcnt 0x0
	s_delay_alu instid0(VALU_DEP_1) | instskip(SKIP_1) | instid1(VALU_DEP_1)
	v_fmac_f64_e32 v[130:131], v[96:97], v[102:103]
	s_wait_dscnt 0x0
	v_fmac_f64_e32 v[130:131], v[98:99], v[104:105]
	s_delay_alu instid0(VALU_DEP_1)
	v_add_f64_e64 v[94:95], v[94:95], -v[130:131]
	scratch_store_b64 off, v[94:95], off offset:136
	s_wait_xcnt 0x0
	v_cmpx_lt_u32_e32 16, v0
	s_cbranch_execz .LBB108_247
; %bb.246:
	scratch_load_b64 v[94:95], off, off offset:128
	v_mov_b64_e32 v[96:97], 0
	scratch_store_b64 off, v[96:97], off offset:128
	s_wait_loadcnt 0x0
	ds_store_b64 v1, v[94:95]
.LBB108_247:
	s_wait_xcnt 0x0
	s_or_b32 exec_lo, exec_lo, s0
	s_wait_storecnt_dscnt 0x0
	s_barrier_signal -1
	s_barrier_wait -1
	s_clause 0x5
	scratch_load_b128 v[94:97], off, off offset:128
	scratch_load_b128 v[98:101], off, off offset:144
	;; [unrolled: 1-line block ×6, first 2 shown]
	ds_load_2addr_b64 v[118:121], v2 offset0:63 offset1:64
	ds_load_2addr_b64 v[122:125], v2 offset0:65 offset1:66
	scratch_load_b128 v[126:129], off, off offset:224
	s_mov_b32 s0, exec_lo
	s_wait_loadcnt_dscnt 0x601
	v_fma_f64 v[130:131], v[96:97], v[118:119], 0
	s_wait_loadcnt 0x5
	s_delay_alu instid0(VALU_DEP_1) | instskip(SKIP_4) | instid1(VALU_DEP_1)
	v_fmac_f64_e32 v[130:131], v[98:99], v[120:121]
	scratch_load_b128 v[96:99], off, off offset:240
	s_wait_dscnt 0x0
	v_fmac_f64_e32 v[130:131], v[100:101], v[122:123]
	s_wait_loadcnt 0x5
	v_fmac_f64_e32 v[130:131], v[102:103], v[124:125]
	ds_load_2addr_b64 v[100:103], v2 offset0:67 offset1:68
	ds_load_2addr_b64 v[118:121], v2 offset0:69 offset1:70
	scratch_load_b128 v[122:125], off, off offset:256
	s_wait_dscnt 0x1
	v_fmac_f64_e32 v[130:131], v[104:105], v[100:101]
	s_wait_loadcnt 0x5
	s_delay_alu instid0(VALU_DEP_1) | instskip(SKIP_4) | instid1(VALU_DEP_1)
	v_fmac_f64_e32 v[130:131], v[106:107], v[102:103]
	scratch_load_b128 v[100:103], off, off offset:272
	s_wait_dscnt 0x0
	v_fmac_f64_e32 v[130:131], v[108:109], v[118:119]
	s_wait_loadcnt 0x5
	v_fmac_f64_e32 v[130:131], v[110:111], v[120:121]
	ds_load_2addr_b64 v[104:107], v2 offset0:71 offset1:72
	ds_load_2addr_b64 v[108:111], v2 offset0:73 offset1:74
	s_wait_dscnt 0x1
	v_fmac_f64_e32 v[130:131], v[112:113], v[104:105]
	s_wait_loadcnt 0x4
	s_delay_alu instid0(VALU_DEP_1) | instskip(SKIP_4) | instid1(VALU_DEP_1)
	v_fmac_f64_e32 v[130:131], v[114:115], v[106:107]
	scratch_load_b128 v[104:107], off, off offset:288
	s_wait_dscnt 0x0
	v_fmac_f64_e32 v[130:131], v[116:117], v[108:109]
	s_wait_loadcnt 0x4
	v_fmac_f64_e32 v[130:131], v[126:127], v[110:111]
	scratch_load_b128 v[108:111], off, off offset:304
	ds_load_2addr_b64 v[112:115], v2 offset0:75 offset1:76
	ds_load_2addr_b64 v[116:119], v2 offset0:77 offset1:78
	s_wait_dscnt 0x1
	v_fmac_f64_e32 v[130:131], v[128:129], v[112:113]
	s_wait_loadcnt 0x4
	s_delay_alu instid0(VALU_DEP_1)
	v_fmac_f64_e32 v[130:131], v[96:97], v[114:115]
	scratch_load_b128 v[112:115], off, off offset:320
	s_wait_dscnt 0x0
	v_fmac_f64_e32 v[130:131], v[98:99], v[116:117]
	scratch_load_b128 v[96:99], off, off offset:336
	s_wait_loadcnt 0x5
	v_fmac_f64_e32 v[130:131], v[122:123], v[118:119]
	ds_load_2addr_b64 v[116:119], v2 offset0:79 offset1:80
	ds_load_2addr_b64 v[120:123], v2 offset0:81 offset1:82
	s_wait_dscnt 0x1
	v_fmac_f64_e32 v[130:131], v[124:125], v[116:117]
	scratch_load_b64 v[124:125], off, off offset:352
	s_wait_loadcnt 0x5
	v_fmac_f64_e32 v[130:131], v[100:101], v[118:119]
	s_wait_dscnt 0x0
	s_delay_alu instid0(VALU_DEP_1)
	v_fmac_f64_e32 v[130:131], v[102:103], v[120:121]
	ds_load_2addr_b64 v[100:103], v2 offset0:83 offset1:84
	ds_load_2addr_b64 v[116:119], v2 offset0:85 offset1:86
	s_wait_loadcnt 0x4
	v_fmac_f64_e32 v[130:131], v[104:105], v[122:123]
	s_wait_dscnt 0x1
	s_delay_alu instid0(VALU_DEP_1) | instskip(SKIP_1) | instid1(VALU_DEP_1)
	v_fmac_f64_e32 v[130:131], v[106:107], v[100:101]
	s_wait_loadcnt 0x3
	v_fmac_f64_e32 v[130:131], v[108:109], v[102:103]
	ds_load_2addr_b64 v[100:103], v2 offset0:87 offset1:88
	ds_load_2addr_b64 v[104:107], v2 offset0:89 offset1:90
	s_wait_dscnt 0x2
	v_fmac_f64_e32 v[130:131], v[110:111], v[116:117]
	s_wait_loadcnt 0x2
	s_delay_alu instid0(VALU_DEP_1) | instskip(SKIP_1) | instid1(VALU_DEP_1)
	v_fmac_f64_e32 v[130:131], v[112:113], v[118:119]
	s_wait_dscnt 0x1
	v_fmac_f64_e32 v[130:131], v[114:115], v[100:101]
	s_wait_loadcnt 0x1
	s_delay_alu instid0(VALU_DEP_1) | instskip(SKIP_1) | instid1(VALU_DEP_1)
	v_fmac_f64_e32 v[130:131], v[96:97], v[102:103]
	s_wait_dscnt 0x0
	v_fmac_f64_e32 v[130:131], v[98:99], v[104:105]
	s_wait_loadcnt 0x0
	s_delay_alu instid0(VALU_DEP_1) | instskip(NEXT) | instid1(VALU_DEP_1)
	v_fmac_f64_e32 v[130:131], v[124:125], v[106:107]
	v_add_f64_e64 v[2:3], v[94:95], -v[130:131]
	scratch_store_b64 off, v[2:3], off offset:128
	s_wait_xcnt 0x0
	v_cmpx_lt_u32_e32 15, v0
	s_cbranch_execz .LBB108_249
; %bb.248:
	scratch_load_b64 v[2:3], off, off offset:120
	v_mov_b64_e32 v[94:95], 0
	scratch_store_b64 off, v[94:95], off offset:120
	s_wait_loadcnt 0x0
	ds_store_b64 v1, v[2:3]
.LBB108_249:
	s_wait_xcnt 0x0
	s_or_b32 exec_lo, exec_lo, s0
	s_wait_storecnt_dscnt 0x0
	s_barrier_signal -1
	s_barrier_wait -1
	s_clause 0x5
	scratch_load_b128 v[94:97], off, off offset:120
	scratch_load_b128 v[98:101], off, off offset:136
	;; [unrolled: 1-line block ×6, first 2 shown]
	v_mov_b32_e32 v2, 0
	ds_load_b128 v[118:121], v2 offset:496
	ds_load_b128 v[122:125], v2 offset:512
	scratch_load_b128 v[126:129], off, off offset:216
	s_mov_b32 s0, exec_lo
	s_wait_loadcnt_dscnt 0x601
	v_fma_f64 v[130:131], v[96:97], v[118:119], 0
	s_wait_loadcnt 0x5
	s_delay_alu instid0(VALU_DEP_1) | instskip(SKIP_4) | instid1(VALU_DEP_1)
	v_fmac_f64_e32 v[130:131], v[98:99], v[120:121]
	scratch_load_b128 v[96:99], off, off offset:232
	s_wait_dscnt 0x0
	v_fmac_f64_e32 v[130:131], v[100:101], v[122:123]
	s_wait_loadcnt 0x5
	v_fmac_f64_e32 v[130:131], v[102:103], v[124:125]
	ds_load_b128 v[100:103], v2 offset:528
	ds_load_b128 v[118:121], v2 offset:544
	scratch_load_b128 v[122:125], off, off offset:248
	s_wait_dscnt 0x1
	v_fmac_f64_e32 v[130:131], v[104:105], v[100:101]
	s_wait_loadcnt 0x5
	s_delay_alu instid0(VALU_DEP_1) | instskip(SKIP_4) | instid1(VALU_DEP_1)
	v_fmac_f64_e32 v[130:131], v[106:107], v[102:103]
	scratch_load_b128 v[100:103], off, off offset:264
	s_wait_dscnt 0x0
	v_fmac_f64_e32 v[130:131], v[108:109], v[118:119]
	s_wait_loadcnt 0x5
	v_fmac_f64_e32 v[130:131], v[110:111], v[120:121]
	ds_load_b128 v[104:107], v2 offset:560
	ds_load_b128 v[108:111], v2 offset:576
	s_wait_dscnt 0x1
	v_fmac_f64_e32 v[130:131], v[112:113], v[104:105]
	s_wait_loadcnt 0x4
	s_delay_alu instid0(VALU_DEP_1) | instskip(SKIP_4) | instid1(VALU_DEP_1)
	v_fmac_f64_e32 v[130:131], v[114:115], v[106:107]
	scratch_load_b128 v[104:107], off, off offset:280
	s_wait_dscnt 0x0
	v_fmac_f64_e32 v[130:131], v[116:117], v[108:109]
	s_wait_loadcnt 0x4
	v_fmac_f64_e32 v[130:131], v[126:127], v[110:111]
	scratch_load_b128 v[108:111], off, off offset:296
	ds_load_b128 v[112:115], v2 offset:592
	ds_load_b128 v[116:119], v2 offset:608
	s_wait_dscnt 0x1
	v_fmac_f64_e32 v[130:131], v[128:129], v[112:113]
	s_wait_loadcnt 0x4
	s_delay_alu instid0(VALU_DEP_1)
	v_fmac_f64_e32 v[130:131], v[96:97], v[114:115]
	scratch_load_b128 v[112:115], off, off offset:312
	s_wait_dscnt 0x0
	v_fmac_f64_e32 v[130:131], v[98:99], v[116:117]
	scratch_load_b128 v[96:99], off, off offset:328
	s_wait_loadcnt 0x5
	v_fmac_f64_e32 v[130:131], v[122:123], v[118:119]
	ds_load_b128 v[116:119], v2 offset:624
	ds_load_b128 v[120:123], v2 offset:640
	s_wait_dscnt 0x1
	v_fmac_f64_e32 v[130:131], v[124:125], v[116:117]
	s_wait_loadcnt 0x4
	s_delay_alu instid0(VALU_DEP_1) | instskip(SKIP_4) | instid1(VALU_DEP_1)
	v_fmac_f64_e32 v[130:131], v[100:101], v[118:119]
	scratch_load_b128 v[116:119], off, off offset:344
	s_wait_dscnt 0x0
	v_fmac_f64_e32 v[130:131], v[102:103], v[120:121]
	s_wait_loadcnt 0x4
	v_fmac_f64_e32 v[130:131], v[104:105], v[122:123]
	ds_load_b128 v[100:103], v2 offset:656
	ds_load_b128 v[120:123], v2 offset:672
	s_wait_dscnt 0x1
	v_fmac_f64_e32 v[130:131], v[106:107], v[100:101]
	s_wait_loadcnt 0x3
	s_delay_alu instid0(VALU_DEP_1)
	v_fmac_f64_e32 v[130:131], v[108:109], v[102:103]
	ds_load_b128 v[100:103], v2 offset:688
	ds_load_b128 v[104:107], v2 offset:704
	s_wait_dscnt 0x2
	v_fmac_f64_e32 v[130:131], v[110:111], v[120:121]
	s_wait_loadcnt 0x2
	s_delay_alu instid0(VALU_DEP_1) | instskip(SKIP_1) | instid1(VALU_DEP_1)
	v_fmac_f64_e32 v[130:131], v[112:113], v[122:123]
	s_wait_dscnt 0x1
	v_fmac_f64_e32 v[130:131], v[114:115], v[100:101]
	s_wait_loadcnt 0x1
	s_delay_alu instid0(VALU_DEP_1) | instskip(SKIP_4) | instid1(VALU_DEP_1)
	v_fmac_f64_e32 v[130:131], v[96:97], v[102:103]
	ds_load_b64 v[96:97], v2 offset:720
	s_wait_dscnt 0x1
	v_fmac_f64_e32 v[130:131], v[98:99], v[104:105]
	s_wait_loadcnt 0x0
	v_fmac_f64_e32 v[130:131], v[116:117], v[106:107]
	s_wait_dscnt 0x0
	s_delay_alu instid0(VALU_DEP_1) | instskip(NEXT) | instid1(VALU_DEP_1)
	v_fmac_f64_e32 v[130:131], v[118:119], v[96:97]
	v_add_f64_e64 v[94:95], v[94:95], -v[130:131]
	scratch_store_b64 off, v[94:95], off offset:120
	s_wait_xcnt 0x0
	v_cmpx_lt_u32_e32 14, v0
	s_cbranch_execz .LBB108_251
; %bb.250:
	scratch_load_b64 v[94:95], off, off offset:112
	v_mov_b64_e32 v[96:97], 0
	scratch_store_b64 off, v[96:97], off offset:112
	s_wait_loadcnt 0x0
	ds_store_b64 v1, v[94:95]
.LBB108_251:
	s_wait_xcnt 0x0
	s_or_b32 exec_lo, exec_lo, s0
	s_wait_storecnt_dscnt 0x0
	s_barrier_signal -1
	s_barrier_wait -1
	s_clause 0x5
	scratch_load_b128 v[94:97], off, off offset:112
	scratch_load_b128 v[98:101], off, off offset:128
	;; [unrolled: 1-line block ×6, first 2 shown]
	ds_load_2addr_b64 v[118:121], v2 offset0:61 offset1:62
	ds_load_2addr_b64 v[122:125], v2 offset0:63 offset1:64
	scratch_load_b128 v[126:129], off, off offset:208
	s_mov_b32 s0, exec_lo
	s_wait_loadcnt_dscnt 0x601
	v_fma_f64 v[130:131], v[96:97], v[118:119], 0
	s_wait_loadcnt 0x5
	s_delay_alu instid0(VALU_DEP_1) | instskip(SKIP_4) | instid1(VALU_DEP_1)
	v_fmac_f64_e32 v[130:131], v[98:99], v[120:121]
	scratch_load_b128 v[96:99], off, off offset:224
	s_wait_dscnt 0x0
	v_fmac_f64_e32 v[130:131], v[100:101], v[122:123]
	s_wait_loadcnt 0x5
	v_fmac_f64_e32 v[130:131], v[102:103], v[124:125]
	ds_load_2addr_b64 v[100:103], v2 offset0:65 offset1:66
	ds_load_2addr_b64 v[118:121], v2 offset0:67 offset1:68
	scratch_load_b128 v[122:125], off, off offset:240
	s_wait_dscnt 0x1
	v_fmac_f64_e32 v[130:131], v[104:105], v[100:101]
	s_wait_loadcnt 0x5
	s_delay_alu instid0(VALU_DEP_1) | instskip(SKIP_4) | instid1(VALU_DEP_1)
	v_fmac_f64_e32 v[130:131], v[106:107], v[102:103]
	scratch_load_b128 v[100:103], off, off offset:256
	s_wait_dscnt 0x0
	v_fmac_f64_e32 v[130:131], v[108:109], v[118:119]
	s_wait_loadcnt 0x5
	v_fmac_f64_e32 v[130:131], v[110:111], v[120:121]
	ds_load_2addr_b64 v[104:107], v2 offset0:69 offset1:70
	ds_load_2addr_b64 v[108:111], v2 offset0:71 offset1:72
	scratch_load_b128 v[118:121], off, off offset:272
	s_wait_dscnt 0x1
	v_fmac_f64_e32 v[130:131], v[112:113], v[104:105]
	s_wait_loadcnt 0x5
	s_delay_alu instid0(VALU_DEP_1) | instskip(SKIP_4) | instid1(VALU_DEP_1)
	v_fmac_f64_e32 v[130:131], v[114:115], v[106:107]
	scratch_load_b128 v[104:107], off, off offset:288
	s_wait_dscnt 0x0
	v_fmac_f64_e32 v[130:131], v[116:117], v[108:109]
	s_wait_loadcnt 0x5
	v_fmac_f64_e32 v[130:131], v[126:127], v[110:111]
	ds_load_2addr_b64 v[108:111], v2 offset0:73 offset1:74
	ds_load_2addr_b64 v[112:115], v2 offset0:75 offset1:76
	s_wait_dscnt 0x1
	v_fmac_f64_e32 v[130:131], v[128:129], v[108:109]
	s_wait_loadcnt 0x4
	s_delay_alu instid0(VALU_DEP_1)
	v_fmac_f64_e32 v[130:131], v[96:97], v[110:111]
	scratch_load_b128 v[108:111], off, off offset:304
	s_wait_dscnt 0x0
	v_fmac_f64_e32 v[130:131], v[98:99], v[112:113]
	scratch_load_b128 v[96:99], off, off offset:320
	s_wait_loadcnt 0x5
	v_fmac_f64_e32 v[130:131], v[122:123], v[114:115]
	ds_load_2addr_b64 v[112:115], v2 offset0:77 offset1:78
	ds_load_2addr_b64 v[126:129], v2 offset0:79 offset1:80
	scratch_load_b64 v[122:123], off, off offset:352
	s_wait_dscnt 0x1
	v_fmac_f64_e32 v[130:131], v[124:125], v[112:113]
	s_wait_loadcnt 0x5
	s_delay_alu instid0(VALU_DEP_1) | instskip(SKIP_4) | instid1(VALU_DEP_1)
	v_fmac_f64_e32 v[130:131], v[100:101], v[114:115]
	scratch_load_b128 v[112:115], off, off offset:336
	s_wait_dscnt 0x0
	v_fmac_f64_e32 v[130:131], v[102:103], v[126:127]
	s_wait_loadcnt 0x5
	v_fmac_f64_e32 v[130:131], v[118:119], v[128:129]
	ds_load_2addr_b64 v[100:103], v2 offset0:81 offset1:82
	ds_load_2addr_b64 v[116:119], v2 offset0:83 offset1:84
	s_wait_dscnt 0x1
	v_fmac_f64_e32 v[130:131], v[120:121], v[100:101]
	s_wait_loadcnt 0x4
	s_delay_alu instid0(VALU_DEP_1) | instskip(SKIP_1) | instid1(VALU_DEP_1)
	v_fmac_f64_e32 v[130:131], v[104:105], v[102:103]
	s_wait_dscnt 0x0
	v_fmac_f64_e32 v[130:131], v[106:107], v[116:117]
	ds_load_2addr_b64 v[100:103], v2 offset0:85 offset1:86
	ds_load_2addr_b64 v[104:107], v2 offset0:87 offset1:88
	s_wait_loadcnt 0x3
	v_fmac_f64_e32 v[130:131], v[108:109], v[118:119]
	s_wait_dscnt 0x1
	s_delay_alu instid0(VALU_DEP_1) | instskip(SKIP_1) | instid1(VALU_DEP_1)
	v_fmac_f64_e32 v[130:131], v[110:111], v[100:101]
	s_wait_loadcnt 0x2
	v_fmac_f64_e32 v[130:131], v[96:97], v[102:103]
	s_wait_dscnt 0x0
	s_delay_alu instid0(VALU_DEP_1) | instskip(SKIP_4) | instid1(VALU_DEP_1)
	v_fmac_f64_e32 v[130:131], v[98:99], v[104:105]
	ds_load_2addr_b64 v[96:99], v2 offset0:89 offset1:90
	s_wait_loadcnt 0x0
	v_fmac_f64_e32 v[130:131], v[112:113], v[106:107]
	s_wait_dscnt 0x0
	v_fmac_f64_e32 v[130:131], v[114:115], v[96:97]
	s_delay_alu instid0(VALU_DEP_1) | instskip(NEXT) | instid1(VALU_DEP_1)
	v_fmac_f64_e32 v[130:131], v[122:123], v[98:99]
	v_add_f64_e64 v[2:3], v[94:95], -v[130:131]
	scratch_store_b64 off, v[2:3], off offset:112
	s_wait_xcnt 0x0
	v_cmpx_lt_u32_e32 13, v0
	s_cbranch_execz .LBB108_253
; %bb.252:
	scratch_load_b64 v[2:3], off, off offset:104
	v_mov_b64_e32 v[94:95], 0
	scratch_store_b64 off, v[94:95], off offset:104
	s_wait_loadcnt 0x0
	ds_store_b64 v1, v[2:3]
.LBB108_253:
	s_wait_xcnt 0x0
	s_or_b32 exec_lo, exec_lo, s0
	s_wait_storecnt_dscnt 0x0
	s_barrier_signal -1
	s_barrier_wait -1
	s_clause 0x5
	scratch_load_b128 v[94:97], off, off offset:104
	scratch_load_b128 v[98:101], off, off offset:120
	;; [unrolled: 1-line block ×6, first 2 shown]
	v_mov_b32_e32 v2, 0
	ds_load_b128 v[118:121], v2 offset:480
	ds_load_b128 v[122:125], v2 offset:496
	scratch_load_b128 v[126:129], off, off offset:200
	s_mov_b32 s0, exec_lo
	s_wait_loadcnt_dscnt 0x601
	v_fma_f64 v[130:131], v[96:97], v[118:119], 0
	s_wait_loadcnt 0x5
	s_delay_alu instid0(VALU_DEP_1) | instskip(SKIP_4) | instid1(VALU_DEP_1)
	v_fmac_f64_e32 v[130:131], v[98:99], v[120:121]
	scratch_load_b128 v[96:99], off, off offset:216
	s_wait_dscnt 0x0
	v_fmac_f64_e32 v[130:131], v[100:101], v[122:123]
	s_wait_loadcnt 0x5
	v_fmac_f64_e32 v[130:131], v[102:103], v[124:125]
	ds_load_b128 v[100:103], v2 offset:512
	ds_load_b128 v[118:121], v2 offset:528
	scratch_load_b128 v[122:125], off, off offset:232
	s_wait_dscnt 0x1
	v_fmac_f64_e32 v[130:131], v[104:105], v[100:101]
	s_wait_loadcnt 0x5
	s_delay_alu instid0(VALU_DEP_1) | instskip(SKIP_4) | instid1(VALU_DEP_1)
	v_fmac_f64_e32 v[130:131], v[106:107], v[102:103]
	scratch_load_b128 v[100:103], off, off offset:248
	s_wait_dscnt 0x0
	v_fmac_f64_e32 v[130:131], v[108:109], v[118:119]
	s_wait_loadcnt 0x5
	v_fmac_f64_e32 v[130:131], v[110:111], v[120:121]
	ds_load_b128 v[104:107], v2 offset:544
	ds_load_b128 v[108:111], v2 offset:560
	scratch_load_b128 v[118:121], off, off offset:264
	s_wait_dscnt 0x1
	v_fmac_f64_e32 v[130:131], v[112:113], v[104:105]
	s_wait_loadcnt 0x5
	s_delay_alu instid0(VALU_DEP_1) | instskip(SKIP_4) | instid1(VALU_DEP_1)
	v_fmac_f64_e32 v[130:131], v[114:115], v[106:107]
	scratch_load_b128 v[104:107], off, off offset:280
	s_wait_dscnt 0x0
	v_fmac_f64_e32 v[130:131], v[116:117], v[108:109]
	s_wait_loadcnt 0x5
	v_fmac_f64_e32 v[130:131], v[126:127], v[110:111]
	ds_load_b128 v[108:111], v2 offset:576
	ds_load_b128 v[112:115], v2 offset:592
	s_wait_dscnt 0x1
	v_fmac_f64_e32 v[130:131], v[128:129], v[108:109]
	s_wait_loadcnt 0x4
	s_delay_alu instid0(VALU_DEP_1)
	v_fmac_f64_e32 v[130:131], v[96:97], v[110:111]
	scratch_load_b128 v[108:111], off, off offset:296
	s_wait_dscnt 0x0
	v_fmac_f64_e32 v[130:131], v[98:99], v[112:113]
	scratch_load_b128 v[96:99], off, off offset:312
	s_wait_loadcnt 0x5
	v_fmac_f64_e32 v[130:131], v[122:123], v[114:115]
	ds_load_b128 v[112:115], v2 offset:608
	ds_load_b128 v[126:129], v2 offset:624
	s_wait_dscnt 0x1
	v_fmac_f64_e32 v[130:131], v[124:125], v[112:113]
	s_wait_loadcnt 0x4
	s_delay_alu instid0(VALU_DEP_1)
	v_fmac_f64_e32 v[130:131], v[100:101], v[114:115]
	scratch_load_b128 v[112:115], off, off offset:328
	s_wait_dscnt 0x0
	v_fmac_f64_e32 v[130:131], v[102:103], v[126:127]
	scratch_load_b128 v[100:103], off, off offset:344
	s_wait_loadcnt 0x5
	v_fmac_f64_e32 v[130:131], v[118:119], v[128:129]
	ds_load_b128 v[116:119], v2 offset:640
	ds_load_b128 v[122:125], v2 offset:656
	s_wait_dscnt 0x1
	v_fmac_f64_e32 v[130:131], v[120:121], v[116:117]
	s_wait_loadcnt 0x4
	s_delay_alu instid0(VALU_DEP_1) | instskip(SKIP_1) | instid1(VALU_DEP_1)
	v_fmac_f64_e32 v[130:131], v[104:105], v[118:119]
	s_wait_dscnt 0x0
	v_fmac_f64_e32 v[130:131], v[106:107], v[122:123]
	ds_load_b128 v[104:107], v2 offset:672
	ds_load_b128 v[116:119], v2 offset:688
	s_wait_loadcnt 0x3
	v_fmac_f64_e32 v[130:131], v[108:109], v[124:125]
	s_wait_dscnt 0x1
	s_delay_alu instid0(VALU_DEP_1) | instskip(SKIP_1) | instid1(VALU_DEP_1)
	v_fmac_f64_e32 v[130:131], v[110:111], v[104:105]
	s_wait_loadcnt 0x2
	v_fmac_f64_e32 v[130:131], v[96:97], v[106:107]
	s_wait_dscnt 0x0
	s_delay_alu instid0(VALU_DEP_1)
	v_fmac_f64_e32 v[130:131], v[98:99], v[116:117]
	ds_load_b128 v[96:99], v2 offset:704
	ds_load_b64 v[104:105], v2 offset:720
	s_wait_loadcnt 0x1
	v_fmac_f64_e32 v[130:131], v[112:113], v[118:119]
	s_wait_dscnt 0x1
	s_delay_alu instid0(VALU_DEP_1) | instskip(SKIP_1) | instid1(VALU_DEP_1)
	v_fmac_f64_e32 v[130:131], v[114:115], v[96:97]
	s_wait_loadcnt 0x0
	v_fmac_f64_e32 v[130:131], v[100:101], v[98:99]
	s_wait_dscnt 0x0
	s_delay_alu instid0(VALU_DEP_1) | instskip(NEXT) | instid1(VALU_DEP_1)
	v_fmac_f64_e32 v[130:131], v[102:103], v[104:105]
	v_add_f64_e64 v[94:95], v[94:95], -v[130:131]
	scratch_store_b64 off, v[94:95], off offset:104
	s_wait_xcnt 0x0
	v_cmpx_lt_u32_e32 12, v0
	s_cbranch_execz .LBB108_255
; %bb.254:
	scratch_load_b64 v[94:95], off, off offset:96
	v_mov_b64_e32 v[96:97], 0
	scratch_store_b64 off, v[96:97], off offset:96
	s_wait_loadcnt 0x0
	ds_store_b64 v1, v[94:95]
.LBB108_255:
	s_wait_xcnt 0x0
	s_or_b32 exec_lo, exec_lo, s0
	s_wait_storecnt_dscnt 0x0
	s_barrier_signal -1
	s_barrier_wait -1
	s_clause 0x5
	scratch_load_b128 v[94:97], off, off offset:96
	scratch_load_b128 v[98:101], off, off offset:112
	scratch_load_b128 v[102:105], off, off offset:128
	scratch_load_b128 v[106:109], off, off offset:144
	scratch_load_b128 v[110:113], off, off offset:160
	scratch_load_b128 v[114:117], off, off offset:176
	ds_load_2addr_b64 v[118:121], v2 offset0:59 offset1:60
	ds_load_2addr_b64 v[122:125], v2 offset0:61 offset1:62
	scratch_load_b128 v[126:129], off, off offset:192
	s_mov_b32 s0, exec_lo
	s_wait_loadcnt_dscnt 0x601
	v_fma_f64 v[130:131], v[96:97], v[118:119], 0
	s_wait_loadcnt 0x5
	s_delay_alu instid0(VALU_DEP_1) | instskip(SKIP_4) | instid1(VALU_DEP_1)
	v_fmac_f64_e32 v[130:131], v[98:99], v[120:121]
	scratch_load_b128 v[96:99], off, off offset:208
	s_wait_dscnt 0x0
	v_fmac_f64_e32 v[130:131], v[100:101], v[122:123]
	s_wait_loadcnt 0x5
	v_fmac_f64_e32 v[130:131], v[102:103], v[124:125]
	ds_load_2addr_b64 v[100:103], v2 offset0:63 offset1:64
	ds_load_2addr_b64 v[118:121], v2 offset0:65 offset1:66
	scratch_load_b128 v[122:125], off, off offset:224
	s_wait_dscnt 0x1
	v_fmac_f64_e32 v[130:131], v[104:105], v[100:101]
	s_wait_loadcnt 0x5
	s_delay_alu instid0(VALU_DEP_1) | instskip(SKIP_4) | instid1(VALU_DEP_1)
	v_fmac_f64_e32 v[130:131], v[106:107], v[102:103]
	scratch_load_b128 v[100:103], off, off offset:240
	s_wait_dscnt 0x0
	v_fmac_f64_e32 v[130:131], v[108:109], v[118:119]
	s_wait_loadcnt 0x5
	v_fmac_f64_e32 v[130:131], v[110:111], v[120:121]
	ds_load_2addr_b64 v[104:107], v2 offset0:67 offset1:68
	ds_load_2addr_b64 v[108:111], v2 offset0:69 offset1:70
	scratch_load_b128 v[118:121], off, off offset:256
	s_wait_dscnt 0x1
	v_fmac_f64_e32 v[130:131], v[112:113], v[104:105]
	s_wait_loadcnt 0x5
	s_delay_alu instid0(VALU_DEP_1) | instskip(SKIP_4) | instid1(VALU_DEP_1)
	v_fmac_f64_e32 v[130:131], v[114:115], v[106:107]
	scratch_load_b128 v[104:107], off, off offset:272
	s_wait_dscnt 0x0
	v_fmac_f64_e32 v[130:131], v[116:117], v[108:109]
	s_wait_loadcnt 0x5
	v_fmac_f64_e32 v[130:131], v[126:127], v[110:111]
	ds_load_2addr_b64 v[108:111], v2 offset0:71 offset1:72
	ds_load_2addr_b64 v[112:115], v2 offset0:73 offset1:74
	s_wait_dscnt 0x1
	v_fmac_f64_e32 v[130:131], v[128:129], v[108:109]
	s_wait_loadcnt 0x4
	s_delay_alu instid0(VALU_DEP_1)
	v_fmac_f64_e32 v[130:131], v[96:97], v[110:111]
	scratch_load_b128 v[108:111], off, off offset:288
	s_wait_dscnt 0x0
	v_fmac_f64_e32 v[130:131], v[98:99], v[112:113]
	scratch_load_b128 v[96:99], off, off offset:304
	s_wait_loadcnt 0x5
	v_fmac_f64_e32 v[130:131], v[122:123], v[114:115]
	ds_load_2addr_b64 v[112:115], v2 offset0:75 offset1:76
	ds_load_2addr_b64 v[126:129], v2 offset0:77 offset1:78
	s_wait_dscnt 0x1
	v_fmac_f64_e32 v[130:131], v[124:125], v[112:113]
	s_wait_loadcnt 0x4
	s_delay_alu instid0(VALU_DEP_1)
	v_fmac_f64_e32 v[130:131], v[100:101], v[114:115]
	scratch_load_b128 v[112:115], off, off offset:320
	s_wait_dscnt 0x0
	v_fmac_f64_e32 v[130:131], v[102:103], v[126:127]
	scratch_load_b128 v[100:103], off, off offset:336
	s_wait_loadcnt 0x5
	v_fmac_f64_e32 v[130:131], v[118:119], v[128:129]
	ds_load_2addr_b64 v[116:119], v2 offset0:79 offset1:80
	ds_load_2addr_b64 v[122:125], v2 offset0:81 offset1:82
	s_wait_dscnt 0x1
	v_fmac_f64_e32 v[130:131], v[120:121], v[116:117]
	scratch_load_b64 v[120:121], off, off offset:352
	s_wait_loadcnt 0x5
	v_fmac_f64_e32 v[130:131], v[104:105], v[118:119]
	s_wait_dscnt 0x0
	s_delay_alu instid0(VALU_DEP_1)
	v_fmac_f64_e32 v[130:131], v[106:107], v[122:123]
	ds_load_2addr_b64 v[104:107], v2 offset0:83 offset1:84
	ds_load_2addr_b64 v[116:119], v2 offset0:85 offset1:86
	s_wait_loadcnt 0x4
	v_fmac_f64_e32 v[130:131], v[108:109], v[124:125]
	s_wait_dscnt 0x1
	s_delay_alu instid0(VALU_DEP_1) | instskip(SKIP_1) | instid1(VALU_DEP_1)
	v_fmac_f64_e32 v[130:131], v[110:111], v[104:105]
	s_wait_loadcnt 0x3
	v_fmac_f64_e32 v[130:131], v[96:97], v[106:107]
	s_wait_dscnt 0x0
	s_delay_alu instid0(VALU_DEP_1)
	v_fmac_f64_e32 v[130:131], v[98:99], v[116:117]
	ds_load_2addr_b64 v[96:99], v2 offset0:87 offset1:88
	ds_load_2addr_b64 v[104:107], v2 offset0:89 offset1:90
	s_wait_loadcnt 0x2
	v_fmac_f64_e32 v[130:131], v[112:113], v[118:119]
	s_wait_dscnt 0x1
	s_delay_alu instid0(VALU_DEP_1) | instskip(SKIP_1) | instid1(VALU_DEP_1)
	v_fmac_f64_e32 v[130:131], v[114:115], v[96:97]
	s_wait_loadcnt 0x1
	v_fmac_f64_e32 v[130:131], v[100:101], v[98:99]
	s_wait_dscnt 0x0
	s_delay_alu instid0(VALU_DEP_1) | instskip(SKIP_1) | instid1(VALU_DEP_1)
	v_fmac_f64_e32 v[130:131], v[102:103], v[104:105]
	s_wait_loadcnt 0x0
	v_fmac_f64_e32 v[130:131], v[120:121], v[106:107]
	s_delay_alu instid0(VALU_DEP_1)
	v_add_f64_e64 v[2:3], v[94:95], -v[130:131]
	scratch_store_b64 off, v[2:3], off offset:96
	s_wait_xcnt 0x0
	v_cmpx_lt_u32_e32 11, v0
	s_cbranch_execz .LBB108_257
; %bb.256:
	scratch_load_b64 v[2:3], off, off offset:88
	v_mov_b64_e32 v[94:95], 0
	scratch_store_b64 off, v[94:95], off offset:88
	s_wait_loadcnt 0x0
	ds_store_b64 v1, v[2:3]
.LBB108_257:
	s_wait_xcnt 0x0
	s_or_b32 exec_lo, exec_lo, s0
	s_wait_storecnt_dscnt 0x0
	s_barrier_signal -1
	s_barrier_wait -1
	s_clause 0x5
	scratch_load_b128 v[94:97], off, off offset:88
	scratch_load_b128 v[98:101], off, off offset:104
	;; [unrolled: 1-line block ×6, first 2 shown]
	v_mov_b32_e32 v2, 0
	ds_load_b128 v[118:121], v2 offset:464
	ds_load_b128 v[122:125], v2 offset:480
	scratch_load_b128 v[126:129], off, off offset:184
	s_mov_b32 s0, exec_lo
	s_wait_loadcnt_dscnt 0x601
	v_fma_f64 v[130:131], v[96:97], v[118:119], 0
	s_wait_loadcnt 0x5
	s_delay_alu instid0(VALU_DEP_1) | instskip(SKIP_4) | instid1(VALU_DEP_1)
	v_fmac_f64_e32 v[130:131], v[98:99], v[120:121]
	scratch_load_b128 v[96:99], off, off offset:200
	s_wait_dscnt 0x0
	v_fmac_f64_e32 v[130:131], v[100:101], v[122:123]
	s_wait_loadcnt 0x5
	v_fmac_f64_e32 v[130:131], v[102:103], v[124:125]
	ds_load_b128 v[100:103], v2 offset:496
	ds_load_b128 v[118:121], v2 offset:512
	scratch_load_b128 v[122:125], off, off offset:216
	s_wait_dscnt 0x1
	v_fmac_f64_e32 v[130:131], v[104:105], v[100:101]
	s_wait_loadcnt 0x5
	s_delay_alu instid0(VALU_DEP_1) | instskip(SKIP_4) | instid1(VALU_DEP_1)
	v_fmac_f64_e32 v[130:131], v[106:107], v[102:103]
	scratch_load_b128 v[100:103], off, off offset:232
	s_wait_dscnt 0x0
	v_fmac_f64_e32 v[130:131], v[108:109], v[118:119]
	s_wait_loadcnt 0x5
	v_fmac_f64_e32 v[130:131], v[110:111], v[120:121]
	ds_load_b128 v[104:107], v2 offset:528
	ds_load_b128 v[108:111], v2 offset:544
	scratch_load_b128 v[118:121], off, off offset:248
	s_wait_dscnt 0x1
	v_fmac_f64_e32 v[130:131], v[112:113], v[104:105]
	s_wait_loadcnt 0x5
	s_delay_alu instid0(VALU_DEP_1) | instskip(SKIP_4) | instid1(VALU_DEP_1)
	v_fmac_f64_e32 v[130:131], v[114:115], v[106:107]
	scratch_load_b128 v[104:107], off, off offset:264
	s_wait_dscnt 0x0
	v_fmac_f64_e32 v[130:131], v[116:117], v[108:109]
	s_wait_loadcnt 0x5
	v_fmac_f64_e32 v[130:131], v[126:127], v[110:111]
	ds_load_b128 v[108:111], v2 offset:560
	ds_load_b128 v[112:115], v2 offset:576
	s_wait_dscnt 0x1
	v_fmac_f64_e32 v[130:131], v[128:129], v[108:109]
	s_wait_loadcnt 0x4
	s_delay_alu instid0(VALU_DEP_1)
	v_fmac_f64_e32 v[130:131], v[96:97], v[110:111]
	scratch_load_b128 v[108:111], off, off offset:280
	s_wait_dscnt 0x0
	v_fmac_f64_e32 v[130:131], v[98:99], v[112:113]
	scratch_load_b128 v[96:99], off, off offset:296
	s_wait_loadcnt 0x5
	v_fmac_f64_e32 v[130:131], v[122:123], v[114:115]
	ds_load_b128 v[112:115], v2 offset:592
	ds_load_b128 v[126:129], v2 offset:608
	s_wait_dscnt 0x1
	v_fmac_f64_e32 v[130:131], v[124:125], v[112:113]
	s_wait_loadcnt 0x4
	s_delay_alu instid0(VALU_DEP_1)
	v_fmac_f64_e32 v[130:131], v[100:101], v[114:115]
	scratch_load_b128 v[112:115], off, off offset:312
	s_wait_dscnt 0x0
	v_fmac_f64_e32 v[130:131], v[102:103], v[126:127]
	scratch_load_b128 v[100:103], off, off offset:328
	s_wait_loadcnt 0x5
	v_fmac_f64_e32 v[130:131], v[118:119], v[128:129]
	ds_load_b128 v[116:119], v2 offset:624
	ds_load_b128 v[122:125], v2 offset:640
	s_wait_dscnt 0x1
	v_fmac_f64_e32 v[130:131], v[120:121], v[116:117]
	s_wait_loadcnt 0x4
	s_delay_alu instid0(VALU_DEP_1)
	v_fmac_f64_e32 v[130:131], v[104:105], v[118:119]
	scratch_load_b128 v[116:119], off, off offset:344
	s_wait_dscnt 0x0
	v_fmac_f64_e32 v[130:131], v[106:107], v[122:123]
	ds_load_b128 v[104:107], v2 offset:656
	ds_load_b128 v[120:123], v2 offset:672
	s_wait_loadcnt 0x4
	v_fmac_f64_e32 v[130:131], v[108:109], v[124:125]
	s_wait_dscnt 0x1
	s_delay_alu instid0(VALU_DEP_1) | instskip(SKIP_1) | instid1(VALU_DEP_1)
	v_fmac_f64_e32 v[130:131], v[110:111], v[104:105]
	s_wait_loadcnt 0x3
	v_fmac_f64_e32 v[130:131], v[96:97], v[106:107]
	s_wait_dscnt 0x0
	s_delay_alu instid0(VALU_DEP_1)
	v_fmac_f64_e32 v[130:131], v[98:99], v[120:121]
	ds_load_b128 v[96:99], v2 offset:688
	ds_load_b128 v[104:107], v2 offset:704
	s_wait_loadcnt 0x2
	v_fmac_f64_e32 v[130:131], v[112:113], v[122:123]
	s_wait_dscnt 0x1
	s_delay_alu instid0(VALU_DEP_1) | instskip(SKIP_4) | instid1(VALU_DEP_1)
	v_fmac_f64_e32 v[130:131], v[114:115], v[96:97]
	ds_load_b64 v[96:97], v2 offset:720
	s_wait_loadcnt 0x1
	v_fmac_f64_e32 v[130:131], v[100:101], v[98:99]
	s_wait_dscnt 0x1
	v_fmac_f64_e32 v[130:131], v[102:103], v[104:105]
	s_wait_loadcnt 0x0
	s_delay_alu instid0(VALU_DEP_1) | instskip(SKIP_1) | instid1(VALU_DEP_1)
	v_fmac_f64_e32 v[130:131], v[116:117], v[106:107]
	s_wait_dscnt 0x0
	v_fmac_f64_e32 v[130:131], v[118:119], v[96:97]
	s_delay_alu instid0(VALU_DEP_1)
	v_add_f64_e64 v[94:95], v[94:95], -v[130:131]
	scratch_store_b64 off, v[94:95], off offset:88
	s_wait_xcnt 0x0
	v_cmpx_lt_u32_e32 10, v0
	s_cbranch_execz .LBB108_259
; %bb.258:
	scratch_load_b64 v[94:95], off, off offset:80
	v_mov_b64_e32 v[96:97], 0
	scratch_store_b64 off, v[96:97], off offset:80
	s_wait_loadcnt 0x0
	ds_store_b64 v1, v[94:95]
.LBB108_259:
	s_wait_xcnt 0x0
	s_or_b32 exec_lo, exec_lo, s0
	s_wait_storecnt_dscnt 0x0
	s_barrier_signal -1
	s_barrier_wait -1
	s_clause 0x5
	scratch_load_b128 v[94:97], off, off offset:80
	scratch_load_b128 v[98:101], off, off offset:96
	scratch_load_b128 v[102:105], off, off offset:112
	scratch_load_b128 v[106:109], off, off offset:128
	scratch_load_b128 v[110:113], off, off offset:144
	scratch_load_b128 v[114:117], off, off offset:160
	ds_load_2addr_b64 v[118:121], v2 offset0:57 offset1:58
	ds_load_2addr_b64 v[122:125], v2 offset0:59 offset1:60
	scratch_load_b128 v[126:129], off, off offset:176
	s_mov_b32 s0, exec_lo
	s_wait_loadcnt_dscnt 0x601
	v_fma_f64 v[130:131], v[96:97], v[118:119], 0
	s_wait_loadcnt 0x5
	s_delay_alu instid0(VALU_DEP_1) | instskip(SKIP_4) | instid1(VALU_DEP_1)
	v_fmac_f64_e32 v[130:131], v[98:99], v[120:121]
	scratch_load_b128 v[96:99], off, off offset:192
	s_wait_dscnt 0x0
	v_fmac_f64_e32 v[130:131], v[100:101], v[122:123]
	s_wait_loadcnt 0x5
	v_fmac_f64_e32 v[130:131], v[102:103], v[124:125]
	ds_load_2addr_b64 v[100:103], v2 offset0:61 offset1:62
	ds_load_2addr_b64 v[118:121], v2 offset0:63 offset1:64
	scratch_load_b128 v[122:125], off, off offset:208
	s_wait_dscnt 0x1
	v_fmac_f64_e32 v[130:131], v[104:105], v[100:101]
	s_wait_loadcnt 0x5
	s_delay_alu instid0(VALU_DEP_1) | instskip(SKIP_4) | instid1(VALU_DEP_1)
	v_fmac_f64_e32 v[130:131], v[106:107], v[102:103]
	scratch_load_b128 v[100:103], off, off offset:224
	s_wait_dscnt 0x0
	v_fmac_f64_e32 v[130:131], v[108:109], v[118:119]
	s_wait_loadcnt 0x5
	v_fmac_f64_e32 v[130:131], v[110:111], v[120:121]
	ds_load_2addr_b64 v[104:107], v2 offset0:65 offset1:66
	ds_load_2addr_b64 v[108:111], v2 offset0:67 offset1:68
	scratch_load_b128 v[118:121], off, off offset:240
	s_wait_dscnt 0x1
	v_fmac_f64_e32 v[130:131], v[112:113], v[104:105]
	s_wait_loadcnt 0x5
	s_delay_alu instid0(VALU_DEP_1) | instskip(SKIP_4) | instid1(VALU_DEP_1)
	v_fmac_f64_e32 v[130:131], v[114:115], v[106:107]
	scratch_load_b128 v[104:107], off, off offset:256
	s_wait_dscnt 0x0
	v_fmac_f64_e32 v[130:131], v[116:117], v[108:109]
	s_wait_loadcnt 0x5
	v_fmac_f64_e32 v[130:131], v[126:127], v[110:111]
	ds_load_2addr_b64 v[108:111], v2 offset0:69 offset1:70
	ds_load_2addr_b64 v[112:115], v2 offset0:71 offset1:72
	s_wait_dscnt 0x1
	v_fmac_f64_e32 v[130:131], v[128:129], v[108:109]
	scratch_load_b128 v[126:129], off, off offset:272
	s_wait_loadcnt 0x5
	v_fmac_f64_e32 v[130:131], v[96:97], v[110:111]
	s_wait_dscnt 0x0
	s_delay_alu instid0(VALU_DEP_1)
	v_fmac_f64_e32 v[130:131], v[98:99], v[112:113]
	scratch_load_b128 v[96:99], off, off offset:288
	s_wait_loadcnt 0x5
	v_fmac_f64_e32 v[130:131], v[122:123], v[114:115]
	ds_load_2addr_b64 v[108:111], v2 offset0:73 offset1:74
	ds_load_2addr_b64 v[112:115], v2 offset0:75 offset1:76
	s_wait_dscnt 0x1
	v_fmac_f64_e32 v[130:131], v[124:125], v[108:109]
	s_wait_loadcnt 0x4
	s_delay_alu instid0(VALU_DEP_1)
	v_fmac_f64_e32 v[130:131], v[100:101], v[110:111]
	scratch_load_b128 v[108:111], off, off offset:304
	s_wait_dscnt 0x0
	v_fmac_f64_e32 v[130:131], v[102:103], v[112:113]
	scratch_load_b128 v[100:103], off, off offset:320
	s_wait_loadcnt 0x5
	v_fmac_f64_e32 v[130:131], v[118:119], v[114:115]
	ds_load_2addr_b64 v[112:115], v2 offset0:77 offset1:78
	ds_load_2addr_b64 v[116:119], v2 offset0:79 offset1:80
	s_wait_dscnt 0x1
	v_fmac_f64_e32 v[130:131], v[120:121], v[112:113]
	scratch_load_b64 v[120:121], off, off offset:352
	s_wait_loadcnt 0x5
	v_fmac_f64_e32 v[130:131], v[104:105], v[114:115]
	scratch_load_b128 v[112:115], off, off offset:336
	s_wait_dscnt 0x0
	v_fmac_f64_e32 v[130:131], v[106:107], v[116:117]
	s_wait_loadcnt 0x5
	s_delay_alu instid0(VALU_DEP_1)
	v_fmac_f64_e32 v[130:131], v[126:127], v[118:119]
	ds_load_2addr_b64 v[104:107], v2 offset0:81 offset1:82
	ds_load_2addr_b64 v[116:119], v2 offset0:83 offset1:84
	s_wait_dscnt 0x1
	v_fmac_f64_e32 v[130:131], v[128:129], v[104:105]
	s_wait_loadcnt 0x4
	s_delay_alu instid0(VALU_DEP_1) | instskip(SKIP_1) | instid1(VALU_DEP_1)
	v_fmac_f64_e32 v[130:131], v[96:97], v[106:107]
	s_wait_dscnt 0x0
	v_fmac_f64_e32 v[130:131], v[98:99], v[116:117]
	ds_load_2addr_b64 v[96:99], v2 offset0:85 offset1:86
	ds_load_2addr_b64 v[104:107], v2 offset0:87 offset1:88
	s_wait_loadcnt 0x3
	v_fmac_f64_e32 v[130:131], v[108:109], v[118:119]
	s_wait_dscnt 0x1
	s_delay_alu instid0(VALU_DEP_1) | instskip(SKIP_1) | instid1(VALU_DEP_1)
	v_fmac_f64_e32 v[130:131], v[110:111], v[96:97]
	s_wait_loadcnt 0x2
	v_fmac_f64_e32 v[130:131], v[100:101], v[98:99]
	ds_load_2addr_b64 v[96:99], v2 offset0:89 offset1:90
	s_wait_dscnt 0x1
	v_fmac_f64_e32 v[130:131], v[102:103], v[104:105]
	s_wait_loadcnt 0x0
	s_delay_alu instid0(VALU_DEP_1) | instskip(SKIP_1) | instid1(VALU_DEP_1)
	v_fmac_f64_e32 v[130:131], v[112:113], v[106:107]
	s_wait_dscnt 0x0
	v_fmac_f64_e32 v[130:131], v[114:115], v[96:97]
	s_delay_alu instid0(VALU_DEP_1) | instskip(NEXT) | instid1(VALU_DEP_1)
	v_fmac_f64_e32 v[130:131], v[120:121], v[98:99]
	v_add_f64_e64 v[2:3], v[94:95], -v[130:131]
	scratch_store_b64 off, v[2:3], off offset:80
	s_wait_xcnt 0x0
	v_cmpx_lt_u32_e32 9, v0
	s_cbranch_execz .LBB108_261
; %bb.260:
	scratch_load_b64 v[2:3], off, off offset:72
	v_mov_b64_e32 v[94:95], 0
	scratch_store_b64 off, v[94:95], off offset:72
	s_wait_loadcnt 0x0
	ds_store_b64 v1, v[2:3]
.LBB108_261:
	s_wait_xcnt 0x0
	s_or_b32 exec_lo, exec_lo, s0
	s_wait_storecnt_dscnt 0x0
	s_barrier_signal -1
	s_barrier_wait -1
	s_clause 0x5
	scratch_load_b128 v[94:97], off, off offset:72
	scratch_load_b128 v[98:101], off, off offset:88
	;; [unrolled: 1-line block ×6, first 2 shown]
	v_mov_b32_e32 v2, 0
	ds_load_b128 v[118:121], v2 offset:448
	ds_load_b128 v[122:125], v2 offset:464
	scratch_load_b128 v[126:129], off, off offset:168
	s_mov_b32 s0, exec_lo
	s_wait_loadcnt_dscnt 0x601
	v_fma_f64 v[130:131], v[96:97], v[118:119], 0
	s_wait_loadcnt 0x5
	s_delay_alu instid0(VALU_DEP_1) | instskip(SKIP_4) | instid1(VALU_DEP_1)
	v_fmac_f64_e32 v[130:131], v[98:99], v[120:121]
	scratch_load_b128 v[96:99], off, off offset:184
	s_wait_dscnt 0x0
	v_fmac_f64_e32 v[130:131], v[100:101], v[122:123]
	s_wait_loadcnt 0x5
	v_fmac_f64_e32 v[130:131], v[102:103], v[124:125]
	ds_load_b128 v[100:103], v2 offset:480
	ds_load_b128 v[118:121], v2 offset:496
	scratch_load_b128 v[122:125], off, off offset:200
	s_wait_dscnt 0x1
	v_fmac_f64_e32 v[130:131], v[104:105], v[100:101]
	s_wait_loadcnt 0x5
	s_delay_alu instid0(VALU_DEP_1) | instskip(SKIP_4) | instid1(VALU_DEP_1)
	v_fmac_f64_e32 v[130:131], v[106:107], v[102:103]
	scratch_load_b128 v[100:103], off, off offset:216
	s_wait_dscnt 0x0
	v_fmac_f64_e32 v[130:131], v[108:109], v[118:119]
	s_wait_loadcnt 0x5
	v_fmac_f64_e32 v[130:131], v[110:111], v[120:121]
	ds_load_b128 v[104:107], v2 offset:512
	ds_load_b128 v[108:111], v2 offset:528
	scratch_load_b128 v[118:121], off, off offset:232
	s_wait_dscnt 0x1
	v_fmac_f64_e32 v[130:131], v[112:113], v[104:105]
	s_wait_loadcnt 0x5
	s_delay_alu instid0(VALU_DEP_1) | instskip(SKIP_4) | instid1(VALU_DEP_1)
	v_fmac_f64_e32 v[130:131], v[114:115], v[106:107]
	scratch_load_b128 v[104:107], off, off offset:248
	s_wait_dscnt 0x0
	v_fmac_f64_e32 v[130:131], v[116:117], v[108:109]
	s_wait_loadcnt 0x5
	v_fmac_f64_e32 v[130:131], v[126:127], v[110:111]
	ds_load_b128 v[108:111], v2 offset:544
	ds_load_b128 v[112:115], v2 offset:560
	s_wait_dscnt 0x1
	v_fmac_f64_e32 v[130:131], v[128:129], v[108:109]
	scratch_load_b128 v[126:129], off, off offset:264
	s_wait_loadcnt 0x5
	v_fmac_f64_e32 v[130:131], v[96:97], v[110:111]
	s_wait_dscnt 0x0
	s_delay_alu instid0(VALU_DEP_1)
	v_fmac_f64_e32 v[130:131], v[98:99], v[112:113]
	scratch_load_b128 v[96:99], off, off offset:280
	s_wait_loadcnt 0x5
	v_fmac_f64_e32 v[130:131], v[122:123], v[114:115]
	ds_load_b128 v[108:111], v2 offset:576
	ds_load_b128 v[112:115], v2 offset:592
	s_wait_dscnt 0x1
	v_fmac_f64_e32 v[130:131], v[124:125], v[108:109]
	s_wait_loadcnt 0x4
	s_delay_alu instid0(VALU_DEP_1)
	v_fmac_f64_e32 v[130:131], v[100:101], v[110:111]
	scratch_load_b128 v[108:111], off, off offset:296
	s_wait_dscnt 0x0
	v_fmac_f64_e32 v[130:131], v[102:103], v[112:113]
	scratch_load_b128 v[100:103], off, off offset:312
	s_wait_loadcnt 0x5
	v_fmac_f64_e32 v[130:131], v[118:119], v[114:115]
	ds_load_b128 v[112:115], v2 offset:608
	ds_load_b128 v[116:119], v2 offset:624
	s_wait_dscnt 0x1
	v_fmac_f64_e32 v[130:131], v[120:121], v[112:113]
	s_wait_loadcnt 0x4
	s_delay_alu instid0(VALU_DEP_1)
	v_fmac_f64_e32 v[130:131], v[104:105], v[114:115]
	scratch_load_b128 v[112:115], off, off offset:328
	s_wait_dscnt 0x0
	v_fmac_f64_e32 v[130:131], v[106:107], v[116:117]
	scratch_load_b128 v[104:107], off, off offset:344
	s_wait_loadcnt 0x5
	v_fmac_f64_e32 v[130:131], v[126:127], v[118:119]
	ds_load_b128 v[116:119], v2 offset:640
	ds_load_b128 v[120:123], v2 offset:656
	s_wait_dscnt 0x1
	v_fmac_f64_e32 v[130:131], v[128:129], v[116:117]
	s_wait_loadcnt 0x4
	s_delay_alu instid0(VALU_DEP_1) | instskip(SKIP_1) | instid1(VALU_DEP_1)
	v_fmac_f64_e32 v[130:131], v[96:97], v[118:119]
	s_wait_dscnt 0x0
	v_fmac_f64_e32 v[130:131], v[98:99], v[120:121]
	ds_load_b128 v[96:99], v2 offset:672
	ds_load_b128 v[116:119], v2 offset:688
	s_wait_loadcnt 0x3
	v_fmac_f64_e32 v[130:131], v[108:109], v[122:123]
	s_wait_dscnt 0x1
	s_delay_alu instid0(VALU_DEP_1) | instskip(SKIP_1) | instid1(VALU_DEP_1)
	v_fmac_f64_e32 v[130:131], v[110:111], v[96:97]
	s_wait_loadcnt 0x2
	v_fmac_f64_e32 v[130:131], v[100:101], v[98:99]
	ds_load_b128 v[96:99], v2 offset:704
	ds_load_b64 v[100:101], v2 offset:720
	s_wait_dscnt 0x2
	v_fmac_f64_e32 v[130:131], v[102:103], v[116:117]
	s_wait_loadcnt 0x1
	s_delay_alu instid0(VALU_DEP_1) | instskip(SKIP_1) | instid1(VALU_DEP_1)
	v_fmac_f64_e32 v[130:131], v[112:113], v[118:119]
	s_wait_dscnt 0x1
	v_fmac_f64_e32 v[130:131], v[114:115], v[96:97]
	s_wait_loadcnt 0x0
	s_delay_alu instid0(VALU_DEP_1) | instskip(SKIP_1) | instid1(VALU_DEP_1)
	v_fmac_f64_e32 v[130:131], v[104:105], v[98:99]
	s_wait_dscnt 0x0
	v_fmac_f64_e32 v[130:131], v[106:107], v[100:101]
	s_delay_alu instid0(VALU_DEP_1)
	v_add_f64_e64 v[94:95], v[94:95], -v[130:131]
	scratch_store_b64 off, v[94:95], off offset:72
	s_wait_xcnt 0x0
	v_cmpx_lt_u32_e32 8, v0
	s_cbranch_execz .LBB108_263
; %bb.262:
	scratch_load_b64 v[94:95], off, off offset:64
	v_mov_b64_e32 v[96:97], 0
	scratch_store_b64 off, v[96:97], off offset:64
	s_wait_loadcnt 0x0
	ds_store_b64 v1, v[94:95]
.LBB108_263:
	s_wait_xcnt 0x0
	s_or_b32 exec_lo, exec_lo, s0
	s_wait_storecnt_dscnt 0x0
	s_barrier_signal -1
	s_barrier_wait -1
	s_clause 0x5
	scratch_load_b128 v[94:97], off, off offset:64
	scratch_load_b128 v[98:101], off, off offset:80
	;; [unrolled: 1-line block ×6, first 2 shown]
	ds_load_2addr_b64 v[118:121], v2 offset0:55 offset1:56
	ds_load_2addr_b64 v[122:125], v2 offset0:57 offset1:58
	scratch_load_b128 v[126:129], off, off offset:160
	s_mov_b32 s0, exec_lo
	s_wait_loadcnt_dscnt 0x601
	v_fma_f64 v[130:131], v[96:97], v[118:119], 0
	s_wait_loadcnt 0x5
	s_delay_alu instid0(VALU_DEP_1) | instskip(SKIP_4) | instid1(VALU_DEP_1)
	v_fmac_f64_e32 v[130:131], v[98:99], v[120:121]
	scratch_load_b128 v[96:99], off, off offset:176
	s_wait_dscnt 0x0
	v_fmac_f64_e32 v[130:131], v[100:101], v[122:123]
	s_wait_loadcnt 0x5
	v_fmac_f64_e32 v[130:131], v[102:103], v[124:125]
	ds_load_2addr_b64 v[100:103], v2 offset0:59 offset1:60
	ds_load_2addr_b64 v[118:121], v2 offset0:61 offset1:62
	scratch_load_b128 v[122:125], off, off offset:192
	s_wait_dscnt 0x1
	v_fmac_f64_e32 v[130:131], v[104:105], v[100:101]
	s_wait_loadcnt 0x5
	s_delay_alu instid0(VALU_DEP_1) | instskip(SKIP_4) | instid1(VALU_DEP_1)
	v_fmac_f64_e32 v[130:131], v[106:107], v[102:103]
	scratch_load_b128 v[100:103], off, off offset:208
	s_wait_dscnt 0x0
	v_fmac_f64_e32 v[130:131], v[108:109], v[118:119]
	s_wait_loadcnt 0x5
	v_fmac_f64_e32 v[130:131], v[110:111], v[120:121]
	ds_load_2addr_b64 v[104:107], v2 offset0:63 offset1:64
	ds_load_2addr_b64 v[108:111], v2 offset0:65 offset1:66
	scratch_load_b128 v[118:121], off, off offset:224
	s_wait_dscnt 0x1
	v_fmac_f64_e32 v[130:131], v[112:113], v[104:105]
	s_wait_loadcnt 0x5
	s_delay_alu instid0(VALU_DEP_1) | instskip(SKIP_4) | instid1(VALU_DEP_1)
	v_fmac_f64_e32 v[130:131], v[114:115], v[106:107]
	scratch_load_b128 v[104:107], off, off offset:240
	s_wait_dscnt 0x0
	v_fmac_f64_e32 v[130:131], v[116:117], v[108:109]
	s_wait_loadcnt 0x5
	v_fmac_f64_e32 v[130:131], v[126:127], v[110:111]
	ds_load_2addr_b64 v[108:111], v2 offset0:67 offset1:68
	ds_load_2addr_b64 v[112:115], v2 offset0:69 offset1:70
	s_wait_dscnt 0x1
	v_fmac_f64_e32 v[130:131], v[128:129], v[108:109]
	scratch_load_b128 v[126:129], off, off offset:256
	s_wait_loadcnt 0x5
	v_fmac_f64_e32 v[130:131], v[96:97], v[110:111]
	s_wait_dscnt 0x0
	s_delay_alu instid0(VALU_DEP_1)
	v_fmac_f64_e32 v[130:131], v[98:99], v[112:113]
	scratch_load_b128 v[96:99], off, off offset:272
	s_wait_loadcnt 0x5
	v_fmac_f64_e32 v[130:131], v[122:123], v[114:115]
	ds_load_2addr_b64 v[108:111], v2 offset0:71 offset1:72
	ds_load_2addr_b64 v[112:115], v2 offset0:73 offset1:74
	s_wait_dscnt 0x1
	v_fmac_f64_e32 v[130:131], v[124:125], v[108:109]
	s_wait_loadcnt 0x4
	s_delay_alu instid0(VALU_DEP_1)
	v_fmac_f64_e32 v[130:131], v[100:101], v[110:111]
	scratch_load_b128 v[108:111], off, off offset:288
	s_wait_dscnt 0x0
	v_fmac_f64_e32 v[130:131], v[102:103], v[112:113]
	scratch_load_b128 v[100:103], off, off offset:304
	s_wait_loadcnt 0x5
	v_fmac_f64_e32 v[130:131], v[118:119], v[114:115]
	ds_load_2addr_b64 v[112:115], v2 offset0:75 offset1:76
	ds_load_2addr_b64 v[116:119], v2 offset0:77 offset1:78
	s_wait_dscnt 0x1
	v_fmac_f64_e32 v[130:131], v[120:121], v[112:113]
	s_wait_loadcnt 0x4
	s_delay_alu instid0(VALU_DEP_1)
	v_fmac_f64_e32 v[130:131], v[104:105], v[114:115]
	scratch_load_b128 v[112:115], off, off offset:320
	s_wait_dscnt 0x0
	v_fmac_f64_e32 v[130:131], v[106:107], v[116:117]
	scratch_load_b128 v[104:107], off, off offset:336
	s_wait_loadcnt 0x5
	v_fmac_f64_e32 v[130:131], v[126:127], v[118:119]
	ds_load_2addr_b64 v[116:119], v2 offset0:79 offset1:80
	ds_load_2addr_b64 v[120:123], v2 offset0:81 offset1:82
	scratch_load_b64 v[124:125], off, off offset:352
	s_wait_dscnt 0x1
	v_fmac_f64_e32 v[130:131], v[128:129], v[116:117]
	s_wait_loadcnt 0x5
	s_delay_alu instid0(VALU_DEP_1) | instskip(SKIP_1) | instid1(VALU_DEP_1)
	v_fmac_f64_e32 v[130:131], v[96:97], v[118:119]
	s_wait_dscnt 0x0
	v_fmac_f64_e32 v[130:131], v[98:99], v[120:121]
	ds_load_2addr_b64 v[96:99], v2 offset0:83 offset1:84
	ds_load_2addr_b64 v[116:119], v2 offset0:85 offset1:86
	s_wait_loadcnt 0x4
	v_fmac_f64_e32 v[130:131], v[108:109], v[122:123]
	s_wait_dscnt 0x1
	s_delay_alu instid0(VALU_DEP_1) | instskip(SKIP_1) | instid1(VALU_DEP_1)
	v_fmac_f64_e32 v[130:131], v[110:111], v[96:97]
	s_wait_loadcnt 0x3
	v_fmac_f64_e32 v[130:131], v[100:101], v[98:99]
	s_wait_dscnt 0x0
	s_delay_alu instid0(VALU_DEP_1)
	v_fmac_f64_e32 v[130:131], v[102:103], v[116:117]
	ds_load_2addr_b64 v[96:99], v2 offset0:87 offset1:88
	ds_load_2addr_b64 v[100:103], v2 offset0:89 offset1:90
	s_wait_loadcnt 0x2
	v_fmac_f64_e32 v[130:131], v[112:113], v[118:119]
	s_wait_dscnt 0x1
	s_delay_alu instid0(VALU_DEP_1) | instskip(SKIP_1) | instid1(VALU_DEP_1)
	v_fmac_f64_e32 v[130:131], v[114:115], v[96:97]
	s_wait_loadcnt 0x1
	v_fmac_f64_e32 v[130:131], v[104:105], v[98:99]
	s_wait_dscnt 0x0
	s_delay_alu instid0(VALU_DEP_1) | instskip(SKIP_1) | instid1(VALU_DEP_1)
	v_fmac_f64_e32 v[130:131], v[106:107], v[100:101]
	s_wait_loadcnt 0x0
	v_fmac_f64_e32 v[130:131], v[124:125], v[102:103]
	s_delay_alu instid0(VALU_DEP_1)
	v_add_f64_e64 v[2:3], v[94:95], -v[130:131]
	scratch_store_b64 off, v[2:3], off offset:64
	s_wait_xcnt 0x0
	v_cmpx_lt_u32_e32 7, v0
	s_cbranch_execz .LBB108_265
; %bb.264:
	scratch_load_b64 v[2:3], off, off offset:56
	v_mov_b64_e32 v[94:95], 0
	scratch_store_b64 off, v[94:95], off offset:56
	s_wait_loadcnt 0x0
	ds_store_b64 v1, v[2:3]
.LBB108_265:
	s_wait_xcnt 0x0
	s_or_b32 exec_lo, exec_lo, s0
	s_wait_storecnt_dscnt 0x0
	s_barrier_signal -1
	s_barrier_wait -1
	s_clause 0x5
	scratch_load_b128 v[94:97], off, off offset:56
	scratch_load_b128 v[98:101], off, off offset:72
	;; [unrolled: 1-line block ×6, first 2 shown]
	v_mov_b32_e32 v2, 0
	ds_load_b128 v[118:121], v2 offset:432
	ds_load_b128 v[122:125], v2 offset:448
	scratch_load_b128 v[126:129], off, off offset:152
	s_mov_b32 s0, exec_lo
	s_wait_loadcnt_dscnt 0x601
	v_fma_f64 v[130:131], v[96:97], v[118:119], 0
	s_wait_loadcnt 0x5
	s_delay_alu instid0(VALU_DEP_1) | instskip(SKIP_4) | instid1(VALU_DEP_1)
	v_fmac_f64_e32 v[130:131], v[98:99], v[120:121]
	scratch_load_b128 v[96:99], off, off offset:168
	s_wait_dscnt 0x0
	v_fmac_f64_e32 v[130:131], v[100:101], v[122:123]
	s_wait_loadcnt 0x5
	v_fmac_f64_e32 v[130:131], v[102:103], v[124:125]
	ds_load_b128 v[100:103], v2 offset:464
	ds_load_b128 v[118:121], v2 offset:480
	scratch_load_b128 v[122:125], off, off offset:184
	s_wait_dscnt 0x1
	v_fmac_f64_e32 v[130:131], v[104:105], v[100:101]
	s_wait_loadcnt 0x5
	s_delay_alu instid0(VALU_DEP_1) | instskip(SKIP_4) | instid1(VALU_DEP_1)
	v_fmac_f64_e32 v[130:131], v[106:107], v[102:103]
	scratch_load_b128 v[100:103], off, off offset:200
	s_wait_dscnt 0x0
	v_fmac_f64_e32 v[130:131], v[108:109], v[118:119]
	s_wait_loadcnt 0x5
	v_fmac_f64_e32 v[130:131], v[110:111], v[120:121]
	ds_load_b128 v[104:107], v2 offset:496
	ds_load_b128 v[108:111], v2 offset:512
	scratch_load_b128 v[118:121], off, off offset:216
	s_wait_dscnt 0x1
	v_fmac_f64_e32 v[130:131], v[112:113], v[104:105]
	s_wait_loadcnt 0x5
	s_delay_alu instid0(VALU_DEP_1) | instskip(SKIP_4) | instid1(VALU_DEP_1)
	v_fmac_f64_e32 v[130:131], v[114:115], v[106:107]
	scratch_load_b128 v[104:107], off, off offset:232
	s_wait_dscnt 0x0
	v_fmac_f64_e32 v[130:131], v[116:117], v[108:109]
	s_wait_loadcnt 0x5
	v_fmac_f64_e32 v[130:131], v[126:127], v[110:111]
	ds_load_b128 v[108:111], v2 offset:528
	ds_load_b128 v[112:115], v2 offset:544
	s_wait_dscnt 0x1
	v_fmac_f64_e32 v[130:131], v[128:129], v[108:109]
	scratch_load_b128 v[126:129], off, off offset:248
	s_wait_loadcnt 0x5
	v_fmac_f64_e32 v[130:131], v[96:97], v[110:111]
	s_wait_dscnt 0x0
	s_delay_alu instid0(VALU_DEP_1)
	v_fmac_f64_e32 v[130:131], v[98:99], v[112:113]
	scratch_load_b128 v[96:99], off, off offset:264
	s_wait_loadcnt 0x5
	v_fmac_f64_e32 v[130:131], v[122:123], v[114:115]
	ds_load_b128 v[108:111], v2 offset:560
	ds_load_b128 v[112:115], v2 offset:576
	s_wait_dscnt 0x1
	v_fmac_f64_e32 v[130:131], v[124:125], v[108:109]
	s_wait_loadcnt 0x4
	s_delay_alu instid0(VALU_DEP_1)
	v_fmac_f64_e32 v[130:131], v[100:101], v[110:111]
	scratch_load_b128 v[108:111], off, off offset:280
	s_wait_dscnt 0x0
	v_fmac_f64_e32 v[130:131], v[102:103], v[112:113]
	scratch_load_b128 v[100:103], off, off offset:296
	s_wait_loadcnt 0x5
	v_fmac_f64_e32 v[130:131], v[118:119], v[114:115]
	ds_load_b128 v[112:115], v2 offset:592
	ds_load_b128 v[116:119], v2 offset:608
	s_wait_dscnt 0x1
	v_fmac_f64_e32 v[130:131], v[120:121], v[112:113]
	s_wait_loadcnt 0x4
	s_delay_alu instid0(VALU_DEP_1)
	v_fmac_f64_e32 v[130:131], v[104:105], v[114:115]
	scratch_load_b128 v[112:115], off, off offset:312
	s_wait_dscnt 0x0
	v_fmac_f64_e32 v[130:131], v[106:107], v[116:117]
	scratch_load_b128 v[104:107], off, off offset:328
	s_wait_loadcnt 0x5
	v_fmac_f64_e32 v[130:131], v[126:127], v[118:119]
	ds_load_b128 v[116:119], v2 offset:624
	ds_load_b128 v[120:123], v2 offset:640
	s_wait_dscnt 0x1
	v_fmac_f64_e32 v[130:131], v[128:129], v[116:117]
	s_wait_loadcnt 0x4
	s_delay_alu instid0(VALU_DEP_1) | instskip(SKIP_4) | instid1(VALU_DEP_1)
	v_fmac_f64_e32 v[130:131], v[96:97], v[118:119]
	scratch_load_b128 v[116:119], off, off offset:344
	s_wait_dscnt 0x0
	v_fmac_f64_e32 v[130:131], v[98:99], v[120:121]
	s_wait_loadcnt 0x4
	v_fmac_f64_e32 v[130:131], v[108:109], v[122:123]
	ds_load_b128 v[96:99], v2 offset:656
	ds_load_b128 v[120:123], v2 offset:672
	s_wait_dscnt 0x1
	v_fmac_f64_e32 v[130:131], v[110:111], v[96:97]
	s_wait_loadcnt 0x3
	s_delay_alu instid0(VALU_DEP_1) | instskip(SKIP_1) | instid1(VALU_DEP_1)
	v_fmac_f64_e32 v[130:131], v[100:101], v[98:99]
	s_wait_dscnt 0x0
	v_fmac_f64_e32 v[130:131], v[102:103], v[120:121]
	ds_load_b128 v[96:99], v2 offset:688
	ds_load_b128 v[100:103], v2 offset:704
	s_wait_loadcnt 0x2
	v_fmac_f64_e32 v[130:131], v[112:113], v[122:123]
	s_wait_dscnt 0x1
	s_delay_alu instid0(VALU_DEP_1) | instskip(SKIP_4) | instid1(VALU_DEP_1)
	v_fmac_f64_e32 v[130:131], v[114:115], v[96:97]
	ds_load_b64 v[96:97], v2 offset:720
	s_wait_loadcnt 0x1
	v_fmac_f64_e32 v[130:131], v[104:105], v[98:99]
	s_wait_dscnt 0x1
	v_fmac_f64_e32 v[130:131], v[106:107], v[100:101]
	s_wait_loadcnt 0x0
	s_delay_alu instid0(VALU_DEP_1) | instskip(SKIP_1) | instid1(VALU_DEP_1)
	v_fmac_f64_e32 v[130:131], v[116:117], v[102:103]
	s_wait_dscnt 0x0
	v_fmac_f64_e32 v[130:131], v[118:119], v[96:97]
	s_delay_alu instid0(VALU_DEP_1)
	v_add_f64_e64 v[94:95], v[94:95], -v[130:131]
	scratch_store_b64 off, v[94:95], off offset:56
	s_wait_xcnt 0x0
	v_cmpx_lt_u32_e32 6, v0
	s_cbranch_execz .LBB108_267
; %bb.266:
	scratch_load_b64 v[94:95], off, off offset:48
	v_mov_b64_e32 v[96:97], 0
	scratch_store_b64 off, v[96:97], off offset:48
	s_wait_loadcnt 0x0
	ds_store_b64 v1, v[94:95]
.LBB108_267:
	s_wait_xcnt 0x0
	s_or_b32 exec_lo, exec_lo, s0
	s_wait_storecnt_dscnt 0x0
	s_barrier_signal -1
	s_barrier_wait -1
	s_clause 0x5
	scratch_load_b128 v[94:97], off, off offset:48
	scratch_load_b128 v[98:101], off, off offset:64
	;; [unrolled: 1-line block ×6, first 2 shown]
	ds_load_2addr_b64 v[118:121], v2 offset0:53 offset1:54
	ds_load_2addr_b64 v[122:125], v2 offset0:55 offset1:56
	scratch_load_b128 v[126:129], off, off offset:144
	s_mov_b32 s0, exec_lo
	s_wait_loadcnt_dscnt 0x601
	v_fma_f64 v[130:131], v[96:97], v[118:119], 0
	s_wait_loadcnt 0x5
	s_delay_alu instid0(VALU_DEP_1) | instskip(SKIP_4) | instid1(VALU_DEP_1)
	v_fmac_f64_e32 v[130:131], v[98:99], v[120:121]
	scratch_load_b128 v[96:99], off, off offset:160
	s_wait_dscnt 0x0
	v_fmac_f64_e32 v[130:131], v[100:101], v[122:123]
	s_wait_loadcnt 0x5
	v_fmac_f64_e32 v[130:131], v[102:103], v[124:125]
	ds_load_2addr_b64 v[100:103], v2 offset0:57 offset1:58
	ds_load_2addr_b64 v[118:121], v2 offset0:59 offset1:60
	scratch_load_b128 v[122:125], off, off offset:176
	s_wait_dscnt 0x1
	v_fmac_f64_e32 v[130:131], v[104:105], v[100:101]
	s_wait_loadcnt 0x5
	s_delay_alu instid0(VALU_DEP_1) | instskip(SKIP_4) | instid1(VALU_DEP_1)
	v_fmac_f64_e32 v[130:131], v[106:107], v[102:103]
	scratch_load_b128 v[100:103], off, off offset:192
	s_wait_dscnt 0x0
	v_fmac_f64_e32 v[130:131], v[108:109], v[118:119]
	s_wait_loadcnt 0x5
	v_fmac_f64_e32 v[130:131], v[110:111], v[120:121]
	ds_load_2addr_b64 v[104:107], v2 offset0:61 offset1:62
	ds_load_2addr_b64 v[108:111], v2 offset0:63 offset1:64
	scratch_load_b128 v[118:121], off, off offset:208
	s_wait_dscnt 0x1
	v_fmac_f64_e32 v[130:131], v[112:113], v[104:105]
	s_wait_loadcnt 0x5
	s_delay_alu instid0(VALU_DEP_1) | instskip(SKIP_4) | instid1(VALU_DEP_1)
	v_fmac_f64_e32 v[130:131], v[114:115], v[106:107]
	scratch_load_b128 v[104:107], off, off offset:224
	s_wait_dscnt 0x0
	v_fmac_f64_e32 v[130:131], v[116:117], v[108:109]
	s_wait_loadcnt 0x5
	v_fmac_f64_e32 v[130:131], v[126:127], v[110:111]
	ds_load_2addr_b64 v[108:111], v2 offset0:65 offset1:66
	ds_load_2addr_b64 v[112:115], v2 offset0:67 offset1:68
	s_wait_dscnt 0x1
	v_fmac_f64_e32 v[130:131], v[128:129], v[108:109]
	scratch_load_b128 v[126:129], off, off offset:240
	s_wait_loadcnt 0x5
	v_fmac_f64_e32 v[130:131], v[96:97], v[110:111]
	s_wait_dscnt 0x0
	s_delay_alu instid0(VALU_DEP_1)
	v_fmac_f64_e32 v[130:131], v[98:99], v[112:113]
	scratch_load_b128 v[96:99], off, off offset:256
	s_wait_loadcnt 0x5
	v_fmac_f64_e32 v[130:131], v[122:123], v[114:115]
	ds_load_2addr_b64 v[108:111], v2 offset0:69 offset1:70
	ds_load_2addr_b64 v[112:115], v2 offset0:71 offset1:72
	s_wait_dscnt 0x1
	v_fmac_f64_e32 v[130:131], v[124:125], v[108:109]
	scratch_load_b128 v[122:125], off, off offset:272
	s_wait_loadcnt 0x5
	v_fmac_f64_e32 v[130:131], v[100:101], v[110:111]
	s_wait_dscnt 0x0
	s_delay_alu instid0(VALU_DEP_1)
	v_fmac_f64_e32 v[130:131], v[102:103], v[112:113]
	scratch_load_b128 v[100:103], off, off offset:288
	s_wait_loadcnt 0x5
	v_fmac_f64_e32 v[130:131], v[118:119], v[114:115]
	ds_load_2addr_b64 v[108:111], v2 offset0:73 offset1:74
	ds_load_2addr_b64 v[112:115], v2 offset0:75 offset1:76
	s_wait_dscnt 0x1
	v_fmac_f64_e32 v[130:131], v[120:121], v[108:109]
	s_wait_loadcnt 0x4
	s_delay_alu instid0(VALU_DEP_1)
	v_fmac_f64_e32 v[130:131], v[104:105], v[110:111]
	scratch_load_b128 v[108:111], off, off offset:304
	s_wait_dscnt 0x0
	v_fmac_f64_e32 v[130:131], v[106:107], v[112:113]
	scratch_load_b128 v[104:107], off, off offset:320
	s_wait_loadcnt 0x5
	v_fmac_f64_e32 v[130:131], v[126:127], v[114:115]
	ds_load_2addr_b64 v[112:115], v2 offset0:77 offset1:78
	ds_load_2addr_b64 v[116:119], v2 offset0:79 offset1:80
	scratch_load_b64 v[120:121], off, off offset:352
	s_wait_dscnt 0x1
	v_fmac_f64_e32 v[130:131], v[128:129], v[112:113]
	s_wait_loadcnt 0x5
	s_delay_alu instid0(VALU_DEP_1) | instskip(SKIP_4) | instid1(VALU_DEP_1)
	v_fmac_f64_e32 v[130:131], v[96:97], v[114:115]
	scratch_load_b128 v[112:115], off, off offset:336
	s_wait_dscnt 0x0
	v_fmac_f64_e32 v[130:131], v[98:99], v[116:117]
	s_wait_loadcnt 0x5
	v_fmac_f64_e32 v[130:131], v[122:123], v[118:119]
	ds_load_2addr_b64 v[96:99], v2 offset0:81 offset1:82
	ds_load_2addr_b64 v[116:119], v2 offset0:83 offset1:84
	s_wait_dscnt 0x1
	v_fmac_f64_e32 v[130:131], v[124:125], v[96:97]
	s_wait_loadcnt 0x4
	s_delay_alu instid0(VALU_DEP_1) | instskip(SKIP_1) | instid1(VALU_DEP_1)
	v_fmac_f64_e32 v[130:131], v[100:101], v[98:99]
	s_wait_dscnt 0x0
	v_fmac_f64_e32 v[130:131], v[102:103], v[116:117]
	ds_load_2addr_b64 v[96:99], v2 offset0:85 offset1:86
	ds_load_2addr_b64 v[100:103], v2 offset0:87 offset1:88
	s_wait_loadcnt 0x3
	v_fmac_f64_e32 v[130:131], v[108:109], v[118:119]
	s_wait_dscnt 0x1
	s_delay_alu instid0(VALU_DEP_1) | instskip(SKIP_1) | instid1(VALU_DEP_1)
	v_fmac_f64_e32 v[130:131], v[110:111], v[96:97]
	s_wait_loadcnt 0x2
	v_fmac_f64_e32 v[130:131], v[104:105], v[98:99]
	ds_load_2addr_b64 v[96:99], v2 offset0:89 offset1:90
	s_wait_dscnt 0x1
	v_fmac_f64_e32 v[130:131], v[106:107], v[100:101]
	s_wait_loadcnt 0x0
	s_delay_alu instid0(VALU_DEP_1) | instskip(SKIP_1) | instid1(VALU_DEP_1)
	v_fmac_f64_e32 v[130:131], v[112:113], v[102:103]
	s_wait_dscnt 0x0
	v_fmac_f64_e32 v[130:131], v[114:115], v[96:97]
	s_delay_alu instid0(VALU_DEP_1) | instskip(NEXT) | instid1(VALU_DEP_1)
	v_fmac_f64_e32 v[130:131], v[120:121], v[98:99]
	v_add_f64_e64 v[2:3], v[94:95], -v[130:131]
	scratch_store_b64 off, v[2:3], off offset:48
	s_wait_xcnt 0x0
	v_cmpx_lt_u32_e32 5, v0
	s_cbranch_execz .LBB108_269
; %bb.268:
	scratch_load_b64 v[2:3], off, off offset:40
	v_mov_b64_e32 v[94:95], 0
	scratch_store_b64 off, v[94:95], off offset:40
	s_wait_loadcnt 0x0
	ds_store_b64 v1, v[2:3]
.LBB108_269:
	s_wait_xcnt 0x0
	s_or_b32 exec_lo, exec_lo, s0
	s_wait_storecnt_dscnt 0x0
	s_barrier_signal -1
	s_barrier_wait -1
	s_clause 0x5
	scratch_load_b128 v[94:97], off, off offset:40
	scratch_load_b128 v[98:101], off, off offset:56
	;; [unrolled: 1-line block ×6, first 2 shown]
	v_mov_b32_e32 v2, 0
	ds_load_b128 v[118:121], v2 offset:416
	ds_load_b128 v[122:125], v2 offset:432
	scratch_load_b128 v[126:129], off, off offset:136
	s_mov_b32 s0, exec_lo
	s_wait_loadcnt_dscnt 0x601
	v_fma_f64 v[130:131], v[96:97], v[118:119], 0
	s_wait_loadcnt 0x5
	s_delay_alu instid0(VALU_DEP_1) | instskip(SKIP_4) | instid1(VALU_DEP_1)
	v_fmac_f64_e32 v[130:131], v[98:99], v[120:121]
	scratch_load_b128 v[96:99], off, off offset:152
	s_wait_dscnt 0x0
	v_fmac_f64_e32 v[130:131], v[100:101], v[122:123]
	s_wait_loadcnt 0x5
	v_fmac_f64_e32 v[130:131], v[102:103], v[124:125]
	ds_load_b128 v[100:103], v2 offset:448
	ds_load_b128 v[118:121], v2 offset:464
	scratch_load_b128 v[122:125], off, off offset:168
	s_wait_dscnt 0x1
	v_fmac_f64_e32 v[130:131], v[104:105], v[100:101]
	s_wait_loadcnt 0x5
	s_delay_alu instid0(VALU_DEP_1) | instskip(SKIP_4) | instid1(VALU_DEP_1)
	v_fmac_f64_e32 v[130:131], v[106:107], v[102:103]
	scratch_load_b128 v[100:103], off, off offset:184
	s_wait_dscnt 0x0
	v_fmac_f64_e32 v[130:131], v[108:109], v[118:119]
	s_wait_loadcnt 0x5
	v_fmac_f64_e32 v[130:131], v[110:111], v[120:121]
	ds_load_b128 v[104:107], v2 offset:480
	ds_load_b128 v[108:111], v2 offset:496
	scratch_load_b128 v[118:121], off, off offset:200
	s_wait_dscnt 0x1
	v_fmac_f64_e32 v[130:131], v[112:113], v[104:105]
	s_wait_loadcnt 0x5
	s_delay_alu instid0(VALU_DEP_1) | instskip(SKIP_4) | instid1(VALU_DEP_1)
	v_fmac_f64_e32 v[130:131], v[114:115], v[106:107]
	scratch_load_b128 v[104:107], off, off offset:216
	s_wait_dscnt 0x0
	v_fmac_f64_e32 v[130:131], v[116:117], v[108:109]
	s_wait_loadcnt 0x5
	v_fmac_f64_e32 v[130:131], v[126:127], v[110:111]
	ds_load_b128 v[108:111], v2 offset:512
	ds_load_b128 v[112:115], v2 offset:528
	s_wait_dscnt 0x1
	v_fmac_f64_e32 v[130:131], v[128:129], v[108:109]
	scratch_load_b128 v[126:129], off, off offset:232
	s_wait_loadcnt 0x5
	v_fmac_f64_e32 v[130:131], v[96:97], v[110:111]
	s_wait_dscnt 0x0
	s_delay_alu instid0(VALU_DEP_1)
	v_fmac_f64_e32 v[130:131], v[98:99], v[112:113]
	scratch_load_b128 v[96:99], off, off offset:248
	s_wait_loadcnt 0x5
	v_fmac_f64_e32 v[130:131], v[122:123], v[114:115]
	ds_load_b128 v[108:111], v2 offset:544
	ds_load_b128 v[112:115], v2 offset:560
	s_wait_dscnt 0x1
	v_fmac_f64_e32 v[130:131], v[124:125], v[108:109]
	scratch_load_b128 v[122:125], off, off offset:264
	s_wait_loadcnt 0x5
	v_fmac_f64_e32 v[130:131], v[100:101], v[110:111]
	s_wait_dscnt 0x0
	s_delay_alu instid0(VALU_DEP_1)
	v_fmac_f64_e32 v[130:131], v[102:103], v[112:113]
	scratch_load_b128 v[100:103], off, off offset:280
	s_wait_loadcnt 0x5
	v_fmac_f64_e32 v[130:131], v[118:119], v[114:115]
	ds_load_b128 v[108:111], v2 offset:576
	ds_load_b128 v[112:115], v2 offset:592
	s_wait_dscnt 0x1
	v_fmac_f64_e32 v[130:131], v[120:121], v[108:109]
	s_wait_loadcnt 0x4
	s_delay_alu instid0(VALU_DEP_1)
	v_fmac_f64_e32 v[130:131], v[104:105], v[110:111]
	scratch_load_b128 v[108:111], off, off offset:296
	s_wait_dscnt 0x0
	v_fmac_f64_e32 v[130:131], v[106:107], v[112:113]
	scratch_load_b128 v[104:107], off, off offset:312
	s_wait_loadcnt 0x5
	v_fmac_f64_e32 v[130:131], v[126:127], v[114:115]
	ds_load_b128 v[112:115], v2 offset:608
	ds_load_b128 v[116:119], v2 offset:624
	s_wait_dscnt 0x1
	v_fmac_f64_e32 v[130:131], v[128:129], v[112:113]
	s_wait_loadcnt 0x4
	s_delay_alu instid0(VALU_DEP_1)
	v_fmac_f64_e32 v[130:131], v[96:97], v[114:115]
	scratch_load_b128 v[112:115], off, off offset:328
	s_wait_dscnt 0x0
	v_fmac_f64_e32 v[130:131], v[98:99], v[116:117]
	scratch_load_b128 v[96:99], off, off offset:344
	s_wait_loadcnt 0x5
	v_fmac_f64_e32 v[130:131], v[122:123], v[118:119]
	ds_load_b128 v[116:119], v2 offset:640
	ds_load_b128 v[120:123], v2 offset:656
	s_wait_dscnt 0x1
	v_fmac_f64_e32 v[130:131], v[124:125], v[116:117]
	s_wait_loadcnt 0x4
	s_delay_alu instid0(VALU_DEP_1) | instskip(SKIP_1) | instid1(VALU_DEP_1)
	v_fmac_f64_e32 v[130:131], v[100:101], v[118:119]
	s_wait_dscnt 0x0
	v_fmac_f64_e32 v[130:131], v[102:103], v[120:121]
	ds_load_b128 v[100:103], v2 offset:672
	ds_load_b128 v[116:119], v2 offset:688
	s_wait_loadcnt 0x3
	v_fmac_f64_e32 v[130:131], v[108:109], v[122:123]
	s_wait_dscnt 0x1
	s_delay_alu instid0(VALU_DEP_1) | instskip(SKIP_1) | instid1(VALU_DEP_1)
	v_fmac_f64_e32 v[130:131], v[110:111], v[100:101]
	s_wait_loadcnt 0x2
	v_fmac_f64_e32 v[130:131], v[104:105], v[102:103]
	ds_load_b128 v[100:103], v2 offset:704
	ds_load_b64 v[104:105], v2 offset:720
	s_wait_dscnt 0x2
	v_fmac_f64_e32 v[130:131], v[106:107], v[116:117]
	s_wait_loadcnt 0x1
	s_delay_alu instid0(VALU_DEP_1) | instskip(SKIP_1) | instid1(VALU_DEP_1)
	v_fmac_f64_e32 v[130:131], v[112:113], v[118:119]
	s_wait_dscnt 0x1
	v_fmac_f64_e32 v[130:131], v[114:115], v[100:101]
	s_wait_loadcnt 0x0
	s_delay_alu instid0(VALU_DEP_1) | instskip(SKIP_1) | instid1(VALU_DEP_1)
	v_fmac_f64_e32 v[130:131], v[96:97], v[102:103]
	s_wait_dscnt 0x0
	v_fmac_f64_e32 v[130:131], v[98:99], v[104:105]
	s_delay_alu instid0(VALU_DEP_1)
	v_add_f64_e64 v[94:95], v[94:95], -v[130:131]
	scratch_store_b64 off, v[94:95], off offset:40
	s_wait_xcnt 0x0
	v_cmpx_lt_u32_e32 4, v0
	s_cbranch_execz .LBB108_271
; %bb.270:
	scratch_load_b64 v[94:95], off, off offset:32
	v_mov_b64_e32 v[96:97], 0
	scratch_store_b64 off, v[96:97], off offset:32
	s_wait_loadcnt 0x0
	ds_store_b64 v1, v[94:95]
.LBB108_271:
	s_wait_xcnt 0x0
	s_or_b32 exec_lo, exec_lo, s0
	s_wait_storecnt_dscnt 0x0
	s_barrier_signal -1
	s_barrier_wait -1
	s_clause 0x5
	scratch_load_b128 v[94:97], off, off offset:32
	scratch_load_b128 v[98:101], off, off offset:48
	;; [unrolled: 1-line block ×6, first 2 shown]
	ds_load_2addr_b64 v[118:121], v2 offset0:51 offset1:52
	ds_load_2addr_b64 v[122:125], v2 offset0:53 offset1:54
	scratch_load_b128 v[126:129], off, off offset:128
	s_mov_b32 s0, exec_lo
	s_wait_loadcnt_dscnt 0x601
	v_fma_f64 v[130:131], v[96:97], v[118:119], 0
	s_wait_loadcnt 0x5
	s_delay_alu instid0(VALU_DEP_1) | instskip(SKIP_4) | instid1(VALU_DEP_1)
	v_fmac_f64_e32 v[130:131], v[98:99], v[120:121]
	scratch_load_b128 v[96:99], off, off offset:144
	s_wait_dscnt 0x0
	v_fmac_f64_e32 v[130:131], v[100:101], v[122:123]
	s_wait_loadcnt 0x5
	v_fmac_f64_e32 v[130:131], v[102:103], v[124:125]
	ds_load_2addr_b64 v[100:103], v2 offset0:55 offset1:56
	ds_load_2addr_b64 v[118:121], v2 offset0:57 offset1:58
	scratch_load_b128 v[122:125], off, off offset:160
	s_wait_dscnt 0x1
	v_fmac_f64_e32 v[130:131], v[104:105], v[100:101]
	s_wait_loadcnt 0x5
	s_delay_alu instid0(VALU_DEP_1) | instskip(SKIP_4) | instid1(VALU_DEP_1)
	v_fmac_f64_e32 v[130:131], v[106:107], v[102:103]
	scratch_load_b128 v[100:103], off, off offset:176
	s_wait_dscnt 0x0
	v_fmac_f64_e32 v[130:131], v[108:109], v[118:119]
	s_wait_loadcnt 0x5
	v_fmac_f64_e32 v[130:131], v[110:111], v[120:121]
	ds_load_2addr_b64 v[104:107], v2 offset0:59 offset1:60
	ds_load_2addr_b64 v[108:111], v2 offset0:61 offset1:62
	scratch_load_b128 v[118:121], off, off offset:192
	s_wait_dscnt 0x1
	v_fmac_f64_e32 v[130:131], v[112:113], v[104:105]
	s_wait_loadcnt 0x5
	s_delay_alu instid0(VALU_DEP_1) | instskip(SKIP_4) | instid1(VALU_DEP_1)
	v_fmac_f64_e32 v[130:131], v[114:115], v[106:107]
	scratch_load_b128 v[104:107], off, off offset:208
	s_wait_dscnt 0x0
	v_fmac_f64_e32 v[130:131], v[116:117], v[108:109]
	s_wait_loadcnt 0x5
	v_fmac_f64_e32 v[130:131], v[126:127], v[110:111]
	ds_load_2addr_b64 v[108:111], v2 offset0:63 offset1:64
	ds_load_2addr_b64 v[112:115], v2 offset0:65 offset1:66
	s_wait_dscnt 0x1
	v_fmac_f64_e32 v[130:131], v[128:129], v[108:109]
	scratch_load_b128 v[126:129], off, off offset:224
	s_wait_loadcnt 0x5
	v_fmac_f64_e32 v[130:131], v[96:97], v[110:111]
	s_wait_dscnt 0x0
	s_delay_alu instid0(VALU_DEP_1)
	v_fmac_f64_e32 v[130:131], v[98:99], v[112:113]
	scratch_load_b128 v[96:99], off, off offset:240
	s_wait_loadcnt 0x5
	v_fmac_f64_e32 v[130:131], v[122:123], v[114:115]
	ds_load_2addr_b64 v[108:111], v2 offset0:67 offset1:68
	ds_load_2addr_b64 v[112:115], v2 offset0:69 offset1:70
	s_wait_dscnt 0x1
	v_fmac_f64_e32 v[130:131], v[124:125], v[108:109]
	scratch_load_b128 v[122:125], off, off offset:256
	s_wait_loadcnt 0x5
	v_fmac_f64_e32 v[130:131], v[100:101], v[110:111]
	s_wait_dscnt 0x0
	s_delay_alu instid0(VALU_DEP_1)
	v_fmac_f64_e32 v[130:131], v[102:103], v[112:113]
	scratch_load_b128 v[100:103], off, off offset:272
	s_wait_loadcnt 0x5
	v_fmac_f64_e32 v[130:131], v[118:119], v[114:115]
	ds_load_2addr_b64 v[108:111], v2 offset0:71 offset1:72
	ds_load_2addr_b64 v[112:115], v2 offset0:73 offset1:74
	s_wait_dscnt 0x1
	v_fmac_f64_e32 v[130:131], v[120:121], v[108:109]
	s_wait_loadcnt 0x4
	s_delay_alu instid0(VALU_DEP_1)
	v_fmac_f64_e32 v[130:131], v[104:105], v[110:111]
	scratch_load_b128 v[108:111], off, off offset:288
	s_wait_dscnt 0x0
	v_fmac_f64_e32 v[130:131], v[106:107], v[112:113]
	scratch_load_b128 v[104:107], off, off offset:304
	s_wait_loadcnt 0x5
	v_fmac_f64_e32 v[130:131], v[126:127], v[114:115]
	ds_load_2addr_b64 v[112:115], v2 offset0:75 offset1:76
	ds_load_2addr_b64 v[116:119], v2 offset0:77 offset1:78
	s_wait_dscnt 0x1
	v_fmac_f64_e32 v[130:131], v[128:129], v[112:113]
	s_wait_loadcnt 0x4
	s_delay_alu instid0(VALU_DEP_1)
	v_fmac_f64_e32 v[130:131], v[96:97], v[114:115]
	scratch_load_b128 v[112:115], off, off offset:320
	s_wait_dscnt 0x0
	v_fmac_f64_e32 v[130:131], v[98:99], v[116:117]
	scratch_load_b128 v[96:99], off, off offset:336
	s_wait_loadcnt 0x5
	v_fmac_f64_e32 v[130:131], v[122:123], v[118:119]
	ds_load_2addr_b64 v[116:119], v2 offset0:79 offset1:80
	ds_load_2addr_b64 v[120:123], v2 offset0:81 offset1:82
	s_wait_dscnt 0x1
	v_fmac_f64_e32 v[130:131], v[124:125], v[116:117]
	scratch_load_b64 v[124:125], off, off offset:352
	s_wait_loadcnt 0x5
	v_fmac_f64_e32 v[130:131], v[100:101], v[118:119]
	s_wait_dscnt 0x0
	s_delay_alu instid0(VALU_DEP_1)
	v_fmac_f64_e32 v[130:131], v[102:103], v[120:121]
	ds_load_2addr_b64 v[100:103], v2 offset0:83 offset1:84
	ds_load_2addr_b64 v[116:119], v2 offset0:85 offset1:86
	s_wait_loadcnt 0x4
	v_fmac_f64_e32 v[130:131], v[108:109], v[122:123]
	s_wait_dscnt 0x1
	s_delay_alu instid0(VALU_DEP_1) | instskip(SKIP_1) | instid1(VALU_DEP_1)
	v_fmac_f64_e32 v[130:131], v[110:111], v[100:101]
	s_wait_loadcnt 0x3
	v_fmac_f64_e32 v[130:131], v[104:105], v[102:103]
	s_wait_dscnt 0x0
	s_delay_alu instid0(VALU_DEP_1)
	v_fmac_f64_e32 v[130:131], v[106:107], v[116:117]
	ds_load_2addr_b64 v[100:103], v2 offset0:87 offset1:88
	ds_load_2addr_b64 v[104:107], v2 offset0:89 offset1:90
	s_wait_loadcnt 0x2
	v_fmac_f64_e32 v[130:131], v[112:113], v[118:119]
	s_wait_dscnt 0x1
	s_delay_alu instid0(VALU_DEP_1) | instskip(SKIP_1) | instid1(VALU_DEP_1)
	v_fmac_f64_e32 v[130:131], v[114:115], v[100:101]
	s_wait_loadcnt 0x1
	v_fmac_f64_e32 v[130:131], v[96:97], v[102:103]
	s_wait_dscnt 0x0
	s_delay_alu instid0(VALU_DEP_1) | instskip(SKIP_1) | instid1(VALU_DEP_1)
	v_fmac_f64_e32 v[130:131], v[98:99], v[104:105]
	s_wait_loadcnt 0x0
	v_fmac_f64_e32 v[130:131], v[124:125], v[106:107]
	s_delay_alu instid0(VALU_DEP_1)
	v_add_f64_e64 v[2:3], v[94:95], -v[130:131]
	scratch_store_b64 off, v[2:3], off offset:32
	s_wait_xcnt 0x0
	v_cmpx_lt_u32_e32 3, v0
	s_cbranch_execz .LBB108_273
; %bb.272:
	scratch_load_b64 v[2:3], off, off offset:24
	v_mov_b64_e32 v[94:95], 0
	scratch_store_b64 off, v[94:95], off offset:24
	s_wait_loadcnt 0x0
	ds_store_b64 v1, v[2:3]
.LBB108_273:
	s_wait_xcnt 0x0
	s_or_b32 exec_lo, exec_lo, s0
	s_wait_storecnt_dscnt 0x0
	s_barrier_signal -1
	s_barrier_wait -1
	s_clause 0x5
	scratch_load_b128 v[94:97], off, off offset:24
	scratch_load_b128 v[98:101], off, off offset:40
	;; [unrolled: 1-line block ×6, first 2 shown]
	v_mov_b32_e32 v2, 0
	ds_load_b128 v[118:121], v2 offset:400
	ds_load_b128 v[122:125], v2 offset:416
	scratch_load_b128 v[126:129], off, off offset:120
	s_mov_b32 s0, exec_lo
	s_wait_loadcnt_dscnt 0x601
	v_fma_f64 v[130:131], v[96:97], v[118:119], 0
	s_wait_loadcnt 0x5
	s_delay_alu instid0(VALU_DEP_1) | instskip(SKIP_4) | instid1(VALU_DEP_1)
	v_fmac_f64_e32 v[130:131], v[98:99], v[120:121]
	scratch_load_b128 v[96:99], off, off offset:136
	s_wait_dscnt 0x0
	v_fmac_f64_e32 v[130:131], v[100:101], v[122:123]
	s_wait_loadcnt 0x5
	v_fmac_f64_e32 v[130:131], v[102:103], v[124:125]
	ds_load_b128 v[100:103], v2 offset:432
	ds_load_b128 v[118:121], v2 offset:448
	scratch_load_b128 v[122:125], off, off offset:152
	s_wait_dscnt 0x1
	v_fmac_f64_e32 v[130:131], v[104:105], v[100:101]
	s_wait_loadcnt 0x5
	s_delay_alu instid0(VALU_DEP_1) | instskip(SKIP_4) | instid1(VALU_DEP_1)
	v_fmac_f64_e32 v[130:131], v[106:107], v[102:103]
	scratch_load_b128 v[100:103], off, off offset:168
	s_wait_dscnt 0x0
	v_fmac_f64_e32 v[130:131], v[108:109], v[118:119]
	s_wait_loadcnt 0x5
	v_fmac_f64_e32 v[130:131], v[110:111], v[120:121]
	ds_load_b128 v[104:107], v2 offset:464
	ds_load_b128 v[108:111], v2 offset:480
	scratch_load_b128 v[118:121], off, off offset:184
	s_wait_dscnt 0x1
	v_fmac_f64_e32 v[130:131], v[112:113], v[104:105]
	s_wait_loadcnt 0x5
	s_delay_alu instid0(VALU_DEP_1) | instskip(SKIP_4) | instid1(VALU_DEP_1)
	v_fmac_f64_e32 v[130:131], v[114:115], v[106:107]
	scratch_load_b128 v[104:107], off, off offset:200
	s_wait_dscnt 0x0
	v_fmac_f64_e32 v[130:131], v[116:117], v[108:109]
	s_wait_loadcnt 0x5
	v_fmac_f64_e32 v[130:131], v[126:127], v[110:111]
	ds_load_b128 v[108:111], v2 offset:496
	ds_load_b128 v[112:115], v2 offset:512
	s_wait_dscnt 0x1
	v_fmac_f64_e32 v[130:131], v[128:129], v[108:109]
	scratch_load_b128 v[126:129], off, off offset:216
	s_wait_loadcnt 0x5
	v_fmac_f64_e32 v[130:131], v[96:97], v[110:111]
	s_wait_dscnt 0x0
	s_delay_alu instid0(VALU_DEP_1)
	v_fmac_f64_e32 v[130:131], v[98:99], v[112:113]
	scratch_load_b128 v[96:99], off, off offset:232
	s_wait_loadcnt 0x5
	v_fmac_f64_e32 v[130:131], v[122:123], v[114:115]
	ds_load_b128 v[108:111], v2 offset:528
	ds_load_b128 v[112:115], v2 offset:544
	s_wait_dscnt 0x1
	v_fmac_f64_e32 v[130:131], v[124:125], v[108:109]
	scratch_load_b128 v[122:125], off, off offset:248
	s_wait_loadcnt 0x5
	v_fmac_f64_e32 v[130:131], v[100:101], v[110:111]
	s_wait_dscnt 0x0
	s_delay_alu instid0(VALU_DEP_1)
	v_fmac_f64_e32 v[130:131], v[102:103], v[112:113]
	scratch_load_b128 v[100:103], off, off offset:264
	s_wait_loadcnt 0x5
	v_fmac_f64_e32 v[130:131], v[118:119], v[114:115]
	ds_load_b128 v[108:111], v2 offset:560
	ds_load_b128 v[112:115], v2 offset:576
	s_wait_dscnt 0x1
	v_fmac_f64_e32 v[130:131], v[120:121], v[108:109]
	s_wait_loadcnt 0x4
	s_delay_alu instid0(VALU_DEP_1)
	v_fmac_f64_e32 v[130:131], v[104:105], v[110:111]
	scratch_load_b128 v[108:111], off, off offset:280
	s_wait_dscnt 0x0
	v_fmac_f64_e32 v[130:131], v[106:107], v[112:113]
	scratch_load_b128 v[104:107], off, off offset:296
	s_wait_loadcnt 0x5
	v_fmac_f64_e32 v[130:131], v[126:127], v[114:115]
	ds_load_b128 v[112:115], v2 offset:592
	ds_load_b128 v[116:119], v2 offset:608
	s_wait_dscnt 0x1
	v_fmac_f64_e32 v[130:131], v[128:129], v[112:113]
	s_wait_loadcnt 0x4
	s_delay_alu instid0(VALU_DEP_1)
	v_fmac_f64_e32 v[130:131], v[96:97], v[114:115]
	scratch_load_b128 v[112:115], off, off offset:312
	s_wait_dscnt 0x0
	v_fmac_f64_e32 v[130:131], v[98:99], v[116:117]
	scratch_load_b128 v[96:99], off, off offset:328
	s_wait_loadcnt 0x5
	v_fmac_f64_e32 v[130:131], v[122:123], v[118:119]
	ds_load_b128 v[116:119], v2 offset:624
	ds_load_b128 v[120:123], v2 offset:640
	s_wait_dscnt 0x1
	v_fmac_f64_e32 v[130:131], v[124:125], v[116:117]
	s_wait_loadcnt 0x4
	s_delay_alu instid0(VALU_DEP_1) | instskip(SKIP_4) | instid1(VALU_DEP_1)
	v_fmac_f64_e32 v[130:131], v[100:101], v[118:119]
	scratch_load_b128 v[116:119], off, off offset:344
	s_wait_dscnt 0x0
	v_fmac_f64_e32 v[130:131], v[102:103], v[120:121]
	s_wait_loadcnt 0x4
	v_fmac_f64_e32 v[130:131], v[108:109], v[122:123]
	ds_load_b128 v[100:103], v2 offset:656
	ds_load_b128 v[120:123], v2 offset:672
	s_wait_dscnt 0x1
	v_fmac_f64_e32 v[130:131], v[110:111], v[100:101]
	s_wait_loadcnt 0x3
	s_delay_alu instid0(VALU_DEP_1) | instskip(SKIP_1) | instid1(VALU_DEP_1)
	v_fmac_f64_e32 v[130:131], v[104:105], v[102:103]
	s_wait_dscnt 0x0
	v_fmac_f64_e32 v[130:131], v[106:107], v[120:121]
	ds_load_b128 v[100:103], v2 offset:688
	ds_load_b128 v[104:107], v2 offset:704
	s_wait_loadcnt 0x2
	v_fmac_f64_e32 v[130:131], v[112:113], v[122:123]
	s_wait_dscnt 0x1
	s_delay_alu instid0(VALU_DEP_1) | instskip(SKIP_1) | instid1(VALU_DEP_1)
	v_fmac_f64_e32 v[130:131], v[114:115], v[100:101]
	s_wait_loadcnt 0x1
	v_fmac_f64_e32 v[130:131], v[96:97], v[102:103]
	ds_load_b64 v[96:97], v2 offset:720
	s_wait_dscnt 0x1
	v_fmac_f64_e32 v[130:131], v[98:99], v[104:105]
	s_wait_loadcnt 0x0
	s_delay_alu instid0(VALU_DEP_1) | instskip(SKIP_1) | instid1(VALU_DEP_1)
	v_fmac_f64_e32 v[130:131], v[116:117], v[106:107]
	s_wait_dscnt 0x0
	v_fmac_f64_e32 v[130:131], v[118:119], v[96:97]
	s_delay_alu instid0(VALU_DEP_1)
	v_add_f64_e64 v[94:95], v[94:95], -v[130:131]
	scratch_store_b64 off, v[94:95], off offset:24
	s_wait_xcnt 0x0
	v_cmpx_lt_u32_e32 2, v0
	s_cbranch_execz .LBB108_275
; %bb.274:
	scratch_load_b64 v[94:95], off, off offset:16
	v_mov_b64_e32 v[96:97], 0
	scratch_store_b64 off, v[96:97], off offset:16
	s_wait_loadcnt 0x0
	ds_store_b64 v1, v[94:95]
.LBB108_275:
	s_wait_xcnt 0x0
	s_or_b32 exec_lo, exec_lo, s0
	s_wait_storecnt_dscnt 0x0
	s_barrier_signal -1
	s_barrier_wait -1
	s_clause 0x5
	scratch_load_b128 v[94:97], off, off offset:16
	scratch_load_b128 v[98:101], off, off offset:32
	;; [unrolled: 1-line block ×6, first 2 shown]
	ds_load_2addr_b64 v[118:121], v2 offset0:49 offset1:50
	ds_load_2addr_b64 v[122:125], v2 offset0:51 offset1:52
	scratch_load_b128 v[126:129], off, off offset:112
	s_mov_b32 s0, exec_lo
	s_wait_loadcnt_dscnt 0x601
	v_fma_f64 v[130:131], v[96:97], v[118:119], 0
	s_wait_loadcnt 0x5
	s_delay_alu instid0(VALU_DEP_1) | instskip(SKIP_4) | instid1(VALU_DEP_1)
	v_fmac_f64_e32 v[130:131], v[98:99], v[120:121]
	scratch_load_b128 v[96:99], off, off offset:128
	s_wait_dscnt 0x0
	v_fmac_f64_e32 v[130:131], v[100:101], v[122:123]
	s_wait_loadcnt 0x5
	v_fmac_f64_e32 v[130:131], v[102:103], v[124:125]
	ds_load_2addr_b64 v[100:103], v2 offset0:53 offset1:54
	ds_load_2addr_b64 v[118:121], v2 offset0:55 offset1:56
	scratch_load_b128 v[122:125], off, off offset:144
	s_wait_dscnt 0x1
	v_fmac_f64_e32 v[130:131], v[104:105], v[100:101]
	s_wait_loadcnt 0x5
	s_delay_alu instid0(VALU_DEP_1) | instskip(SKIP_4) | instid1(VALU_DEP_1)
	v_fmac_f64_e32 v[130:131], v[106:107], v[102:103]
	scratch_load_b128 v[100:103], off, off offset:160
	s_wait_dscnt 0x0
	v_fmac_f64_e32 v[130:131], v[108:109], v[118:119]
	s_wait_loadcnt 0x5
	v_fmac_f64_e32 v[130:131], v[110:111], v[120:121]
	ds_load_2addr_b64 v[104:107], v2 offset0:57 offset1:58
	ds_load_2addr_b64 v[108:111], v2 offset0:59 offset1:60
	scratch_load_b128 v[118:121], off, off offset:176
	s_wait_dscnt 0x1
	v_fmac_f64_e32 v[130:131], v[112:113], v[104:105]
	s_wait_loadcnt 0x5
	s_delay_alu instid0(VALU_DEP_1) | instskip(SKIP_4) | instid1(VALU_DEP_1)
	v_fmac_f64_e32 v[130:131], v[114:115], v[106:107]
	scratch_load_b128 v[104:107], off, off offset:192
	s_wait_dscnt 0x0
	v_fmac_f64_e32 v[130:131], v[116:117], v[108:109]
	s_wait_loadcnt 0x5
	v_fmac_f64_e32 v[130:131], v[126:127], v[110:111]
	ds_load_2addr_b64 v[108:111], v2 offset0:61 offset1:62
	ds_load_2addr_b64 v[112:115], v2 offset0:63 offset1:64
	s_wait_dscnt 0x1
	v_fmac_f64_e32 v[130:131], v[128:129], v[108:109]
	scratch_load_b128 v[126:129], off, off offset:208
	s_wait_loadcnt 0x5
	v_fmac_f64_e32 v[130:131], v[96:97], v[110:111]
	s_wait_dscnt 0x0
	s_delay_alu instid0(VALU_DEP_1)
	v_fmac_f64_e32 v[130:131], v[98:99], v[112:113]
	scratch_load_b128 v[96:99], off, off offset:224
	s_wait_loadcnt 0x5
	v_fmac_f64_e32 v[130:131], v[122:123], v[114:115]
	ds_load_2addr_b64 v[108:111], v2 offset0:65 offset1:66
	ds_load_2addr_b64 v[112:115], v2 offset0:67 offset1:68
	s_wait_dscnt 0x1
	v_fmac_f64_e32 v[130:131], v[124:125], v[108:109]
	scratch_load_b128 v[122:125], off, off offset:240
	s_wait_loadcnt 0x5
	v_fmac_f64_e32 v[130:131], v[100:101], v[110:111]
	s_wait_dscnt 0x0
	s_delay_alu instid0(VALU_DEP_1)
	v_fmac_f64_e32 v[130:131], v[102:103], v[112:113]
	scratch_load_b128 v[100:103], off, off offset:256
	s_wait_loadcnt 0x5
	v_fmac_f64_e32 v[130:131], v[118:119], v[114:115]
	ds_load_2addr_b64 v[108:111], v2 offset0:69 offset1:70
	ds_load_2addr_b64 v[112:115], v2 offset0:71 offset1:72
	scratch_load_b128 v[116:119], off, off offset:272
	s_wait_dscnt 0x1
	v_fmac_f64_e32 v[130:131], v[120:121], v[108:109]
	s_wait_loadcnt 0x5
	s_delay_alu instid0(VALU_DEP_1) | instskip(SKIP_1) | instid1(VALU_DEP_1)
	v_fmac_f64_e32 v[130:131], v[104:105], v[110:111]
	s_wait_dscnt 0x0
	v_fmac_f64_e32 v[130:131], v[106:107], v[112:113]
	scratch_load_b128 v[104:107], off, off offset:288
	s_wait_loadcnt 0x5
	v_fmac_f64_e32 v[130:131], v[126:127], v[114:115]
	ds_load_2addr_b64 v[108:111], v2 offset0:73 offset1:74
	ds_load_2addr_b64 v[112:115], v2 offset0:75 offset1:76
	s_wait_dscnt 0x1
	v_fmac_f64_e32 v[130:131], v[128:129], v[108:109]
	s_wait_loadcnt 0x4
	s_delay_alu instid0(VALU_DEP_1)
	v_fmac_f64_e32 v[130:131], v[96:97], v[110:111]
	scratch_load_b128 v[108:111], off, off offset:304
	s_wait_dscnt 0x0
	v_fmac_f64_e32 v[130:131], v[98:99], v[112:113]
	scratch_load_b128 v[96:99], off, off offset:320
	s_wait_loadcnt 0x5
	v_fmac_f64_e32 v[130:131], v[122:123], v[114:115]
	ds_load_2addr_b64 v[112:115], v2 offset0:77 offset1:78
	ds_load_2addr_b64 v[120:123], v2 offset0:79 offset1:80
	s_wait_dscnt 0x1
	v_fmac_f64_e32 v[130:131], v[124:125], v[112:113]
	s_wait_loadcnt 0x4
	s_delay_alu instid0(VALU_DEP_1) | instskip(SKIP_4) | instid1(VALU_DEP_1)
	v_fmac_f64_e32 v[130:131], v[100:101], v[114:115]
	scratch_load_b128 v[112:115], off, off offset:336
	s_wait_dscnt 0x0
	v_fmac_f64_e32 v[130:131], v[102:103], v[120:121]
	s_wait_loadcnt 0x4
	v_fmac_f64_e32 v[130:131], v[116:117], v[122:123]
	scratch_load_b64 v[116:117], off, off offset:352
	ds_load_2addr_b64 v[100:103], v2 offset0:81 offset1:82
	ds_load_2addr_b64 v[120:123], v2 offset0:83 offset1:84
	s_wait_dscnt 0x1
	v_fmac_f64_e32 v[130:131], v[118:119], v[100:101]
	s_wait_loadcnt 0x4
	s_delay_alu instid0(VALU_DEP_1) | instskip(SKIP_1) | instid1(VALU_DEP_1)
	v_fmac_f64_e32 v[130:131], v[104:105], v[102:103]
	s_wait_dscnt 0x0
	v_fmac_f64_e32 v[130:131], v[106:107], v[120:121]
	ds_load_2addr_b64 v[100:103], v2 offset0:85 offset1:86
	ds_load_2addr_b64 v[104:107], v2 offset0:87 offset1:88
	s_wait_loadcnt 0x3
	v_fmac_f64_e32 v[130:131], v[108:109], v[122:123]
	s_wait_dscnt 0x1
	s_delay_alu instid0(VALU_DEP_1) | instskip(SKIP_1) | instid1(VALU_DEP_1)
	v_fmac_f64_e32 v[130:131], v[110:111], v[100:101]
	s_wait_loadcnt 0x2
	v_fmac_f64_e32 v[130:131], v[96:97], v[102:103]
	s_wait_dscnt 0x0
	s_delay_alu instid0(VALU_DEP_1) | instskip(SKIP_4) | instid1(VALU_DEP_1)
	v_fmac_f64_e32 v[130:131], v[98:99], v[104:105]
	ds_load_2addr_b64 v[96:99], v2 offset0:89 offset1:90
	s_wait_loadcnt 0x1
	v_fmac_f64_e32 v[130:131], v[112:113], v[106:107]
	s_wait_dscnt 0x0
	v_fmac_f64_e32 v[130:131], v[114:115], v[96:97]
	s_wait_loadcnt 0x0
	s_delay_alu instid0(VALU_DEP_1) | instskip(NEXT) | instid1(VALU_DEP_1)
	v_fmac_f64_e32 v[130:131], v[116:117], v[98:99]
	v_add_f64_e64 v[2:3], v[94:95], -v[130:131]
	scratch_store_b64 off, v[2:3], off offset:16
	s_wait_xcnt 0x0
	v_cmpx_lt_u32_e32 1, v0
	s_cbranch_execz .LBB108_277
; %bb.276:
	scratch_load_b64 v[2:3], off, off offset:8
	v_mov_b64_e32 v[94:95], 0
	scratch_store_b64 off, v[94:95], off offset:8
	s_wait_loadcnt 0x0
	ds_store_b64 v1, v[2:3]
.LBB108_277:
	s_wait_xcnt 0x0
	s_or_b32 exec_lo, exec_lo, s0
	s_wait_storecnt_dscnt 0x0
	s_barrier_signal -1
	s_barrier_wait -1
	s_clause 0x4
	scratch_load_b128 v[96:99], off, off offset:8
	scratch_load_b128 v[100:103], off, off offset:24
	;; [unrolled: 1-line block ×5, first 2 shown]
	v_dual_mov_b32 v94, 0 :: v_dual_ashrrev_i32 v9, 31, v8
	scratch_load_b128 v[120:123], off, off offset:88
	v_dual_ashrrev_i32 v11, 31, v10 :: v_dual_ashrrev_i32 v13, 31, v12
	ds_load_b128 v[116:119], v94 offset:384
	ds_load_b128 v[124:127], v94 offset:400
	v_dual_ashrrev_i32 v15, 31, v14 :: v_dual_ashrrev_i32 v17, 31, v16
	v_dual_ashrrev_i32 v19, 31, v18 :: v_dual_ashrrev_i32 v21, 31, v20
	;; [unrolled: 1-line block ×19, first 2 shown]
	v_ashrrev_i32_e32 v91, 31, v90
	s_mov_b32 s0, exec_lo
	v_ashrrev_i32_e32 v41, 31, v40
	s_wait_loadcnt_dscnt 0x501
	v_fma_f64 v[2:3], v[98:99], v[116:117], 0
	s_wait_loadcnt 0x4
	s_delay_alu instid0(VALU_DEP_1) | instskip(SKIP_4) | instid1(VALU_DEP_1)
	v_fmac_f64_e32 v[2:3], v[100:101], v[118:119]
	scratch_load_b128 v[98:101], off, off offset:104
	s_wait_dscnt 0x0
	v_fmac_f64_e32 v[2:3], v[102:103], v[124:125]
	s_wait_loadcnt 0x4
	v_fmac_f64_e32 v[2:3], v[104:105], v[126:127]
	ds_load_b128 v[102:105], v94 offset:416
	ds_load_b128 v[116:119], v94 offset:432
	scratch_load_b128 v[124:127], off, off offset:120
	s_wait_dscnt 0x1
	v_fmac_f64_e32 v[2:3], v[106:107], v[102:103]
	s_wait_loadcnt 0x4
	s_delay_alu instid0(VALU_DEP_1) | instskip(SKIP_4) | instid1(VALU_DEP_1)
	v_fmac_f64_e32 v[2:3], v[108:109], v[104:105]
	scratch_load_b128 v[102:105], off, off offset:136
	s_wait_dscnt 0x0
	v_fmac_f64_e32 v[2:3], v[110:111], v[116:117]
	s_wait_loadcnt 0x4
	v_fmac_f64_e32 v[2:3], v[112:113], v[118:119]
	ds_load_b128 v[106:109], v94 offset:448
	ds_load_b128 v[110:113], v94 offset:464
	s_wait_dscnt 0x1
	v_fmac_f64_e32 v[2:3], v[114:115], v[106:107]
	scratch_load_b128 v[114:117], off, off offset:152
	s_wait_loadcnt 0x4
	v_fmac_f64_e32 v[2:3], v[120:121], v[108:109]
	scratch_load_b128 v[106:109], off, off offset:168
	s_wait_dscnt 0x0
	v_fmac_f64_e32 v[2:3], v[122:123], v[110:111]
	s_wait_loadcnt 0x4
	s_delay_alu instid0(VALU_DEP_1)
	v_fmac_f64_e32 v[2:3], v[98:99], v[112:113]
	ds_load_b128 v[110:113], v94 offset:480
	ds_load_b128 v[118:121], v94 offset:496
	s_wait_dscnt 0x1
	v_fmac_f64_e32 v[2:3], v[100:101], v[110:111]
	scratch_load_b128 v[98:101], off, off offset:184
	s_wait_loadcnt 0x4
	v_fmac_f64_e32 v[2:3], v[124:125], v[112:113]
	scratch_load_b128 v[110:113], off, off offset:200
	s_wait_dscnt 0x0
	v_fmac_f64_e32 v[2:3], v[126:127], v[118:119]
	s_wait_loadcnt 0x4
	s_delay_alu instid0(VALU_DEP_1)
	v_fmac_f64_e32 v[2:3], v[102:103], v[120:121]
	ds_load_b128 v[118:121], v94 offset:512
	ds_load_b128 v[122:125], v94 offset:528
	s_wait_dscnt 0x1
	v_fmac_f64_e32 v[2:3], v[104:105], v[118:119]
	scratch_load_b128 v[102:105], off, off offset:216
	s_wait_loadcnt 0x4
	v_fmac_f64_e32 v[2:3], v[114:115], v[120:121]
	s_wait_dscnt 0x0
	s_delay_alu instid0(VALU_DEP_1)
	v_fmac_f64_e32 v[2:3], v[116:117], v[122:123]
	scratch_load_b128 v[114:117], off, off offset:232
	s_wait_loadcnt 0x4
	v_fmac_f64_e32 v[2:3], v[106:107], v[124:125]
	ds_load_b128 v[118:121], v94 offset:544
	ds_load_b128 v[122:125], v94 offset:560
	s_wait_dscnt 0x1
	v_fmac_f64_e32 v[2:3], v[108:109], v[118:119]
	scratch_load_b128 v[106:109], off, off offset:248
	s_wait_loadcnt 0x4
	v_fmac_f64_e32 v[2:3], v[98:99], v[120:121]
	scratch_load_b128 v[118:121], off, off offset:264
	s_wait_dscnt 0x0
	v_fmac_f64_e32 v[2:3], v[100:101], v[122:123]
	s_wait_loadcnt 0x4
	s_delay_alu instid0(VALU_DEP_1)
	v_fmac_f64_e32 v[2:3], v[110:111], v[124:125]
	ds_load_b128 v[98:101], v94 offset:576
	ds_load_b128 v[122:125], v94 offset:592
	s_wait_dscnt 0x1
	v_fmac_f64_e32 v[2:3], v[112:113], v[98:99]
	scratch_load_b128 v[110:113], off, off offset:280
	s_wait_loadcnt 0x4
	v_fmac_f64_e32 v[2:3], v[102:103], v[100:101]
	scratch_load_b128 v[98:101], off, off offset:296
	s_wait_dscnt 0x0
	v_fmac_f64_e32 v[2:3], v[104:105], v[122:123]
	s_wait_loadcnt 0x4
	s_delay_alu instid0(VALU_DEP_1)
	;; [unrolled: 13-line block ×3, first 2 shown]
	v_fmac_f64_e32 v[2:3], v[118:119], v[124:125]
	ds_load_b128 v[106:109], v94 offset:640
	ds_load_b128 v[122:125], v94 offset:656
	s_wait_dscnt 0x1
	v_fmac_f64_e32 v[2:3], v[120:121], v[106:107]
	scratch_load_b128 v[118:121], off, off offset:344
	s_wait_loadcnt 0x4
	v_fmac_f64_e32 v[2:3], v[110:111], v[108:109]
	s_wait_dscnt 0x0
	s_delay_alu instid0(VALU_DEP_1)
	v_fmac_f64_e32 v[2:3], v[112:113], v[122:123]
	ds_load_b128 v[106:109], v94 offset:672
	ds_load_b128 v[110:113], v94 offset:688
	s_wait_loadcnt 0x3
	v_fmac_f64_e32 v[2:3], v[98:99], v[124:125]
	s_wait_dscnt 0x1
	s_delay_alu instid0(VALU_DEP_1) | instskip(SKIP_4) | instid1(VALU_DEP_1)
	v_fmac_f64_e32 v[2:3], v[100:101], v[106:107]
	ds_load_b128 v[98:101], v94 offset:704
	s_wait_loadcnt 0x2
	v_fmac_f64_e32 v[2:3], v[114:115], v[108:109]
	s_wait_dscnt 0x1
	v_fmac_f64_e32 v[2:3], v[116:117], v[110:111]
	s_wait_loadcnt 0x1
	s_delay_alu instid0(VALU_DEP_1) | instskip(SKIP_1) | instid1(VALU_DEP_1)
	v_fmac_f64_e32 v[2:3], v[102:103], v[112:113]
	s_wait_dscnt 0x0
	v_fmac_f64_e32 v[2:3], v[104:105], v[98:99]
	ds_load_b64 v[98:99], v94 offset:720
	s_wait_loadcnt 0x0
	v_fmac_f64_e32 v[2:3], v[118:119], v[100:101]
	s_wait_dscnt 0x0
	s_delay_alu instid0(VALU_DEP_1) | instskip(NEXT) | instid1(VALU_DEP_1)
	v_fmac_f64_e32 v[2:3], v[120:121], v[98:99]
	v_add_f64_e64 v[2:3], v[96:97], -v[2:3]
	scratch_store_b64 off, v[2:3], off offset:8
	s_wait_xcnt 0x0
	v_cmpx_ne_u32_e32 0, v0
	s_cbranch_execz .LBB108_279
; %bb.278:
	scratch_load_b64 v[2:3], off, off
	v_mov_b64_e32 v[96:97], 0
	scratch_store_b64 off, v[96:97], off
	s_wait_loadcnt 0x0
	ds_store_b64 v1, v[2:3]
.LBB108_279:
	s_wait_xcnt 0x0
	s_or_b32 exec_lo, exec_lo, s0
	s_wait_storecnt_dscnt 0x0
	s_barrier_signal -1
	s_barrier_wait -1
	s_clause 0x5
	scratch_load_b128 v[96:99], off, off
	scratch_load_b128 v[0:3], off, off offset:16
	scratch_load_b128 v[100:103], off, off offset:32
	;; [unrolled: 1-line block ×5, first 2 shown]
	ds_load_2addr_b64 v[116:119], v94 offset0:47 offset1:48
	scratch_load_b128 v[120:123], off, off offset:96
	s_and_b32 vcc_lo, exec_lo, s12
	s_wait_loadcnt_dscnt 0x600
	v_fma_f64 v[126:127], v[98:99], v[116:117], 0
	s_wait_loadcnt 0x5
	s_delay_alu instid0(VALU_DEP_1)
	v_fmac_f64_e32 v[126:127], v[0:1], v[118:119]
	ds_load_2addr_b64 v[116:119], v94 offset0:49 offset1:50
	s_wait_dscnt 0x0
	v_fmac_f64_e32 v[126:127], v[2:3], v[116:117]
	scratch_load_b128 v[0:3], off, off offset:112
	s_wait_loadcnt 0x5
	v_fmac_f64_e32 v[126:127], v[100:101], v[118:119]
	ds_load_2addr_b64 v[98:101], v94 offset0:51 offset1:52
	scratch_load_b128 v[116:119], off, off offset:128
	s_wait_dscnt 0x0
	v_fmac_f64_e32 v[126:127], v[102:103], v[98:99]
	s_wait_loadcnt 0x5
	s_delay_alu instid0(VALU_DEP_1)
	v_fmac_f64_e32 v[126:127], v[104:105], v[100:101]
	ds_load_2addr_b64 v[98:101], v94 offset0:53 offset1:54
	scratch_load_b128 v[102:105], off, off offset:144
	s_wait_dscnt 0x0
	v_fmac_f64_e32 v[126:127], v[106:107], v[98:99]
	s_wait_loadcnt 0x5
	s_delay_alu instid0(VALU_DEP_1)
	;; [unrolled: 7-line block ×4, first 2 shown]
	v_fmac_f64_e32 v[126:127], v[120:121], v[100:101]
	ds_load_2addr_b64 v[98:101], v94 offset0:59 offset1:60
	s_wait_dscnt 0x0
	v_fmac_f64_e32 v[126:127], v[122:123], v[98:99]
	scratch_load_b128 v[120:123], off, off offset:192
	s_wait_loadcnt 0x5
	v_fmac_f64_e32 v[126:127], v[0:1], v[100:101]
	ds_load_2addr_b64 v[98:101], v94 offset0:61 offset1:62
	s_wait_dscnt 0x0
	v_fmac_f64_e32 v[126:127], v[2:3], v[98:99]
	scratch_load_b128 v[0:3], off, off offset:208
	s_wait_loadcnt 0x5
	v_fmac_f64_e32 v[126:127], v[116:117], v[100:101]
	ds_load_2addr_b64 v[98:101], v94 offset0:63 offset1:64
	scratch_load_b128 v[114:117], off, off offset:224
	s_wait_dscnt 0x0
	v_fmac_f64_e32 v[126:127], v[118:119], v[98:99]
	s_wait_loadcnt 0x5
	s_delay_alu instid0(VALU_DEP_1)
	v_fmac_f64_e32 v[126:127], v[102:103], v[100:101]
	ds_load_2addr_b64 v[98:101], v94 offset0:65 offset1:66
	s_wait_dscnt 0x0
	v_fmac_f64_e32 v[126:127], v[104:105], v[98:99]
	scratch_load_b128 v[102:105], off, off offset:240
	s_wait_loadcnt 0x5
	v_fmac_f64_e32 v[126:127], v[106:107], v[100:101]
	ds_load_2addr_b64 v[98:101], v94 offset0:67 offset1:68
	s_wait_dscnt 0x0
	v_fmac_f64_e32 v[126:127], v[108:109], v[98:99]
	scratch_load_b128 v[106:109], off, off offset:256
	s_wait_loadcnt 0x5
	;; [unrolled: 6-line block ×3, first 2 shown]
	v_fmac_f64_e32 v[126:127], v[120:121], v[100:101]
	ds_load_2addr_b64 v[98:101], v94 offset0:71 offset1:72
	scratch_load_b128 v[118:121], off, off offset:288
	s_wait_dscnt 0x0
	v_fmac_f64_e32 v[126:127], v[122:123], v[98:99]
	scratch_load_b128 v[122:125], off, off offset:304
	s_wait_loadcnt 0x6
	v_fmac_f64_e32 v[126:127], v[0:1], v[100:101]
	ds_load_2addr_b64 v[98:101], v94 offset0:73 offset1:74
	s_wait_dscnt 0x0
	v_fmac_f64_e32 v[126:127], v[2:3], v[98:99]
	ds_load_2addr_b64 v[0:3], v94 offset0:75 offset1:76
	s_wait_loadcnt 0x5
	v_fmac_f64_e32 v[126:127], v[114:115], v[100:101]
	scratch_load_b128 v[98:101], off, off offset:320
	s_wait_dscnt 0x0
	v_fmac_f64_e32 v[126:127], v[116:117], v[0:1]
	ds_load_2addr_b64 v[114:117], v94 offset0:77 offset1:78
	s_wait_loadcnt 0x5
	v_fmac_f64_e32 v[126:127], v[102:103], v[2:3]
	scratch_load_b128 v[0:3], off, off offset:336
	s_wait_dscnt 0x0
	v_fmac_f64_e32 v[126:127], v[104:105], v[114:115]
	ds_load_2addr_b64 v[102:105], v94 offset0:79 offset1:80
	s_wait_loadcnt 0x5
	v_fmac_f64_e32 v[126:127], v[106:107], v[116:117]
	scratch_load_b64 v[106:107], off, off offset:352
	s_wait_dscnt 0x0
	v_fmac_f64_e32 v[126:127], v[108:109], v[102:103]
	s_wait_loadcnt 0x5
	s_delay_alu instid0(VALU_DEP_1) | instskip(SKIP_4) | instid1(VALU_DEP_1)
	v_fmac_f64_e32 v[126:127], v[110:111], v[104:105]
	ds_load_2addr_b64 v[102:105], v94 offset0:81 offset1:82
	s_wait_dscnt 0x0
	v_fmac_f64_e32 v[126:127], v[112:113], v[102:103]
	s_wait_loadcnt 0x4
	v_fmac_f64_e32 v[126:127], v[118:119], v[104:105]
	ds_load_2addr_b64 v[102:105], v94 offset0:83 offset1:84
	s_wait_dscnt 0x0
	v_fmac_f64_e32 v[126:127], v[120:121], v[102:103]
	s_wait_loadcnt 0x3
	s_delay_alu instid0(VALU_DEP_1) | instskip(SKIP_4) | instid1(VALU_DEP_1)
	v_fmac_f64_e32 v[126:127], v[122:123], v[104:105]
	ds_load_2addr_b64 v[102:105], v94 offset0:85 offset1:86
	s_wait_dscnt 0x0
	v_fmac_f64_e32 v[126:127], v[124:125], v[102:103]
	s_wait_loadcnt 0x2
	v_fmac_f64_e32 v[126:127], v[98:99], v[104:105]
	ds_load_2addr_b64 v[102:105], v94 offset0:87 offset1:88
	s_wait_dscnt 0x0
	v_fmac_f64_e32 v[126:127], v[100:101], v[102:103]
	ds_load_2addr_b64 v[98:101], v94 offset0:89 offset1:90
	s_wait_loadcnt 0x1
	v_fmac_f64_e32 v[126:127], v[0:1], v[104:105]
	s_wait_dscnt 0x0
	s_delay_alu instid0(VALU_DEP_1) | instskip(SKIP_1) | instid1(VALU_DEP_1)
	v_fmac_f64_e32 v[126:127], v[2:3], v[98:99]
	s_wait_loadcnt 0x0
	v_fmac_f64_e32 v[126:127], v[106:107], v[100:101]
	s_delay_alu instid0(VALU_DEP_1)
	v_add_f64_e64 v[94:95], v[96:97], -v[126:127]
	scratch_store_b64 off, v[94:95], off
	s_cbranch_vccz .LBB108_368
; %bb.280:
	v_mov_b32_e32 v0, 0
	global_load_b32 v1, v0, s[8:9] offset:172
	s_wait_loadcnt 0x0
	v_cmp_ne_u32_e32 vcc_lo, 44, v1
	s_cbranch_vccz .LBB108_282
; %bb.281:
	v_lshlrev_b32_e32 v1, 3, v1
	scratch_load_b64 v[94:95], v1, off offset:-8
	s_wait_loadcnt 0x0
	scratch_store_b64 off, v[94:95], off offset:344
	scratch_store_b64 v1, v[2:3], off offset:-8
.LBB108_282:
	global_load_b32 v0, v0, s[8:9] offset:168
	s_wait_loadcnt 0x0
	v_cmp_eq_u32_e32 vcc_lo, 43, v0
	s_cbranch_vccnz .LBB108_284
; %bb.283:
	s_wait_xcnt 0x0
	v_lshlrev_b32_e32 v0, 3, v0
	s_delay_alu instid0(VALU_DEP_1)
	v_mov_b32_e32 v94, v0
	scratch_load_b64 v[0:1], v94, off offset:-8
	scratch_load_b64 v[2:3], off, off offset:336
	s_wait_loadcnt 0x1
	scratch_store_b64 off, v[0:1], off offset:336
	s_wait_loadcnt 0x0
	scratch_store_b64 v94, v[2:3], off offset:-8
.LBB108_284:
	s_wait_xcnt 0x0
	v_mov_b32_e32 v0, 0
	global_load_b32 v1, v0, s[8:9] offset:164
	s_wait_loadcnt 0x0
	v_cmp_eq_u32_e32 vcc_lo, 42, v1
	s_cbranch_vccnz .LBB108_286
; %bb.285:
	v_lshlrev_b32_e32 v1, 3, v1
	scratch_load_b64 v[2:3], v1, off offset:-8
	scratch_load_b64 v[94:95], off, off offset:328
	s_wait_loadcnt 0x1
	scratch_store_b64 off, v[2:3], off offset:328
	s_wait_loadcnt 0x0
	scratch_store_b64 v1, v[94:95], off offset:-8
.LBB108_286:
	global_load_b32 v0, v0, s[8:9] offset:160
	s_wait_loadcnt 0x0
	v_cmp_eq_u32_e32 vcc_lo, 41, v0
	s_cbranch_vccnz .LBB108_288
; %bb.287:
	s_wait_xcnt 0x0
	v_lshlrev_b32_e32 v0, 3, v0
	s_delay_alu instid0(VALU_DEP_1)
	v_mov_b32_e32 v94, v0
	scratch_load_b64 v[0:1], v94, off offset:-8
	scratch_load_b64 v[2:3], off, off offset:320
	s_wait_loadcnt 0x1
	scratch_store_b64 off, v[0:1], off offset:320
	s_wait_loadcnt 0x0
	scratch_store_b64 v94, v[2:3], off offset:-8
.LBB108_288:
	s_wait_xcnt 0x0
	v_mov_b32_e32 v0, 0
	global_load_b32 v1, v0, s[8:9] offset:156
	s_wait_loadcnt 0x0
	v_cmp_eq_u32_e32 vcc_lo, 40, v1
	s_cbranch_vccnz .LBB108_290
; %bb.289:
	v_lshlrev_b32_e32 v1, 3, v1
	scratch_load_b64 v[2:3], v1, off offset:-8
	scratch_load_b64 v[94:95], off, off offset:312
	s_wait_loadcnt 0x1
	scratch_store_b64 off, v[2:3], off offset:312
	s_wait_loadcnt 0x0
	scratch_store_b64 v1, v[94:95], off offset:-8
.LBB108_290:
	;; [unrolled: 31-line block ×21, first 2 shown]
	global_load_b32 v0, v0, s[8:9]
	scratch_load_b64 v[94:95], off, off
	s_wait_loadcnt 0x1
	v_cmp_eq_u32_e32 vcc_lo, 1, v0
	s_cbranch_vccnz .LBB108_368
; %bb.367:
	s_wait_xcnt 0x1
	v_lshlrev_b32_e32 v0, 3, v0
	s_delay_alu instid0(VALU_DEP_1)
	v_mov_b32_e32 v2, v0
	scratch_load_b64 v[0:1], v2, off offset:-8
	s_wait_loadcnt 0x0
	scratch_store_b64 off, v[0:1], off
	scratch_store_b64 v2, v[94:95], off offset:-8
	scratch_load_b64 v[94:95], off, off
.LBB108_368:
	s_wait_loadcnt 0x0
	flat_store_b64 v[4:5], v[94:95]
	scratch_load_b64 v[4:5], off, off offset:8
	v_lshl_add_u64 v[134:135], v[8:9], 3, s[2:3]
	v_lshl_add_u64 v[132:133], v[10:11], 3, s[2:3]
	;; [unrolled: 1-line block ×43, first 2 shown]
	s_wait_loadcnt 0x0
	flat_store_b64 v[6:7], v[4:5]
	scratch_load_b64 v[4:5], off, off offset:16
	s_wait_loadcnt 0x0
	flat_store_b64 v[134:135], v[4:5]
	scratch_load_b64 v[4:5], off, off offset:24
	;; [unrolled: 3-line block ×43, first 2 shown]
	s_wait_loadcnt 0x0
	flat_store_b64 v[0:1], v[2:3]
	s_sendmsg sendmsg(MSG_DEALLOC_VGPRS)
	s_endpgm
	.section	.rodata,"a",@progbits
	.p2align	6, 0x0
	.amdhsa_kernel _ZN9rocsolver6v33100L18getri_kernel_smallILi45EdPKPdEEvT1_iilPiilS6_bb
		.amdhsa_group_segment_fixed_size 728
		.amdhsa_private_segment_fixed_size 368
		.amdhsa_kernarg_size 60
		.amdhsa_user_sgpr_count 2
		.amdhsa_user_sgpr_dispatch_ptr 0
		.amdhsa_user_sgpr_queue_ptr 0
		.amdhsa_user_sgpr_kernarg_segment_ptr 1
		.amdhsa_user_sgpr_dispatch_id 0
		.amdhsa_user_sgpr_kernarg_preload_length 0
		.amdhsa_user_sgpr_kernarg_preload_offset 0
		.amdhsa_user_sgpr_private_segment_size 0
		.amdhsa_wavefront_size32 1
		.amdhsa_uses_dynamic_stack 0
		.amdhsa_enable_private_segment 1
		.amdhsa_system_sgpr_workgroup_id_x 1
		.amdhsa_system_sgpr_workgroup_id_y 0
		.amdhsa_system_sgpr_workgroup_id_z 0
		.amdhsa_system_sgpr_workgroup_info 0
		.amdhsa_system_vgpr_workitem_id 0
		.amdhsa_next_free_vgpr 136
		.amdhsa_next_free_sgpr 19
		.amdhsa_named_barrier_count 0
		.amdhsa_reserve_vcc 1
		.amdhsa_float_round_mode_32 0
		.amdhsa_float_round_mode_16_64 0
		.amdhsa_float_denorm_mode_32 3
		.amdhsa_float_denorm_mode_16_64 3
		.amdhsa_fp16_overflow 0
		.amdhsa_memory_ordered 1
		.amdhsa_forward_progress 1
		.amdhsa_inst_pref_size 255
		.amdhsa_round_robin_scheduling 0
		.amdhsa_exception_fp_ieee_invalid_op 0
		.amdhsa_exception_fp_denorm_src 0
		.amdhsa_exception_fp_ieee_div_zero 0
		.amdhsa_exception_fp_ieee_overflow 0
		.amdhsa_exception_fp_ieee_underflow 0
		.amdhsa_exception_fp_ieee_inexact 0
		.amdhsa_exception_int_div_zero 0
	.end_amdhsa_kernel
	.section	.text._ZN9rocsolver6v33100L18getri_kernel_smallILi45EdPKPdEEvT1_iilPiilS6_bb,"axG",@progbits,_ZN9rocsolver6v33100L18getri_kernel_smallILi45EdPKPdEEvT1_iilPiilS6_bb,comdat
.Lfunc_end108:
	.size	_ZN9rocsolver6v33100L18getri_kernel_smallILi45EdPKPdEEvT1_iilPiilS6_bb, .Lfunc_end108-_ZN9rocsolver6v33100L18getri_kernel_smallILi45EdPKPdEEvT1_iilPiilS6_bb
                                        ; -- End function
	.set _ZN9rocsolver6v33100L18getri_kernel_smallILi45EdPKPdEEvT1_iilPiilS6_bb.num_vgpr, 136
	.set _ZN9rocsolver6v33100L18getri_kernel_smallILi45EdPKPdEEvT1_iilPiilS6_bb.num_agpr, 0
	.set _ZN9rocsolver6v33100L18getri_kernel_smallILi45EdPKPdEEvT1_iilPiilS6_bb.numbered_sgpr, 19
	.set _ZN9rocsolver6v33100L18getri_kernel_smallILi45EdPKPdEEvT1_iilPiilS6_bb.num_named_barrier, 0
	.set _ZN9rocsolver6v33100L18getri_kernel_smallILi45EdPKPdEEvT1_iilPiilS6_bb.private_seg_size, 368
	.set _ZN9rocsolver6v33100L18getri_kernel_smallILi45EdPKPdEEvT1_iilPiilS6_bb.uses_vcc, 1
	.set _ZN9rocsolver6v33100L18getri_kernel_smallILi45EdPKPdEEvT1_iilPiilS6_bb.uses_flat_scratch, 1
	.set _ZN9rocsolver6v33100L18getri_kernel_smallILi45EdPKPdEEvT1_iilPiilS6_bb.has_dyn_sized_stack, 0
	.set _ZN9rocsolver6v33100L18getri_kernel_smallILi45EdPKPdEEvT1_iilPiilS6_bb.has_recursion, 0
	.set _ZN9rocsolver6v33100L18getri_kernel_smallILi45EdPKPdEEvT1_iilPiilS6_bb.has_indirect_call, 0
	.section	.AMDGPU.csdata,"",@progbits
; Kernel info:
; codeLenInByte = 41372
; TotalNumSgprs: 21
; NumVgprs: 136
; ScratchSize: 368
; MemoryBound: 0
; FloatMode: 240
; IeeeMode: 1
; LDSByteSize: 728 bytes/workgroup (compile time only)
; SGPRBlocks: 0
; VGPRBlocks: 8
; NumSGPRsForWavesPerEU: 21
; NumVGPRsForWavesPerEU: 136
; NamedBarCnt: 0
; Occupancy: 7
; WaveLimiterHint : 1
; COMPUTE_PGM_RSRC2:SCRATCH_EN: 1
; COMPUTE_PGM_RSRC2:USER_SGPR: 2
; COMPUTE_PGM_RSRC2:TRAP_HANDLER: 0
; COMPUTE_PGM_RSRC2:TGID_X_EN: 1
; COMPUTE_PGM_RSRC2:TGID_Y_EN: 0
; COMPUTE_PGM_RSRC2:TGID_Z_EN: 0
; COMPUTE_PGM_RSRC2:TIDIG_COMP_CNT: 0
	.section	.text._ZN9rocsolver6v33100L18getri_kernel_smallILi46EdPKPdEEvT1_iilPiilS6_bb,"axG",@progbits,_ZN9rocsolver6v33100L18getri_kernel_smallILi46EdPKPdEEvT1_iilPiilS6_bb,comdat
	.globl	_ZN9rocsolver6v33100L18getri_kernel_smallILi46EdPKPdEEvT1_iilPiilS6_bb ; -- Begin function _ZN9rocsolver6v33100L18getri_kernel_smallILi46EdPKPdEEvT1_iilPiilS6_bb
	.p2align	8
	.type	_ZN9rocsolver6v33100L18getri_kernel_smallILi46EdPKPdEEvT1_iilPiilS6_bb,@function
_ZN9rocsolver6v33100L18getri_kernel_smallILi46EdPKPdEEvT1_iilPiilS6_bb: ; @_ZN9rocsolver6v33100L18getri_kernel_smallILi46EdPKPdEEvT1_iilPiilS6_bb
; %bb.0:
	s_mov_b32 s2, exec_lo
	v_cmpx_gt_u32_e32 46, v0
	s_cbranch_execz .LBB109_194
; %bb.1:
	s_clause 0x1
	s_load_b32 s13, s[0:1], 0x38
	s_load_b64 s[2:3], s[0:1], 0x0
	s_getreg_b32 s6, hwreg(HW_REG_IB_STS2, 6, 4)
	s_wait_kmcnt 0x0
	s_bitcmp1_b32 s13, 8
	s_cselect_b32 s12, -1, 0
	s_bfe_u32 s4, ttmp6, 0x4000c
	s_and_b32 s5, ttmp6, 15
	s_add_co_i32 s4, s4, 1
	s_delay_alu instid0(SALU_CYCLE_1) | instskip(NEXT) | instid1(SALU_CYCLE_1)
	s_mul_i32 s4, ttmp9, s4
	s_add_co_i32 s5, s5, s4
	s_cmp_eq_u32 s6, 0
	s_cselect_b32 s10, ttmp9, s5
	s_load_b128 s[4:7], s[0:1], 0x28
	s_ashr_i32 s11, s10, 31
	s_delay_alu instid0(SALU_CYCLE_1) | instskip(NEXT) | instid1(SALU_CYCLE_1)
	s_lshl_b64 s[8:9], s[10:11], 3
	s_add_nc_u64 s[2:3], s[2:3], s[8:9]
	s_bfe_u32 s8, s13, 0x10008
	s_load_b64 s[2:3], s[2:3], 0x0
	s_cmp_eq_u32 s8, 0
                                        ; implicit-def: $sgpr8_sgpr9
	s_cbranch_scc1 .LBB109_3
; %bb.2:
	s_load_b96 s[16:18], s[0:1], 0x18
	s_wait_kmcnt 0x0
	s_mul_u64 s[4:5], s[4:5], s[10:11]
	s_delay_alu instid0(SALU_CYCLE_1) | instskip(SKIP_4) | instid1(SALU_CYCLE_1)
	s_lshl_b64 s[4:5], s[4:5], 2
	s_ashr_i32 s9, s18, 31
	s_mov_b32 s8, s18
	s_add_nc_u64 s[4:5], s[16:17], s[4:5]
	s_lshl_b64 s[8:9], s[8:9], 2
	s_add_nc_u64 s[8:9], s[4:5], s[8:9]
.LBB109_3:
	s_wait_kmcnt 0x0
	s_clause 0x1
	s_load_b64 s[4:5], s[0:1], 0x8
	s_load_b32 s13, s[0:1], 0x38
	v_dual_mov_b32 v3, 0 :: v_dual_lshlrev_b32 v2, 3, v0
	s_wait_kmcnt 0x0
	s_ashr_i32 s1, s4, 31
	s_mov_b32 s0, s4
	s_delay_alu instid0(SALU_CYCLE_1) | instskip(NEXT) | instid1(SALU_CYCLE_1)
	s_lshl_b64 s[0:1], s[0:1], 3
	s_add_nc_u64 s[2:3], s[2:3], s[0:1]
	s_ashr_i32 s1, s5, 31
	flat_load_b64 v[8:9], v0, s[2:3] scale_offset
	v_add_nc_u64_e32 v[4:5], s[2:3], v[2:3]
	s_mov_b32 s0, s5
	s_bitcmp0_b32 s13, 0
	s_delay_alu instid0(VALU_DEP_1)
	v_lshl_add_u64 v[6:7], s[0:1], 3, v[4:5]
	s_mov_b32 s1, -1
	s_wait_loadcnt_dscnt 0x0
	scratch_store_b64 off, v[8:9], off
	flat_load_b64 v[10:11], v[6:7]
	s_wait_xcnt 0x1
	v_add3_u32 v8, s5, s5, v0
	s_wait_loadcnt_dscnt 0x0
	scratch_store_b64 off, v[10:11], off offset:8
	flat_load_b64 v[12:13], v8, s[2:3] scale_offset
	s_wait_xcnt 0x1
	v_add_nc_u32_e32 v10, s5, v8
	s_wait_loadcnt_dscnt 0x0
	scratch_store_b64 off, v[12:13], off offset:16
	flat_load_b64 v[14:15], v10, s[2:3] scale_offset
	s_wait_xcnt 0x1
	v_add_nc_u32_e32 v12, s5, v10
	s_wait_loadcnt_dscnt 0x0
	scratch_store_b64 off, v[14:15], off offset:24
	flat_load_b64 v[16:17], v12, s[2:3] scale_offset
	s_wait_xcnt 0x1
	v_add_nc_u32_e32 v14, s5, v12
	s_wait_loadcnt_dscnt 0x0
	scratch_store_b64 off, v[16:17], off offset:32
	flat_load_b64 v[18:19], v14, s[2:3] scale_offset
	s_wait_xcnt 0x1
	v_add_nc_u32_e32 v16, s5, v14
	s_wait_loadcnt_dscnt 0x0
	scratch_store_b64 off, v[18:19], off offset:40
	flat_load_b64 v[20:21], v16, s[2:3] scale_offset
	s_wait_xcnt 0x1
	v_add_nc_u32_e32 v18, s5, v16
	s_wait_loadcnt_dscnt 0x0
	scratch_store_b64 off, v[20:21], off offset:48
	flat_load_b64 v[22:23], v18, s[2:3] scale_offset
	s_wait_xcnt 0x1
	v_add_nc_u32_e32 v20, s5, v18
	s_wait_loadcnt_dscnt 0x0
	scratch_store_b64 off, v[22:23], off offset:56
	flat_load_b64 v[24:25], v20, s[2:3] scale_offset
	s_wait_xcnt 0x1
	v_add_nc_u32_e32 v22, s5, v20
	s_wait_loadcnt_dscnt 0x0
	scratch_store_b64 off, v[24:25], off offset:64
	flat_load_b64 v[26:27], v22, s[2:3] scale_offset
	s_wait_xcnt 0x1
	v_add_nc_u32_e32 v24, s5, v22
	s_wait_loadcnt_dscnt 0x0
	scratch_store_b64 off, v[26:27], off offset:72
	flat_load_b64 v[28:29], v24, s[2:3] scale_offset
	s_wait_xcnt 0x1
	v_add_nc_u32_e32 v26, s5, v24
	s_wait_loadcnt_dscnt 0x0
	scratch_store_b64 off, v[28:29], off offset:80
	flat_load_b64 v[30:31], v26, s[2:3] scale_offset
	s_wait_xcnt 0x1
	v_add_nc_u32_e32 v28, s5, v26
	s_wait_loadcnt_dscnt 0x0
	scratch_store_b64 off, v[30:31], off offset:88
	flat_load_b64 v[32:33], v28, s[2:3] scale_offset
	s_wait_xcnt 0x1
	v_add_nc_u32_e32 v30, s5, v28
	s_wait_loadcnt_dscnt 0x0
	scratch_store_b64 off, v[32:33], off offset:96
	flat_load_b64 v[34:35], v30, s[2:3] scale_offset
	s_wait_xcnt 0x1
	v_add_nc_u32_e32 v32, s5, v30
	s_wait_loadcnt_dscnt 0x0
	scratch_store_b64 off, v[34:35], off offset:104
	flat_load_b64 v[36:37], v32, s[2:3] scale_offset
	s_wait_xcnt 0x1
	v_add_nc_u32_e32 v34, s5, v32
	s_wait_loadcnt_dscnt 0x0
	scratch_store_b64 off, v[36:37], off offset:112
	flat_load_b64 v[38:39], v34, s[2:3] scale_offset
	s_wait_xcnt 0x1
	v_add_nc_u32_e32 v36, s5, v34
	s_wait_loadcnt_dscnt 0x0
	scratch_store_b64 off, v[38:39], off offset:120
	flat_load_b64 v[40:41], v36, s[2:3] scale_offset
	s_wait_xcnt 0x1
	v_add_nc_u32_e32 v38, s5, v36
	s_wait_loadcnt_dscnt 0x0
	scratch_store_b64 off, v[40:41], off offset:128
	flat_load_b64 v[42:43], v38, s[2:3] scale_offset
	s_wait_xcnt 0x1
	v_add_nc_u32_e32 v40, s5, v38
	s_wait_loadcnt_dscnt 0x0
	scratch_store_b64 off, v[42:43], off offset:136
	flat_load_b64 v[44:45], v40, s[2:3] scale_offset
	s_wait_xcnt 0x1
	v_add_nc_u32_e32 v42, s5, v40
	s_wait_loadcnt_dscnt 0x0
	scratch_store_b64 off, v[44:45], off offset:144
	flat_load_b64 v[46:47], v42, s[2:3] scale_offset
	s_wait_xcnt 0x1
	v_add_nc_u32_e32 v44, s5, v42
	s_wait_loadcnt_dscnt 0x0
	scratch_store_b64 off, v[46:47], off offset:152
	flat_load_b64 v[48:49], v44, s[2:3] scale_offset
	s_wait_xcnt 0x1
	v_add_nc_u32_e32 v46, s5, v44
	s_wait_loadcnt_dscnt 0x0
	scratch_store_b64 off, v[48:49], off offset:160
	flat_load_b64 v[50:51], v46, s[2:3] scale_offset
	s_wait_xcnt 0x1
	v_add_nc_u32_e32 v48, s5, v46
	s_wait_loadcnt_dscnt 0x0
	scratch_store_b64 off, v[50:51], off offset:168
	flat_load_b64 v[52:53], v48, s[2:3] scale_offset
	s_wait_xcnt 0x1
	v_add_nc_u32_e32 v50, s5, v48
	s_wait_loadcnt_dscnt 0x0
	scratch_store_b64 off, v[52:53], off offset:176
	flat_load_b64 v[54:55], v50, s[2:3] scale_offset
	s_wait_xcnt 0x1
	v_add_nc_u32_e32 v52, s5, v50
	s_wait_loadcnt_dscnt 0x0
	scratch_store_b64 off, v[54:55], off offset:184
	flat_load_b64 v[56:57], v52, s[2:3] scale_offset
	s_wait_xcnt 0x1
	v_add_nc_u32_e32 v54, s5, v52
	s_wait_loadcnt_dscnt 0x0
	scratch_store_b64 off, v[56:57], off offset:192
	flat_load_b64 v[58:59], v54, s[2:3] scale_offset
	s_wait_xcnt 0x1
	v_add_nc_u32_e32 v56, s5, v54
	s_wait_loadcnt_dscnt 0x0
	scratch_store_b64 off, v[58:59], off offset:200
	flat_load_b64 v[60:61], v56, s[2:3] scale_offset
	s_wait_xcnt 0x1
	v_add_nc_u32_e32 v58, s5, v56
	s_wait_loadcnt_dscnt 0x0
	scratch_store_b64 off, v[60:61], off offset:208
	flat_load_b64 v[62:63], v58, s[2:3] scale_offset
	s_wait_xcnt 0x1
	v_add_nc_u32_e32 v60, s5, v58
	s_wait_loadcnt_dscnt 0x0
	scratch_store_b64 off, v[62:63], off offset:216
	flat_load_b64 v[64:65], v60, s[2:3] scale_offset
	s_wait_xcnt 0x1
	v_add_nc_u32_e32 v62, s5, v60
	s_wait_loadcnt_dscnt 0x0
	scratch_store_b64 off, v[64:65], off offset:224
	flat_load_b64 v[66:67], v62, s[2:3] scale_offset
	s_wait_xcnt 0x1
	v_add_nc_u32_e32 v64, s5, v62
	s_wait_loadcnt_dscnt 0x0
	scratch_store_b64 off, v[66:67], off offset:232
	flat_load_b64 v[68:69], v64, s[2:3] scale_offset
	s_wait_xcnt 0x1
	v_add_nc_u32_e32 v66, s5, v64
	s_wait_loadcnt_dscnt 0x0
	scratch_store_b64 off, v[68:69], off offset:240
	flat_load_b64 v[70:71], v66, s[2:3] scale_offset
	s_wait_xcnt 0x1
	v_add_nc_u32_e32 v68, s5, v66
	s_wait_loadcnt_dscnt 0x0
	scratch_store_b64 off, v[70:71], off offset:248
	flat_load_b64 v[72:73], v68, s[2:3] scale_offset
	s_wait_xcnt 0x1
	v_add_nc_u32_e32 v70, s5, v68
	s_wait_loadcnt_dscnt 0x0
	scratch_store_b64 off, v[72:73], off offset:256
	flat_load_b64 v[74:75], v70, s[2:3] scale_offset
	s_wait_xcnt 0x1
	v_add_nc_u32_e32 v72, s5, v70
	s_wait_loadcnt_dscnt 0x0
	scratch_store_b64 off, v[74:75], off offset:264
	flat_load_b64 v[76:77], v72, s[2:3] scale_offset
	s_wait_xcnt 0x1
	v_add_nc_u32_e32 v74, s5, v72
	s_wait_loadcnt_dscnt 0x0
	scratch_store_b64 off, v[76:77], off offset:272
	flat_load_b64 v[78:79], v74, s[2:3] scale_offset
	s_wait_xcnt 0x1
	v_add_nc_u32_e32 v76, s5, v74
	s_wait_loadcnt_dscnt 0x0
	scratch_store_b64 off, v[78:79], off offset:280
	flat_load_b64 v[80:81], v76, s[2:3] scale_offset
	s_wait_xcnt 0x1
	v_add_nc_u32_e32 v78, s5, v76
	s_wait_loadcnt_dscnt 0x0
	scratch_store_b64 off, v[80:81], off offset:288
	flat_load_b64 v[82:83], v78, s[2:3] scale_offset
	s_wait_xcnt 0x1
	v_add_nc_u32_e32 v80, s5, v78
	s_wait_loadcnt_dscnt 0x0
	scratch_store_b64 off, v[82:83], off offset:296
	flat_load_b64 v[84:85], v80, s[2:3] scale_offset
	s_wait_xcnt 0x1
	v_add_nc_u32_e32 v82, s5, v80
	s_wait_loadcnt_dscnt 0x0
	scratch_store_b64 off, v[84:85], off offset:304
	flat_load_b64 v[86:87], v82, s[2:3] scale_offset
	s_wait_xcnt 0x1
	v_add_nc_u32_e32 v84, s5, v82
	s_wait_loadcnt_dscnt 0x0
	scratch_store_b64 off, v[86:87], off offset:312
	flat_load_b64 v[88:89], v84, s[2:3] scale_offset
	s_wait_xcnt 0x1
	v_add_nc_u32_e32 v86, s5, v84
	s_wait_loadcnt_dscnt 0x0
	scratch_store_b64 off, v[88:89], off offset:320
	flat_load_b64 v[90:91], v86, s[2:3] scale_offset
	s_wait_xcnt 0x1
	v_add_nc_u32_e32 v88, s5, v86
	s_wait_loadcnt_dscnt 0x0
	scratch_store_b64 off, v[90:91], off offset:328
	flat_load_b64 v[92:93], v88, s[2:3] scale_offset
	s_wait_xcnt 0x1
	v_add_nc_u32_e32 v90, s5, v88
	s_wait_loadcnt_dscnt 0x0
	scratch_store_b64 off, v[92:93], off offset:336
	flat_load_b64 v[94:95], v90, s[2:3] scale_offset
	s_wait_xcnt 0x1
	v_add_nc_u32_e32 v92, s5, v90
	s_wait_loadcnt_dscnt 0x0
	scratch_store_b64 off, v[94:95], off offset:344
	flat_load_b64 v[96:97], v92, s[2:3] scale_offset
	s_wait_xcnt 0x1
	v_add_nc_u32_e32 v94, s5, v92
	s_wait_loadcnt_dscnt 0x0
	scratch_store_b64 off, v[96:97], off offset:352
	flat_load_b64 v[96:97], v94, s[2:3] scale_offset
	s_wait_loadcnt_dscnt 0x0
	scratch_store_b64 off, v[96:97], off offset:360
	s_cbranch_scc1 .LBB109_192
; %bb.4:
	v_cmp_eq_u32_e64 s0, 0, v0
	s_wait_xcnt 0x0
	s_and_saveexec_b32 s1, s0
; %bb.5:
	v_mov_b32_e32 v1, 0
	ds_store_b32 v1, v1 offset:736
; %bb.6:
	s_or_b32 exec_lo, exec_lo, s1
	s_wait_storecnt_dscnt 0x0
	s_barrier_signal -1
	s_barrier_wait -1
	scratch_load_b64 v[96:97], v0, off scale_offset
	s_mov_b32 s4, exec_lo
	s_wait_loadcnt 0x0
	v_cmpx_eq_f64_e32 0, v[96:97]
	s_cbranch_execz .LBB109_10
; %bb.7:
	v_mov_b32_e32 v1, 0
	s_mov_b32 s5, 0
	ds_load_b32 v3, v1 offset:736
	s_wait_dscnt 0x0
	v_readfirstlane_b32 s1, v3
	v_add_nc_u32_e32 v3, 1, v0
	s_cmp_eq_u32 s1, 0
	s_delay_alu instid0(VALU_DEP_1) | instskip(SKIP_1) | instid1(SALU_CYCLE_1)
	v_cmp_gt_i32_e32 vcc_lo, s1, v3
	s_cselect_b32 s13, -1, 0
	s_or_b32 s13, s13, vcc_lo
	s_delay_alu instid0(SALU_CYCLE_1)
	s_and_b32 exec_lo, exec_lo, s13
	s_cbranch_execz .LBB109_10
; %bb.8:
	v_mov_b32_e32 v9, s1
.LBB109_9:                              ; =>This Inner Loop Header: Depth=1
	ds_cmpstore_rtn_b32 v9, v1, v3, v9 offset:736
	s_wait_dscnt 0x0
	v_cmp_ne_u32_e32 vcc_lo, 0, v9
	v_cmp_le_i32_e64 s1, v9, v3
	s_and_b32 s1, vcc_lo, s1
	s_delay_alu instid0(SALU_CYCLE_1) | instskip(NEXT) | instid1(SALU_CYCLE_1)
	s_and_b32 s1, exec_lo, s1
	s_or_b32 s5, s1, s5
	s_delay_alu instid0(SALU_CYCLE_1)
	s_and_not1_b32 exec_lo, exec_lo, s5
	s_cbranch_execnz .LBB109_9
.LBB109_10:
	s_or_b32 exec_lo, exec_lo, s4
	v_mov_b32_e32 v1, 0
	s_barrier_signal -1
	s_barrier_wait -1
	ds_load_b32 v3, v1 offset:736
	s_and_saveexec_b32 s1, s0
	s_cbranch_execz .LBB109_12
; %bb.11:
	s_lshl_b64 s[4:5], s[10:11], 2
	s_delay_alu instid0(SALU_CYCLE_1)
	s_add_nc_u64 s[4:5], s[6:7], s[4:5]
	s_wait_dscnt 0x0
	global_store_b32 v1, v3, s[4:5]
.LBB109_12:
	s_wait_xcnt 0x0
	s_or_b32 exec_lo, exec_lo, s1
	s_wait_dscnt 0x0
	v_cmp_ne_u32_e32 vcc_lo, 0, v3
	s_mov_b32 s1, 0
	s_cbranch_vccnz .LBB109_192
; %bb.13:
	v_lshl_add_u32 v3, v0, 3, 0
	v_add_nc_u32_e32 v1, 0x170, v2
	scratch_load_b64 v[96:97], v3, off
	s_wait_loadcnt 0x0
	v_div_scale_f64 v[98:99], null, v[96:97], v[96:97], 1.0
	v_div_scale_f64 v[104:105], vcc_lo, 1.0, v[96:97], 1.0
	s_delay_alu instid0(VALU_DEP_2) | instskip(SKIP_1) | instid1(TRANS32_DEP_1)
	v_rcp_f64_e32 v[100:101], v[98:99]
	v_nop
	v_fma_f64 v[102:103], -v[98:99], v[100:101], 1.0
	s_delay_alu instid0(VALU_DEP_1) | instskip(NEXT) | instid1(VALU_DEP_1)
	v_fmac_f64_e32 v[100:101], v[100:101], v[102:103]
	v_fma_f64 v[102:103], -v[98:99], v[100:101], 1.0
	s_delay_alu instid0(VALU_DEP_1) | instskip(NEXT) | instid1(VALU_DEP_1)
	v_fmac_f64_e32 v[100:101], v[100:101], v[102:103]
	v_mul_f64_e32 v[102:103], v[104:105], v[100:101]
	s_delay_alu instid0(VALU_DEP_1) | instskip(NEXT) | instid1(VALU_DEP_1)
	v_fma_f64 v[98:99], -v[98:99], v[102:103], v[104:105]
	v_div_fmas_f64 v[98:99], v[98:99], v[100:101], v[102:103]
	s_delay_alu instid0(VALU_DEP_1)
	v_div_fixup_f64 v[96:97], v[98:99], v[96:97], 1.0
	scratch_store_b64 v3, v[96:97], off
	scratch_load_b64 v[98:99], off, off offset:8
	s_wait_xcnt 0x1
	v_xor_b32_e32 v97, 0x80000000, v97
	s_wait_loadcnt 0x0
	ds_store_2addr_b64 v2, v[96:97], v[98:99] offset1:46
	s_wait_storecnt_dscnt 0x0
	s_barrier_signal -1
	s_barrier_wait -1
	s_wait_xcnt 0x0
	s_and_saveexec_b32 s1, s0
	s_cbranch_execz .LBB109_15
; %bb.14:
	scratch_load_b64 v[96:97], v3, off
	ds_load_b64 v[98:99], v1
	s_wait_loadcnt_dscnt 0x0
	v_fma_f64 v[96:97], v[96:97], v[98:99], 0
	v_mov_b32_e32 v9, 0
	ds_load_b64 v[100:101], v9 offset:8
	s_wait_dscnt 0x0
	v_mul_f64_e32 v[96:97], v[96:97], v[100:101]
	scratch_store_b64 off, v[96:97], off offset:8
.LBB109_15:
	s_wait_xcnt 0x0
	s_or_b32 exec_lo, exec_lo, s1
	s_wait_storecnt 0x0
	s_barrier_signal -1
	s_barrier_wait -1
	scratch_load_b64 v[96:97], off, off offset:16
	s_mov_b32 s1, exec_lo
	s_wait_loadcnt 0x0
	ds_store_b64 v1, v[96:97]
	s_wait_dscnt 0x0
	s_barrier_signal -1
	s_barrier_wait -1
	v_cmpx_gt_u32_e32 2, v0
	s_cbranch_execz .LBB109_19
; %bb.16:
	scratch_load_b64 v[96:97], v3, off
	ds_load_b64 v[98:99], v1
	s_wait_loadcnt_dscnt 0x0
	v_fma_f64 v[96:97], v[96:97], v[98:99], 0
	s_and_saveexec_b32 s4, s0
	s_cbranch_execz .LBB109_18
; %bb.17:
	scratch_load_b64 v[98:99], off, off offset:8
	v_mov_b32_e32 v3, 0
	ds_load_b64 v[100:101], v3 offset:376
	s_wait_loadcnt_dscnt 0x0
	v_fmac_f64_e32 v[96:97], v[98:99], v[100:101]
.LBB109_18:
	s_or_b32 exec_lo, exec_lo, s4
	v_mov_b32_e32 v3, 0
	ds_load_b64 v[98:99], v3 offset:16
	s_wait_dscnt 0x0
	v_mul_f64_e32 v[96:97], v[96:97], v[98:99]
	scratch_store_b64 off, v[96:97], off offset:16
.LBB109_19:
	s_wait_xcnt 0x0
	s_or_b32 exec_lo, exec_lo, s1
	s_wait_storecnt 0x0
	s_barrier_signal -1
	s_barrier_wait -1
	scratch_load_b64 v[96:97], off, off offset:24
	v_add_nc_u32_e32 v3, -1, v0
	s_mov_b32 s0, exec_lo
	s_wait_loadcnt 0x0
	ds_store_b64 v1, v[96:97]
	s_wait_dscnt 0x0
	s_barrier_signal -1
	s_barrier_wait -1
	v_cmpx_gt_u32_e32 3, v0
	s_cbranch_execz .LBB109_23
; %bb.20:
	v_mov_b64_e32 v[96:97], 0
	v_dual_add_nc_u32 v9, -1, v0 :: v_dual_mov_b32 v13, v2
	v_add_nc_u32_e32 v11, 0x170, v2
	s_mov_b32 s1, 0
.LBB109_21:                             ; =>This Inner Loop Header: Depth=1
	scratch_load_b64 v[98:99], v13, off
	ds_load_b64 v[100:101], v11
	v_dual_add_nc_u32 v9, 1, v9 :: v_dual_add_nc_u32 v11, 8, v11
	s_wait_xcnt 0x0
	v_add_nc_u32_e32 v13, 8, v13
	s_delay_alu instid0(VALU_DEP_2)
	v_cmp_lt_u32_e32 vcc_lo, 1, v9
	s_or_b32 s1, vcc_lo, s1
	s_wait_loadcnt_dscnt 0x0
	v_fmac_f64_e32 v[96:97], v[98:99], v[100:101]
	s_and_not1_b32 exec_lo, exec_lo, s1
	s_cbranch_execnz .LBB109_21
; %bb.22:
	s_or_b32 exec_lo, exec_lo, s1
	v_mov_b32_e32 v9, 0
	ds_load_b64 v[98:99], v9 offset:24
	s_wait_dscnt 0x0
	v_mul_f64_e32 v[96:97], v[96:97], v[98:99]
	scratch_store_b64 off, v[96:97], off offset:24
.LBB109_23:
	s_wait_xcnt 0x0
	s_or_b32 exec_lo, exec_lo, s0
	s_wait_storecnt 0x0
	s_barrier_signal -1
	s_barrier_wait -1
	scratch_load_b64 v[96:97], off, off offset:32
	s_mov_b32 s0, exec_lo
	s_wait_loadcnt 0x0
	ds_store_b64 v1, v[96:97]
	s_wait_dscnt 0x0
	s_barrier_signal -1
	s_barrier_wait -1
	v_cmpx_gt_u32_e32 4, v0
	s_cbranch_execz .LBB109_27
; %bb.24:
	v_mov_b64_e32 v[96:97], 0
	v_dual_add_nc_u32 v9, -1, v0 :: v_dual_mov_b32 v13, v2
	v_add_nc_u32_e32 v11, 0x170, v2
	s_mov_b32 s1, 0
.LBB109_25:                             ; =>This Inner Loop Header: Depth=1
	scratch_load_b64 v[98:99], v13, off
	ds_load_b64 v[100:101], v11
	v_dual_add_nc_u32 v9, 1, v9 :: v_dual_add_nc_u32 v11, 8, v11
	s_wait_xcnt 0x0
	v_add_nc_u32_e32 v13, 8, v13
	s_delay_alu instid0(VALU_DEP_2)
	v_cmp_lt_u32_e32 vcc_lo, 2, v9
	s_or_b32 s1, vcc_lo, s1
	s_wait_loadcnt_dscnt 0x0
	v_fmac_f64_e32 v[96:97], v[98:99], v[100:101]
	s_and_not1_b32 exec_lo, exec_lo, s1
	s_cbranch_execnz .LBB109_25
; %bb.26:
	s_or_b32 exec_lo, exec_lo, s1
	v_mov_b32_e32 v9, 0
	ds_load_b64 v[98:99], v9 offset:32
	s_wait_dscnt 0x0
	v_mul_f64_e32 v[96:97], v[96:97], v[98:99]
	scratch_store_b64 off, v[96:97], off offset:32
.LBB109_27:
	s_wait_xcnt 0x0
	s_or_b32 exec_lo, exec_lo, s0
	s_wait_storecnt 0x0
	s_barrier_signal -1
	s_barrier_wait -1
	scratch_load_b64 v[96:97], off, off offset:40
	s_mov_b32 s0, exec_lo
	s_wait_loadcnt 0x0
	ds_store_b64 v1, v[96:97]
	s_wait_dscnt 0x0
	s_barrier_signal -1
	s_barrier_wait -1
	v_cmpx_gt_u32_e32 5, v0
	s_cbranch_execz .LBB109_31
; %bb.28:
	v_mov_b64_e32 v[96:97], 0
	v_dual_add_nc_u32 v9, -1, v0 :: v_dual_mov_b32 v13, v2
	v_add_nc_u32_e32 v11, 0x170, v2
	s_mov_b32 s1, 0
.LBB109_29:                             ; =>This Inner Loop Header: Depth=1
	scratch_load_b64 v[98:99], v13, off
	ds_load_b64 v[100:101], v11
	v_dual_add_nc_u32 v9, 1, v9 :: v_dual_add_nc_u32 v11, 8, v11
	s_wait_xcnt 0x0
	v_add_nc_u32_e32 v13, 8, v13
	s_delay_alu instid0(VALU_DEP_2)
	v_cmp_lt_u32_e32 vcc_lo, 3, v9
	s_or_b32 s1, vcc_lo, s1
	s_wait_loadcnt_dscnt 0x0
	v_fmac_f64_e32 v[96:97], v[98:99], v[100:101]
	s_and_not1_b32 exec_lo, exec_lo, s1
	s_cbranch_execnz .LBB109_29
; %bb.30:
	s_or_b32 exec_lo, exec_lo, s1
	v_mov_b32_e32 v9, 0
	ds_load_b64 v[98:99], v9 offset:40
	s_wait_dscnt 0x0
	v_mul_f64_e32 v[96:97], v[96:97], v[98:99]
	scratch_store_b64 off, v[96:97], off offset:40
.LBB109_31:
	s_wait_xcnt 0x0
	s_or_b32 exec_lo, exec_lo, s0
	s_wait_storecnt 0x0
	s_barrier_signal -1
	s_barrier_wait -1
	scratch_load_b64 v[96:97], off, off offset:48
	s_mov_b32 s0, exec_lo
	s_wait_loadcnt 0x0
	ds_store_b64 v1, v[96:97]
	s_wait_dscnt 0x0
	s_barrier_signal -1
	s_barrier_wait -1
	v_cmpx_gt_u32_e32 6, v0
	s_cbranch_execz .LBB109_35
; %bb.32:
	v_mov_b64_e32 v[96:97], 0
	v_dual_add_nc_u32 v9, -1, v0 :: v_dual_mov_b32 v13, v2
	v_add_nc_u32_e32 v11, 0x170, v2
	s_mov_b32 s1, 0
.LBB109_33:                             ; =>This Inner Loop Header: Depth=1
	scratch_load_b64 v[98:99], v13, off
	ds_load_b64 v[100:101], v11
	v_dual_add_nc_u32 v9, 1, v9 :: v_dual_add_nc_u32 v11, 8, v11
	s_wait_xcnt 0x0
	v_add_nc_u32_e32 v13, 8, v13
	s_delay_alu instid0(VALU_DEP_2)
	v_cmp_lt_u32_e32 vcc_lo, 4, v9
	s_or_b32 s1, vcc_lo, s1
	s_wait_loadcnt_dscnt 0x0
	v_fmac_f64_e32 v[96:97], v[98:99], v[100:101]
	s_and_not1_b32 exec_lo, exec_lo, s1
	s_cbranch_execnz .LBB109_33
; %bb.34:
	s_or_b32 exec_lo, exec_lo, s1
	v_mov_b32_e32 v9, 0
	ds_load_b64 v[98:99], v9 offset:48
	s_wait_dscnt 0x0
	v_mul_f64_e32 v[96:97], v[96:97], v[98:99]
	scratch_store_b64 off, v[96:97], off offset:48
.LBB109_35:
	s_wait_xcnt 0x0
	s_or_b32 exec_lo, exec_lo, s0
	s_wait_storecnt 0x0
	s_barrier_signal -1
	s_barrier_wait -1
	scratch_load_b64 v[96:97], off, off offset:56
	s_mov_b32 s0, exec_lo
	s_wait_loadcnt 0x0
	ds_store_b64 v1, v[96:97]
	s_wait_dscnt 0x0
	s_barrier_signal -1
	s_barrier_wait -1
	v_cmpx_gt_u32_e32 7, v0
	s_cbranch_execz .LBB109_39
; %bb.36:
	v_mov_b64_e32 v[96:97], 0
	v_dual_add_nc_u32 v9, -1, v0 :: v_dual_mov_b32 v13, v2
	v_add_nc_u32_e32 v11, 0x170, v2
	s_mov_b32 s1, 0
.LBB109_37:                             ; =>This Inner Loop Header: Depth=1
	scratch_load_b64 v[98:99], v13, off
	ds_load_b64 v[100:101], v11
	v_dual_add_nc_u32 v9, 1, v9 :: v_dual_add_nc_u32 v11, 8, v11
	s_wait_xcnt 0x0
	v_add_nc_u32_e32 v13, 8, v13
	s_delay_alu instid0(VALU_DEP_2)
	v_cmp_lt_u32_e32 vcc_lo, 5, v9
	s_or_b32 s1, vcc_lo, s1
	s_wait_loadcnt_dscnt 0x0
	v_fmac_f64_e32 v[96:97], v[98:99], v[100:101]
	s_and_not1_b32 exec_lo, exec_lo, s1
	s_cbranch_execnz .LBB109_37
; %bb.38:
	s_or_b32 exec_lo, exec_lo, s1
	v_mov_b32_e32 v9, 0
	ds_load_b64 v[98:99], v9 offset:56
	s_wait_dscnt 0x0
	v_mul_f64_e32 v[96:97], v[96:97], v[98:99]
	scratch_store_b64 off, v[96:97], off offset:56
.LBB109_39:
	s_wait_xcnt 0x0
	s_or_b32 exec_lo, exec_lo, s0
	s_wait_storecnt 0x0
	s_barrier_signal -1
	s_barrier_wait -1
	scratch_load_b64 v[96:97], off, off offset:64
	s_mov_b32 s0, exec_lo
	s_wait_loadcnt 0x0
	ds_store_b64 v1, v[96:97]
	s_wait_dscnt 0x0
	s_barrier_signal -1
	s_barrier_wait -1
	v_cmpx_gt_u32_e32 8, v0
	s_cbranch_execz .LBB109_43
; %bb.40:
	v_mov_b64_e32 v[96:97], 0
	v_dual_add_nc_u32 v9, -1, v0 :: v_dual_mov_b32 v13, v2
	v_add_nc_u32_e32 v11, 0x170, v2
	s_mov_b32 s1, 0
.LBB109_41:                             ; =>This Inner Loop Header: Depth=1
	scratch_load_b64 v[98:99], v13, off
	ds_load_b64 v[100:101], v11
	v_dual_add_nc_u32 v9, 1, v9 :: v_dual_add_nc_u32 v11, 8, v11
	s_wait_xcnt 0x0
	v_add_nc_u32_e32 v13, 8, v13
	s_delay_alu instid0(VALU_DEP_2)
	v_cmp_lt_u32_e32 vcc_lo, 6, v9
	s_or_b32 s1, vcc_lo, s1
	s_wait_loadcnt_dscnt 0x0
	v_fmac_f64_e32 v[96:97], v[98:99], v[100:101]
	s_and_not1_b32 exec_lo, exec_lo, s1
	s_cbranch_execnz .LBB109_41
; %bb.42:
	s_or_b32 exec_lo, exec_lo, s1
	v_mov_b32_e32 v9, 0
	ds_load_b64 v[98:99], v9 offset:64
	s_wait_dscnt 0x0
	v_mul_f64_e32 v[96:97], v[96:97], v[98:99]
	scratch_store_b64 off, v[96:97], off offset:64
.LBB109_43:
	s_wait_xcnt 0x0
	s_or_b32 exec_lo, exec_lo, s0
	s_wait_storecnt 0x0
	s_barrier_signal -1
	s_barrier_wait -1
	scratch_load_b64 v[96:97], off, off offset:72
	s_mov_b32 s0, exec_lo
	s_wait_loadcnt 0x0
	ds_store_b64 v1, v[96:97]
	s_wait_dscnt 0x0
	s_barrier_signal -1
	s_barrier_wait -1
	v_cmpx_gt_u32_e32 9, v0
	s_cbranch_execz .LBB109_47
; %bb.44:
	v_mov_b64_e32 v[96:97], 0
	v_dual_add_nc_u32 v9, -1, v0 :: v_dual_mov_b32 v13, v2
	v_add_nc_u32_e32 v11, 0x170, v2
	s_mov_b32 s1, 0
.LBB109_45:                             ; =>This Inner Loop Header: Depth=1
	scratch_load_b64 v[98:99], v13, off
	ds_load_b64 v[100:101], v11
	v_dual_add_nc_u32 v9, 1, v9 :: v_dual_add_nc_u32 v11, 8, v11
	s_wait_xcnt 0x0
	v_add_nc_u32_e32 v13, 8, v13
	s_delay_alu instid0(VALU_DEP_2)
	v_cmp_lt_u32_e32 vcc_lo, 7, v9
	s_or_b32 s1, vcc_lo, s1
	s_wait_loadcnt_dscnt 0x0
	v_fmac_f64_e32 v[96:97], v[98:99], v[100:101]
	s_and_not1_b32 exec_lo, exec_lo, s1
	s_cbranch_execnz .LBB109_45
; %bb.46:
	s_or_b32 exec_lo, exec_lo, s1
	v_mov_b32_e32 v9, 0
	ds_load_b64 v[98:99], v9 offset:72
	s_wait_dscnt 0x0
	v_mul_f64_e32 v[96:97], v[96:97], v[98:99]
	scratch_store_b64 off, v[96:97], off offset:72
.LBB109_47:
	s_wait_xcnt 0x0
	s_or_b32 exec_lo, exec_lo, s0
	s_wait_storecnt 0x0
	s_barrier_signal -1
	s_barrier_wait -1
	scratch_load_b64 v[96:97], off, off offset:80
	s_mov_b32 s0, exec_lo
	s_wait_loadcnt 0x0
	ds_store_b64 v1, v[96:97]
	s_wait_dscnt 0x0
	s_barrier_signal -1
	s_barrier_wait -1
	v_cmpx_gt_u32_e32 10, v0
	s_cbranch_execz .LBB109_51
; %bb.48:
	v_mov_b64_e32 v[96:97], 0
	v_dual_add_nc_u32 v9, -1, v0 :: v_dual_mov_b32 v13, v2
	v_add_nc_u32_e32 v11, 0x170, v2
	s_mov_b32 s1, 0
.LBB109_49:                             ; =>This Inner Loop Header: Depth=1
	scratch_load_b64 v[98:99], v13, off
	ds_load_b64 v[100:101], v11
	v_dual_add_nc_u32 v9, 1, v9 :: v_dual_add_nc_u32 v11, 8, v11
	s_wait_xcnt 0x0
	v_add_nc_u32_e32 v13, 8, v13
	s_delay_alu instid0(VALU_DEP_2)
	v_cmp_lt_u32_e32 vcc_lo, 8, v9
	s_or_b32 s1, vcc_lo, s1
	s_wait_loadcnt_dscnt 0x0
	v_fmac_f64_e32 v[96:97], v[98:99], v[100:101]
	s_and_not1_b32 exec_lo, exec_lo, s1
	s_cbranch_execnz .LBB109_49
; %bb.50:
	s_or_b32 exec_lo, exec_lo, s1
	v_mov_b32_e32 v9, 0
	ds_load_b64 v[98:99], v9 offset:80
	s_wait_dscnt 0x0
	v_mul_f64_e32 v[96:97], v[96:97], v[98:99]
	scratch_store_b64 off, v[96:97], off offset:80
.LBB109_51:
	s_wait_xcnt 0x0
	s_or_b32 exec_lo, exec_lo, s0
	s_wait_storecnt 0x0
	s_barrier_signal -1
	s_barrier_wait -1
	scratch_load_b64 v[96:97], off, off offset:88
	s_mov_b32 s0, exec_lo
	s_wait_loadcnt 0x0
	ds_store_b64 v1, v[96:97]
	s_wait_dscnt 0x0
	s_barrier_signal -1
	s_barrier_wait -1
	v_cmpx_gt_u32_e32 11, v0
	s_cbranch_execz .LBB109_55
; %bb.52:
	v_mov_b64_e32 v[96:97], 0
	v_dual_add_nc_u32 v9, -1, v0 :: v_dual_mov_b32 v13, v2
	v_add_nc_u32_e32 v11, 0x170, v2
	s_mov_b32 s1, 0
.LBB109_53:                             ; =>This Inner Loop Header: Depth=1
	scratch_load_b64 v[98:99], v13, off
	ds_load_b64 v[100:101], v11
	v_dual_add_nc_u32 v9, 1, v9 :: v_dual_add_nc_u32 v11, 8, v11
	s_wait_xcnt 0x0
	v_add_nc_u32_e32 v13, 8, v13
	s_delay_alu instid0(VALU_DEP_2)
	v_cmp_lt_u32_e32 vcc_lo, 9, v9
	s_or_b32 s1, vcc_lo, s1
	s_wait_loadcnt_dscnt 0x0
	v_fmac_f64_e32 v[96:97], v[98:99], v[100:101]
	s_and_not1_b32 exec_lo, exec_lo, s1
	s_cbranch_execnz .LBB109_53
; %bb.54:
	s_or_b32 exec_lo, exec_lo, s1
	v_mov_b32_e32 v9, 0
	ds_load_b64 v[98:99], v9 offset:88
	s_wait_dscnt 0x0
	v_mul_f64_e32 v[96:97], v[96:97], v[98:99]
	scratch_store_b64 off, v[96:97], off offset:88
.LBB109_55:
	s_wait_xcnt 0x0
	s_or_b32 exec_lo, exec_lo, s0
	s_wait_storecnt 0x0
	s_barrier_signal -1
	s_barrier_wait -1
	scratch_load_b64 v[96:97], off, off offset:96
	s_mov_b32 s0, exec_lo
	s_wait_loadcnt 0x0
	ds_store_b64 v1, v[96:97]
	s_wait_dscnt 0x0
	s_barrier_signal -1
	s_barrier_wait -1
	v_cmpx_gt_u32_e32 12, v0
	s_cbranch_execz .LBB109_59
; %bb.56:
	v_mov_b64_e32 v[96:97], 0
	v_dual_add_nc_u32 v9, -1, v0 :: v_dual_mov_b32 v13, v2
	v_add_nc_u32_e32 v11, 0x170, v2
	s_mov_b32 s1, 0
.LBB109_57:                             ; =>This Inner Loop Header: Depth=1
	scratch_load_b64 v[98:99], v13, off
	ds_load_b64 v[100:101], v11
	v_dual_add_nc_u32 v9, 1, v9 :: v_dual_add_nc_u32 v11, 8, v11
	s_wait_xcnt 0x0
	v_add_nc_u32_e32 v13, 8, v13
	s_delay_alu instid0(VALU_DEP_2)
	v_cmp_lt_u32_e32 vcc_lo, 10, v9
	s_or_b32 s1, vcc_lo, s1
	s_wait_loadcnt_dscnt 0x0
	v_fmac_f64_e32 v[96:97], v[98:99], v[100:101]
	s_and_not1_b32 exec_lo, exec_lo, s1
	s_cbranch_execnz .LBB109_57
; %bb.58:
	s_or_b32 exec_lo, exec_lo, s1
	v_mov_b32_e32 v9, 0
	ds_load_b64 v[98:99], v9 offset:96
	s_wait_dscnt 0x0
	v_mul_f64_e32 v[96:97], v[96:97], v[98:99]
	scratch_store_b64 off, v[96:97], off offset:96
.LBB109_59:
	s_wait_xcnt 0x0
	s_or_b32 exec_lo, exec_lo, s0
	s_wait_storecnt 0x0
	s_barrier_signal -1
	s_barrier_wait -1
	scratch_load_b64 v[96:97], off, off offset:104
	s_mov_b32 s0, exec_lo
	s_wait_loadcnt 0x0
	ds_store_b64 v1, v[96:97]
	s_wait_dscnt 0x0
	s_barrier_signal -1
	s_barrier_wait -1
	v_cmpx_gt_u32_e32 13, v0
	s_cbranch_execz .LBB109_63
; %bb.60:
	v_mov_b64_e32 v[96:97], 0
	v_dual_add_nc_u32 v9, -1, v0 :: v_dual_mov_b32 v13, v2
	v_add_nc_u32_e32 v11, 0x170, v2
	s_mov_b32 s1, 0
.LBB109_61:                             ; =>This Inner Loop Header: Depth=1
	scratch_load_b64 v[98:99], v13, off
	ds_load_b64 v[100:101], v11
	v_dual_add_nc_u32 v9, 1, v9 :: v_dual_add_nc_u32 v11, 8, v11
	s_wait_xcnt 0x0
	v_add_nc_u32_e32 v13, 8, v13
	s_delay_alu instid0(VALU_DEP_2)
	v_cmp_lt_u32_e32 vcc_lo, 11, v9
	s_or_b32 s1, vcc_lo, s1
	s_wait_loadcnt_dscnt 0x0
	v_fmac_f64_e32 v[96:97], v[98:99], v[100:101]
	s_and_not1_b32 exec_lo, exec_lo, s1
	s_cbranch_execnz .LBB109_61
; %bb.62:
	s_or_b32 exec_lo, exec_lo, s1
	v_mov_b32_e32 v9, 0
	ds_load_b64 v[98:99], v9 offset:104
	s_wait_dscnt 0x0
	v_mul_f64_e32 v[96:97], v[96:97], v[98:99]
	scratch_store_b64 off, v[96:97], off offset:104
.LBB109_63:
	s_wait_xcnt 0x0
	s_or_b32 exec_lo, exec_lo, s0
	s_wait_storecnt 0x0
	s_barrier_signal -1
	s_barrier_wait -1
	scratch_load_b64 v[96:97], off, off offset:112
	s_mov_b32 s0, exec_lo
	s_wait_loadcnt 0x0
	ds_store_b64 v1, v[96:97]
	s_wait_dscnt 0x0
	s_barrier_signal -1
	s_barrier_wait -1
	v_cmpx_gt_u32_e32 14, v0
	s_cbranch_execz .LBB109_67
; %bb.64:
	v_mov_b64_e32 v[96:97], 0
	v_dual_add_nc_u32 v9, -1, v0 :: v_dual_mov_b32 v13, v2
	v_add_nc_u32_e32 v11, 0x170, v2
	s_mov_b32 s1, 0
.LBB109_65:                             ; =>This Inner Loop Header: Depth=1
	scratch_load_b64 v[98:99], v13, off
	ds_load_b64 v[100:101], v11
	v_dual_add_nc_u32 v9, 1, v9 :: v_dual_add_nc_u32 v11, 8, v11
	s_wait_xcnt 0x0
	v_add_nc_u32_e32 v13, 8, v13
	s_delay_alu instid0(VALU_DEP_2)
	v_cmp_lt_u32_e32 vcc_lo, 12, v9
	s_or_b32 s1, vcc_lo, s1
	s_wait_loadcnt_dscnt 0x0
	v_fmac_f64_e32 v[96:97], v[98:99], v[100:101]
	s_and_not1_b32 exec_lo, exec_lo, s1
	s_cbranch_execnz .LBB109_65
; %bb.66:
	s_or_b32 exec_lo, exec_lo, s1
	v_mov_b32_e32 v9, 0
	ds_load_b64 v[98:99], v9 offset:112
	s_wait_dscnt 0x0
	v_mul_f64_e32 v[96:97], v[96:97], v[98:99]
	scratch_store_b64 off, v[96:97], off offset:112
.LBB109_67:
	s_wait_xcnt 0x0
	s_or_b32 exec_lo, exec_lo, s0
	s_wait_storecnt 0x0
	s_barrier_signal -1
	s_barrier_wait -1
	scratch_load_b64 v[96:97], off, off offset:120
	s_mov_b32 s0, exec_lo
	s_wait_loadcnt 0x0
	ds_store_b64 v1, v[96:97]
	s_wait_dscnt 0x0
	s_barrier_signal -1
	s_barrier_wait -1
	v_cmpx_gt_u32_e32 15, v0
	s_cbranch_execz .LBB109_71
; %bb.68:
	v_mov_b64_e32 v[96:97], 0
	v_dual_add_nc_u32 v9, -1, v0 :: v_dual_mov_b32 v13, v2
	v_add_nc_u32_e32 v11, 0x170, v2
	s_mov_b32 s1, 0
.LBB109_69:                             ; =>This Inner Loop Header: Depth=1
	scratch_load_b64 v[98:99], v13, off
	ds_load_b64 v[100:101], v11
	v_dual_add_nc_u32 v9, 1, v9 :: v_dual_add_nc_u32 v11, 8, v11
	s_wait_xcnt 0x0
	v_add_nc_u32_e32 v13, 8, v13
	s_delay_alu instid0(VALU_DEP_2)
	v_cmp_lt_u32_e32 vcc_lo, 13, v9
	s_or_b32 s1, vcc_lo, s1
	s_wait_loadcnt_dscnt 0x0
	v_fmac_f64_e32 v[96:97], v[98:99], v[100:101]
	s_and_not1_b32 exec_lo, exec_lo, s1
	s_cbranch_execnz .LBB109_69
; %bb.70:
	s_or_b32 exec_lo, exec_lo, s1
	v_mov_b32_e32 v9, 0
	ds_load_b64 v[98:99], v9 offset:120
	s_wait_dscnt 0x0
	v_mul_f64_e32 v[96:97], v[96:97], v[98:99]
	scratch_store_b64 off, v[96:97], off offset:120
.LBB109_71:
	s_wait_xcnt 0x0
	s_or_b32 exec_lo, exec_lo, s0
	s_wait_storecnt 0x0
	s_barrier_signal -1
	s_barrier_wait -1
	scratch_load_b64 v[96:97], off, off offset:128
	s_mov_b32 s0, exec_lo
	s_wait_loadcnt 0x0
	ds_store_b64 v1, v[96:97]
	s_wait_dscnt 0x0
	s_barrier_signal -1
	s_barrier_wait -1
	v_cmpx_gt_u32_e32 16, v0
	s_cbranch_execz .LBB109_75
; %bb.72:
	v_mov_b64_e32 v[96:97], 0
	v_dual_add_nc_u32 v9, -1, v0 :: v_dual_mov_b32 v13, v2
	v_add_nc_u32_e32 v11, 0x170, v2
	s_mov_b32 s1, 0
.LBB109_73:                             ; =>This Inner Loop Header: Depth=1
	scratch_load_b64 v[98:99], v13, off
	ds_load_b64 v[100:101], v11
	v_dual_add_nc_u32 v9, 1, v9 :: v_dual_add_nc_u32 v11, 8, v11
	s_wait_xcnt 0x0
	v_add_nc_u32_e32 v13, 8, v13
	s_delay_alu instid0(VALU_DEP_2)
	v_cmp_lt_u32_e32 vcc_lo, 14, v9
	s_or_b32 s1, vcc_lo, s1
	s_wait_loadcnt_dscnt 0x0
	v_fmac_f64_e32 v[96:97], v[98:99], v[100:101]
	s_and_not1_b32 exec_lo, exec_lo, s1
	s_cbranch_execnz .LBB109_73
; %bb.74:
	s_or_b32 exec_lo, exec_lo, s1
	v_mov_b32_e32 v9, 0
	ds_load_b64 v[98:99], v9 offset:128
	s_wait_dscnt 0x0
	v_mul_f64_e32 v[96:97], v[96:97], v[98:99]
	scratch_store_b64 off, v[96:97], off offset:128
.LBB109_75:
	s_wait_xcnt 0x0
	s_or_b32 exec_lo, exec_lo, s0
	s_wait_storecnt 0x0
	s_barrier_signal -1
	s_barrier_wait -1
	scratch_load_b64 v[96:97], off, off offset:136
	s_mov_b32 s0, exec_lo
	s_wait_loadcnt 0x0
	ds_store_b64 v1, v[96:97]
	s_wait_dscnt 0x0
	s_barrier_signal -1
	s_barrier_wait -1
	v_cmpx_gt_u32_e32 17, v0
	s_cbranch_execz .LBB109_79
; %bb.76:
	v_mov_b64_e32 v[96:97], 0
	v_dual_add_nc_u32 v9, -1, v0 :: v_dual_mov_b32 v13, v2
	v_add_nc_u32_e32 v11, 0x170, v2
	s_mov_b32 s1, 0
.LBB109_77:                             ; =>This Inner Loop Header: Depth=1
	scratch_load_b64 v[98:99], v13, off
	ds_load_b64 v[100:101], v11
	v_dual_add_nc_u32 v9, 1, v9 :: v_dual_add_nc_u32 v11, 8, v11
	s_wait_xcnt 0x0
	v_add_nc_u32_e32 v13, 8, v13
	s_delay_alu instid0(VALU_DEP_2)
	v_cmp_lt_u32_e32 vcc_lo, 15, v9
	s_or_b32 s1, vcc_lo, s1
	s_wait_loadcnt_dscnt 0x0
	v_fmac_f64_e32 v[96:97], v[98:99], v[100:101]
	s_and_not1_b32 exec_lo, exec_lo, s1
	s_cbranch_execnz .LBB109_77
; %bb.78:
	s_or_b32 exec_lo, exec_lo, s1
	v_mov_b32_e32 v9, 0
	ds_load_b64 v[98:99], v9 offset:136
	s_wait_dscnt 0x0
	v_mul_f64_e32 v[96:97], v[96:97], v[98:99]
	scratch_store_b64 off, v[96:97], off offset:136
.LBB109_79:
	s_wait_xcnt 0x0
	s_or_b32 exec_lo, exec_lo, s0
	s_wait_storecnt 0x0
	s_barrier_signal -1
	s_barrier_wait -1
	scratch_load_b64 v[96:97], off, off offset:144
	s_mov_b32 s0, exec_lo
	s_wait_loadcnt 0x0
	ds_store_b64 v1, v[96:97]
	s_wait_dscnt 0x0
	s_barrier_signal -1
	s_barrier_wait -1
	v_cmpx_gt_u32_e32 18, v0
	s_cbranch_execz .LBB109_83
; %bb.80:
	v_mov_b64_e32 v[96:97], 0
	v_dual_add_nc_u32 v9, -1, v0 :: v_dual_mov_b32 v13, v2
	v_add_nc_u32_e32 v11, 0x170, v2
	s_mov_b32 s1, 0
.LBB109_81:                             ; =>This Inner Loop Header: Depth=1
	scratch_load_b64 v[98:99], v13, off
	ds_load_b64 v[100:101], v11
	v_dual_add_nc_u32 v9, 1, v9 :: v_dual_add_nc_u32 v11, 8, v11
	s_wait_xcnt 0x0
	v_add_nc_u32_e32 v13, 8, v13
	s_delay_alu instid0(VALU_DEP_2)
	v_cmp_lt_u32_e32 vcc_lo, 16, v9
	s_or_b32 s1, vcc_lo, s1
	s_wait_loadcnt_dscnt 0x0
	v_fmac_f64_e32 v[96:97], v[98:99], v[100:101]
	s_and_not1_b32 exec_lo, exec_lo, s1
	s_cbranch_execnz .LBB109_81
; %bb.82:
	s_or_b32 exec_lo, exec_lo, s1
	v_mov_b32_e32 v9, 0
	ds_load_b64 v[98:99], v9 offset:144
	s_wait_dscnt 0x0
	v_mul_f64_e32 v[96:97], v[96:97], v[98:99]
	scratch_store_b64 off, v[96:97], off offset:144
.LBB109_83:
	s_wait_xcnt 0x0
	s_or_b32 exec_lo, exec_lo, s0
	s_wait_storecnt 0x0
	s_barrier_signal -1
	s_barrier_wait -1
	scratch_load_b64 v[96:97], off, off offset:152
	s_mov_b32 s0, exec_lo
	s_wait_loadcnt 0x0
	ds_store_b64 v1, v[96:97]
	s_wait_dscnt 0x0
	s_barrier_signal -1
	s_barrier_wait -1
	v_cmpx_gt_u32_e32 19, v0
	s_cbranch_execz .LBB109_87
; %bb.84:
	v_mov_b64_e32 v[96:97], 0
	v_dual_add_nc_u32 v9, -1, v0 :: v_dual_mov_b32 v13, v2
	v_add_nc_u32_e32 v11, 0x170, v2
	s_mov_b32 s1, 0
.LBB109_85:                             ; =>This Inner Loop Header: Depth=1
	scratch_load_b64 v[98:99], v13, off
	ds_load_b64 v[100:101], v11
	v_dual_add_nc_u32 v9, 1, v9 :: v_dual_add_nc_u32 v11, 8, v11
	s_wait_xcnt 0x0
	v_add_nc_u32_e32 v13, 8, v13
	s_delay_alu instid0(VALU_DEP_2)
	v_cmp_lt_u32_e32 vcc_lo, 17, v9
	s_or_b32 s1, vcc_lo, s1
	s_wait_loadcnt_dscnt 0x0
	v_fmac_f64_e32 v[96:97], v[98:99], v[100:101]
	s_and_not1_b32 exec_lo, exec_lo, s1
	s_cbranch_execnz .LBB109_85
; %bb.86:
	s_or_b32 exec_lo, exec_lo, s1
	v_mov_b32_e32 v9, 0
	ds_load_b64 v[98:99], v9 offset:152
	s_wait_dscnt 0x0
	v_mul_f64_e32 v[96:97], v[96:97], v[98:99]
	scratch_store_b64 off, v[96:97], off offset:152
.LBB109_87:
	s_wait_xcnt 0x0
	s_or_b32 exec_lo, exec_lo, s0
	s_wait_storecnt 0x0
	s_barrier_signal -1
	s_barrier_wait -1
	scratch_load_b64 v[96:97], off, off offset:160
	s_mov_b32 s0, exec_lo
	s_wait_loadcnt 0x0
	ds_store_b64 v1, v[96:97]
	s_wait_dscnt 0x0
	s_barrier_signal -1
	s_barrier_wait -1
	v_cmpx_gt_u32_e32 20, v0
	s_cbranch_execz .LBB109_91
; %bb.88:
	v_mov_b64_e32 v[96:97], 0
	v_dual_add_nc_u32 v9, -1, v0 :: v_dual_mov_b32 v13, v2
	v_add_nc_u32_e32 v11, 0x170, v2
	s_mov_b32 s1, 0
.LBB109_89:                             ; =>This Inner Loop Header: Depth=1
	scratch_load_b64 v[98:99], v13, off
	ds_load_b64 v[100:101], v11
	v_dual_add_nc_u32 v9, 1, v9 :: v_dual_add_nc_u32 v11, 8, v11
	s_wait_xcnt 0x0
	v_add_nc_u32_e32 v13, 8, v13
	s_delay_alu instid0(VALU_DEP_2)
	v_cmp_lt_u32_e32 vcc_lo, 18, v9
	s_or_b32 s1, vcc_lo, s1
	s_wait_loadcnt_dscnt 0x0
	v_fmac_f64_e32 v[96:97], v[98:99], v[100:101]
	s_and_not1_b32 exec_lo, exec_lo, s1
	s_cbranch_execnz .LBB109_89
; %bb.90:
	s_or_b32 exec_lo, exec_lo, s1
	v_mov_b32_e32 v9, 0
	ds_load_b64 v[98:99], v9 offset:160
	s_wait_dscnt 0x0
	v_mul_f64_e32 v[96:97], v[96:97], v[98:99]
	scratch_store_b64 off, v[96:97], off offset:160
.LBB109_91:
	s_wait_xcnt 0x0
	s_or_b32 exec_lo, exec_lo, s0
	s_wait_storecnt 0x0
	s_barrier_signal -1
	s_barrier_wait -1
	scratch_load_b64 v[96:97], off, off offset:168
	s_mov_b32 s0, exec_lo
	s_wait_loadcnt 0x0
	ds_store_b64 v1, v[96:97]
	s_wait_dscnt 0x0
	s_barrier_signal -1
	s_barrier_wait -1
	v_cmpx_gt_u32_e32 21, v0
	s_cbranch_execz .LBB109_95
; %bb.92:
	v_mov_b64_e32 v[96:97], 0
	v_dual_add_nc_u32 v9, -1, v0 :: v_dual_mov_b32 v13, v2
	v_add_nc_u32_e32 v11, 0x170, v2
	s_mov_b32 s1, 0
.LBB109_93:                             ; =>This Inner Loop Header: Depth=1
	scratch_load_b64 v[98:99], v13, off
	ds_load_b64 v[100:101], v11
	v_dual_add_nc_u32 v9, 1, v9 :: v_dual_add_nc_u32 v11, 8, v11
	s_wait_xcnt 0x0
	v_add_nc_u32_e32 v13, 8, v13
	s_delay_alu instid0(VALU_DEP_2)
	v_cmp_lt_u32_e32 vcc_lo, 19, v9
	s_or_b32 s1, vcc_lo, s1
	s_wait_loadcnt_dscnt 0x0
	v_fmac_f64_e32 v[96:97], v[98:99], v[100:101]
	s_and_not1_b32 exec_lo, exec_lo, s1
	s_cbranch_execnz .LBB109_93
; %bb.94:
	s_or_b32 exec_lo, exec_lo, s1
	v_mov_b32_e32 v9, 0
	ds_load_b64 v[98:99], v9 offset:168
	s_wait_dscnt 0x0
	v_mul_f64_e32 v[96:97], v[96:97], v[98:99]
	scratch_store_b64 off, v[96:97], off offset:168
.LBB109_95:
	s_wait_xcnt 0x0
	s_or_b32 exec_lo, exec_lo, s0
	s_wait_storecnt 0x0
	s_barrier_signal -1
	s_barrier_wait -1
	scratch_load_b64 v[96:97], off, off offset:176
	s_mov_b32 s0, exec_lo
	s_wait_loadcnt 0x0
	ds_store_b64 v1, v[96:97]
	s_wait_dscnt 0x0
	s_barrier_signal -1
	s_barrier_wait -1
	v_cmpx_gt_u32_e32 22, v0
	s_cbranch_execz .LBB109_99
; %bb.96:
	v_mov_b64_e32 v[96:97], 0
	v_dual_add_nc_u32 v9, -1, v0 :: v_dual_mov_b32 v13, v2
	v_add_nc_u32_e32 v11, 0x170, v2
	s_mov_b32 s1, 0
.LBB109_97:                             ; =>This Inner Loop Header: Depth=1
	scratch_load_b64 v[98:99], v13, off
	ds_load_b64 v[100:101], v11
	v_dual_add_nc_u32 v9, 1, v9 :: v_dual_add_nc_u32 v11, 8, v11
	s_wait_xcnt 0x0
	v_add_nc_u32_e32 v13, 8, v13
	s_delay_alu instid0(VALU_DEP_2)
	v_cmp_lt_u32_e32 vcc_lo, 20, v9
	s_or_b32 s1, vcc_lo, s1
	s_wait_loadcnt_dscnt 0x0
	v_fmac_f64_e32 v[96:97], v[98:99], v[100:101]
	s_and_not1_b32 exec_lo, exec_lo, s1
	s_cbranch_execnz .LBB109_97
; %bb.98:
	s_or_b32 exec_lo, exec_lo, s1
	v_mov_b32_e32 v9, 0
	ds_load_b64 v[98:99], v9 offset:176
	s_wait_dscnt 0x0
	v_mul_f64_e32 v[96:97], v[96:97], v[98:99]
	scratch_store_b64 off, v[96:97], off offset:176
.LBB109_99:
	s_wait_xcnt 0x0
	s_or_b32 exec_lo, exec_lo, s0
	s_wait_storecnt 0x0
	s_barrier_signal -1
	s_barrier_wait -1
	scratch_load_b64 v[96:97], off, off offset:184
	s_mov_b32 s0, exec_lo
	s_wait_loadcnt 0x0
	ds_store_b64 v1, v[96:97]
	s_wait_dscnt 0x0
	s_barrier_signal -1
	s_barrier_wait -1
	v_cmpx_gt_u32_e32 23, v0
	s_cbranch_execz .LBB109_103
; %bb.100:
	v_mov_b64_e32 v[96:97], 0
	v_dual_add_nc_u32 v9, -1, v0 :: v_dual_mov_b32 v13, v2
	v_add_nc_u32_e32 v11, 0x170, v2
	s_mov_b32 s1, 0
.LBB109_101:                            ; =>This Inner Loop Header: Depth=1
	scratch_load_b64 v[98:99], v13, off
	ds_load_b64 v[100:101], v11
	v_dual_add_nc_u32 v9, 1, v9 :: v_dual_add_nc_u32 v11, 8, v11
	s_wait_xcnt 0x0
	v_add_nc_u32_e32 v13, 8, v13
	s_delay_alu instid0(VALU_DEP_2)
	v_cmp_lt_u32_e32 vcc_lo, 21, v9
	s_or_b32 s1, vcc_lo, s1
	s_wait_loadcnt_dscnt 0x0
	v_fmac_f64_e32 v[96:97], v[98:99], v[100:101]
	s_and_not1_b32 exec_lo, exec_lo, s1
	s_cbranch_execnz .LBB109_101
; %bb.102:
	s_or_b32 exec_lo, exec_lo, s1
	v_mov_b32_e32 v9, 0
	ds_load_b64 v[98:99], v9 offset:184
	s_wait_dscnt 0x0
	v_mul_f64_e32 v[96:97], v[96:97], v[98:99]
	scratch_store_b64 off, v[96:97], off offset:184
.LBB109_103:
	s_wait_xcnt 0x0
	s_or_b32 exec_lo, exec_lo, s0
	s_wait_storecnt 0x0
	s_barrier_signal -1
	s_barrier_wait -1
	scratch_load_b64 v[96:97], off, off offset:192
	s_mov_b32 s0, exec_lo
	s_wait_loadcnt 0x0
	ds_store_b64 v1, v[96:97]
	s_wait_dscnt 0x0
	s_barrier_signal -1
	s_barrier_wait -1
	v_cmpx_gt_u32_e32 24, v0
	s_cbranch_execz .LBB109_107
; %bb.104:
	v_mov_b64_e32 v[96:97], 0
	v_dual_add_nc_u32 v9, -1, v0 :: v_dual_mov_b32 v13, v2
	v_add_nc_u32_e32 v11, 0x170, v2
	s_mov_b32 s1, 0
.LBB109_105:                            ; =>This Inner Loop Header: Depth=1
	scratch_load_b64 v[98:99], v13, off
	ds_load_b64 v[100:101], v11
	v_dual_add_nc_u32 v9, 1, v9 :: v_dual_add_nc_u32 v11, 8, v11
	s_wait_xcnt 0x0
	v_add_nc_u32_e32 v13, 8, v13
	s_delay_alu instid0(VALU_DEP_2)
	v_cmp_lt_u32_e32 vcc_lo, 22, v9
	s_or_b32 s1, vcc_lo, s1
	s_wait_loadcnt_dscnt 0x0
	v_fmac_f64_e32 v[96:97], v[98:99], v[100:101]
	s_and_not1_b32 exec_lo, exec_lo, s1
	s_cbranch_execnz .LBB109_105
; %bb.106:
	s_or_b32 exec_lo, exec_lo, s1
	v_mov_b32_e32 v9, 0
	ds_load_b64 v[98:99], v9 offset:192
	s_wait_dscnt 0x0
	v_mul_f64_e32 v[96:97], v[96:97], v[98:99]
	scratch_store_b64 off, v[96:97], off offset:192
.LBB109_107:
	s_wait_xcnt 0x0
	s_or_b32 exec_lo, exec_lo, s0
	s_wait_storecnt 0x0
	s_barrier_signal -1
	s_barrier_wait -1
	scratch_load_b64 v[96:97], off, off offset:200
	;; [unrolled: 40-line block ×22, first 2 shown]
	s_mov_b32 s0, exec_lo
	s_wait_loadcnt 0x0
	ds_store_b64 v1, v[96:97]
	s_wait_dscnt 0x0
	s_barrier_signal -1
	s_barrier_wait -1
	v_cmpx_ne_u32_e32 45, v0
	s_cbranch_execz .LBB109_191
; %bb.188:
	v_mov_b64_e32 v[96:97], 0
	s_mov_b32 s1, 0
.LBB109_189:                            ; =>This Inner Loop Header: Depth=1
	scratch_load_b64 v[98:99], v2, off
	ds_load_b64 v[100:101], v1
	v_dual_add_nc_u32 v3, 1, v3 :: v_dual_add_nc_u32 v1, 8, v1
	s_wait_xcnt 0x0
	v_add_nc_u32_e32 v2, 8, v2
	s_delay_alu instid0(VALU_DEP_2)
	v_cmp_lt_u32_e32 vcc_lo, 43, v3
	s_or_b32 s1, vcc_lo, s1
	s_wait_loadcnt_dscnt 0x0
	v_fmac_f64_e32 v[96:97], v[98:99], v[100:101]
	s_and_not1_b32 exec_lo, exec_lo, s1
	s_cbranch_execnz .LBB109_189
; %bb.190:
	s_or_b32 exec_lo, exec_lo, s1
	v_mov_b32_e32 v1, 0
	ds_load_b64 v[2:3], v1 offset:360
	s_wait_dscnt 0x0
	v_mul_f64_e32 v[2:3], v[96:97], v[2:3]
	scratch_store_b64 off, v[2:3], off offset:360
.LBB109_191:
	s_wait_xcnt 0x0
	s_or_b32 exec_lo, exec_lo, s0
	s_mov_b32 s1, -1
	s_wait_storecnt 0x0
	s_barrier_signal -1
	s_barrier_wait -1
.LBB109_192:
	s_and_b32 vcc_lo, exec_lo, s1
	s_cbranch_vccz .LBB109_194
; %bb.193:
	v_mov_b32_e32 v1, 0
	s_lshl_b64 s[0:1], s[10:11], 2
	s_delay_alu instid0(SALU_CYCLE_1)
	s_add_nc_u64 s[0:1], s[6:7], s[0:1]
	global_load_b32 v1, v1, s[0:1]
	s_wait_loadcnt 0x0
	v_cmp_ne_u32_e32 vcc_lo, 0, v1
	s_cbranch_vccz .LBB109_195
.LBB109_194:
	s_sendmsg sendmsg(MSG_DEALLOC_VGPRS)
	s_endpgm
.LBB109_195:
	s_wait_xcnt 0x0
	v_lshl_add_u32 v1, v0, 3, 0x170
	s_mov_b32 s0, exec_lo
	v_cmpx_eq_u32_e32 45, v0
	s_cbranch_execz .LBB109_197
; %bb.196:
	scratch_load_b64 v[2:3], off, off offset:352
	v_mov_b64_e32 v[96:97], 0
	scratch_store_b64 off, v[96:97], off offset:352
	s_wait_loadcnt 0x0
	ds_store_b64 v1, v[2:3]
.LBB109_197:
	s_wait_xcnt 0x0
	s_or_b32 exec_lo, exec_lo, s0
	s_wait_storecnt_dscnt 0x0
	s_barrier_signal -1
	s_barrier_wait -1
	scratch_load_b128 v[96:99], off, off offset:352
	v_mov_b32_e32 v2, 0
	s_mov_b32 s0, exec_lo
	ds_load_b64 v[100:101], v2 offset:728
	s_wait_loadcnt_dscnt 0x0
	v_fma_f64 v[98:99], v[98:99], v[100:101], 0
	s_delay_alu instid0(VALU_DEP_1)
	v_add_f64_e64 v[96:97], v[96:97], -v[98:99]
	scratch_store_b64 off, v[96:97], off offset:352
	s_wait_xcnt 0x0
	v_cmpx_lt_u32_e32 43, v0
	s_cbranch_execz .LBB109_199
; %bb.198:
	scratch_load_b64 v[96:97], off, off offset:344
	v_mov_b64_e32 v[98:99], 0
	scratch_store_b64 off, v[98:99], off offset:344
	s_wait_loadcnt 0x0
	ds_store_b64 v1, v[96:97]
.LBB109_199:
	s_wait_xcnt 0x0
	s_or_b32 exec_lo, exec_lo, s0
	s_wait_storecnt_dscnt 0x0
	s_barrier_signal -1
	s_barrier_wait -1
	s_clause 0x1
	scratch_load_b128 v[96:99], off, off offset:344
	scratch_load_b64 v[104:105], off, off offset:360
	ds_load_b128 v[100:103], v2 offset:720
	s_mov_b32 s0, exec_lo
	s_wait_loadcnt_dscnt 0x100
	v_fma_f64 v[2:3], v[98:99], v[100:101], 0
	s_wait_loadcnt 0x0
	s_delay_alu instid0(VALU_DEP_1) | instskip(NEXT) | instid1(VALU_DEP_1)
	v_fmac_f64_e32 v[2:3], v[104:105], v[102:103]
	v_add_f64_e64 v[2:3], v[96:97], -v[2:3]
	scratch_store_b64 off, v[2:3], off offset:344
	s_wait_xcnt 0x0
	v_cmpx_lt_u32_e32 42, v0
	s_cbranch_execz .LBB109_201
; %bb.200:
	scratch_load_b64 v[2:3], off, off offset:336
	v_mov_b64_e32 v[96:97], 0
	scratch_store_b64 off, v[96:97], off offset:336
	s_wait_loadcnt 0x0
	ds_store_b64 v1, v[2:3]
.LBB109_201:
	s_wait_xcnt 0x0
	s_or_b32 exec_lo, exec_lo, s0
	s_wait_storecnt_dscnt 0x0
	s_barrier_signal -1
	s_barrier_wait -1
	s_clause 0x1
	scratch_load_b128 v[96:99], off, off offset:336
	scratch_load_b128 v[100:103], off, off offset:352
	v_mov_b32_e32 v2, 0
	ds_load_2addr_b64 v[104:107], v2 offset0:89 offset1:90
	ds_load_b64 v[108:109], v2 offset:728
	s_mov_b32 s0, exec_lo
	s_wait_loadcnt_dscnt 0x101
	v_fma_f64 v[98:99], v[98:99], v[104:105], 0
	s_wait_loadcnt 0x0
	s_delay_alu instid0(VALU_DEP_1) | instskip(SKIP_1) | instid1(VALU_DEP_1)
	v_fmac_f64_e32 v[98:99], v[100:101], v[106:107]
	s_wait_dscnt 0x0
	v_fmac_f64_e32 v[98:99], v[102:103], v[108:109]
	s_delay_alu instid0(VALU_DEP_1)
	v_add_f64_e64 v[96:97], v[96:97], -v[98:99]
	scratch_store_b64 off, v[96:97], off offset:336
	s_wait_xcnt 0x0
	v_cmpx_lt_u32_e32 41, v0
	s_cbranch_execz .LBB109_203
; %bb.202:
	scratch_load_b64 v[96:97], off, off offset:328
	v_mov_b64_e32 v[98:99], 0
	scratch_store_b64 off, v[98:99], off offset:328
	s_wait_loadcnt 0x0
	ds_store_b64 v1, v[96:97]
.LBB109_203:
	s_wait_xcnt 0x0
	s_or_b32 exec_lo, exec_lo, s0
	s_wait_storecnt_dscnt 0x0
	s_barrier_signal -1
	s_barrier_wait -1
	s_clause 0x2
	scratch_load_b128 v[96:99], off, off offset:328
	scratch_load_b128 v[100:103], off, off offset:344
	scratch_load_b64 v[112:113], off, off offset:360
	ds_load_b128 v[104:107], v2 offset:704
	ds_load_b128 v[108:111], v2 offset:720
	s_mov_b32 s0, exec_lo
	s_wait_loadcnt_dscnt 0x201
	v_fma_f64 v[2:3], v[98:99], v[104:105], 0
	s_wait_loadcnt 0x1
	s_delay_alu instid0(VALU_DEP_1) | instskip(SKIP_1) | instid1(VALU_DEP_1)
	v_fmac_f64_e32 v[2:3], v[100:101], v[106:107]
	s_wait_dscnt 0x0
	v_fmac_f64_e32 v[2:3], v[102:103], v[108:109]
	s_wait_loadcnt 0x0
	s_delay_alu instid0(VALU_DEP_1) | instskip(NEXT) | instid1(VALU_DEP_1)
	v_fmac_f64_e32 v[2:3], v[112:113], v[110:111]
	v_add_f64_e64 v[2:3], v[96:97], -v[2:3]
	scratch_store_b64 off, v[2:3], off offset:328
	s_wait_xcnt 0x0
	v_cmpx_lt_u32_e32 40, v0
	s_cbranch_execz .LBB109_205
; %bb.204:
	scratch_load_b64 v[2:3], off, off offset:320
	v_mov_b64_e32 v[96:97], 0
	scratch_store_b64 off, v[96:97], off offset:320
	s_wait_loadcnt 0x0
	ds_store_b64 v1, v[2:3]
.LBB109_205:
	s_wait_xcnt 0x0
	s_or_b32 exec_lo, exec_lo, s0
	s_wait_storecnt_dscnt 0x0
	s_barrier_signal -1
	s_barrier_wait -1
	s_clause 0x2
	scratch_load_b128 v[96:99], off, off offset:320
	scratch_load_b128 v[100:103], off, off offset:336
	;; [unrolled: 1-line block ×3, first 2 shown]
	v_mov_b32_e32 v2, 0
	ds_load_2addr_b64 v[108:111], v2 offset0:87 offset1:88
	ds_load_2addr_b64 v[112:115], v2 offset0:89 offset1:90
	s_mov_b32 s0, exec_lo
	s_wait_loadcnt_dscnt 0x201
	v_fma_f64 v[98:99], v[98:99], v[108:109], 0
	s_wait_loadcnt 0x1
	s_delay_alu instid0(VALU_DEP_1) | instskip(SKIP_4) | instid1(VALU_DEP_1)
	v_fmac_f64_e32 v[98:99], v[100:101], v[110:111]
	ds_load_b64 v[100:101], v2 offset:728
	s_wait_dscnt 0x1
	v_fmac_f64_e32 v[98:99], v[102:103], v[112:113]
	s_wait_loadcnt 0x0
	v_fmac_f64_e32 v[98:99], v[104:105], v[114:115]
	s_wait_dscnt 0x0
	s_delay_alu instid0(VALU_DEP_1) | instskip(NEXT) | instid1(VALU_DEP_1)
	v_fmac_f64_e32 v[98:99], v[106:107], v[100:101]
	v_add_f64_e64 v[96:97], v[96:97], -v[98:99]
	scratch_store_b64 off, v[96:97], off offset:320
	s_wait_xcnt 0x0
	v_cmpx_lt_u32_e32 39, v0
	s_cbranch_execz .LBB109_207
; %bb.206:
	scratch_load_b64 v[96:97], off, off offset:312
	v_mov_b64_e32 v[98:99], 0
	scratch_store_b64 off, v[98:99], off offset:312
	s_wait_loadcnt 0x0
	ds_store_b64 v1, v[96:97]
.LBB109_207:
	s_wait_xcnt 0x0
	s_or_b32 exec_lo, exec_lo, s0
	s_wait_storecnt_dscnt 0x0
	s_barrier_signal -1
	s_barrier_wait -1
	s_clause 0x3
	scratch_load_b128 v[96:99], off, off offset:312
	scratch_load_b128 v[100:103], off, off offset:328
	;; [unrolled: 1-line block ×3, first 2 shown]
	scratch_load_b64 v[116:117], off, off offset:360
	ds_load_b128 v[108:111], v2 offset:688
	ds_load_b128 v[112:115], v2 offset:704
	s_mov_b32 s0, exec_lo
	s_wait_loadcnt_dscnt 0x301
	v_fma_f64 v[108:109], v[98:99], v[108:109], 0
	s_wait_loadcnt 0x2
	s_delay_alu instid0(VALU_DEP_1) | instskip(SKIP_4) | instid1(VALU_DEP_1)
	v_fmac_f64_e32 v[108:109], v[100:101], v[110:111]
	ds_load_b128 v[98:101], v2 offset:720
	s_wait_dscnt 0x1
	v_fmac_f64_e32 v[108:109], v[102:103], v[112:113]
	s_wait_loadcnt 0x1
	v_fmac_f64_e32 v[108:109], v[104:105], v[114:115]
	s_wait_dscnt 0x0
	s_delay_alu instid0(VALU_DEP_1) | instskip(SKIP_1) | instid1(VALU_DEP_1)
	v_fmac_f64_e32 v[108:109], v[106:107], v[98:99]
	s_wait_loadcnt 0x0
	v_fmac_f64_e32 v[108:109], v[116:117], v[100:101]
	s_delay_alu instid0(VALU_DEP_1)
	v_add_f64_e64 v[2:3], v[96:97], -v[108:109]
	scratch_store_b64 off, v[2:3], off offset:312
	s_wait_xcnt 0x0
	v_cmpx_lt_u32_e32 38, v0
	s_cbranch_execz .LBB109_209
; %bb.208:
	scratch_load_b64 v[2:3], off, off offset:304
	v_mov_b64_e32 v[96:97], 0
	scratch_store_b64 off, v[96:97], off offset:304
	s_wait_loadcnt 0x0
	ds_store_b64 v1, v[2:3]
.LBB109_209:
	s_wait_xcnt 0x0
	s_or_b32 exec_lo, exec_lo, s0
	s_wait_storecnt_dscnt 0x0
	s_barrier_signal -1
	s_barrier_wait -1
	s_clause 0x3
	scratch_load_b128 v[96:99], off, off offset:304
	scratch_load_b128 v[100:103], off, off offset:320
	;; [unrolled: 1-line block ×4, first 2 shown]
	v_mov_b32_e32 v2, 0
	ds_load_2addr_b64 v[112:115], v2 offset0:85 offset1:86
	ds_load_2addr_b64 v[116:119], v2 offset0:87 offset1:88
	s_mov_b32 s0, exec_lo
	s_wait_loadcnt_dscnt 0x301
	v_fma_f64 v[112:113], v[98:99], v[112:113], 0
	s_wait_loadcnt 0x2
	s_delay_alu instid0(VALU_DEP_1) | instskip(SKIP_1) | instid1(VALU_DEP_1)
	v_fmac_f64_e32 v[112:113], v[100:101], v[114:115]
	s_wait_dscnt 0x0
	v_fmac_f64_e32 v[112:113], v[102:103], v[116:117]
	ds_load_2addr_b64 v[98:101], v2 offset0:89 offset1:90
	ds_load_b64 v[102:103], v2 offset:728
	s_wait_loadcnt 0x1
	v_fmac_f64_e32 v[112:113], v[104:105], v[118:119]
	s_wait_dscnt 0x1
	s_delay_alu instid0(VALU_DEP_1) | instskip(SKIP_1) | instid1(VALU_DEP_1)
	v_fmac_f64_e32 v[112:113], v[106:107], v[98:99]
	s_wait_loadcnt 0x0
	v_fmac_f64_e32 v[112:113], v[108:109], v[100:101]
	s_wait_dscnt 0x0
	s_delay_alu instid0(VALU_DEP_1) | instskip(NEXT) | instid1(VALU_DEP_1)
	v_fmac_f64_e32 v[112:113], v[110:111], v[102:103]
	v_add_f64_e64 v[96:97], v[96:97], -v[112:113]
	scratch_store_b64 off, v[96:97], off offset:304
	s_wait_xcnt 0x0
	v_cmpx_lt_u32_e32 37, v0
	s_cbranch_execz .LBB109_211
; %bb.210:
	scratch_load_b64 v[96:97], off, off offset:296
	v_mov_b64_e32 v[98:99], 0
	scratch_store_b64 off, v[98:99], off offset:296
	s_wait_loadcnt 0x0
	ds_store_b64 v1, v[96:97]
.LBB109_211:
	s_wait_xcnt 0x0
	s_or_b32 exec_lo, exec_lo, s0
	s_wait_storecnt_dscnt 0x0
	s_barrier_signal -1
	s_barrier_wait -1
	s_clause 0x4
	scratch_load_b128 v[96:99], off, off offset:296
	scratch_load_b128 v[100:103], off, off offset:312
	;; [unrolled: 1-line block ×4, first 2 shown]
	scratch_load_b64 v[120:121], off, off offset:360
	ds_load_b128 v[112:115], v2 offset:672
	ds_load_b128 v[116:119], v2 offset:688
	s_mov_b32 s0, exec_lo
	s_wait_loadcnt_dscnt 0x401
	v_fma_f64 v[112:113], v[98:99], v[112:113], 0
	s_wait_loadcnt 0x3
	s_delay_alu instid0(VALU_DEP_1) | instskip(SKIP_1) | instid1(VALU_DEP_1)
	v_fmac_f64_e32 v[112:113], v[100:101], v[114:115]
	s_wait_dscnt 0x0
	v_fmac_f64_e32 v[112:113], v[102:103], v[116:117]
	s_wait_loadcnt 0x2
	s_delay_alu instid0(VALU_DEP_1)
	v_fmac_f64_e32 v[112:113], v[104:105], v[118:119]
	ds_load_b128 v[98:101], v2 offset:704
	ds_load_b128 v[102:105], v2 offset:720
	s_wait_dscnt 0x1
	v_fmac_f64_e32 v[112:113], v[106:107], v[98:99]
	s_wait_loadcnt 0x1
	s_delay_alu instid0(VALU_DEP_1) | instskip(SKIP_1) | instid1(VALU_DEP_1)
	v_fmac_f64_e32 v[112:113], v[108:109], v[100:101]
	s_wait_dscnt 0x0
	v_fmac_f64_e32 v[112:113], v[110:111], v[102:103]
	s_wait_loadcnt 0x0
	s_delay_alu instid0(VALU_DEP_1) | instskip(NEXT) | instid1(VALU_DEP_1)
	v_fmac_f64_e32 v[112:113], v[120:121], v[104:105]
	v_add_f64_e64 v[2:3], v[96:97], -v[112:113]
	scratch_store_b64 off, v[2:3], off offset:296
	s_wait_xcnt 0x0
	v_cmpx_lt_u32_e32 36, v0
	s_cbranch_execz .LBB109_213
; %bb.212:
	scratch_load_b64 v[2:3], off, off offset:288
	v_mov_b64_e32 v[96:97], 0
	scratch_store_b64 off, v[96:97], off offset:288
	s_wait_loadcnt 0x0
	ds_store_b64 v1, v[2:3]
.LBB109_213:
	s_wait_xcnt 0x0
	s_or_b32 exec_lo, exec_lo, s0
	s_wait_storecnt_dscnt 0x0
	s_barrier_signal -1
	s_barrier_wait -1
	s_clause 0x4
	scratch_load_b128 v[96:99], off, off offset:288
	scratch_load_b128 v[100:103], off, off offset:304
	;; [unrolled: 1-line block ×5, first 2 shown]
	v_mov_b32_e32 v2, 0
	ds_load_2addr_b64 v[116:119], v2 offset0:83 offset1:84
	ds_load_2addr_b64 v[120:123], v2 offset0:85 offset1:86
	s_mov_b32 s0, exec_lo
	s_wait_loadcnt_dscnt 0x401
	v_fma_f64 v[116:117], v[98:99], v[116:117], 0
	s_wait_loadcnt 0x3
	s_delay_alu instid0(VALU_DEP_1) | instskip(SKIP_1) | instid1(VALU_DEP_1)
	v_fmac_f64_e32 v[116:117], v[100:101], v[118:119]
	s_wait_dscnt 0x0
	v_fmac_f64_e32 v[116:117], v[102:103], v[120:121]
	s_wait_loadcnt 0x2
	s_delay_alu instid0(VALU_DEP_1)
	v_fmac_f64_e32 v[116:117], v[104:105], v[122:123]
	ds_load_2addr_b64 v[98:101], v2 offset0:87 offset1:88
	ds_load_2addr_b64 v[102:105], v2 offset0:89 offset1:90
	s_wait_dscnt 0x1
	v_fmac_f64_e32 v[116:117], v[106:107], v[98:99]
	ds_load_b64 v[98:99], v2 offset:728
	s_wait_loadcnt 0x1
	v_fmac_f64_e32 v[116:117], v[108:109], v[100:101]
	s_wait_dscnt 0x1
	s_delay_alu instid0(VALU_DEP_1) | instskip(SKIP_1) | instid1(VALU_DEP_1)
	v_fmac_f64_e32 v[116:117], v[110:111], v[102:103]
	s_wait_loadcnt 0x0
	v_fmac_f64_e32 v[116:117], v[112:113], v[104:105]
	s_wait_dscnt 0x0
	s_delay_alu instid0(VALU_DEP_1) | instskip(NEXT) | instid1(VALU_DEP_1)
	v_fmac_f64_e32 v[116:117], v[114:115], v[98:99]
	v_add_f64_e64 v[96:97], v[96:97], -v[116:117]
	scratch_store_b64 off, v[96:97], off offset:288
	s_wait_xcnt 0x0
	v_cmpx_lt_u32_e32 35, v0
	s_cbranch_execz .LBB109_215
; %bb.214:
	scratch_load_b64 v[96:97], off, off offset:280
	v_mov_b64_e32 v[98:99], 0
	scratch_store_b64 off, v[98:99], off offset:280
	s_wait_loadcnt 0x0
	ds_store_b64 v1, v[96:97]
.LBB109_215:
	s_wait_xcnt 0x0
	s_or_b32 exec_lo, exec_lo, s0
	s_wait_storecnt_dscnt 0x0
	s_barrier_signal -1
	s_barrier_wait -1
	s_clause 0x5
	scratch_load_b128 v[96:99], off, off offset:280
	scratch_load_b128 v[100:103], off, off offset:296
	;; [unrolled: 1-line block ×5, first 2 shown]
	scratch_load_b64 v[124:125], off, off offset:360
	ds_load_b128 v[116:119], v2 offset:656
	ds_load_b128 v[120:123], v2 offset:672
	s_mov_b32 s0, exec_lo
	s_wait_loadcnt_dscnt 0x501
	v_fma_f64 v[116:117], v[98:99], v[116:117], 0
	s_wait_loadcnt 0x4
	s_delay_alu instid0(VALU_DEP_1) | instskip(SKIP_1) | instid1(VALU_DEP_1)
	v_fmac_f64_e32 v[116:117], v[100:101], v[118:119]
	s_wait_dscnt 0x0
	v_fmac_f64_e32 v[116:117], v[102:103], v[120:121]
	s_wait_loadcnt 0x3
	s_delay_alu instid0(VALU_DEP_1)
	v_fmac_f64_e32 v[116:117], v[104:105], v[122:123]
	ds_load_b128 v[98:101], v2 offset:688
	ds_load_b128 v[102:105], v2 offset:704
	s_wait_dscnt 0x1
	v_fmac_f64_e32 v[116:117], v[106:107], v[98:99]
	s_wait_loadcnt 0x2
	s_delay_alu instid0(VALU_DEP_1) | instskip(SKIP_4) | instid1(VALU_DEP_1)
	v_fmac_f64_e32 v[116:117], v[108:109], v[100:101]
	ds_load_b128 v[98:101], v2 offset:720
	s_wait_dscnt 0x1
	v_fmac_f64_e32 v[116:117], v[110:111], v[102:103]
	s_wait_loadcnt 0x1
	v_fmac_f64_e32 v[116:117], v[112:113], v[104:105]
	s_wait_dscnt 0x0
	s_delay_alu instid0(VALU_DEP_1) | instskip(SKIP_1) | instid1(VALU_DEP_1)
	v_fmac_f64_e32 v[116:117], v[114:115], v[98:99]
	s_wait_loadcnt 0x0
	v_fmac_f64_e32 v[116:117], v[124:125], v[100:101]
	s_delay_alu instid0(VALU_DEP_1)
	v_add_f64_e64 v[2:3], v[96:97], -v[116:117]
	scratch_store_b64 off, v[2:3], off offset:280
	s_wait_xcnt 0x0
	v_cmpx_lt_u32_e32 34, v0
	s_cbranch_execz .LBB109_217
; %bb.216:
	scratch_load_b64 v[2:3], off, off offset:272
	v_mov_b64_e32 v[96:97], 0
	scratch_store_b64 off, v[96:97], off offset:272
	s_wait_loadcnt 0x0
	ds_store_b64 v1, v[2:3]
.LBB109_217:
	s_wait_xcnt 0x0
	s_or_b32 exec_lo, exec_lo, s0
	s_wait_storecnt_dscnt 0x0
	s_barrier_signal -1
	s_barrier_wait -1
	s_clause 0x5
	scratch_load_b128 v[96:99], off, off offset:272
	scratch_load_b128 v[100:103], off, off offset:288
	;; [unrolled: 1-line block ×6, first 2 shown]
	v_mov_b32_e32 v2, 0
	ds_load_2addr_b64 v[120:123], v2 offset0:81 offset1:82
	ds_load_2addr_b64 v[124:127], v2 offset0:83 offset1:84
	s_mov_b32 s0, exec_lo
	s_wait_loadcnt_dscnt 0x501
	v_fma_f64 v[120:121], v[98:99], v[120:121], 0
	s_wait_loadcnt 0x4
	s_delay_alu instid0(VALU_DEP_1) | instskip(SKIP_1) | instid1(VALU_DEP_1)
	v_fmac_f64_e32 v[120:121], v[100:101], v[122:123]
	s_wait_dscnt 0x0
	v_fmac_f64_e32 v[120:121], v[102:103], v[124:125]
	s_wait_loadcnt 0x3
	s_delay_alu instid0(VALU_DEP_1)
	v_fmac_f64_e32 v[120:121], v[104:105], v[126:127]
	ds_load_2addr_b64 v[98:101], v2 offset0:85 offset1:86
	ds_load_2addr_b64 v[102:105], v2 offset0:87 offset1:88
	s_wait_dscnt 0x1
	v_fmac_f64_e32 v[120:121], v[106:107], v[98:99]
	s_wait_loadcnt 0x2
	s_delay_alu instid0(VALU_DEP_1) | instskip(SKIP_1) | instid1(VALU_DEP_1)
	v_fmac_f64_e32 v[120:121], v[108:109], v[100:101]
	s_wait_dscnt 0x0
	v_fmac_f64_e32 v[120:121], v[110:111], v[102:103]
	ds_load_2addr_b64 v[98:101], v2 offset0:89 offset1:90
	ds_load_b64 v[102:103], v2 offset:728
	s_wait_loadcnt 0x1
	v_fmac_f64_e32 v[120:121], v[112:113], v[104:105]
	s_wait_dscnt 0x1
	s_delay_alu instid0(VALU_DEP_1) | instskip(SKIP_1) | instid1(VALU_DEP_1)
	v_fmac_f64_e32 v[120:121], v[114:115], v[98:99]
	s_wait_loadcnt 0x0
	v_fmac_f64_e32 v[120:121], v[116:117], v[100:101]
	s_wait_dscnt 0x0
	s_delay_alu instid0(VALU_DEP_1) | instskip(NEXT) | instid1(VALU_DEP_1)
	v_fmac_f64_e32 v[120:121], v[118:119], v[102:103]
	v_add_f64_e64 v[96:97], v[96:97], -v[120:121]
	scratch_store_b64 off, v[96:97], off offset:272
	s_wait_xcnt 0x0
	v_cmpx_lt_u32_e32 33, v0
	s_cbranch_execz .LBB109_219
; %bb.218:
	scratch_load_b64 v[96:97], off, off offset:264
	v_mov_b64_e32 v[98:99], 0
	scratch_store_b64 off, v[98:99], off offset:264
	s_wait_loadcnt 0x0
	ds_store_b64 v1, v[96:97]
.LBB109_219:
	s_wait_xcnt 0x0
	s_or_b32 exec_lo, exec_lo, s0
	s_wait_storecnt_dscnt 0x0
	s_barrier_signal -1
	s_barrier_wait -1
	s_clause 0x5
	scratch_load_b128 v[96:99], off, off offset:264
	scratch_load_b128 v[100:103], off, off offset:280
	;; [unrolled: 1-line block ×6, first 2 shown]
	ds_load_b128 v[120:123], v2 offset:640
	ds_load_b128 v[124:127], v2 offset:656
	s_mov_b32 s0, exec_lo
	s_wait_loadcnt_dscnt 0x501
	v_fma_f64 v[120:121], v[98:99], v[120:121], 0
	s_wait_loadcnt 0x4
	s_delay_alu instid0(VALU_DEP_1) | instskip(SKIP_4) | instid1(VALU_DEP_1)
	v_fmac_f64_e32 v[120:121], v[100:101], v[122:123]
	scratch_load_b64 v[122:123], off, off offset:360
	s_wait_dscnt 0x0
	v_fmac_f64_e32 v[120:121], v[102:103], v[124:125]
	s_wait_loadcnt 0x4
	v_fmac_f64_e32 v[120:121], v[104:105], v[126:127]
	ds_load_b128 v[98:101], v2 offset:672
	ds_load_b128 v[102:105], v2 offset:688
	s_wait_dscnt 0x1
	v_fmac_f64_e32 v[120:121], v[106:107], v[98:99]
	s_wait_loadcnt 0x3
	s_delay_alu instid0(VALU_DEP_1) | instskip(SKIP_1) | instid1(VALU_DEP_1)
	v_fmac_f64_e32 v[120:121], v[108:109], v[100:101]
	s_wait_dscnt 0x0
	v_fmac_f64_e32 v[120:121], v[110:111], v[102:103]
	s_wait_loadcnt 0x2
	s_delay_alu instid0(VALU_DEP_1)
	v_fmac_f64_e32 v[120:121], v[112:113], v[104:105]
	ds_load_b128 v[98:101], v2 offset:704
	ds_load_b128 v[102:105], v2 offset:720
	s_wait_dscnt 0x1
	v_fmac_f64_e32 v[120:121], v[114:115], v[98:99]
	s_wait_loadcnt 0x1
	s_delay_alu instid0(VALU_DEP_1) | instskip(SKIP_1) | instid1(VALU_DEP_1)
	v_fmac_f64_e32 v[120:121], v[116:117], v[100:101]
	s_wait_dscnt 0x0
	v_fmac_f64_e32 v[120:121], v[118:119], v[102:103]
	s_wait_loadcnt 0x0
	s_delay_alu instid0(VALU_DEP_1) | instskip(NEXT) | instid1(VALU_DEP_1)
	v_fmac_f64_e32 v[120:121], v[122:123], v[104:105]
	v_add_f64_e64 v[2:3], v[96:97], -v[120:121]
	scratch_store_b64 off, v[2:3], off offset:264
	s_wait_xcnt 0x0
	v_cmpx_lt_u32_e32 32, v0
	s_cbranch_execz .LBB109_221
; %bb.220:
	scratch_load_b64 v[2:3], off, off offset:256
	v_mov_b64_e32 v[96:97], 0
	scratch_store_b64 off, v[96:97], off offset:256
	s_wait_loadcnt 0x0
	ds_store_b64 v1, v[2:3]
.LBB109_221:
	s_wait_xcnt 0x0
	s_or_b32 exec_lo, exec_lo, s0
	s_wait_storecnt_dscnt 0x0
	s_barrier_signal -1
	s_barrier_wait -1
	s_clause 0x5
	scratch_load_b128 v[96:99], off, off offset:256
	scratch_load_b128 v[100:103], off, off offset:272
	;; [unrolled: 1-line block ×6, first 2 shown]
	v_mov_b32_e32 v2, 0
	ds_load_2addr_b64 v[120:123], v2 offset0:79 offset1:80
	ds_load_2addr_b64 v[124:127], v2 offset0:81 offset1:82
	s_mov_b32 s0, exec_lo
	s_wait_loadcnt_dscnt 0x501
	v_fma_f64 v[128:129], v[98:99], v[120:121], 0
	s_wait_loadcnt 0x4
	s_delay_alu instid0(VALU_DEP_1) | instskip(SKIP_4) | instid1(VALU_DEP_1)
	v_fmac_f64_e32 v[128:129], v[100:101], v[122:123]
	scratch_load_b128 v[98:101], off, off offset:352
	s_wait_dscnt 0x0
	v_fmac_f64_e32 v[128:129], v[102:103], v[124:125]
	s_wait_loadcnt 0x4
	v_fmac_f64_e32 v[128:129], v[104:105], v[126:127]
	ds_load_2addr_b64 v[102:105], v2 offset0:83 offset1:84
	ds_load_2addr_b64 v[120:123], v2 offset0:85 offset1:86
	s_wait_dscnt 0x1
	v_fmac_f64_e32 v[128:129], v[106:107], v[102:103]
	s_wait_loadcnt 0x3
	s_delay_alu instid0(VALU_DEP_1)
	v_fmac_f64_e32 v[128:129], v[108:109], v[104:105]
	ds_load_2addr_b64 v[102:105], v2 offset0:87 offset1:88
	ds_load_2addr_b64 v[106:109], v2 offset0:89 offset1:90
	s_wait_dscnt 0x2
	v_fmac_f64_e32 v[128:129], v[110:111], v[120:121]
	s_wait_loadcnt 0x2
	s_delay_alu instid0(VALU_DEP_1) | instskip(SKIP_1) | instid1(VALU_DEP_1)
	v_fmac_f64_e32 v[128:129], v[112:113], v[122:123]
	s_wait_dscnt 0x1
	v_fmac_f64_e32 v[128:129], v[114:115], v[102:103]
	s_wait_loadcnt 0x1
	s_delay_alu instid0(VALU_DEP_1) | instskip(SKIP_1) | instid1(VALU_DEP_1)
	v_fmac_f64_e32 v[128:129], v[116:117], v[104:105]
	s_wait_dscnt 0x0
	v_fmac_f64_e32 v[128:129], v[118:119], v[106:107]
	s_wait_loadcnt 0x0
	s_delay_alu instid0(VALU_DEP_1) | instskip(SKIP_3) | instid1(VALU_DEP_1)
	v_fmac_f64_e32 v[128:129], v[98:99], v[108:109]
	ds_load_b64 v[98:99], v2 offset:728
	s_wait_dscnt 0x0
	v_fmac_f64_e32 v[128:129], v[100:101], v[98:99]
	v_add_f64_e64 v[96:97], v[96:97], -v[128:129]
	scratch_store_b64 off, v[96:97], off offset:256
	s_wait_xcnt 0x0
	v_cmpx_lt_u32_e32 31, v0
	s_cbranch_execz .LBB109_223
; %bb.222:
	scratch_load_b64 v[96:97], off, off offset:248
	v_mov_b64_e32 v[98:99], 0
	scratch_store_b64 off, v[98:99], off offset:248
	s_wait_loadcnt 0x0
	ds_store_b64 v1, v[96:97]
.LBB109_223:
	s_wait_xcnt 0x0
	s_or_b32 exec_lo, exec_lo, s0
	s_wait_storecnt_dscnt 0x0
	s_barrier_signal -1
	s_barrier_wait -1
	s_clause 0x5
	scratch_load_b128 v[96:99], off, off offset:248
	scratch_load_b128 v[100:103], off, off offset:264
	;; [unrolled: 1-line block ×6, first 2 shown]
	ds_load_b128 v[120:123], v2 offset:624
	ds_load_b128 v[124:127], v2 offset:640
	s_mov_b32 s0, exec_lo
	s_wait_loadcnt_dscnt 0x501
	v_fma_f64 v[128:129], v[98:99], v[120:121], 0
	s_wait_loadcnt 0x4
	s_delay_alu instid0(VALU_DEP_1)
	v_fmac_f64_e32 v[128:129], v[100:101], v[122:123]
	scratch_load_b128 v[98:101], off, off offset:344
	s_wait_dscnt 0x0
	v_fmac_f64_e32 v[128:129], v[102:103], v[124:125]
	scratch_load_b64 v[124:125], off, off offset:360
	s_wait_loadcnt 0x5
	v_fmac_f64_e32 v[128:129], v[104:105], v[126:127]
	ds_load_b128 v[102:105], v2 offset:656
	ds_load_b128 v[120:123], v2 offset:672
	s_wait_dscnt 0x1
	v_fmac_f64_e32 v[128:129], v[106:107], v[102:103]
	s_wait_loadcnt 0x4
	s_delay_alu instid0(VALU_DEP_1)
	v_fmac_f64_e32 v[128:129], v[108:109], v[104:105]
	ds_load_b128 v[102:105], v2 offset:688
	ds_load_b128 v[106:109], v2 offset:704
	s_wait_dscnt 0x2
	v_fmac_f64_e32 v[128:129], v[110:111], v[120:121]
	s_wait_loadcnt 0x3
	s_delay_alu instid0(VALU_DEP_1) | instskip(SKIP_1) | instid1(VALU_DEP_1)
	v_fmac_f64_e32 v[128:129], v[112:113], v[122:123]
	s_wait_dscnt 0x1
	v_fmac_f64_e32 v[128:129], v[114:115], v[102:103]
	s_wait_loadcnt 0x2
	s_delay_alu instid0(VALU_DEP_1) | instskip(SKIP_4) | instid1(VALU_DEP_1)
	v_fmac_f64_e32 v[128:129], v[116:117], v[104:105]
	ds_load_b128 v[102:105], v2 offset:720
	s_wait_dscnt 0x1
	v_fmac_f64_e32 v[128:129], v[118:119], v[106:107]
	s_wait_loadcnt 0x1
	v_fmac_f64_e32 v[128:129], v[98:99], v[108:109]
	s_wait_dscnt 0x0
	s_delay_alu instid0(VALU_DEP_1) | instskip(SKIP_1) | instid1(VALU_DEP_1)
	v_fmac_f64_e32 v[128:129], v[100:101], v[102:103]
	s_wait_loadcnt 0x0
	v_fmac_f64_e32 v[128:129], v[124:125], v[104:105]
	s_delay_alu instid0(VALU_DEP_1)
	v_add_f64_e64 v[2:3], v[96:97], -v[128:129]
	scratch_store_b64 off, v[2:3], off offset:248
	s_wait_xcnt 0x0
	v_cmpx_lt_u32_e32 30, v0
	s_cbranch_execz .LBB109_225
; %bb.224:
	scratch_load_b64 v[2:3], off, off offset:240
	v_mov_b64_e32 v[96:97], 0
	scratch_store_b64 off, v[96:97], off offset:240
	s_wait_loadcnt 0x0
	ds_store_b64 v1, v[2:3]
.LBB109_225:
	s_wait_xcnt 0x0
	s_or_b32 exec_lo, exec_lo, s0
	s_wait_storecnt_dscnt 0x0
	s_barrier_signal -1
	s_barrier_wait -1
	s_clause 0x5
	scratch_load_b128 v[96:99], off, off offset:240
	scratch_load_b128 v[100:103], off, off offset:256
	;; [unrolled: 1-line block ×6, first 2 shown]
	v_mov_b32_e32 v2, 0
	ds_load_2addr_b64 v[120:123], v2 offset0:77 offset1:78
	ds_load_2addr_b64 v[124:127], v2 offset0:79 offset1:80
	s_mov_b32 s0, exec_lo
	s_wait_loadcnt_dscnt 0x501
	v_fma_f64 v[128:129], v[98:99], v[120:121], 0
	s_wait_loadcnt 0x4
	s_delay_alu instid0(VALU_DEP_1) | instskip(SKIP_4) | instid1(VALU_DEP_1)
	v_fmac_f64_e32 v[128:129], v[100:101], v[122:123]
	scratch_load_b128 v[98:101], off, off offset:336
	s_wait_dscnt 0x0
	v_fmac_f64_e32 v[128:129], v[102:103], v[124:125]
	s_wait_loadcnt 0x4
	v_fmac_f64_e32 v[128:129], v[104:105], v[126:127]
	scratch_load_b128 v[102:105], off, off offset:352
	ds_load_2addr_b64 v[120:123], v2 offset0:81 offset1:82
	ds_load_2addr_b64 v[124:127], v2 offset0:83 offset1:84
	s_wait_dscnt 0x1
	v_fmac_f64_e32 v[128:129], v[106:107], v[120:121]
	s_wait_loadcnt 0x4
	s_delay_alu instid0(VALU_DEP_1) | instskip(SKIP_1) | instid1(VALU_DEP_1)
	v_fmac_f64_e32 v[128:129], v[108:109], v[122:123]
	s_wait_dscnt 0x0
	v_fmac_f64_e32 v[128:129], v[110:111], v[124:125]
	s_wait_loadcnt 0x3
	s_delay_alu instid0(VALU_DEP_1)
	v_fmac_f64_e32 v[128:129], v[112:113], v[126:127]
	ds_load_2addr_b64 v[106:109], v2 offset0:85 offset1:86
	ds_load_2addr_b64 v[110:113], v2 offset0:87 offset1:88
	s_wait_dscnt 0x1
	v_fmac_f64_e32 v[128:129], v[114:115], v[106:107]
	s_wait_loadcnt 0x2
	s_delay_alu instid0(VALU_DEP_1) | instskip(SKIP_1) | instid1(VALU_DEP_1)
	v_fmac_f64_e32 v[128:129], v[116:117], v[108:109]
	s_wait_dscnt 0x0
	v_fmac_f64_e32 v[128:129], v[118:119], v[110:111]
	s_wait_loadcnt 0x1
	s_delay_alu instid0(VALU_DEP_1)
	v_fmac_f64_e32 v[128:129], v[98:99], v[112:113]
	ds_load_2addr_b64 v[106:109], v2 offset0:89 offset1:90
	ds_load_b64 v[98:99], v2 offset:728
	s_wait_dscnt 0x1
	v_fmac_f64_e32 v[128:129], v[100:101], v[106:107]
	s_wait_loadcnt 0x0
	s_delay_alu instid0(VALU_DEP_1) | instskip(SKIP_1) | instid1(VALU_DEP_1)
	v_fmac_f64_e32 v[128:129], v[102:103], v[108:109]
	s_wait_dscnt 0x0
	v_fmac_f64_e32 v[128:129], v[104:105], v[98:99]
	s_delay_alu instid0(VALU_DEP_1)
	v_add_f64_e64 v[96:97], v[96:97], -v[128:129]
	scratch_store_b64 off, v[96:97], off offset:240
	s_wait_xcnt 0x0
	v_cmpx_lt_u32_e32 29, v0
	s_cbranch_execz .LBB109_227
; %bb.226:
	scratch_load_b64 v[96:97], off, off offset:232
	v_mov_b64_e32 v[98:99], 0
	scratch_store_b64 off, v[98:99], off offset:232
	s_wait_loadcnt 0x0
	ds_store_b64 v1, v[96:97]
.LBB109_227:
	s_wait_xcnt 0x0
	s_or_b32 exec_lo, exec_lo, s0
	s_wait_storecnt_dscnt 0x0
	s_barrier_signal -1
	s_barrier_wait -1
	s_clause 0x5
	scratch_load_b128 v[96:99], off, off offset:232
	scratch_load_b128 v[100:103], off, off offset:248
	;; [unrolled: 1-line block ×6, first 2 shown]
	ds_load_b128 v[120:123], v2 offset:608
	ds_load_b128 v[124:127], v2 offset:624
	s_mov_b32 s0, exec_lo
	s_wait_loadcnt_dscnt 0x501
	v_fma_f64 v[128:129], v[98:99], v[120:121], 0
	s_wait_loadcnt 0x4
	s_delay_alu instid0(VALU_DEP_1) | instskip(SKIP_4) | instid1(VALU_DEP_1)
	v_fmac_f64_e32 v[128:129], v[100:101], v[122:123]
	scratch_load_b128 v[98:101], off, off offset:328
	s_wait_dscnt 0x0
	v_fmac_f64_e32 v[128:129], v[102:103], v[124:125]
	s_wait_loadcnt 0x4
	v_fmac_f64_e32 v[128:129], v[104:105], v[126:127]
	scratch_load_b128 v[102:105], off, off offset:344
	ds_load_b128 v[120:123], v2 offset:640
	ds_load_b128 v[124:127], v2 offset:656
	s_wait_dscnt 0x1
	v_fmac_f64_e32 v[128:129], v[106:107], v[120:121]
	scratch_load_b64 v[120:121], off, off offset:360
	s_wait_loadcnt 0x5
	v_fmac_f64_e32 v[128:129], v[108:109], v[122:123]
	s_wait_dscnt 0x0
	s_delay_alu instid0(VALU_DEP_1) | instskip(SKIP_1) | instid1(VALU_DEP_1)
	v_fmac_f64_e32 v[128:129], v[110:111], v[124:125]
	s_wait_loadcnt 0x4
	v_fmac_f64_e32 v[128:129], v[112:113], v[126:127]
	ds_load_b128 v[106:109], v2 offset:672
	ds_load_b128 v[110:113], v2 offset:688
	s_wait_dscnt 0x1
	v_fmac_f64_e32 v[128:129], v[114:115], v[106:107]
	s_wait_loadcnt 0x3
	s_delay_alu instid0(VALU_DEP_1) | instskip(SKIP_1) | instid1(VALU_DEP_1)
	v_fmac_f64_e32 v[128:129], v[116:117], v[108:109]
	s_wait_dscnt 0x0
	v_fmac_f64_e32 v[128:129], v[118:119], v[110:111]
	s_wait_loadcnt 0x2
	s_delay_alu instid0(VALU_DEP_1)
	v_fmac_f64_e32 v[128:129], v[98:99], v[112:113]
	ds_load_b128 v[106:109], v2 offset:704
	ds_load_b128 v[110:113], v2 offset:720
	s_wait_dscnt 0x1
	v_fmac_f64_e32 v[128:129], v[100:101], v[106:107]
	s_wait_loadcnt 0x1
	s_delay_alu instid0(VALU_DEP_1) | instskip(SKIP_1) | instid1(VALU_DEP_1)
	v_fmac_f64_e32 v[128:129], v[102:103], v[108:109]
	s_wait_dscnt 0x0
	v_fmac_f64_e32 v[128:129], v[104:105], v[110:111]
	s_wait_loadcnt 0x0
	s_delay_alu instid0(VALU_DEP_1) | instskip(NEXT) | instid1(VALU_DEP_1)
	v_fmac_f64_e32 v[128:129], v[120:121], v[112:113]
	v_add_f64_e64 v[2:3], v[96:97], -v[128:129]
	scratch_store_b64 off, v[2:3], off offset:232
	s_wait_xcnt 0x0
	v_cmpx_lt_u32_e32 28, v0
	s_cbranch_execz .LBB109_229
; %bb.228:
	scratch_load_b64 v[2:3], off, off offset:224
	v_mov_b64_e32 v[96:97], 0
	scratch_store_b64 off, v[96:97], off offset:224
	s_wait_loadcnt 0x0
	ds_store_b64 v1, v[2:3]
.LBB109_229:
	s_wait_xcnt 0x0
	s_or_b32 exec_lo, exec_lo, s0
	s_wait_storecnt_dscnt 0x0
	s_barrier_signal -1
	s_barrier_wait -1
	s_clause 0x5
	scratch_load_b128 v[96:99], off, off offset:224
	scratch_load_b128 v[100:103], off, off offset:240
	;; [unrolled: 1-line block ×6, first 2 shown]
	v_mov_b32_e32 v2, 0
	ds_load_2addr_b64 v[120:123], v2 offset0:75 offset1:76
	ds_load_2addr_b64 v[124:127], v2 offset0:77 offset1:78
	s_mov_b32 s0, exec_lo
	s_wait_loadcnt_dscnt 0x501
	v_fma_f64 v[128:129], v[98:99], v[120:121], 0
	s_wait_loadcnt 0x4
	s_delay_alu instid0(VALU_DEP_1) | instskip(SKIP_4) | instid1(VALU_DEP_1)
	v_fmac_f64_e32 v[128:129], v[100:101], v[122:123]
	scratch_load_b128 v[98:101], off, off offset:320
	s_wait_dscnt 0x0
	v_fmac_f64_e32 v[128:129], v[102:103], v[124:125]
	s_wait_loadcnt 0x4
	v_fmac_f64_e32 v[128:129], v[104:105], v[126:127]
	scratch_load_b128 v[102:105], off, off offset:336
	ds_load_2addr_b64 v[120:123], v2 offset0:79 offset1:80
	ds_load_2addr_b64 v[124:127], v2 offset0:81 offset1:82
	s_wait_dscnt 0x1
	v_fmac_f64_e32 v[128:129], v[106:107], v[120:121]
	s_wait_loadcnt 0x4
	s_delay_alu instid0(VALU_DEP_1) | instskip(SKIP_4) | instid1(VALU_DEP_1)
	v_fmac_f64_e32 v[128:129], v[108:109], v[122:123]
	scratch_load_b128 v[106:109], off, off offset:352
	s_wait_dscnt 0x0
	v_fmac_f64_e32 v[128:129], v[110:111], v[124:125]
	s_wait_loadcnt 0x4
	v_fmac_f64_e32 v[128:129], v[112:113], v[126:127]
	ds_load_2addr_b64 v[110:113], v2 offset0:83 offset1:84
	ds_load_2addr_b64 v[120:123], v2 offset0:85 offset1:86
	s_wait_dscnt 0x1
	v_fmac_f64_e32 v[128:129], v[114:115], v[110:111]
	s_wait_loadcnt 0x3
	s_delay_alu instid0(VALU_DEP_1)
	v_fmac_f64_e32 v[128:129], v[116:117], v[112:113]
	ds_load_2addr_b64 v[110:113], v2 offset0:87 offset1:88
	ds_load_2addr_b64 v[114:117], v2 offset0:89 offset1:90
	s_wait_dscnt 0x2
	v_fmac_f64_e32 v[128:129], v[118:119], v[120:121]
	s_wait_loadcnt 0x2
	s_delay_alu instid0(VALU_DEP_1) | instskip(SKIP_4) | instid1(VALU_DEP_1)
	v_fmac_f64_e32 v[128:129], v[98:99], v[122:123]
	ds_load_b64 v[98:99], v2 offset:728
	s_wait_dscnt 0x2
	v_fmac_f64_e32 v[128:129], v[100:101], v[110:111]
	s_wait_loadcnt 0x1
	v_fmac_f64_e32 v[128:129], v[102:103], v[112:113]
	s_wait_dscnt 0x1
	s_delay_alu instid0(VALU_DEP_1) | instskip(SKIP_1) | instid1(VALU_DEP_1)
	v_fmac_f64_e32 v[128:129], v[104:105], v[114:115]
	s_wait_loadcnt 0x0
	v_fmac_f64_e32 v[128:129], v[106:107], v[116:117]
	s_wait_dscnt 0x0
	s_delay_alu instid0(VALU_DEP_1) | instskip(NEXT) | instid1(VALU_DEP_1)
	v_fmac_f64_e32 v[128:129], v[108:109], v[98:99]
	v_add_f64_e64 v[96:97], v[96:97], -v[128:129]
	scratch_store_b64 off, v[96:97], off offset:224
	s_wait_xcnt 0x0
	v_cmpx_lt_u32_e32 27, v0
	s_cbranch_execz .LBB109_231
; %bb.230:
	scratch_load_b64 v[96:97], off, off offset:216
	v_mov_b64_e32 v[98:99], 0
	scratch_store_b64 off, v[98:99], off offset:216
	s_wait_loadcnt 0x0
	ds_store_b64 v1, v[96:97]
.LBB109_231:
	s_wait_xcnt 0x0
	s_or_b32 exec_lo, exec_lo, s0
	s_wait_storecnt_dscnt 0x0
	s_barrier_signal -1
	s_barrier_wait -1
	s_clause 0x5
	scratch_load_b128 v[96:99], off, off offset:216
	scratch_load_b128 v[100:103], off, off offset:232
	;; [unrolled: 1-line block ×6, first 2 shown]
	ds_load_b128 v[120:123], v2 offset:592
	ds_load_b128 v[124:127], v2 offset:608
	s_mov_b32 s0, exec_lo
	s_wait_loadcnt_dscnt 0x501
	v_fma_f64 v[128:129], v[98:99], v[120:121], 0
	s_wait_loadcnt 0x4
	s_delay_alu instid0(VALU_DEP_1) | instskip(SKIP_4) | instid1(VALU_DEP_1)
	v_fmac_f64_e32 v[128:129], v[100:101], v[122:123]
	scratch_load_b128 v[98:101], off, off offset:312
	s_wait_dscnt 0x0
	v_fmac_f64_e32 v[128:129], v[102:103], v[124:125]
	s_wait_loadcnt 0x4
	v_fmac_f64_e32 v[128:129], v[104:105], v[126:127]
	scratch_load_b128 v[102:105], off, off offset:328
	ds_load_b128 v[120:123], v2 offset:624
	ds_load_b128 v[124:127], v2 offset:640
	s_wait_dscnt 0x1
	v_fmac_f64_e32 v[128:129], v[106:107], v[120:121]
	s_wait_loadcnt 0x4
	s_delay_alu instid0(VALU_DEP_1)
	v_fmac_f64_e32 v[128:129], v[108:109], v[122:123]
	scratch_load_b128 v[106:109], off, off offset:344
	s_wait_dscnt 0x0
	v_fmac_f64_e32 v[128:129], v[110:111], v[124:125]
	scratch_load_b64 v[124:125], off, off offset:360
	s_wait_loadcnt 0x5
	v_fmac_f64_e32 v[128:129], v[112:113], v[126:127]
	ds_load_b128 v[110:113], v2 offset:656
	ds_load_b128 v[120:123], v2 offset:672
	s_wait_dscnt 0x1
	v_fmac_f64_e32 v[128:129], v[114:115], v[110:111]
	s_wait_loadcnt 0x4
	s_delay_alu instid0(VALU_DEP_1)
	v_fmac_f64_e32 v[128:129], v[116:117], v[112:113]
	ds_load_b128 v[110:113], v2 offset:688
	ds_load_b128 v[114:117], v2 offset:704
	s_wait_dscnt 0x2
	v_fmac_f64_e32 v[128:129], v[118:119], v[120:121]
	s_wait_loadcnt 0x3
	s_delay_alu instid0(VALU_DEP_1) | instskip(SKIP_1) | instid1(VALU_DEP_1)
	v_fmac_f64_e32 v[128:129], v[98:99], v[122:123]
	s_wait_dscnt 0x1
	v_fmac_f64_e32 v[128:129], v[100:101], v[110:111]
	ds_load_b128 v[98:101], v2 offset:720
	s_wait_loadcnt 0x2
	v_fmac_f64_e32 v[128:129], v[102:103], v[112:113]
	s_wait_dscnt 0x1
	s_delay_alu instid0(VALU_DEP_1) | instskip(SKIP_1) | instid1(VALU_DEP_1)
	v_fmac_f64_e32 v[128:129], v[104:105], v[114:115]
	s_wait_loadcnt 0x1
	v_fmac_f64_e32 v[128:129], v[106:107], v[116:117]
	s_wait_dscnt 0x0
	s_delay_alu instid0(VALU_DEP_1) | instskip(SKIP_1) | instid1(VALU_DEP_1)
	v_fmac_f64_e32 v[128:129], v[108:109], v[98:99]
	s_wait_loadcnt 0x0
	v_fmac_f64_e32 v[128:129], v[124:125], v[100:101]
	s_delay_alu instid0(VALU_DEP_1)
	v_add_f64_e64 v[2:3], v[96:97], -v[128:129]
	scratch_store_b64 off, v[2:3], off offset:216
	s_wait_xcnt 0x0
	v_cmpx_lt_u32_e32 26, v0
	s_cbranch_execz .LBB109_233
; %bb.232:
	scratch_load_b64 v[2:3], off, off offset:208
	v_mov_b64_e32 v[96:97], 0
	scratch_store_b64 off, v[96:97], off offset:208
	s_wait_loadcnt 0x0
	ds_store_b64 v1, v[2:3]
.LBB109_233:
	s_wait_xcnt 0x0
	s_or_b32 exec_lo, exec_lo, s0
	s_wait_storecnt_dscnt 0x0
	s_barrier_signal -1
	s_barrier_wait -1
	s_clause 0x5
	scratch_load_b128 v[96:99], off, off offset:208
	scratch_load_b128 v[100:103], off, off offset:224
	;; [unrolled: 1-line block ×6, first 2 shown]
	v_mov_b32_e32 v2, 0
	ds_load_2addr_b64 v[120:123], v2 offset0:73 offset1:74
	ds_load_2addr_b64 v[124:127], v2 offset0:75 offset1:76
	s_mov_b32 s0, exec_lo
	s_wait_loadcnt_dscnt 0x501
	v_fma_f64 v[128:129], v[98:99], v[120:121], 0
	s_wait_loadcnt 0x4
	s_delay_alu instid0(VALU_DEP_1) | instskip(SKIP_4) | instid1(VALU_DEP_1)
	v_fmac_f64_e32 v[128:129], v[100:101], v[122:123]
	scratch_load_b128 v[98:101], off, off offset:304
	s_wait_dscnt 0x0
	v_fmac_f64_e32 v[128:129], v[102:103], v[124:125]
	s_wait_loadcnt 0x4
	v_fmac_f64_e32 v[128:129], v[104:105], v[126:127]
	scratch_load_b128 v[102:105], off, off offset:320
	ds_load_2addr_b64 v[120:123], v2 offset0:77 offset1:78
	ds_load_2addr_b64 v[124:127], v2 offset0:79 offset1:80
	s_wait_dscnt 0x1
	v_fmac_f64_e32 v[128:129], v[106:107], v[120:121]
	s_wait_loadcnt 0x4
	s_delay_alu instid0(VALU_DEP_1) | instskip(SKIP_4) | instid1(VALU_DEP_1)
	v_fmac_f64_e32 v[128:129], v[108:109], v[122:123]
	scratch_load_b128 v[106:109], off, off offset:336
	s_wait_dscnt 0x0
	v_fmac_f64_e32 v[128:129], v[110:111], v[124:125]
	s_wait_loadcnt 0x4
	v_fmac_f64_e32 v[128:129], v[112:113], v[126:127]
	scratch_load_b128 v[110:113], off, off offset:352
	ds_load_2addr_b64 v[120:123], v2 offset0:81 offset1:82
	ds_load_2addr_b64 v[124:127], v2 offset0:83 offset1:84
	s_wait_dscnt 0x1
	v_fmac_f64_e32 v[128:129], v[114:115], v[120:121]
	s_wait_loadcnt 0x4
	s_delay_alu instid0(VALU_DEP_1) | instskip(SKIP_1) | instid1(VALU_DEP_1)
	v_fmac_f64_e32 v[128:129], v[116:117], v[122:123]
	s_wait_dscnt 0x0
	v_fmac_f64_e32 v[128:129], v[118:119], v[124:125]
	ds_load_2addr_b64 v[114:117], v2 offset0:85 offset1:86
	ds_load_2addr_b64 v[118:121], v2 offset0:87 offset1:88
	s_wait_loadcnt 0x3
	v_fmac_f64_e32 v[128:129], v[98:99], v[126:127]
	s_wait_dscnt 0x1
	s_delay_alu instid0(VALU_DEP_1) | instskip(SKIP_1) | instid1(VALU_DEP_1)
	v_fmac_f64_e32 v[128:129], v[100:101], v[114:115]
	s_wait_loadcnt 0x2
	v_fmac_f64_e32 v[128:129], v[102:103], v[116:117]
	ds_load_2addr_b64 v[98:101], v2 offset0:89 offset1:90
	ds_load_b64 v[102:103], v2 offset:728
	s_wait_dscnt 0x2
	v_fmac_f64_e32 v[128:129], v[104:105], v[118:119]
	s_wait_loadcnt 0x1
	s_delay_alu instid0(VALU_DEP_1) | instskip(SKIP_1) | instid1(VALU_DEP_1)
	v_fmac_f64_e32 v[128:129], v[106:107], v[120:121]
	s_wait_dscnt 0x1
	v_fmac_f64_e32 v[128:129], v[108:109], v[98:99]
	s_wait_loadcnt 0x0
	s_delay_alu instid0(VALU_DEP_1) | instskip(SKIP_1) | instid1(VALU_DEP_1)
	v_fmac_f64_e32 v[128:129], v[110:111], v[100:101]
	s_wait_dscnt 0x0
	v_fmac_f64_e32 v[128:129], v[112:113], v[102:103]
	s_delay_alu instid0(VALU_DEP_1)
	v_add_f64_e64 v[96:97], v[96:97], -v[128:129]
	scratch_store_b64 off, v[96:97], off offset:208
	s_wait_xcnt 0x0
	v_cmpx_lt_u32_e32 25, v0
	s_cbranch_execz .LBB109_235
; %bb.234:
	scratch_load_b64 v[96:97], off, off offset:200
	v_mov_b64_e32 v[98:99], 0
	scratch_store_b64 off, v[98:99], off offset:200
	s_wait_loadcnt 0x0
	ds_store_b64 v1, v[96:97]
.LBB109_235:
	s_wait_xcnt 0x0
	s_or_b32 exec_lo, exec_lo, s0
	s_wait_storecnt_dscnt 0x0
	s_barrier_signal -1
	s_barrier_wait -1
	s_clause 0x5
	scratch_load_b128 v[96:99], off, off offset:200
	scratch_load_b128 v[100:103], off, off offset:216
	;; [unrolled: 1-line block ×6, first 2 shown]
	ds_load_b128 v[120:123], v2 offset:576
	ds_load_b128 v[124:127], v2 offset:592
	s_mov_b32 s0, exec_lo
	s_wait_loadcnt_dscnt 0x501
	v_fma_f64 v[128:129], v[98:99], v[120:121], 0
	s_wait_loadcnt 0x4
	s_delay_alu instid0(VALU_DEP_1) | instskip(SKIP_4) | instid1(VALU_DEP_1)
	v_fmac_f64_e32 v[128:129], v[100:101], v[122:123]
	scratch_load_b128 v[98:101], off, off offset:296
	s_wait_dscnt 0x0
	v_fmac_f64_e32 v[128:129], v[102:103], v[124:125]
	s_wait_loadcnt 0x4
	v_fmac_f64_e32 v[128:129], v[104:105], v[126:127]
	scratch_load_b128 v[102:105], off, off offset:312
	ds_load_b128 v[120:123], v2 offset:608
	ds_load_b128 v[124:127], v2 offset:624
	s_wait_dscnt 0x1
	v_fmac_f64_e32 v[128:129], v[106:107], v[120:121]
	s_wait_loadcnt 0x4
	s_delay_alu instid0(VALU_DEP_1) | instskip(SKIP_4) | instid1(VALU_DEP_1)
	v_fmac_f64_e32 v[128:129], v[108:109], v[122:123]
	scratch_load_b128 v[106:109], off, off offset:328
	s_wait_dscnt 0x0
	v_fmac_f64_e32 v[128:129], v[110:111], v[124:125]
	s_wait_loadcnt 0x4
	v_fmac_f64_e32 v[128:129], v[112:113], v[126:127]
	scratch_load_b128 v[110:113], off, off offset:344
	ds_load_b128 v[120:123], v2 offset:640
	ds_load_b128 v[124:127], v2 offset:656
	s_wait_dscnt 0x1
	v_fmac_f64_e32 v[128:129], v[114:115], v[120:121]
	s_wait_loadcnt 0x4
	s_delay_alu instid0(VALU_DEP_1)
	v_fmac_f64_e32 v[128:129], v[116:117], v[122:123]
	scratch_load_b64 v[122:123], off, off offset:360
	s_wait_dscnt 0x0
	v_fmac_f64_e32 v[128:129], v[118:119], v[124:125]
	ds_load_b128 v[114:117], v2 offset:672
	ds_load_b128 v[118:121], v2 offset:688
	s_wait_loadcnt 0x4
	v_fmac_f64_e32 v[128:129], v[98:99], v[126:127]
	s_wait_dscnt 0x1
	s_delay_alu instid0(VALU_DEP_1) | instskip(SKIP_1) | instid1(VALU_DEP_1)
	v_fmac_f64_e32 v[128:129], v[100:101], v[114:115]
	s_wait_loadcnt 0x3
	v_fmac_f64_e32 v[128:129], v[102:103], v[116:117]
	s_wait_dscnt 0x0
	s_delay_alu instid0(VALU_DEP_1)
	v_fmac_f64_e32 v[128:129], v[104:105], v[118:119]
	ds_load_b128 v[98:101], v2 offset:704
	ds_load_b128 v[102:105], v2 offset:720
	s_wait_loadcnt 0x2
	v_fmac_f64_e32 v[128:129], v[106:107], v[120:121]
	s_wait_dscnt 0x1
	s_delay_alu instid0(VALU_DEP_1) | instskip(SKIP_1) | instid1(VALU_DEP_1)
	v_fmac_f64_e32 v[128:129], v[108:109], v[98:99]
	s_wait_loadcnt 0x1
	v_fmac_f64_e32 v[128:129], v[110:111], v[100:101]
	s_wait_dscnt 0x0
	s_delay_alu instid0(VALU_DEP_1) | instskip(SKIP_1) | instid1(VALU_DEP_1)
	v_fmac_f64_e32 v[128:129], v[112:113], v[102:103]
	s_wait_loadcnt 0x0
	v_fmac_f64_e32 v[128:129], v[122:123], v[104:105]
	s_delay_alu instid0(VALU_DEP_1)
	v_add_f64_e64 v[2:3], v[96:97], -v[128:129]
	scratch_store_b64 off, v[2:3], off offset:200
	s_wait_xcnt 0x0
	v_cmpx_lt_u32_e32 24, v0
	s_cbranch_execz .LBB109_237
; %bb.236:
	scratch_load_b64 v[2:3], off, off offset:192
	v_mov_b64_e32 v[96:97], 0
	scratch_store_b64 off, v[96:97], off offset:192
	s_wait_loadcnt 0x0
	ds_store_b64 v1, v[2:3]
.LBB109_237:
	s_wait_xcnt 0x0
	s_or_b32 exec_lo, exec_lo, s0
	s_wait_storecnt_dscnt 0x0
	s_barrier_signal -1
	s_barrier_wait -1
	s_clause 0x5
	scratch_load_b128 v[96:99], off, off offset:192
	scratch_load_b128 v[100:103], off, off offset:208
	scratch_load_b128 v[104:107], off, off offset:224
	scratch_load_b128 v[108:111], off, off offset:240
	scratch_load_b128 v[112:115], off, off offset:256
	scratch_load_b128 v[116:119], off, off offset:272
	v_mov_b32_e32 v2, 0
	ds_load_2addr_b64 v[120:123], v2 offset0:71 offset1:72
	ds_load_2addr_b64 v[124:127], v2 offset0:73 offset1:74
	s_mov_b32 s0, exec_lo
	s_wait_loadcnt_dscnt 0x501
	v_fma_f64 v[128:129], v[98:99], v[120:121], 0
	s_wait_loadcnt 0x4
	s_delay_alu instid0(VALU_DEP_1) | instskip(SKIP_4) | instid1(VALU_DEP_1)
	v_fmac_f64_e32 v[128:129], v[100:101], v[122:123]
	scratch_load_b128 v[98:101], off, off offset:288
	s_wait_dscnt 0x0
	v_fmac_f64_e32 v[128:129], v[102:103], v[124:125]
	s_wait_loadcnt 0x4
	v_fmac_f64_e32 v[128:129], v[104:105], v[126:127]
	scratch_load_b128 v[102:105], off, off offset:304
	ds_load_2addr_b64 v[120:123], v2 offset0:75 offset1:76
	ds_load_2addr_b64 v[124:127], v2 offset0:77 offset1:78
	s_wait_dscnt 0x1
	v_fmac_f64_e32 v[128:129], v[106:107], v[120:121]
	s_wait_loadcnt 0x4
	s_delay_alu instid0(VALU_DEP_1) | instskip(SKIP_4) | instid1(VALU_DEP_1)
	v_fmac_f64_e32 v[128:129], v[108:109], v[122:123]
	scratch_load_b128 v[106:109], off, off offset:320
	s_wait_dscnt 0x0
	v_fmac_f64_e32 v[128:129], v[110:111], v[124:125]
	s_wait_loadcnt 0x4
	v_fmac_f64_e32 v[128:129], v[112:113], v[126:127]
	scratch_load_b128 v[110:113], off, off offset:336
	ds_load_2addr_b64 v[120:123], v2 offset0:79 offset1:80
	ds_load_2addr_b64 v[124:127], v2 offset0:81 offset1:82
	s_wait_dscnt 0x1
	v_fmac_f64_e32 v[128:129], v[114:115], v[120:121]
	s_wait_loadcnt 0x4
	s_delay_alu instid0(VALU_DEP_1)
	v_fmac_f64_e32 v[128:129], v[116:117], v[122:123]
	scratch_load_b128 v[114:117], off, off offset:352
	s_wait_dscnt 0x0
	v_fmac_f64_e32 v[128:129], v[118:119], v[124:125]
	ds_load_2addr_b64 v[118:121], v2 offset0:83 offset1:84
	ds_load_2addr_b64 v[122:125], v2 offset0:85 offset1:86
	s_wait_loadcnt 0x4
	v_fmac_f64_e32 v[128:129], v[98:99], v[126:127]
	s_wait_dscnt 0x1
	s_delay_alu instid0(VALU_DEP_1) | instskip(SKIP_1) | instid1(VALU_DEP_1)
	v_fmac_f64_e32 v[128:129], v[100:101], v[118:119]
	s_wait_loadcnt 0x3
	v_fmac_f64_e32 v[128:129], v[102:103], v[120:121]
	s_wait_dscnt 0x0
	s_delay_alu instid0(VALU_DEP_1)
	v_fmac_f64_e32 v[128:129], v[104:105], v[122:123]
	ds_load_2addr_b64 v[98:101], v2 offset0:87 offset1:88
	ds_load_2addr_b64 v[102:105], v2 offset0:89 offset1:90
	s_wait_loadcnt 0x2
	v_fmac_f64_e32 v[128:129], v[106:107], v[124:125]
	s_wait_dscnt 0x1
	s_delay_alu instid0(VALU_DEP_1) | instskip(SKIP_4) | instid1(VALU_DEP_1)
	v_fmac_f64_e32 v[128:129], v[108:109], v[98:99]
	ds_load_b64 v[98:99], v2 offset:728
	s_wait_loadcnt 0x1
	v_fmac_f64_e32 v[128:129], v[110:111], v[100:101]
	s_wait_dscnt 0x1
	v_fmac_f64_e32 v[128:129], v[112:113], v[102:103]
	s_wait_loadcnt 0x0
	s_delay_alu instid0(VALU_DEP_1) | instskip(SKIP_1) | instid1(VALU_DEP_1)
	v_fmac_f64_e32 v[128:129], v[114:115], v[104:105]
	s_wait_dscnt 0x0
	v_fmac_f64_e32 v[128:129], v[116:117], v[98:99]
	s_delay_alu instid0(VALU_DEP_1)
	v_add_f64_e64 v[96:97], v[96:97], -v[128:129]
	scratch_store_b64 off, v[96:97], off offset:192
	s_wait_xcnt 0x0
	v_cmpx_lt_u32_e32 23, v0
	s_cbranch_execz .LBB109_239
; %bb.238:
	scratch_load_b64 v[96:97], off, off offset:184
	v_mov_b64_e32 v[98:99], 0
	scratch_store_b64 off, v[98:99], off offset:184
	s_wait_loadcnt 0x0
	ds_store_b64 v1, v[96:97]
.LBB109_239:
	s_wait_xcnt 0x0
	s_or_b32 exec_lo, exec_lo, s0
	s_wait_storecnt_dscnt 0x0
	s_barrier_signal -1
	s_barrier_wait -1
	s_clause 0x5
	scratch_load_b128 v[96:99], off, off offset:184
	scratch_load_b128 v[100:103], off, off offset:200
	;; [unrolled: 1-line block ×6, first 2 shown]
	ds_load_b128 v[120:123], v2 offset:560
	ds_load_b128 v[124:127], v2 offset:576
	scratch_load_b128 v[128:131], off, off offset:280
	s_mov_b32 s0, exec_lo
	s_wait_loadcnt_dscnt 0x601
	v_fma_f64 v[132:133], v[98:99], v[120:121], 0
	s_wait_loadcnt 0x5
	s_delay_alu instid0(VALU_DEP_1) | instskip(SKIP_4) | instid1(VALU_DEP_1)
	v_fmac_f64_e32 v[132:133], v[100:101], v[122:123]
	scratch_load_b128 v[98:101], off, off offset:296
	s_wait_dscnt 0x0
	v_fmac_f64_e32 v[132:133], v[102:103], v[124:125]
	s_wait_loadcnt 0x5
	v_fmac_f64_e32 v[132:133], v[104:105], v[126:127]
	ds_load_b128 v[102:105], v2 offset:592
	ds_load_b128 v[120:123], v2 offset:608
	s_wait_dscnt 0x1
	v_fmac_f64_e32 v[132:133], v[106:107], v[102:103]
	s_wait_loadcnt 0x4
	s_delay_alu instid0(VALU_DEP_1)
	v_fmac_f64_e32 v[132:133], v[108:109], v[104:105]
	s_clause 0x1
	scratch_load_b128 v[102:105], off, off offset:312
	scratch_load_b128 v[106:109], off, off offset:328
	s_wait_dscnt 0x0
	v_fmac_f64_e32 v[132:133], v[110:111], v[120:121]
	s_wait_loadcnt 0x5
	s_delay_alu instid0(VALU_DEP_1)
	v_fmac_f64_e32 v[132:133], v[112:113], v[122:123]
	ds_load_b128 v[110:113], v2 offset:624
	ds_load_b128 v[120:123], v2 offset:640
	s_wait_dscnt 0x1
	v_fmac_f64_e32 v[132:133], v[114:115], v[110:111]
	s_wait_loadcnt 0x4
	s_delay_alu instid0(VALU_DEP_1) | instskip(SKIP_4) | instid1(VALU_DEP_1)
	v_fmac_f64_e32 v[132:133], v[116:117], v[112:113]
	scratch_load_b128 v[110:113], off, off offset:344
	s_wait_dscnt 0x0
	v_fmac_f64_e32 v[132:133], v[118:119], v[120:121]
	s_wait_loadcnt 0x4
	v_fmac_f64_e32 v[132:133], v[128:129], v[122:123]
	scratch_load_b64 v[122:123], off, off offset:360
	ds_load_b128 v[114:117], v2 offset:656
	ds_load_b128 v[118:121], v2 offset:672
	s_wait_dscnt 0x1
	v_fmac_f64_e32 v[132:133], v[130:131], v[114:115]
	s_wait_loadcnt 0x4
	s_delay_alu instid0(VALU_DEP_1) | instskip(SKIP_1) | instid1(VALU_DEP_1)
	v_fmac_f64_e32 v[132:133], v[98:99], v[116:117]
	s_wait_dscnt 0x0
	v_fmac_f64_e32 v[132:133], v[100:101], v[118:119]
	ds_load_b128 v[98:101], v2 offset:688
	ds_load_b128 v[114:117], v2 offset:704
	s_wait_loadcnt 0x3
	v_fmac_f64_e32 v[132:133], v[102:103], v[120:121]
	s_wait_dscnt 0x1
	s_delay_alu instid0(VALU_DEP_1) | instskip(SKIP_1) | instid1(VALU_DEP_1)
	v_fmac_f64_e32 v[132:133], v[104:105], v[98:99]
	s_wait_loadcnt 0x2
	v_fmac_f64_e32 v[132:133], v[106:107], v[100:101]
	ds_load_b128 v[98:101], v2 offset:720
	s_wait_dscnt 0x1
	v_fmac_f64_e32 v[132:133], v[108:109], v[114:115]
	s_wait_loadcnt 0x1
	s_delay_alu instid0(VALU_DEP_1) | instskip(SKIP_1) | instid1(VALU_DEP_1)
	v_fmac_f64_e32 v[132:133], v[110:111], v[116:117]
	s_wait_dscnt 0x0
	v_fmac_f64_e32 v[132:133], v[112:113], v[98:99]
	s_wait_loadcnt 0x0
	s_delay_alu instid0(VALU_DEP_1) | instskip(NEXT) | instid1(VALU_DEP_1)
	v_fmac_f64_e32 v[132:133], v[122:123], v[100:101]
	v_add_f64_e64 v[2:3], v[96:97], -v[132:133]
	scratch_store_b64 off, v[2:3], off offset:184
	s_wait_xcnt 0x0
	v_cmpx_lt_u32_e32 22, v0
	s_cbranch_execz .LBB109_241
; %bb.240:
	scratch_load_b64 v[2:3], off, off offset:176
	v_mov_b64_e32 v[96:97], 0
	scratch_store_b64 off, v[96:97], off offset:176
	s_wait_loadcnt 0x0
	ds_store_b64 v1, v[2:3]
.LBB109_241:
	s_wait_xcnt 0x0
	s_or_b32 exec_lo, exec_lo, s0
	s_wait_storecnt_dscnt 0x0
	s_barrier_signal -1
	s_barrier_wait -1
	s_clause 0x5
	scratch_load_b128 v[96:99], off, off offset:176
	scratch_load_b128 v[100:103], off, off offset:192
	;; [unrolled: 1-line block ×6, first 2 shown]
	v_mov_b32_e32 v2, 0
	ds_load_2addr_b64 v[120:123], v2 offset0:69 offset1:70
	ds_load_2addr_b64 v[124:127], v2 offset0:71 offset1:72
	scratch_load_b128 v[128:131], off, off offset:272
	s_mov_b32 s0, exec_lo
	s_wait_loadcnt_dscnt 0x601
	v_fma_f64 v[132:133], v[98:99], v[120:121], 0
	s_wait_loadcnt 0x5
	s_delay_alu instid0(VALU_DEP_1) | instskip(SKIP_4) | instid1(VALU_DEP_1)
	v_fmac_f64_e32 v[132:133], v[100:101], v[122:123]
	scratch_load_b128 v[98:101], off, off offset:288
	s_wait_dscnt 0x0
	v_fmac_f64_e32 v[132:133], v[102:103], v[124:125]
	s_wait_loadcnt 0x5
	v_fmac_f64_e32 v[132:133], v[104:105], v[126:127]
	ds_load_2addr_b64 v[102:105], v2 offset0:73 offset1:74
	ds_load_2addr_b64 v[120:123], v2 offset0:75 offset1:76
	s_wait_dscnt 0x1
	v_fmac_f64_e32 v[132:133], v[106:107], v[102:103]
	s_wait_loadcnt 0x4
	s_delay_alu instid0(VALU_DEP_1)
	v_fmac_f64_e32 v[132:133], v[108:109], v[104:105]
	s_clause 0x1
	scratch_load_b128 v[102:105], off, off offset:304
	scratch_load_b128 v[106:109], off, off offset:320
	s_wait_dscnt 0x0
	v_fmac_f64_e32 v[132:133], v[110:111], v[120:121]
	s_wait_loadcnt 0x5
	s_delay_alu instid0(VALU_DEP_1)
	v_fmac_f64_e32 v[132:133], v[112:113], v[122:123]
	ds_load_2addr_b64 v[110:113], v2 offset0:77 offset1:78
	ds_load_2addr_b64 v[120:123], v2 offset0:79 offset1:80
	s_wait_dscnt 0x1
	v_fmac_f64_e32 v[132:133], v[114:115], v[110:111]
	s_wait_loadcnt 0x4
	s_delay_alu instid0(VALU_DEP_1)
	v_fmac_f64_e32 v[132:133], v[116:117], v[112:113]
	s_clause 0x1
	scratch_load_b128 v[110:113], off, off offset:336
	scratch_load_b128 v[114:117], off, off offset:352
	s_wait_dscnt 0x0
	v_fmac_f64_e32 v[132:133], v[118:119], v[120:121]
	s_wait_loadcnt 0x5
	s_delay_alu instid0(VALU_DEP_1)
	v_fmac_f64_e32 v[132:133], v[128:129], v[122:123]
	ds_load_2addr_b64 v[118:121], v2 offset0:81 offset1:82
	ds_load_2addr_b64 v[122:125], v2 offset0:83 offset1:84
	s_wait_dscnt 0x1
	v_fmac_f64_e32 v[132:133], v[130:131], v[118:119]
	s_wait_loadcnt 0x4
	s_delay_alu instid0(VALU_DEP_1) | instskip(SKIP_1) | instid1(VALU_DEP_1)
	v_fmac_f64_e32 v[132:133], v[98:99], v[120:121]
	s_wait_dscnt 0x0
	v_fmac_f64_e32 v[132:133], v[100:101], v[122:123]
	ds_load_2addr_b64 v[98:101], v2 offset0:85 offset1:86
	ds_load_2addr_b64 v[118:121], v2 offset0:87 offset1:88
	s_wait_loadcnt 0x3
	v_fmac_f64_e32 v[132:133], v[102:103], v[124:125]
	s_wait_dscnt 0x1
	s_delay_alu instid0(VALU_DEP_1) | instskip(SKIP_1) | instid1(VALU_DEP_1)
	v_fmac_f64_e32 v[132:133], v[104:105], v[98:99]
	s_wait_loadcnt 0x2
	v_fmac_f64_e32 v[132:133], v[106:107], v[100:101]
	ds_load_2addr_b64 v[98:101], v2 offset0:89 offset1:90
	ds_load_b64 v[102:103], v2 offset:728
	s_wait_dscnt 0x2
	v_fmac_f64_e32 v[132:133], v[108:109], v[118:119]
	s_wait_loadcnt 0x1
	s_delay_alu instid0(VALU_DEP_1) | instskip(SKIP_1) | instid1(VALU_DEP_1)
	v_fmac_f64_e32 v[132:133], v[110:111], v[120:121]
	s_wait_dscnt 0x1
	v_fmac_f64_e32 v[132:133], v[112:113], v[98:99]
	s_wait_loadcnt 0x0
	s_delay_alu instid0(VALU_DEP_1) | instskip(SKIP_1) | instid1(VALU_DEP_1)
	v_fmac_f64_e32 v[132:133], v[114:115], v[100:101]
	s_wait_dscnt 0x0
	v_fmac_f64_e32 v[132:133], v[116:117], v[102:103]
	s_delay_alu instid0(VALU_DEP_1)
	v_add_f64_e64 v[96:97], v[96:97], -v[132:133]
	scratch_store_b64 off, v[96:97], off offset:176
	s_wait_xcnt 0x0
	v_cmpx_lt_u32_e32 21, v0
	s_cbranch_execz .LBB109_243
; %bb.242:
	scratch_load_b64 v[96:97], off, off offset:168
	v_mov_b64_e32 v[98:99], 0
	scratch_store_b64 off, v[98:99], off offset:168
	s_wait_loadcnt 0x0
	ds_store_b64 v1, v[96:97]
.LBB109_243:
	s_wait_xcnt 0x0
	s_or_b32 exec_lo, exec_lo, s0
	s_wait_storecnt_dscnt 0x0
	s_barrier_signal -1
	s_barrier_wait -1
	s_clause 0x5
	scratch_load_b128 v[96:99], off, off offset:168
	scratch_load_b128 v[100:103], off, off offset:184
	;; [unrolled: 1-line block ×6, first 2 shown]
	ds_load_b128 v[120:123], v2 offset:544
	ds_load_b128 v[124:127], v2 offset:560
	scratch_load_b128 v[128:131], off, off offset:264
	s_mov_b32 s0, exec_lo
	s_wait_loadcnt_dscnt 0x601
	v_fma_f64 v[132:133], v[98:99], v[120:121], 0
	s_wait_loadcnt 0x5
	s_delay_alu instid0(VALU_DEP_1) | instskip(SKIP_4) | instid1(VALU_DEP_1)
	v_fmac_f64_e32 v[132:133], v[100:101], v[122:123]
	scratch_load_b128 v[98:101], off, off offset:280
	s_wait_dscnt 0x0
	v_fmac_f64_e32 v[132:133], v[102:103], v[124:125]
	s_wait_loadcnt 0x5
	v_fmac_f64_e32 v[132:133], v[104:105], v[126:127]
	ds_load_b128 v[102:105], v2 offset:576
	ds_load_b128 v[120:123], v2 offset:592
	s_wait_dscnt 0x1
	v_fmac_f64_e32 v[132:133], v[106:107], v[102:103]
	s_wait_loadcnt 0x4
	s_delay_alu instid0(VALU_DEP_1)
	v_fmac_f64_e32 v[132:133], v[108:109], v[104:105]
	s_clause 0x1
	scratch_load_b128 v[102:105], off, off offset:296
	scratch_load_b128 v[106:109], off, off offset:312
	s_wait_dscnt 0x0
	v_fmac_f64_e32 v[132:133], v[110:111], v[120:121]
	s_wait_loadcnt 0x5
	s_delay_alu instid0(VALU_DEP_1)
	v_fmac_f64_e32 v[132:133], v[112:113], v[122:123]
	ds_load_b128 v[110:113], v2 offset:608
	ds_load_b128 v[120:123], v2 offset:624
	s_wait_dscnt 0x1
	v_fmac_f64_e32 v[132:133], v[114:115], v[110:111]
	s_wait_loadcnt 0x4
	s_delay_alu instid0(VALU_DEP_1)
	v_fmac_f64_e32 v[132:133], v[116:117], v[112:113]
	s_clause 0x1
	scratch_load_b128 v[110:113], off, off offset:328
	scratch_load_b128 v[114:117], off, off offset:344
	s_wait_dscnt 0x0
	v_fmac_f64_e32 v[132:133], v[118:119], v[120:121]
	s_wait_loadcnt 0x5
	s_delay_alu instid0(VALU_DEP_1)
	v_fmac_f64_e32 v[132:133], v[128:129], v[122:123]
	ds_load_b128 v[118:121], v2 offset:640
	ds_load_b128 v[122:125], v2 offset:656
	scratch_load_b64 v[126:127], off, off offset:360
	s_wait_dscnt 0x1
	v_fmac_f64_e32 v[132:133], v[130:131], v[118:119]
	s_wait_loadcnt 0x5
	s_delay_alu instid0(VALU_DEP_1) | instskip(SKIP_1) | instid1(VALU_DEP_1)
	v_fmac_f64_e32 v[132:133], v[98:99], v[120:121]
	s_wait_dscnt 0x0
	v_fmac_f64_e32 v[132:133], v[100:101], v[122:123]
	ds_load_b128 v[98:101], v2 offset:672
	ds_load_b128 v[118:121], v2 offset:688
	s_wait_loadcnt 0x4
	v_fmac_f64_e32 v[132:133], v[102:103], v[124:125]
	s_wait_dscnt 0x1
	s_delay_alu instid0(VALU_DEP_1) | instskip(SKIP_1) | instid1(VALU_DEP_1)
	v_fmac_f64_e32 v[132:133], v[104:105], v[98:99]
	s_wait_loadcnt 0x3
	v_fmac_f64_e32 v[132:133], v[106:107], v[100:101]
	ds_load_b128 v[98:101], v2 offset:704
	ds_load_b128 v[102:105], v2 offset:720
	s_wait_dscnt 0x2
	v_fmac_f64_e32 v[132:133], v[108:109], v[118:119]
	s_wait_loadcnt 0x2
	s_delay_alu instid0(VALU_DEP_1) | instskip(SKIP_1) | instid1(VALU_DEP_1)
	v_fmac_f64_e32 v[132:133], v[110:111], v[120:121]
	s_wait_dscnt 0x1
	v_fmac_f64_e32 v[132:133], v[112:113], v[98:99]
	s_wait_loadcnt 0x1
	s_delay_alu instid0(VALU_DEP_1) | instskip(SKIP_1) | instid1(VALU_DEP_1)
	v_fmac_f64_e32 v[132:133], v[114:115], v[100:101]
	s_wait_dscnt 0x0
	v_fmac_f64_e32 v[132:133], v[116:117], v[102:103]
	s_wait_loadcnt 0x0
	s_delay_alu instid0(VALU_DEP_1) | instskip(NEXT) | instid1(VALU_DEP_1)
	v_fmac_f64_e32 v[132:133], v[126:127], v[104:105]
	v_add_f64_e64 v[2:3], v[96:97], -v[132:133]
	scratch_store_b64 off, v[2:3], off offset:168
	s_wait_xcnt 0x0
	v_cmpx_lt_u32_e32 20, v0
	s_cbranch_execz .LBB109_245
; %bb.244:
	scratch_load_b64 v[2:3], off, off offset:160
	v_mov_b64_e32 v[96:97], 0
	scratch_store_b64 off, v[96:97], off offset:160
	s_wait_loadcnt 0x0
	ds_store_b64 v1, v[2:3]
.LBB109_245:
	s_wait_xcnt 0x0
	s_or_b32 exec_lo, exec_lo, s0
	s_wait_storecnt_dscnt 0x0
	s_barrier_signal -1
	s_barrier_wait -1
	s_clause 0x5
	scratch_load_b128 v[96:99], off, off offset:160
	scratch_load_b128 v[100:103], off, off offset:176
	;; [unrolled: 1-line block ×6, first 2 shown]
	v_mov_b32_e32 v2, 0
	ds_load_2addr_b64 v[120:123], v2 offset0:67 offset1:68
	ds_load_2addr_b64 v[124:127], v2 offset0:69 offset1:70
	scratch_load_b128 v[128:131], off, off offset:256
	s_mov_b32 s0, exec_lo
	s_wait_loadcnt_dscnt 0x601
	v_fma_f64 v[132:133], v[98:99], v[120:121], 0
	s_wait_loadcnt 0x5
	s_delay_alu instid0(VALU_DEP_1) | instskip(SKIP_4) | instid1(VALU_DEP_1)
	v_fmac_f64_e32 v[132:133], v[100:101], v[122:123]
	scratch_load_b128 v[98:101], off, off offset:272
	s_wait_dscnt 0x0
	v_fmac_f64_e32 v[132:133], v[102:103], v[124:125]
	s_wait_loadcnt 0x5
	v_fmac_f64_e32 v[132:133], v[104:105], v[126:127]
	ds_load_2addr_b64 v[102:105], v2 offset0:71 offset1:72
	ds_load_2addr_b64 v[120:123], v2 offset0:73 offset1:74
	s_wait_dscnt 0x1
	v_fmac_f64_e32 v[132:133], v[106:107], v[102:103]
	s_wait_loadcnt 0x4
	s_delay_alu instid0(VALU_DEP_1)
	v_fmac_f64_e32 v[132:133], v[108:109], v[104:105]
	s_clause 0x1
	scratch_load_b128 v[102:105], off, off offset:288
	scratch_load_b128 v[106:109], off, off offset:304
	s_wait_dscnt 0x0
	v_fmac_f64_e32 v[132:133], v[110:111], v[120:121]
	s_wait_loadcnt 0x5
	s_delay_alu instid0(VALU_DEP_1)
	v_fmac_f64_e32 v[132:133], v[112:113], v[122:123]
	ds_load_2addr_b64 v[110:113], v2 offset0:75 offset1:76
	ds_load_2addr_b64 v[120:123], v2 offset0:77 offset1:78
	s_wait_dscnt 0x1
	v_fmac_f64_e32 v[132:133], v[114:115], v[110:111]
	s_wait_loadcnt 0x4
	s_delay_alu instid0(VALU_DEP_1)
	v_fmac_f64_e32 v[132:133], v[116:117], v[112:113]
	s_clause 0x1
	scratch_load_b128 v[110:113], off, off offset:320
	scratch_load_b128 v[114:117], off, off offset:336
	s_wait_dscnt 0x0
	v_fmac_f64_e32 v[132:133], v[118:119], v[120:121]
	s_wait_loadcnt 0x5
	s_delay_alu instid0(VALU_DEP_1)
	v_fmac_f64_e32 v[132:133], v[128:129], v[122:123]
	ds_load_2addr_b64 v[118:121], v2 offset0:79 offset1:80
	ds_load_2addr_b64 v[122:125], v2 offset0:81 offset1:82
	s_wait_dscnt 0x1
	v_fmac_f64_e32 v[132:133], v[130:131], v[118:119]
	s_wait_loadcnt 0x4
	s_delay_alu instid0(VALU_DEP_1) | instskip(SKIP_4) | instid1(VALU_DEP_1)
	v_fmac_f64_e32 v[132:133], v[98:99], v[120:121]
	scratch_load_b128 v[118:121], off, off offset:352
	s_wait_dscnt 0x0
	v_fmac_f64_e32 v[132:133], v[100:101], v[122:123]
	s_wait_loadcnt 0x4
	v_fmac_f64_e32 v[132:133], v[102:103], v[124:125]
	ds_load_2addr_b64 v[98:101], v2 offset0:83 offset1:84
	ds_load_2addr_b64 v[122:125], v2 offset0:85 offset1:86
	s_wait_dscnt 0x1
	v_fmac_f64_e32 v[132:133], v[104:105], v[98:99]
	s_wait_loadcnt 0x3
	s_delay_alu instid0(VALU_DEP_1)
	v_fmac_f64_e32 v[132:133], v[106:107], v[100:101]
	ds_load_2addr_b64 v[98:101], v2 offset0:87 offset1:88
	ds_load_2addr_b64 v[102:105], v2 offset0:89 offset1:90
	s_wait_dscnt 0x2
	v_fmac_f64_e32 v[132:133], v[108:109], v[122:123]
	s_wait_loadcnt 0x2
	s_delay_alu instid0(VALU_DEP_1) | instskip(SKIP_1) | instid1(VALU_DEP_1)
	v_fmac_f64_e32 v[132:133], v[110:111], v[124:125]
	s_wait_dscnt 0x1
	v_fmac_f64_e32 v[132:133], v[112:113], v[98:99]
	ds_load_b64 v[98:99], v2 offset:728
	s_wait_loadcnt 0x1
	v_fmac_f64_e32 v[132:133], v[114:115], v[100:101]
	s_wait_dscnt 0x1
	s_delay_alu instid0(VALU_DEP_1) | instskip(SKIP_1) | instid1(VALU_DEP_1)
	v_fmac_f64_e32 v[132:133], v[116:117], v[102:103]
	s_wait_loadcnt 0x0
	v_fmac_f64_e32 v[132:133], v[118:119], v[104:105]
	s_wait_dscnt 0x0
	s_delay_alu instid0(VALU_DEP_1) | instskip(NEXT) | instid1(VALU_DEP_1)
	v_fmac_f64_e32 v[132:133], v[120:121], v[98:99]
	v_add_f64_e64 v[96:97], v[96:97], -v[132:133]
	scratch_store_b64 off, v[96:97], off offset:160
	s_wait_xcnt 0x0
	v_cmpx_lt_u32_e32 19, v0
	s_cbranch_execz .LBB109_247
; %bb.246:
	scratch_load_b64 v[96:97], off, off offset:152
	v_mov_b64_e32 v[98:99], 0
	scratch_store_b64 off, v[98:99], off offset:152
	s_wait_loadcnt 0x0
	ds_store_b64 v1, v[96:97]
.LBB109_247:
	s_wait_xcnt 0x0
	s_or_b32 exec_lo, exec_lo, s0
	s_wait_storecnt_dscnt 0x0
	s_barrier_signal -1
	s_barrier_wait -1
	s_clause 0x5
	scratch_load_b128 v[96:99], off, off offset:152
	scratch_load_b128 v[100:103], off, off offset:168
	;; [unrolled: 1-line block ×6, first 2 shown]
	ds_load_b128 v[120:123], v2 offset:528
	ds_load_b128 v[124:127], v2 offset:544
	scratch_load_b128 v[128:131], off, off offset:248
	s_mov_b32 s0, exec_lo
	s_wait_loadcnt_dscnt 0x601
	v_fma_f64 v[132:133], v[98:99], v[120:121], 0
	s_wait_loadcnt 0x5
	s_delay_alu instid0(VALU_DEP_1) | instskip(SKIP_4) | instid1(VALU_DEP_1)
	v_fmac_f64_e32 v[132:133], v[100:101], v[122:123]
	scratch_load_b128 v[98:101], off, off offset:264
	s_wait_dscnt 0x0
	v_fmac_f64_e32 v[132:133], v[102:103], v[124:125]
	s_wait_loadcnt 0x5
	v_fmac_f64_e32 v[132:133], v[104:105], v[126:127]
	ds_load_b128 v[102:105], v2 offset:560
	ds_load_b128 v[120:123], v2 offset:576
	scratch_load_b128 v[124:127], off, off offset:280
	s_wait_dscnt 0x1
	v_fmac_f64_e32 v[132:133], v[106:107], v[102:103]
	s_wait_loadcnt 0x5
	s_delay_alu instid0(VALU_DEP_1) | instskip(SKIP_4) | instid1(VALU_DEP_1)
	v_fmac_f64_e32 v[132:133], v[108:109], v[104:105]
	scratch_load_b128 v[102:105], off, off offset:296
	s_wait_dscnt 0x0
	v_fmac_f64_e32 v[132:133], v[110:111], v[120:121]
	s_wait_loadcnt 0x5
	v_fmac_f64_e32 v[132:133], v[112:113], v[122:123]
	ds_load_b128 v[106:109], v2 offset:592
	ds_load_b128 v[110:113], v2 offset:608
	s_wait_dscnt 0x1
	v_fmac_f64_e32 v[132:133], v[114:115], v[106:107]
	s_wait_loadcnt 0x4
	s_delay_alu instid0(VALU_DEP_1) | instskip(SKIP_4) | instid1(VALU_DEP_1)
	v_fmac_f64_e32 v[132:133], v[116:117], v[108:109]
	scratch_load_b128 v[106:109], off, off offset:312
	s_wait_dscnt 0x0
	v_fmac_f64_e32 v[132:133], v[118:119], v[110:111]
	s_wait_loadcnt 0x4
	v_fmac_f64_e32 v[132:133], v[128:129], v[112:113]
	scratch_load_b128 v[110:113], off, off offset:328
	ds_load_b128 v[114:117], v2 offset:624
	ds_load_b128 v[118:121], v2 offset:640
	scratch_load_b64 v[122:123], off, off offset:360
	s_wait_dscnt 0x1
	v_fmac_f64_e32 v[132:133], v[130:131], v[114:115]
	s_wait_loadcnt 0x5
	s_delay_alu instid0(VALU_DEP_1) | instskip(SKIP_4) | instid1(VALU_DEP_1)
	v_fmac_f64_e32 v[132:133], v[98:99], v[116:117]
	scratch_load_b128 v[114:117], off, off offset:344
	s_wait_dscnt 0x0
	v_fmac_f64_e32 v[132:133], v[100:101], v[118:119]
	s_wait_loadcnt 0x5
	v_fmac_f64_e32 v[132:133], v[124:125], v[120:121]
	ds_load_b128 v[98:101], v2 offset:656
	ds_load_b128 v[118:121], v2 offset:672
	s_wait_dscnt 0x1
	v_fmac_f64_e32 v[132:133], v[126:127], v[98:99]
	s_wait_loadcnt 0x4
	s_delay_alu instid0(VALU_DEP_1) | instskip(SKIP_1) | instid1(VALU_DEP_1)
	v_fmac_f64_e32 v[132:133], v[102:103], v[100:101]
	s_wait_dscnt 0x0
	v_fmac_f64_e32 v[132:133], v[104:105], v[118:119]
	ds_load_b128 v[98:101], v2 offset:688
	ds_load_b128 v[102:105], v2 offset:704
	s_wait_loadcnt 0x3
	v_fmac_f64_e32 v[132:133], v[106:107], v[120:121]
	s_wait_dscnt 0x1
	s_delay_alu instid0(VALU_DEP_1) | instskip(SKIP_1) | instid1(VALU_DEP_1)
	v_fmac_f64_e32 v[132:133], v[108:109], v[98:99]
	s_wait_loadcnt 0x2
	v_fmac_f64_e32 v[132:133], v[110:111], v[100:101]
	ds_load_b128 v[98:101], v2 offset:720
	s_wait_dscnt 0x1
	v_fmac_f64_e32 v[132:133], v[112:113], v[102:103]
	s_wait_loadcnt 0x0
	s_delay_alu instid0(VALU_DEP_1) | instskip(SKIP_1) | instid1(VALU_DEP_1)
	v_fmac_f64_e32 v[132:133], v[114:115], v[104:105]
	s_wait_dscnt 0x0
	v_fmac_f64_e32 v[132:133], v[116:117], v[98:99]
	s_delay_alu instid0(VALU_DEP_1) | instskip(NEXT) | instid1(VALU_DEP_1)
	v_fmac_f64_e32 v[132:133], v[122:123], v[100:101]
	v_add_f64_e64 v[2:3], v[96:97], -v[132:133]
	scratch_store_b64 off, v[2:3], off offset:152
	s_wait_xcnt 0x0
	v_cmpx_lt_u32_e32 18, v0
	s_cbranch_execz .LBB109_249
; %bb.248:
	scratch_load_b64 v[2:3], off, off offset:144
	v_mov_b64_e32 v[96:97], 0
	scratch_store_b64 off, v[96:97], off offset:144
	s_wait_loadcnt 0x0
	ds_store_b64 v1, v[2:3]
.LBB109_249:
	s_wait_xcnt 0x0
	s_or_b32 exec_lo, exec_lo, s0
	s_wait_storecnt_dscnt 0x0
	s_barrier_signal -1
	s_barrier_wait -1
	s_clause 0x5
	scratch_load_b128 v[96:99], off, off offset:144
	scratch_load_b128 v[100:103], off, off offset:160
	;; [unrolled: 1-line block ×6, first 2 shown]
	v_mov_b32_e32 v2, 0
	ds_load_2addr_b64 v[120:123], v2 offset0:65 offset1:66
	ds_load_2addr_b64 v[124:127], v2 offset0:67 offset1:68
	scratch_load_b128 v[128:131], off, off offset:240
	s_mov_b32 s0, exec_lo
	s_wait_loadcnt_dscnt 0x601
	v_fma_f64 v[132:133], v[98:99], v[120:121], 0
	s_wait_loadcnt 0x5
	s_delay_alu instid0(VALU_DEP_1) | instskip(SKIP_4) | instid1(VALU_DEP_1)
	v_fmac_f64_e32 v[132:133], v[100:101], v[122:123]
	scratch_load_b128 v[98:101], off, off offset:256
	s_wait_dscnt 0x0
	v_fmac_f64_e32 v[132:133], v[102:103], v[124:125]
	s_wait_loadcnt 0x5
	v_fmac_f64_e32 v[132:133], v[104:105], v[126:127]
	ds_load_2addr_b64 v[102:105], v2 offset0:69 offset1:70
	ds_load_2addr_b64 v[120:123], v2 offset0:71 offset1:72
	scratch_load_b128 v[124:127], off, off offset:272
	s_wait_dscnt 0x1
	v_fmac_f64_e32 v[132:133], v[106:107], v[102:103]
	s_wait_loadcnt 0x5
	s_delay_alu instid0(VALU_DEP_1) | instskip(SKIP_4) | instid1(VALU_DEP_1)
	v_fmac_f64_e32 v[132:133], v[108:109], v[104:105]
	scratch_load_b128 v[102:105], off, off offset:288
	s_wait_dscnt 0x0
	v_fmac_f64_e32 v[132:133], v[110:111], v[120:121]
	s_wait_loadcnt 0x5
	v_fmac_f64_e32 v[132:133], v[112:113], v[122:123]
	ds_load_2addr_b64 v[106:109], v2 offset0:73 offset1:74
	ds_load_2addr_b64 v[110:113], v2 offset0:75 offset1:76
	s_wait_dscnt 0x1
	v_fmac_f64_e32 v[132:133], v[114:115], v[106:107]
	s_wait_loadcnt 0x4
	s_delay_alu instid0(VALU_DEP_1) | instskip(SKIP_4) | instid1(VALU_DEP_1)
	v_fmac_f64_e32 v[132:133], v[116:117], v[108:109]
	scratch_load_b128 v[106:109], off, off offset:304
	s_wait_dscnt 0x0
	v_fmac_f64_e32 v[132:133], v[118:119], v[110:111]
	s_wait_loadcnt 0x4
	v_fmac_f64_e32 v[132:133], v[128:129], v[112:113]
	scratch_load_b128 v[110:113], off, off offset:320
	ds_load_2addr_b64 v[114:117], v2 offset0:77 offset1:78
	ds_load_2addr_b64 v[118:121], v2 offset0:79 offset1:80
	s_wait_dscnt 0x1
	v_fmac_f64_e32 v[132:133], v[130:131], v[114:115]
	s_wait_loadcnt 0x4
	s_delay_alu instid0(VALU_DEP_1)
	v_fmac_f64_e32 v[132:133], v[98:99], v[116:117]
	scratch_load_b128 v[114:117], off, off offset:336
	s_wait_dscnt 0x0
	v_fmac_f64_e32 v[132:133], v[100:101], v[118:119]
	scratch_load_b128 v[98:101], off, off offset:352
	s_wait_loadcnt 0x5
	v_fmac_f64_e32 v[132:133], v[124:125], v[120:121]
	ds_load_2addr_b64 v[118:121], v2 offset0:81 offset1:82
	ds_load_2addr_b64 v[122:125], v2 offset0:83 offset1:84
	s_wait_dscnt 0x1
	v_fmac_f64_e32 v[132:133], v[126:127], v[118:119]
	s_wait_loadcnt 0x4
	s_delay_alu instid0(VALU_DEP_1) | instskip(SKIP_1) | instid1(VALU_DEP_1)
	v_fmac_f64_e32 v[132:133], v[102:103], v[120:121]
	s_wait_dscnt 0x0
	v_fmac_f64_e32 v[132:133], v[104:105], v[122:123]
	ds_load_2addr_b64 v[102:105], v2 offset0:85 offset1:86
	ds_load_2addr_b64 v[118:121], v2 offset0:87 offset1:88
	s_wait_loadcnt 0x3
	v_fmac_f64_e32 v[132:133], v[106:107], v[124:125]
	s_wait_dscnt 0x1
	s_delay_alu instid0(VALU_DEP_1) | instskip(SKIP_1) | instid1(VALU_DEP_1)
	v_fmac_f64_e32 v[132:133], v[108:109], v[102:103]
	s_wait_loadcnt 0x2
	v_fmac_f64_e32 v[132:133], v[110:111], v[104:105]
	ds_load_2addr_b64 v[102:105], v2 offset0:89 offset1:90
	ds_load_b64 v[106:107], v2 offset:728
	s_wait_dscnt 0x2
	v_fmac_f64_e32 v[132:133], v[112:113], v[118:119]
	s_wait_loadcnt 0x1
	s_delay_alu instid0(VALU_DEP_1) | instskip(SKIP_1) | instid1(VALU_DEP_1)
	v_fmac_f64_e32 v[132:133], v[114:115], v[120:121]
	s_wait_dscnt 0x1
	v_fmac_f64_e32 v[132:133], v[116:117], v[102:103]
	s_wait_loadcnt 0x0
	s_delay_alu instid0(VALU_DEP_1) | instskip(SKIP_1) | instid1(VALU_DEP_1)
	v_fmac_f64_e32 v[132:133], v[98:99], v[104:105]
	s_wait_dscnt 0x0
	v_fmac_f64_e32 v[132:133], v[100:101], v[106:107]
	s_delay_alu instid0(VALU_DEP_1)
	v_add_f64_e64 v[96:97], v[96:97], -v[132:133]
	scratch_store_b64 off, v[96:97], off offset:144
	s_wait_xcnt 0x0
	v_cmpx_lt_u32_e32 17, v0
	s_cbranch_execz .LBB109_251
; %bb.250:
	scratch_load_b64 v[96:97], off, off offset:136
	v_mov_b64_e32 v[98:99], 0
	scratch_store_b64 off, v[98:99], off offset:136
	s_wait_loadcnt 0x0
	ds_store_b64 v1, v[96:97]
.LBB109_251:
	s_wait_xcnt 0x0
	s_or_b32 exec_lo, exec_lo, s0
	s_wait_storecnt_dscnt 0x0
	s_barrier_signal -1
	s_barrier_wait -1
	s_clause 0x5
	scratch_load_b128 v[96:99], off, off offset:136
	scratch_load_b128 v[100:103], off, off offset:152
	;; [unrolled: 1-line block ×6, first 2 shown]
	ds_load_b128 v[120:123], v2 offset:512
	ds_load_b128 v[124:127], v2 offset:528
	scratch_load_b128 v[128:131], off, off offset:232
	s_mov_b32 s0, exec_lo
	s_wait_loadcnt_dscnt 0x601
	v_fma_f64 v[132:133], v[98:99], v[120:121], 0
	s_wait_loadcnt 0x5
	s_delay_alu instid0(VALU_DEP_1) | instskip(SKIP_4) | instid1(VALU_DEP_1)
	v_fmac_f64_e32 v[132:133], v[100:101], v[122:123]
	scratch_load_b128 v[98:101], off, off offset:248
	s_wait_dscnt 0x0
	v_fmac_f64_e32 v[132:133], v[102:103], v[124:125]
	s_wait_loadcnt 0x5
	v_fmac_f64_e32 v[132:133], v[104:105], v[126:127]
	ds_load_b128 v[102:105], v2 offset:544
	ds_load_b128 v[120:123], v2 offset:560
	scratch_load_b128 v[124:127], off, off offset:264
	s_wait_dscnt 0x1
	v_fmac_f64_e32 v[132:133], v[106:107], v[102:103]
	s_wait_loadcnt 0x5
	s_delay_alu instid0(VALU_DEP_1) | instskip(SKIP_4) | instid1(VALU_DEP_1)
	v_fmac_f64_e32 v[132:133], v[108:109], v[104:105]
	scratch_load_b128 v[102:105], off, off offset:280
	s_wait_dscnt 0x0
	v_fmac_f64_e32 v[132:133], v[110:111], v[120:121]
	s_wait_loadcnt 0x5
	v_fmac_f64_e32 v[132:133], v[112:113], v[122:123]
	ds_load_b128 v[106:109], v2 offset:576
	ds_load_b128 v[110:113], v2 offset:592
	s_wait_dscnt 0x1
	v_fmac_f64_e32 v[132:133], v[114:115], v[106:107]
	s_wait_loadcnt 0x4
	s_delay_alu instid0(VALU_DEP_1) | instskip(SKIP_4) | instid1(VALU_DEP_1)
	v_fmac_f64_e32 v[132:133], v[116:117], v[108:109]
	scratch_load_b128 v[106:109], off, off offset:296
	s_wait_dscnt 0x0
	v_fmac_f64_e32 v[132:133], v[118:119], v[110:111]
	s_wait_loadcnt 0x4
	v_fmac_f64_e32 v[132:133], v[128:129], v[112:113]
	scratch_load_b128 v[110:113], off, off offset:312
	ds_load_b128 v[114:117], v2 offset:608
	ds_load_b128 v[118:121], v2 offset:624
	s_wait_dscnt 0x1
	v_fmac_f64_e32 v[132:133], v[130:131], v[114:115]
	s_wait_loadcnt 0x4
	s_delay_alu instid0(VALU_DEP_1)
	v_fmac_f64_e32 v[132:133], v[98:99], v[116:117]
	scratch_load_b128 v[114:117], off, off offset:328
	s_wait_dscnt 0x0
	v_fmac_f64_e32 v[132:133], v[100:101], v[118:119]
	scratch_load_b128 v[98:101], off, off offset:344
	s_wait_loadcnt 0x5
	v_fmac_f64_e32 v[132:133], v[124:125], v[120:121]
	ds_load_b128 v[118:121], v2 offset:640
	ds_load_b128 v[122:125], v2 offset:656
	s_wait_dscnt 0x1
	v_fmac_f64_e32 v[132:133], v[126:127], v[118:119]
	scratch_load_b64 v[126:127], off, off offset:360
	s_wait_loadcnt 0x5
	v_fmac_f64_e32 v[132:133], v[102:103], v[120:121]
	s_wait_dscnt 0x0
	s_delay_alu instid0(VALU_DEP_1)
	v_fmac_f64_e32 v[132:133], v[104:105], v[122:123]
	ds_load_b128 v[102:105], v2 offset:672
	ds_load_b128 v[118:121], v2 offset:688
	s_wait_loadcnt 0x4
	v_fmac_f64_e32 v[132:133], v[106:107], v[124:125]
	s_wait_dscnt 0x1
	s_delay_alu instid0(VALU_DEP_1) | instskip(SKIP_1) | instid1(VALU_DEP_1)
	v_fmac_f64_e32 v[132:133], v[108:109], v[102:103]
	s_wait_loadcnt 0x3
	v_fmac_f64_e32 v[132:133], v[110:111], v[104:105]
	ds_load_b128 v[102:105], v2 offset:704
	ds_load_b128 v[106:109], v2 offset:720
	s_wait_dscnt 0x2
	v_fmac_f64_e32 v[132:133], v[112:113], v[118:119]
	s_wait_loadcnt 0x2
	s_delay_alu instid0(VALU_DEP_1) | instskip(SKIP_1) | instid1(VALU_DEP_1)
	v_fmac_f64_e32 v[132:133], v[114:115], v[120:121]
	s_wait_dscnt 0x1
	v_fmac_f64_e32 v[132:133], v[116:117], v[102:103]
	s_wait_loadcnt 0x1
	s_delay_alu instid0(VALU_DEP_1) | instskip(SKIP_1) | instid1(VALU_DEP_1)
	v_fmac_f64_e32 v[132:133], v[98:99], v[104:105]
	s_wait_dscnt 0x0
	v_fmac_f64_e32 v[132:133], v[100:101], v[106:107]
	s_wait_loadcnt 0x0
	s_delay_alu instid0(VALU_DEP_1) | instskip(NEXT) | instid1(VALU_DEP_1)
	v_fmac_f64_e32 v[132:133], v[126:127], v[108:109]
	v_add_f64_e64 v[2:3], v[96:97], -v[132:133]
	scratch_store_b64 off, v[2:3], off offset:136
	s_wait_xcnt 0x0
	v_cmpx_lt_u32_e32 16, v0
	s_cbranch_execz .LBB109_253
; %bb.252:
	scratch_load_b64 v[2:3], off, off offset:128
	v_mov_b64_e32 v[96:97], 0
	scratch_store_b64 off, v[96:97], off offset:128
	s_wait_loadcnt 0x0
	ds_store_b64 v1, v[2:3]
.LBB109_253:
	s_wait_xcnt 0x0
	s_or_b32 exec_lo, exec_lo, s0
	s_wait_storecnt_dscnt 0x0
	s_barrier_signal -1
	s_barrier_wait -1
	s_clause 0x5
	scratch_load_b128 v[96:99], off, off offset:128
	scratch_load_b128 v[100:103], off, off offset:144
	scratch_load_b128 v[104:107], off, off offset:160
	scratch_load_b128 v[108:111], off, off offset:176
	scratch_load_b128 v[112:115], off, off offset:192
	scratch_load_b128 v[116:119], off, off offset:208
	v_mov_b32_e32 v2, 0
	ds_load_2addr_b64 v[120:123], v2 offset0:63 offset1:64
	ds_load_2addr_b64 v[124:127], v2 offset0:65 offset1:66
	scratch_load_b128 v[128:131], off, off offset:224
	s_mov_b32 s0, exec_lo
	s_wait_loadcnt_dscnt 0x601
	v_fma_f64 v[132:133], v[98:99], v[120:121], 0
	s_wait_loadcnt 0x5
	s_delay_alu instid0(VALU_DEP_1) | instskip(SKIP_4) | instid1(VALU_DEP_1)
	v_fmac_f64_e32 v[132:133], v[100:101], v[122:123]
	scratch_load_b128 v[98:101], off, off offset:240
	s_wait_dscnt 0x0
	v_fmac_f64_e32 v[132:133], v[102:103], v[124:125]
	s_wait_loadcnt 0x5
	v_fmac_f64_e32 v[132:133], v[104:105], v[126:127]
	ds_load_2addr_b64 v[102:105], v2 offset0:67 offset1:68
	ds_load_2addr_b64 v[120:123], v2 offset0:69 offset1:70
	scratch_load_b128 v[124:127], off, off offset:256
	s_wait_dscnt 0x1
	v_fmac_f64_e32 v[132:133], v[106:107], v[102:103]
	s_wait_loadcnt 0x5
	s_delay_alu instid0(VALU_DEP_1) | instskip(SKIP_4) | instid1(VALU_DEP_1)
	v_fmac_f64_e32 v[132:133], v[108:109], v[104:105]
	scratch_load_b128 v[102:105], off, off offset:272
	s_wait_dscnt 0x0
	v_fmac_f64_e32 v[132:133], v[110:111], v[120:121]
	s_wait_loadcnt 0x5
	v_fmac_f64_e32 v[132:133], v[112:113], v[122:123]
	ds_load_2addr_b64 v[106:109], v2 offset0:71 offset1:72
	ds_load_2addr_b64 v[110:113], v2 offset0:73 offset1:74
	s_wait_dscnt 0x1
	v_fmac_f64_e32 v[132:133], v[114:115], v[106:107]
	s_wait_loadcnt 0x4
	s_delay_alu instid0(VALU_DEP_1) | instskip(SKIP_4) | instid1(VALU_DEP_1)
	v_fmac_f64_e32 v[132:133], v[116:117], v[108:109]
	scratch_load_b128 v[106:109], off, off offset:288
	s_wait_dscnt 0x0
	v_fmac_f64_e32 v[132:133], v[118:119], v[110:111]
	s_wait_loadcnt 0x4
	v_fmac_f64_e32 v[132:133], v[128:129], v[112:113]
	scratch_load_b128 v[110:113], off, off offset:304
	ds_load_2addr_b64 v[114:117], v2 offset0:75 offset1:76
	ds_load_2addr_b64 v[118:121], v2 offset0:77 offset1:78
	s_wait_dscnt 0x1
	v_fmac_f64_e32 v[132:133], v[130:131], v[114:115]
	s_wait_loadcnt 0x4
	s_delay_alu instid0(VALU_DEP_1)
	v_fmac_f64_e32 v[132:133], v[98:99], v[116:117]
	scratch_load_b128 v[114:117], off, off offset:320
	s_wait_dscnt 0x0
	v_fmac_f64_e32 v[132:133], v[100:101], v[118:119]
	scratch_load_b128 v[98:101], off, off offset:336
	s_wait_loadcnt 0x5
	v_fmac_f64_e32 v[132:133], v[124:125], v[120:121]
	ds_load_2addr_b64 v[118:121], v2 offset0:79 offset1:80
	ds_load_2addr_b64 v[122:125], v2 offset0:81 offset1:82
	s_wait_dscnt 0x1
	v_fmac_f64_e32 v[132:133], v[126:127], v[118:119]
	s_wait_loadcnt 0x4
	s_delay_alu instid0(VALU_DEP_1) | instskip(SKIP_4) | instid1(VALU_DEP_1)
	v_fmac_f64_e32 v[132:133], v[102:103], v[120:121]
	scratch_load_b128 v[118:121], off, off offset:352
	s_wait_dscnt 0x0
	v_fmac_f64_e32 v[132:133], v[104:105], v[122:123]
	s_wait_loadcnt 0x4
	v_fmac_f64_e32 v[132:133], v[106:107], v[124:125]
	ds_load_2addr_b64 v[102:105], v2 offset0:83 offset1:84
	ds_load_2addr_b64 v[122:125], v2 offset0:85 offset1:86
	s_wait_dscnt 0x1
	v_fmac_f64_e32 v[132:133], v[108:109], v[102:103]
	s_wait_loadcnt 0x3
	s_delay_alu instid0(VALU_DEP_1)
	v_fmac_f64_e32 v[132:133], v[110:111], v[104:105]
	ds_load_2addr_b64 v[102:105], v2 offset0:87 offset1:88
	ds_load_2addr_b64 v[106:109], v2 offset0:89 offset1:90
	s_wait_dscnt 0x2
	v_fmac_f64_e32 v[132:133], v[112:113], v[122:123]
	s_wait_loadcnt 0x2
	s_delay_alu instid0(VALU_DEP_1) | instskip(SKIP_1) | instid1(VALU_DEP_1)
	v_fmac_f64_e32 v[132:133], v[114:115], v[124:125]
	s_wait_dscnt 0x1
	v_fmac_f64_e32 v[132:133], v[116:117], v[102:103]
	s_wait_loadcnt 0x1
	s_delay_alu instid0(VALU_DEP_1) | instskip(SKIP_4) | instid1(VALU_DEP_1)
	v_fmac_f64_e32 v[132:133], v[98:99], v[104:105]
	ds_load_b64 v[98:99], v2 offset:728
	s_wait_dscnt 0x1
	v_fmac_f64_e32 v[132:133], v[100:101], v[106:107]
	s_wait_loadcnt 0x0
	v_fmac_f64_e32 v[132:133], v[118:119], v[108:109]
	s_wait_dscnt 0x0
	s_delay_alu instid0(VALU_DEP_1) | instskip(NEXT) | instid1(VALU_DEP_1)
	v_fmac_f64_e32 v[132:133], v[120:121], v[98:99]
	v_add_f64_e64 v[96:97], v[96:97], -v[132:133]
	scratch_store_b64 off, v[96:97], off offset:128
	s_wait_xcnt 0x0
	v_cmpx_lt_u32_e32 15, v0
	s_cbranch_execz .LBB109_255
; %bb.254:
	scratch_load_b64 v[96:97], off, off offset:120
	v_mov_b64_e32 v[98:99], 0
	scratch_store_b64 off, v[98:99], off offset:120
	s_wait_loadcnt 0x0
	ds_store_b64 v1, v[96:97]
.LBB109_255:
	s_wait_xcnt 0x0
	s_or_b32 exec_lo, exec_lo, s0
	s_wait_storecnt_dscnt 0x0
	s_barrier_signal -1
	s_barrier_wait -1
	s_clause 0x5
	scratch_load_b128 v[96:99], off, off offset:120
	scratch_load_b128 v[100:103], off, off offset:136
	;; [unrolled: 1-line block ×6, first 2 shown]
	ds_load_b128 v[120:123], v2 offset:496
	ds_load_b128 v[124:127], v2 offset:512
	scratch_load_b128 v[128:131], off, off offset:216
	s_mov_b32 s0, exec_lo
	s_wait_loadcnt_dscnt 0x601
	v_fma_f64 v[132:133], v[98:99], v[120:121], 0
	s_wait_loadcnt 0x5
	s_delay_alu instid0(VALU_DEP_1) | instskip(SKIP_4) | instid1(VALU_DEP_1)
	v_fmac_f64_e32 v[132:133], v[100:101], v[122:123]
	scratch_load_b128 v[98:101], off, off offset:232
	s_wait_dscnt 0x0
	v_fmac_f64_e32 v[132:133], v[102:103], v[124:125]
	s_wait_loadcnt 0x5
	v_fmac_f64_e32 v[132:133], v[104:105], v[126:127]
	ds_load_b128 v[102:105], v2 offset:528
	ds_load_b128 v[120:123], v2 offset:544
	scratch_load_b128 v[124:127], off, off offset:248
	s_wait_dscnt 0x1
	v_fmac_f64_e32 v[132:133], v[106:107], v[102:103]
	s_wait_loadcnt 0x5
	s_delay_alu instid0(VALU_DEP_1) | instskip(SKIP_4) | instid1(VALU_DEP_1)
	v_fmac_f64_e32 v[132:133], v[108:109], v[104:105]
	scratch_load_b128 v[102:105], off, off offset:264
	s_wait_dscnt 0x0
	v_fmac_f64_e32 v[132:133], v[110:111], v[120:121]
	s_wait_loadcnt 0x5
	v_fmac_f64_e32 v[132:133], v[112:113], v[122:123]
	ds_load_b128 v[106:109], v2 offset:560
	ds_load_b128 v[110:113], v2 offset:576
	scratch_load_b128 v[120:123], off, off offset:280
	s_wait_dscnt 0x1
	v_fmac_f64_e32 v[132:133], v[114:115], v[106:107]
	s_wait_loadcnt 0x5
	s_delay_alu instid0(VALU_DEP_1) | instskip(SKIP_4) | instid1(VALU_DEP_1)
	v_fmac_f64_e32 v[132:133], v[116:117], v[108:109]
	scratch_load_b128 v[106:109], off, off offset:296
	s_wait_dscnt 0x0
	v_fmac_f64_e32 v[132:133], v[118:119], v[110:111]
	s_wait_loadcnt 0x5
	v_fmac_f64_e32 v[132:133], v[128:129], v[112:113]
	ds_load_b128 v[110:113], v2 offset:592
	ds_load_b128 v[114:117], v2 offset:608
	s_wait_dscnt 0x1
	v_fmac_f64_e32 v[132:133], v[130:131], v[110:111]
	s_wait_loadcnt 0x4
	s_delay_alu instid0(VALU_DEP_1)
	v_fmac_f64_e32 v[132:133], v[98:99], v[112:113]
	scratch_load_b128 v[110:113], off, off offset:312
	s_wait_dscnt 0x0
	v_fmac_f64_e32 v[132:133], v[100:101], v[114:115]
	scratch_load_b128 v[98:101], off, off offset:328
	s_wait_loadcnt 0x5
	v_fmac_f64_e32 v[132:133], v[124:125], v[116:117]
	ds_load_b128 v[114:117], v2 offset:624
	ds_load_b128 v[128:131], v2 offset:640
	scratch_load_b64 v[124:125], off, off offset:360
	s_wait_dscnt 0x1
	v_fmac_f64_e32 v[132:133], v[126:127], v[114:115]
	s_wait_loadcnt 0x5
	s_delay_alu instid0(VALU_DEP_1) | instskip(SKIP_4) | instid1(VALU_DEP_1)
	v_fmac_f64_e32 v[132:133], v[102:103], v[116:117]
	scratch_load_b128 v[114:117], off, off offset:344
	s_wait_dscnt 0x0
	v_fmac_f64_e32 v[132:133], v[104:105], v[128:129]
	s_wait_loadcnt 0x5
	v_fmac_f64_e32 v[132:133], v[120:121], v[130:131]
	ds_load_b128 v[102:105], v2 offset:656
	ds_load_b128 v[118:121], v2 offset:672
	s_wait_dscnt 0x1
	v_fmac_f64_e32 v[132:133], v[122:123], v[102:103]
	s_wait_loadcnt 0x4
	s_delay_alu instid0(VALU_DEP_1) | instskip(SKIP_1) | instid1(VALU_DEP_1)
	v_fmac_f64_e32 v[132:133], v[106:107], v[104:105]
	s_wait_dscnt 0x0
	v_fmac_f64_e32 v[132:133], v[108:109], v[118:119]
	ds_load_b128 v[102:105], v2 offset:688
	ds_load_b128 v[106:109], v2 offset:704
	s_wait_loadcnt 0x3
	v_fmac_f64_e32 v[132:133], v[110:111], v[120:121]
	s_wait_dscnt 0x1
	s_delay_alu instid0(VALU_DEP_1) | instskip(SKIP_1) | instid1(VALU_DEP_1)
	v_fmac_f64_e32 v[132:133], v[112:113], v[102:103]
	s_wait_loadcnt 0x2
	v_fmac_f64_e32 v[132:133], v[98:99], v[104:105]
	s_wait_dscnt 0x0
	s_delay_alu instid0(VALU_DEP_1) | instskip(SKIP_4) | instid1(VALU_DEP_1)
	v_fmac_f64_e32 v[132:133], v[100:101], v[106:107]
	ds_load_b128 v[98:101], v2 offset:720
	s_wait_loadcnt 0x0
	v_fmac_f64_e32 v[132:133], v[114:115], v[108:109]
	s_wait_dscnt 0x0
	v_fmac_f64_e32 v[132:133], v[116:117], v[98:99]
	s_delay_alu instid0(VALU_DEP_1) | instskip(NEXT) | instid1(VALU_DEP_1)
	v_fmac_f64_e32 v[132:133], v[124:125], v[100:101]
	v_add_f64_e64 v[2:3], v[96:97], -v[132:133]
	scratch_store_b64 off, v[2:3], off offset:120
	s_wait_xcnt 0x0
	v_cmpx_lt_u32_e32 14, v0
	s_cbranch_execz .LBB109_257
; %bb.256:
	scratch_load_b64 v[2:3], off, off offset:112
	v_mov_b64_e32 v[96:97], 0
	scratch_store_b64 off, v[96:97], off offset:112
	s_wait_loadcnt 0x0
	ds_store_b64 v1, v[2:3]
.LBB109_257:
	s_wait_xcnt 0x0
	s_or_b32 exec_lo, exec_lo, s0
	s_wait_storecnt_dscnt 0x0
	s_barrier_signal -1
	s_barrier_wait -1
	s_clause 0x5
	scratch_load_b128 v[96:99], off, off offset:112
	scratch_load_b128 v[100:103], off, off offset:128
	;; [unrolled: 1-line block ×6, first 2 shown]
	v_mov_b32_e32 v2, 0
	ds_load_2addr_b64 v[120:123], v2 offset0:61 offset1:62
	ds_load_2addr_b64 v[124:127], v2 offset0:63 offset1:64
	scratch_load_b128 v[128:131], off, off offset:208
	s_mov_b32 s0, exec_lo
	s_wait_loadcnt_dscnt 0x601
	v_fma_f64 v[132:133], v[98:99], v[120:121], 0
	s_wait_loadcnt 0x5
	s_delay_alu instid0(VALU_DEP_1) | instskip(SKIP_4) | instid1(VALU_DEP_1)
	v_fmac_f64_e32 v[132:133], v[100:101], v[122:123]
	scratch_load_b128 v[98:101], off, off offset:224
	s_wait_dscnt 0x0
	v_fmac_f64_e32 v[132:133], v[102:103], v[124:125]
	s_wait_loadcnt 0x5
	v_fmac_f64_e32 v[132:133], v[104:105], v[126:127]
	ds_load_2addr_b64 v[102:105], v2 offset0:65 offset1:66
	ds_load_2addr_b64 v[120:123], v2 offset0:67 offset1:68
	scratch_load_b128 v[124:127], off, off offset:240
	s_wait_dscnt 0x1
	v_fmac_f64_e32 v[132:133], v[106:107], v[102:103]
	s_wait_loadcnt 0x5
	s_delay_alu instid0(VALU_DEP_1) | instskip(SKIP_4) | instid1(VALU_DEP_1)
	v_fmac_f64_e32 v[132:133], v[108:109], v[104:105]
	scratch_load_b128 v[102:105], off, off offset:256
	s_wait_dscnt 0x0
	v_fmac_f64_e32 v[132:133], v[110:111], v[120:121]
	s_wait_loadcnt 0x5
	v_fmac_f64_e32 v[132:133], v[112:113], v[122:123]
	ds_load_2addr_b64 v[106:109], v2 offset0:69 offset1:70
	ds_load_2addr_b64 v[110:113], v2 offset0:71 offset1:72
	scratch_load_b128 v[120:123], off, off offset:272
	s_wait_dscnt 0x1
	v_fmac_f64_e32 v[132:133], v[114:115], v[106:107]
	s_wait_loadcnt 0x5
	s_delay_alu instid0(VALU_DEP_1) | instskip(SKIP_4) | instid1(VALU_DEP_1)
	v_fmac_f64_e32 v[132:133], v[116:117], v[108:109]
	scratch_load_b128 v[106:109], off, off offset:288
	s_wait_dscnt 0x0
	v_fmac_f64_e32 v[132:133], v[118:119], v[110:111]
	s_wait_loadcnt 0x5
	v_fmac_f64_e32 v[132:133], v[128:129], v[112:113]
	ds_load_2addr_b64 v[110:113], v2 offset0:73 offset1:74
	ds_load_2addr_b64 v[114:117], v2 offset0:75 offset1:76
	s_wait_dscnt 0x1
	v_fmac_f64_e32 v[132:133], v[130:131], v[110:111]
	s_wait_loadcnt 0x4
	s_delay_alu instid0(VALU_DEP_1)
	v_fmac_f64_e32 v[132:133], v[98:99], v[112:113]
	scratch_load_b128 v[110:113], off, off offset:304
	s_wait_dscnt 0x0
	v_fmac_f64_e32 v[132:133], v[100:101], v[114:115]
	scratch_load_b128 v[98:101], off, off offset:320
	s_wait_loadcnt 0x5
	v_fmac_f64_e32 v[132:133], v[124:125], v[116:117]
	ds_load_2addr_b64 v[114:117], v2 offset0:77 offset1:78
	ds_load_2addr_b64 v[128:131], v2 offset0:79 offset1:80
	s_wait_dscnt 0x1
	v_fmac_f64_e32 v[132:133], v[126:127], v[114:115]
	s_wait_loadcnt 0x4
	s_delay_alu instid0(VALU_DEP_1)
	v_fmac_f64_e32 v[132:133], v[102:103], v[116:117]
	scratch_load_b128 v[114:117], off, off offset:336
	s_wait_dscnt 0x0
	v_fmac_f64_e32 v[132:133], v[104:105], v[128:129]
	scratch_load_b128 v[102:105], off, off offset:352
	s_wait_loadcnt 0x5
	v_fmac_f64_e32 v[132:133], v[120:121], v[130:131]
	ds_load_2addr_b64 v[118:121], v2 offset0:81 offset1:82
	ds_load_2addr_b64 v[124:127], v2 offset0:83 offset1:84
	s_wait_dscnt 0x1
	v_fmac_f64_e32 v[132:133], v[122:123], v[118:119]
	s_wait_loadcnt 0x4
	s_delay_alu instid0(VALU_DEP_1) | instskip(SKIP_1) | instid1(VALU_DEP_1)
	v_fmac_f64_e32 v[132:133], v[106:107], v[120:121]
	s_wait_dscnt 0x0
	v_fmac_f64_e32 v[132:133], v[108:109], v[124:125]
	ds_load_2addr_b64 v[106:109], v2 offset0:85 offset1:86
	ds_load_2addr_b64 v[118:121], v2 offset0:87 offset1:88
	s_wait_loadcnt 0x3
	v_fmac_f64_e32 v[132:133], v[110:111], v[126:127]
	s_wait_dscnt 0x1
	s_delay_alu instid0(VALU_DEP_1) | instskip(SKIP_1) | instid1(VALU_DEP_1)
	v_fmac_f64_e32 v[132:133], v[112:113], v[106:107]
	s_wait_loadcnt 0x2
	v_fmac_f64_e32 v[132:133], v[98:99], v[108:109]
	s_wait_dscnt 0x0
	s_delay_alu instid0(VALU_DEP_1)
	v_fmac_f64_e32 v[132:133], v[100:101], v[118:119]
	ds_load_2addr_b64 v[98:101], v2 offset0:89 offset1:90
	ds_load_b64 v[106:107], v2 offset:728
	s_wait_loadcnt 0x1
	v_fmac_f64_e32 v[132:133], v[114:115], v[120:121]
	s_wait_dscnt 0x1
	s_delay_alu instid0(VALU_DEP_1) | instskip(SKIP_1) | instid1(VALU_DEP_1)
	v_fmac_f64_e32 v[132:133], v[116:117], v[98:99]
	s_wait_loadcnt 0x0
	v_fmac_f64_e32 v[132:133], v[102:103], v[100:101]
	s_wait_dscnt 0x0
	s_delay_alu instid0(VALU_DEP_1) | instskip(NEXT) | instid1(VALU_DEP_1)
	v_fmac_f64_e32 v[132:133], v[104:105], v[106:107]
	v_add_f64_e64 v[96:97], v[96:97], -v[132:133]
	scratch_store_b64 off, v[96:97], off offset:112
	s_wait_xcnt 0x0
	v_cmpx_lt_u32_e32 13, v0
	s_cbranch_execz .LBB109_259
; %bb.258:
	scratch_load_b64 v[96:97], off, off offset:104
	v_mov_b64_e32 v[98:99], 0
	scratch_store_b64 off, v[98:99], off offset:104
	s_wait_loadcnt 0x0
	ds_store_b64 v1, v[96:97]
.LBB109_259:
	s_wait_xcnt 0x0
	s_or_b32 exec_lo, exec_lo, s0
	s_wait_storecnt_dscnt 0x0
	s_barrier_signal -1
	s_barrier_wait -1
	s_clause 0x5
	scratch_load_b128 v[96:99], off, off offset:104
	scratch_load_b128 v[100:103], off, off offset:120
	;; [unrolled: 1-line block ×6, first 2 shown]
	ds_load_b128 v[120:123], v2 offset:480
	ds_load_b128 v[124:127], v2 offset:496
	scratch_load_b128 v[128:131], off, off offset:200
	s_mov_b32 s0, exec_lo
	s_wait_loadcnt_dscnt 0x601
	v_fma_f64 v[132:133], v[98:99], v[120:121], 0
	s_wait_loadcnt 0x5
	s_delay_alu instid0(VALU_DEP_1) | instskip(SKIP_4) | instid1(VALU_DEP_1)
	v_fmac_f64_e32 v[132:133], v[100:101], v[122:123]
	scratch_load_b128 v[98:101], off, off offset:216
	s_wait_dscnt 0x0
	v_fmac_f64_e32 v[132:133], v[102:103], v[124:125]
	s_wait_loadcnt 0x5
	v_fmac_f64_e32 v[132:133], v[104:105], v[126:127]
	ds_load_b128 v[102:105], v2 offset:512
	ds_load_b128 v[120:123], v2 offset:528
	scratch_load_b128 v[124:127], off, off offset:232
	s_wait_dscnt 0x1
	v_fmac_f64_e32 v[132:133], v[106:107], v[102:103]
	s_wait_loadcnt 0x5
	s_delay_alu instid0(VALU_DEP_1) | instskip(SKIP_4) | instid1(VALU_DEP_1)
	v_fmac_f64_e32 v[132:133], v[108:109], v[104:105]
	scratch_load_b128 v[102:105], off, off offset:248
	s_wait_dscnt 0x0
	v_fmac_f64_e32 v[132:133], v[110:111], v[120:121]
	s_wait_loadcnt 0x5
	v_fmac_f64_e32 v[132:133], v[112:113], v[122:123]
	ds_load_b128 v[106:109], v2 offset:544
	ds_load_b128 v[110:113], v2 offset:560
	scratch_load_b128 v[120:123], off, off offset:264
	s_wait_dscnt 0x1
	v_fmac_f64_e32 v[132:133], v[114:115], v[106:107]
	s_wait_loadcnt 0x5
	s_delay_alu instid0(VALU_DEP_1) | instskip(SKIP_4) | instid1(VALU_DEP_1)
	v_fmac_f64_e32 v[132:133], v[116:117], v[108:109]
	scratch_load_b128 v[106:109], off, off offset:280
	s_wait_dscnt 0x0
	v_fmac_f64_e32 v[132:133], v[118:119], v[110:111]
	s_wait_loadcnt 0x5
	v_fmac_f64_e32 v[132:133], v[128:129], v[112:113]
	ds_load_b128 v[110:113], v2 offset:576
	ds_load_b128 v[114:117], v2 offset:592
	s_wait_dscnt 0x1
	v_fmac_f64_e32 v[132:133], v[130:131], v[110:111]
	s_wait_loadcnt 0x4
	s_delay_alu instid0(VALU_DEP_1)
	v_fmac_f64_e32 v[132:133], v[98:99], v[112:113]
	scratch_load_b128 v[110:113], off, off offset:296
	s_wait_dscnt 0x0
	v_fmac_f64_e32 v[132:133], v[100:101], v[114:115]
	scratch_load_b128 v[98:101], off, off offset:312
	s_wait_loadcnt 0x5
	v_fmac_f64_e32 v[132:133], v[124:125], v[116:117]
	ds_load_b128 v[114:117], v2 offset:608
	ds_load_b128 v[128:131], v2 offset:624
	s_wait_dscnt 0x1
	v_fmac_f64_e32 v[132:133], v[126:127], v[114:115]
	s_wait_loadcnt 0x4
	s_delay_alu instid0(VALU_DEP_1)
	v_fmac_f64_e32 v[132:133], v[102:103], v[116:117]
	scratch_load_b128 v[114:117], off, off offset:328
	s_wait_dscnt 0x0
	v_fmac_f64_e32 v[132:133], v[104:105], v[128:129]
	scratch_load_b128 v[102:105], off, off offset:344
	s_wait_loadcnt 0x5
	v_fmac_f64_e32 v[132:133], v[120:121], v[130:131]
	ds_load_b128 v[118:121], v2 offset:640
	ds_load_b128 v[124:127], v2 offset:656
	s_wait_dscnt 0x1
	v_fmac_f64_e32 v[132:133], v[122:123], v[118:119]
	scratch_load_b64 v[122:123], off, off offset:360
	s_wait_loadcnt 0x5
	v_fmac_f64_e32 v[132:133], v[106:107], v[120:121]
	s_wait_dscnt 0x0
	s_delay_alu instid0(VALU_DEP_1)
	v_fmac_f64_e32 v[132:133], v[108:109], v[124:125]
	ds_load_b128 v[106:109], v2 offset:672
	ds_load_b128 v[118:121], v2 offset:688
	s_wait_loadcnt 0x4
	v_fmac_f64_e32 v[132:133], v[110:111], v[126:127]
	s_wait_dscnt 0x1
	s_delay_alu instid0(VALU_DEP_1) | instskip(SKIP_1) | instid1(VALU_DEP_1)
	v_fmac_f64_e32 v[132:133], v[112:113], v[106:107]
	s_wait_loadcnt 0x3
	v_fmac_f64_e32 v[132:133], v[98:99], v[108:109]
	s_wait_dscnt 0x0
	s_delay_alu instid0(VALU_DEP_1)
	v_fmac_f64_e32 v[132:133], v[100:101], v[118:119]
	ds_load_b128 v[98:101], v2 offset:704
	ds_load_b128 v[106:109], v2 offset:720
	s_wait_loadcnt 0x2
	v_fmac_f64_e32 v[132:133], v[114:115], v[120:121]
	s_wait_dscnt 0x1
	s_delay_alu instid0(VALU_DEP_1) | instskip(SKIP_1) | instid1(VALU_DEP_1)
	v_fmac_f64_e32 v[132:133], v[116:117], v[98:99]
	s_wait_loadcnt 0x1
	v_fmac_f64_e32 v[132:133], v[102:103], v[100:101]
	s_wait_dscnt 0x0
	s_delay_alu instid0(VALU_DEP_1) | instskip(SKIP_1) | instid1(VALU_DEP_1)
	v_fmac_f64_e32 v[132:133], v[104:105], v[106:107]
	s_wait_loadcnt 0x0
	v_fmac_f64_e32 v[132:133], v[122:123], v[108:109]
	s_delay_alu instid0(VALU_DEP_1)
	v_add_f64_e64 v[2:3], v[96:97], -v[132:133]
	scratch_store_b64 off, v[2:3], off offset:104
	s_wait_xcnt 0x0
	v_cmpx_lt_u32_e32 12, v0
	s_cbranch_execz .LBB109_261
; %bb.260:
	scratch_load_b64 v[2:3], off, off offset:96
	v_mov_b64_e32 v[96:97], 0
	scratch_store_b64 off, v[96:97], off offset:96
	s_wait_loadcnt 0x0
	ds_store_b64 v1, v[2:3]
.LBB109_261:
	s_wait_xcnt 0x0
	s_or_b32 exec_lo, exec_lo, s0
	s_wait_storecnt_dscnt 0x0
	s_barrier_signal -1
	s_barrier_wait -1
	s_clause 0x5
	scratch_load_b128 v[96:99], off, off offset:96
	scratch_load_b128 v[100:103], off, off offset:112
	;; [unrolled: 1-line block ×6, first 2 shown]
	v_mov_b32_e32 v2, 0
	ds_load_2addr_b64 v[120:123], v2 offset0:59 offset1:60
	ds_load_2addr_b64 v[124:127], v2 offset0:61 offset1:62
	scratch_load_b128 v[128:131], off, off offset:192
	s_mov_b32 s0, exec_lo
	s_wait_loadcnt_dscnt 0x601
	v_fma_f64 v[132:133], v[98:99], v[120:121], 0
	s_wait_loadcnt 0x5
	s_delay_alu instid0(VALU_DEP_1) | instskip(SKIP_4) | instid1(VALU_DEP_1)
	v_fmac_f64_e32 v[132:133], v[100:101], v[122:123]
	scratch_load_b128 v[98:101], off, off offset:208
	s_wait_dscnt 0x0
	v_fmac_f64_e32 v[132:133], v[102:103], v[124:125]
	s_wait_loadcnt 0x5
	v_fmac_f64_e32 v[132:133], v[104:105], v[126:127]
	ds_load_2addr_b64 v[102:105], v2 offset0:63 offset1:64
	ds_load_2addr_b64 v[120:123], v2 offset0:65 offset1:66
	scratch_load_b128 v[124:127], off, off offset:224
	s_wait_dscnt 0x1
	v_fmac_f64_e32 v[132:133], v[106:107], v[102:103]
	s_wait_loadcnt 0x5
	s_delay_alu instid0(VALU_DEP_1) | instskip(SKIP_4) | instid1(VALU_DEP_1)
	v_fmac_f64_e32 v[132:133], v[108:109], v[104:105]
	scratch_load_b128 v[102:105], off, off offset:240
	s_wait_dscnt 0x0
	v_fmac_f64_e32 v[132:133], v[110:111], v[120:121]
	s_wait_loadcnt 0x5
	v_fmac_f64_e32 v[132:133], v[112:113], v[122:123]
	ds_load_2addr_b64 v[106:109], v2 offset0:67 offset1:68
	ds_load_2addr_b64 v[110:113], v2 offset0:69 offset1:70
	scratch_load_b128 v[120:123], off, off offset:256
	s_wait_dscnt 0x1
	v_fmac_f64_e32 v[132:133], v[114:115], v[106:107]
	s_wait_loadcnt 0x5
	s_delay_alu instid0(VALU_DEP_1) | instskip(SKIP_4) | instid1(VALU_DEP_1)
	v_fmac_f64_e32 v[132:133], v[116:117], v[108:109]
	scratch_load_b128 v[106:109], off, off offset:272
	s_wait_dscnt 0x0
	v_fmac_f64_e32 v[132:133], v[118:119], v[110:111]
	s_wait_loadcnt 0x5
	v_fmac_f64_e32 v[132:133], v[128:129], v[112:113]
	ds_load_2addr_b64 v[110:113], v2 offset0:71 offset1:72
	ds_load_2addr_b64 v[114:117], v2 offset0:73 offset1:74
	s_wait_dscnt 0x1
	v_fmac_f64_e32 v[132:133], v[130:131], v[110:111]
	s_wait_loadcnt 0x4
	s_delay_alu instid0(VALU_DEP_1)
	v_fmac_f64_e32 v[132:133], v[98:99], v[112:113]
	scratch_load_b128 v[110:113], off, off offset:288
	s_wait_dscnt 0x0
	v_fmac_f64_e32 v[132:133], v[100:101], v[114:115]
	scratch_load_b128 v[98:101], off, off offset:304
	s_wait_loadcnt 0x5
	v_fmac_f64_e32 v[132:133], v[124:125], v[116:117]
	ds_load_2addr_b64 v[114:117], v2 offset0:75 offset1:76
	ds_load_2addr_b64 v[128:131], v2 offset0:77 offset1:78
	s_wait_dscnt 0x1
	v_fmac_f64_e32 v[132:133], v[126:127], v[114:115]
	s_wait_loadcnt 0x4
	s_delay_alu instid0(VALU_DEP_1)
	v_fmac_f64_e32 v[132:133], v[102:103], v[116:117]
	scratch_load_b128 v[114:117], off, off offset:320
	s_wait_dscnt 0x0
	v_fmac_f64_e32 v[132:133], v[104:105], v[128:129]
	scratch_load_b128 v[102:105], off, off offset:336
	s_wait_loadcnt 0x5
	v_fmac_f64_e32 v[132:133], v[120:121], v[130:131]
	ds_load_2addr_b64 v[118:121], v2 offset0:79 offset1:80
	ds_load_2addr_b64 v[124:127], v2 offset0:81 offset1:82
	s_wait_dscnt 0x1
	v_fmac_f64_e32 v[132:133], v[122:123], v[118:119]
	s_wait_loadcnt 0x4
	s_delay_alu instid0(VALU_DEP_1)
	v_fmac_f64_e32 v[132:133], v[106:107], v[120:121]
	scratch_load_b128 v[118:121], off, off offset:352
	s_wait_dscnt 0x0
	v_fmac_f64_e32 v[132:133], v[108:109], v[124:125]
	ds_load_2addr_b64 v[106:109], v2 offset0:83 offset1:84
	ds_load_2addr_b64 v[122:125], v2 offset0:85 offset1:86
	s_wait_loadcnt 0x4
	v_fmac_f64_e32 v[132:133], v[110:111], v[126:127]
	s_wait_dscnt 0x1
	s_delay_alu instid0(VALU_DEP_1) | instskip(SKIP_1) | instid1(VALU_DEP_1)
	v_fmac_f64_e32 v[132:133], v[112:113], v[106:107]
	s_wait_loadcnt 0x3
	v_fmac_f64_e32 v[132:133], v[98:99], v[108:109]
	s_wait_dscnt 0x0
	s_delay_alu instid0(VALU_DEP_1)
	v_fmac_f64_e32 v[132:133], v[100:101], v[122:123]
	ds_load_2addr_b64 v[98:101], v2 offset0:87 offset1:88
	ds_load_2addr_b64 v[106:109], v2 offset0:89 offset1:90
	s_wait_loadcnt 0x2
	v_fmac_f64_e32 v[132:133], v[114:115], v[124:125]
	s_wait_dscnt 0x1
	s_delay_alu instid0(VALU_DEP_1) | instskip(SKIP_4) | instid1(VALU_DEP_1)
	v_fmac_f64_e32 v[132:133], v[116:117], v[98:99]
	ds_load_b64 v[98:99], v2 offset:728
	s_wait_loadcnt 0x1
	v_fmac_f64_e32 v[132:133], v[102:103], v[100:101]
	s_wait_dscnt 0x1
	v_fmac_f64_e32 v[132:133], v[104:105], v[106:107]
	s_wait_loadcnt 0x0
	s_delay_alu instid0(VALU_DEP_1) | instskip(SKIP_1) | instid1(VALU_DEP_1)
	v_fmac_f64_e32 v[132:133], v[118:119], v[108:109]
	s_wait_dscnt 0x0
	v_fmac_f64_e32 v[132:133], v[120:121], v[98:99]
	s_delay_alu instid0(VALU_DEP_1)
	v_add_f64_e64 v[96:97], v[96:97], -v[132:133]
	scratch_store_b64 off, v[96:97], off offset:96
	s_wait_xcnt 0x0
	v_cmpx_lt_u32_e32 11, v0
	s_cbranch_execz .LBB109_263
; %bb.262:
	scratch_load_b64 v[96:97], off, off offset:88
	v_mov_b64_e32 v[98:99], 0
	scratch_store_b64 off, v[98:99], off offset:88
	s_wait_loadcnt 0x0
	ds_store_b64 v1, v[96:97]
.LBB109_263:
	s_wait_xcnt 0x0
	s_or_b32 exec_lo, exec_lo, s0
	s_wait_storecnt_dscnt 0x0
	s_barrier_signal -1
	s_barrier_wait -1
	s_clause 0x5
	scratch_load_b128 v[96:99], off, off offset:88
	scratch_load_b128 v[100:103], off, off offset:104
	;; [unrolled: 1-line block ×6, first 2 shown]
	ds_load_b128 v[120:123], v2 offset:464
	ds_load_b128 v[124:127], v2 offset:480
	scratch_load_b128 v[128:131], off, off offset:184
	s_mov_b32 s0, exec_lo
	s_wait_loadcnt_dscnt 0x601
	v_fma_f64 v[132:133], v[98:99], v[120:121], 0
	s_wait_loadcnt 0x5
	s_delay_alu instid0(VALU_DEP_1) | instskip(SKIP_4) | instid1(VALU_DEP_1)
	v_fmac_f64_e32 v[132:133], v[100:101], v[122:123]
	scratch_load_b128 v[98:101], off, off offset:200
	s_wait_dscnt 0x0
	v_fmac_f64_e32 v[132:133], v[102:103], v[124:125]
	s_wait_loadcnt 0x5
	v_fmac_f64_e32 v[132:133], v[104:105], v[126:127]
	ds_load_b128 v[102:105], v2 offset:496
	ds_load_b128 v[120:123], v2 offset:512
	scratch_load_b128 v[124:127], off, off offset:216
	s_wait_dscnt 0x1
	v_fmac_f64_e32 v[132:133], v[106:107], v[102:103]
	s_wait_loadcnt 0x5
	s_delay_alu instid0(VALU_DEP_1) | instskip(SKIP_4) | instid1(VALU_DEP_1)
	v_fmac_f64_e32 v[132:133], v[108:109], v[104:105]
	scratch_load_b128 v[102:105], off, off offset:232
	s_wait_dscnt 0x0
	v_fmac_f64_e32 v[132:133], v[110:111], v[120:121]
	s_wait_loadcnt 0x5
	v_fmac_f64_e32 v[132:133], v[112:113], v[122:123]
	ds_load_b128 v[106:109], v2 offset:528
	ds_load_b128 v[110:113], v2 offset:544
	scratch_load_b128 v[120:123], off, off offset:248
	s_wait_dscnt 0x1
	v_fmac_f64_e32 v[132:133], v[114:115], v[106:107]
	s_wait_loadcnt 0x5
	s_delay_alu instid0(VALU_DEP_1) | instskip(SKIP_4) | instid1(VALU_DEP_1)
	v_fmac_f64_e32 v[132:133], v[116:117], v[108:109]
	scratch_load_b128 v[106:109], off, off offset:264
	s_wait_dscnt 0x0
	v_fmac_f64_e32 v[132:133], v[118:119], v[110:111]
	s_wait_loadcnt 0x5
	v_fmac_f64_e32 v[132:133], v[128:129], v[112:113]
	ds_load_b128 v[110:113], v2 offset:560
	ds_load_b128 v[114:117], v2 offset:576
	s_wait_dscnt 0x1
	v_fmac_f64_e32 v[132:133], v[130:131], v[110:111]
	scratch_load_b128 v[128:131], off, off offset:280
	s_wait_loadcnt 0x5
	v_fmac_f64_e32 v[132:133], v[98:99], v[112:113]
	s_wait_dscnt 0x0
	s_delay_alu instid0(VALU_DEP_1)
	v_fmac_f64_e32 v[132:133], v[100:101], v[114:115]
	scratch_load_b128 v[98:101], off, off offset:296
	s_wait_loadcnt 0x5
	v_fmac_f64_e32 v[132:133], v[124:125], v[116:117]
	ds_load_b128 v[110:113], v2 offset:592
	ds_load_b128 v[114:117], v2 offset:608
	s_wait_dscnt 0x1
	v_fmac_f64_e32 v[132:133], v[126:127], v[110:111]
	s_wait_loadcnt 0x4
	s_delay_alu instid0(VALU_DEP_1)
	v_fmac_f64_e32 v[132:133], v[102:103], v[112:113]
	scratch_load_b128 v[110:113], off, off offset:312
	s_wait_dscnt 0x0
	v_fmac_f64_e32 v[132:133], v[104:105], v[114:115]
	scratch_load_b128 v[102:105], off, off offset:328
	s_wait_loadcnt 0x5
	v_fmac_f64_e32 v[132:133], v[120:121], v[116:117]
	ds_load_b128 v[114:117], v2 offset:624
	ds_load_b128 v[118:121], v2 offset:640
	s_wait_dscnt 0x1
	v_fmac_f64_e32 v[132:133], v[122:123], v[114:115]
	scratch_load_b64 v[122:123], off, off offset:360
	s_wait_loadcnt 0x5
	v_fmac_f64_e32 v[132:133], v[106:107], v[116:117]
	scratch_load_b128 v[114:117], off, off offset:344
	s_wait_dscnt 0x0
	v_fmac_f64_e32 v[132:133], v[108:109], v[118:119]
	s_wait_loadcnt 0x5
	s_delay_alu instid0(VALU_DEP_1)
	v_fmac_f64_e32 v[132:133], v[128:129], v[120:121]
	ds_load_b128 v[106:109], v2 offset:656
	ds_load_b128 v[118:121], v2 offset:672
	s_wait_dscnt 0x1
	v_fmac_f64_e32 v[132:133], v[130:131], v[106:107]
	s_wait_loadcnt 0x4
	s_delay_alu instid0(VALU_DEP_1) | instskip(SKIP_1) | instid1(VALU_DEP_1)
	v_fmac_f64_e32 v[132:133], v[98:99], v[108:109]
	s_wait_dscnt 0x0
	v_fmac_f64_e32 v[132:133], v[100:101], v[118:119]
	ds_load_b128 v[98:101], v2 offset:688
	ds_load_b128 v[106:109], v2 offset:704
	s_wait_loadcnt 0x3
	v_fmac_f64_e32 v[132:133], v[110:111], v[120:121]
	s_wait_dscnt 0x1
	s_delay_alu instid0(VALU_DEP_1) | instskip(SKIP_1) | instid1(VALU_DEP_1)
	v_fmac_f64_e32 v[132:133], v[112:113], v[98:99]
	s_wait_loadcnt 0x2
	v_fmac_f64_e32 v[132:133], v[102:103], v[100:101]
	ds_load_b128 v[98:101], v2 offset:720
	s_wait_dscnt 0x1
	v_fmac_f64_e32 v[132:133], v[104:105], v[106:107]
	s_wait_loadcnt 0x0
	s_delay_alu instid0(VALU_DEP_1) | instskip(SKIP_1) | instid1(VALU_DEP_1)
	v_fmac_f64_e32 v[132:133], v[114:115], v[108:109]
	s_wait_dscnt 0x0
	v_fmac_f64_e32 v[132:133], v[116:117], v[98:99]
	s_delay_alu instid0(VALU_DEP_1) | instskip(NEXT) | instid1(VALU_DEP_1)
	v_fmac_f64_e32 v[132:133], v[122:123], v[100:101]
	v_add_f64_e64 v[2:3], v[96:97], -v[132:133]
	scratch_store_b64 off, v[2:3], off offset:88
	s_wait_xcnt 0x0
	v_cmpx_lt_u32_e32 10, v0
	s_cbranch_execz .LBB109_265
; %bb.264:
	scratch_load_b64 v[2:3], off, off offset:80
	v_mov_b64_e32 v[96:97], 0
	scratch_store_b64 off, v[96:97], off offset:80
	s_wait_loadcnt 0x0
	ds_store_b64 v1, v[2:3]
.LBB109_265:
	s_wait_xcnt 0x0
	s_or_b32 exec_lo, exec_lo, s0
	s_wait_storecnt_dscnt 0x0
	s_barrier_signal -1
	s_barrier_wait -1
	s_clause 0x5
	scratch_load_b128 v[96:99], off, off offset:80
	scratch_load_b128 v[100:103], off, off offset:96
	;; [unrolled: 1-line block ×6, first 2 shown]
	v_mov_b32_e32 v2, 0
	ds_load_2addr_b64 v[120:123], v2 offset0:57 offset1:58
	ds_load_2addr_b64 v[124:127], v2 offset0:59 offset1:60
	scratch_load_b128 v[128:131], off, off offset:176
	s_mov_b32 s0, exec_lo
	s_wait_loadcnt_dscnt 0x601
	v_fma_f64 v[132:133], v[98:99], v[120:121], 0
	s_wait_loadcnt 0x5
	s_delay_alu instid0(VALU_DEP_1) | instskip(SKIP_4) | instid1(VALU_DEP_1)
	v_fmac_f64_e32 v[132:133], v[100:101], v[122:123]
	scratch_load_b128 v[98:101], off, off offset:192
	s_wait_dscnt 0x0
	v_fmac_f64_e32 v[132:133], v[102:103], v[124:125]
	s_wait_loadcnt 0x5
	v_fmac_f64_e32 v[132:133], v[104:105], v[126:127]
	ds_load_2addr_b64 v[102:105], v2 offset0:61 offset1:62
	ds_load_2addr_b64 v[120:123], v2 offset0:63 offset1:64
	scratch_load_b128 v[124:127], off, off offset:208
	s_wait_dscnt 0x1
	v_fmac_f64_e32 v[132:133], v[106:107], v[102:103]
	s_wait_loadcnt 0x5
	s_delay_alu instid0(VALU_DEP_1) | instskip(SKIP_4) | instid1(VALU_DEP_1)
	v_fmac_f64_e32 v[132:133], v[108:109], v[104:105]
	scratch_load_b128 v[102:105], off, off offset:224
	s_wait_dscnt 0x0
	v_fmac_f64_e32 v[132:133], v[110:111], v[120:121]
	s_wait_loadcnt 0x5
	v_fmac_f64_e32 v[132:133], v[112:113], v[122:123]
	ds_load_2addr_b64 v[106:109], v2 offset0:65 offset1:66
	ds_load_2addr_b64 v[110:113], v2 offset0:67 offset1:68
	scratch_load_b128 v[120:123], off, off offset:240
	s_wait_dscnt 0x1
	v_fmac_f64_e32 v[132:133], v[114:115], v[106:107]
	s_wait_loadcnt 0x5
	s_delay_alu instid0(VALU_DEP_1) | instskip(SKIP_4) | instid1(VALU_DEP_1)
	v_fmac_f64_e32 v[132:133], v[116:117], v[108:109]
	scratch_load_b128 v[106:109], off, off offset:256
	s_wait_dscnt 0x0
	v_fmac_f64_e32 v[132:133], v[118:119], v[110:111]
	s_wait_loadcnt 0x5
	v_fmac_f64_e32 v[132:133], v[128:129], v[112:113]
	ds_load_2addr_b64 v[110:113], v2 offset0:69 offset1:70
	ds_load_2addr_b64 v[114:117], v2 offset0:71 offset1:72
	s_wait_dscnt 0x1
	v_fmac_f64_e32 v[132:133], v[130:131], v[110:111]
	scratch_load_b128 v[128:131], off, off offset:272
	s_wait_loadcnt 0x5
	v_fmac_f64_e32 v[132:133], v[98:99], v[112:113]
	s_wait_dscnt 0x0
	s_delay_alu instid0(VALU_DEP_1)
	v_fmac_f64_e32 v[132:133], v[100:101], v[114:115]
	scratch_load_b128 v[98:101], off, off offset:288
	s_wait_loadcnt 0x5
	v_fmac_f64_e32 v[132:133], v[124:125], v[116:117]
	ds_load_2addr_b64 v[110:113], v2 offset0:73 offset1:74
	ds_load_2addr_b64 v[114:117], v2 offset0:75 offset1:76
	s_wait_dscnt 0x1
	v_fmac_f64_e32 v[132:133], v[126:127], v[110:111]
	s_wait_loadcnt 0x4
	s_delay_alu instid0(VALU_DEP_1)
	v_fmac_f64_e32 v[132:133], v[102:103], v[112:113]
	scratch_load_b128 v[110:113], off, off offset:304
	s_wait_dscnt 0x0
	v_fmac_f64_e32 v[132:133], v[104:105], v[114:115]
	scratch_load_b128 v[102:105], off, off offset:320
	s_wait_loadcnt 0x5
	v_fmac_f64_e32 v[132:133], v[120:121], v[116:117]
	ds_load_2addr_b64 v[114:117], v2 offset0:77 offset1:78
	ds_load_2addr_b64 v[118:121], v2 offset0:79 offset1:80
	s_wait_dscnt 0x1
	v_fmac_f64_e32 v[132:133], v[122:123], v[114:115]
	s_wait_loadcnt 0x4
	s_delay_alu instid0(VALU_DEP_1)
	v_fmac_f64_e32 v[132:133], v[106:107], v[116:117]
	scratch_load_b128 v[114:117], off, off offset:336
	s_wait_dscnt 0x0
	v_fmac_f64_e32 v[132:133], v[108:109], v[118:119]
	scratch_load_b128 v[106:109], off, off offset:352
	s_wait_loadcnt 0x5
	v_fmac_f64_e32 v[132:133], v[128:129], v[120:121]
	ds_load_2addr_b64 v[118:121], v2 offset0:81 offset1:82
	ds_load_2addr_b64 v[122:125], v2 offset0:83 offset1:84
	s_wait_dscnt 0x1
	v_fmac_f64_e32 v[132:133], v[130:131], v[118:119]
	s_wait_loadcnt 0x4
	s_delay_alu instid0(VALU_DEP_1) | instskip(SKIP_1) | instid1(VALU_DEP_1)
	v_fmac_f64_e32 v[132:133], v[98:99], v[120:121]
	s_wait_dscnt 0x0
	v_fmac_f64_e32 v[132:133], v[100:101], v[122:123]
	ds_load_2addr_b64 v[98:101], v2 offset0:85 offset1:86
	ds_load_2addr_b64 v[118:121], v2 offset0:87 offset1:88
	s_wait_loadcnt 0x3
	v_fmac_f64_e32 v[132:133], v[110:111], v[124:125]
	s_wait_dscnt 0x1
	s_delay_alu instid0(VALU_DEP_1) | instskip(SKIP_1) | instid1(VALU_DEP_1)
	v_fmac_f64_e32 v[132:133], v[112:113], v[98:99]
	s_wait_loadcnt 0x2
	v_fmac_f64_e32 v[132:133], v[102:103], v[100:101]
	ds_load_2addr_b64 v[98:101], v2 offset0:89 offset1:90
	ds_load_b64 v[102:103], v2 offset:728
	s_wait_dscnt 0x2
	v_fmac_f64_e32 v[132:133], v[104:105], v[118:119]
	s_wait_loadcnt 0x1
	s_delay_alu instid0(VALU_DEP_1) | instskip(SKIP_1) | instid1(VALU_DEP_1)
	v_fmac_f64_e32 v[132:133], v[114:115], v[120:121]
	s_wait_dscnt 0x1
	v_fmac_f64_e32 v[132:133], v[116:117], v[98:99]
	s_wait_loadcnt 0x0
	s_delay_alu instid0(VALU_DEP_1) | instskip(SKIP_1) | instid1(VALU_DEP_1)
	v_fmac_f64_e32 v[132:133], v[106:107], v[100:101]
	s_wait_dscnt 0x0
	v_fmac_f64_e32 v[132:133], v[108:109], v[102:103]
	s_delay_alu instid0(VALU_DEP_1)
	v_add_f64_e64 v[96:97], v[96:97], -v[132:133]
	scratch_store_b64 off, v[96:97], off offset:80
	s_wait_xcnt 0x0
	v_cmpx_lt_u32_e32 9, v0
	s_cbranch_execz .LBB109_267
; %bb.266:
	scratch_load_b64 v[96:97], off, off offset:72
	v_mov_b64_e32 v[98:99], 0
	scratch_store_b64 off, v[98:99], off offset:72
	s_wait_loadcnt 0x0
	ds_store_b64 v1, v[96:97]
.LBB109_267:
	s_wait_xcnt 0x0
	s_or_b32 exec_lo, exec_lo, s0
	s_wait_storecnt_dscnt 0x0
	s_barrier_signal -1
	s_barrier_wait -1
	s_clause 0x5
	scratch_load_b128 v[96:99], off, off offset:72
	scratch_load_b128 v[100:103], off, off offset:88
	;; [unrolled: 1-line block ×6, first 2 shown]
	ds_load_b128 v[120:123], v2 offset:448
	ds_load_b128 v[124:127], v2 offset:464
	scratch_load_b128 v[128:131], off, off offset:168
	s_mov_b32 s0, exec_lo
	s_wait_loadcnt_dscnt 0x601
	v_fma_f64 v[132:133], v[98:99], v[120:121], 0
	s_wait_loadcnt 0x5
	s_delay_alu instid0(VALU_DEP_1) | instskip(SKIP_4) | instid1(VALU_DEP_1)
	v_fmac_f64_e32 v[132:133], v[100:101], v[122:123]
	scratch_load_b128 v[98:101], off, off offset:184
	s_wait_dscnt 0x0
	v_fmac_f64_e32 v[132:133], v[102:103], v[124:125]
	s_wait_loadcnt 0x5
	v_fmac_f64_e32 v[132:133], v[104:105], v[126:127]
	ds_load_b128 v[102:105], v2 offset:480
	ds_load_b128 v[120:123], v2 offset:496
	scratch_load_b128 v[124:127], off, off offset:200
	s_wait_dscnt 0x1
	v_fmac_f64_e32 v[132:133], v[106:107], v[102:103]
	s_wait_loadcnt 0x5
	s_delay_alu instid0(VALU_DEP_1) | instskip(SKIP_4) | instid1(VALU_DEP_1)
	v_fmac_f64_e32 v[132:133], v[108:109], v[104:105]
	scratch_load_b128 v[102:105], off, off offset:216
	s_wait_dscnt 0x0
	v_fmac_f64_e32 v[132:133], v[110:111], v[120:121]
	s_wait_loadcnt 0x5
	v_fmac_f64_e32 v[132:133], v[112:113], v[122:123]
	ds_load_b128 v[106:109], v2 offset:512
	ds_load_b128 v[110:113], v2 offset:528
	scratch_load_b128 v[120:123], off, off offset:232
	s_wait_dscnt 0x1
	v_fmac_f64_e32 v[132:133], v[114:115], v[106:107]
	s_wait_loadcnt 0x5
	s_delay_alu instid0(VALU_DEP_1) | instskip(SKIP_4) | instid1(VALU_DEP_1)
	v_fmac_f64_e32 v[132:133], v[116:117], v[108:109]
	scratch_load_b128 v[106:109], off, off offset:248
	s_wait_dscnt 0x0
	v_fmac_f64_e32 v[132:133], v[118:119], v[110:111]
	s_wait_loadcnt 0x5
	v_fmac_f64_e32 v[132:133], v[128:129], v[112:113]
	ds_load_b128 v[110:113], v2 offset:544
	ds_load_b128 v[114:117], v2 offset:560
	s_wait_dscnt 0x1
	v_fmac_f64_e32 v[132:133], v[130:131], v[110:111]
	scratch_load_b128 v[128:131], off, off offset:264
	s_wait_loadcnt 0x5
	v_fmac_f64_e32 v[132:133], v[98:99], v[112:113]
	s_wait_dscnt 0x0
	s_delay_alu instid0(VALU_DEP_1)
	v_fmac_f64_e32 v[132:133], v[100:101], v[114:115]
	scratch_load_b128 v[98:101], off, off offset:280
	s_wait_loadcnt 0x5
	v_fmac_f64_e32 v[132:133], v[124:125], v[116:117]
	ds_load_b128 v[110:113], v2 offset:576
	ds_load_b128 v[114:117], v2 offset:592
	s_wait_dscnt 0x1
	v_fmac_f64_e32 v[132:133], v[126:127], v[110:111]
	s_wait_loadcnt 0x4
	s_delay_alu instid0(VALU_DEP_1)
	v_fmac_f64_e32 v[132:133], v[102:103], v[112:113]
	scratch_load_b128 v[110:113], off, off offset:296
	s_wait_dscnt 0x0
	v_fmac_f64_e32 v[132:133], v[104:105], v[114:115]
	scratch_load_b128 v[102:105], off, off offset:312
	s_wait_loadcnt 0x5
	v_fmac_f64_e32 v[132:133], v[120:121], v[116:117]
	ds_load_b128 v[114:117], v2 offset:608
	ds_load_b128 v[118:121], v2 offset:624
	s_wait_dscnt 0x1
	v_fmac_f64_e32 v[132:133], v[122:123], v[114:115]
	s_wait_loadcnt 0x4
	s_delay_alu instid0(VALU_DEP_1)
	v_fmac_f64_e32 v[132:133], v[106:107], v[116:117]
	scratch_load_b128 v[114:117], off, off offset:328
	s_wait_dscnt 0x0
	v_fmac_f64_e32 v[132:133], v[108:109], v[118:119]
	scratch_load_b128 v[106:109], off, off offset:344
	s_wait_loadcnt 0x5
	v_fmac_f64_e32 v[132:133], v[128:129], v[120:121]
	ds_load_b128 v[118:121], v2 offset:640
	ds_load_b128 v[122:125], v2 offset:656
	scratch_load_b64 v[126:127], off, off offset:360
	s_wait_dscnt 0x1
	v_fmac_f64_e32 v[132:133], v[130:131], v[118:119]
	s_wait_loadcnt 0x5
	s_delay_alu instid0(VALU_DEP_1) | instskip(SKIP_1) | instid1(VALU_DEP_1)
	v_fmac_f64_e32 v[132:133], v[98:99], v[120:121]
	s_wait_dscnt 0x0
	v_fmac_f64_e32 v[132:133], v[100:101], v[122:123]
	ds_load_b128 v[98:101], v2 offset:672
	ds_load_b128 v[118:121], v2 offset:688
	s_wait_loadcnt 0x4
	v_fmac_f64_e32 v[132:133], v[110:111], v[124:125]
	s_wait_dscnt 0x1
	s_delay_alu instid0(VALU_DEP_1) | instskip(SKIP_1) | instid1(VALU_DEP_1)
	v_fmac_f64_e32 v[132:133], v[112:113], v[98:99]
	s_wait_loadcnt 0x3
	v_fmac_f64_e32 v[132:133], v[102:103], v[100:101]
	s_wait_dscnt 0x0
	s_delay_alu instid0(VALU_DEP_1)
	v_fmac_f64_e32 v[132:133], v[104:105], v[118:119]
	ds_load_b128 v[98:101], v2 offset:704
	ds_load_b128 v[102:105], v2 offset:720
	s_wait_loadcnt 0x2
	v_fmac_f64_e32 v[132:133], v[114:115], v[120:121]
	s_wait_dscnt 0x1
	s_delay_alu instid0(VALU_DEP_1) | instskip(SKIP_1) | instid1(VALU_DEP_1)
	v_fmac_f64_e32 v[132:133], v[116:117], v[98:99]
	s_wait_loadcnt 0x1
	v_fmac_f64_e32 v[132:133], v[106:107], v[100:101]
	s_wait_dscnt 0x0
	s_delay_alu instid0(VALU_DEP_1) | instskip(SKIP_1) | instid1(VALU_DEP_1)
	v_fmac_f64_e32 v[132:133], v[108:109], v[102:103]
	s_wait_loadcnt 0x0
	v_fmac_f64_e32 v[132:133], v[126:127], v[104:105]
	s_delay_alu instid0(VALU_DEP_1)
	v_add_f64_e64 v[2:3], v[96:97], -v[132:133]
	scratch_store_b64 off, v[2:3], off offset:72
	s_wait_xcnt 0x0
	v_cmpx_lt_u32_e32 8, v0
	s_cbranch_execz .LBB109_269
; %bb.268:
	scratch_load_b64 v[2:3], off, off offset:64
	v_mov_b64_e32 v[96:97], 0
	scratch_store_b64 off, v[96:97], off offset:64
	s_wait_loadcnt 0x0
	ds_store_b64 v1, v[2:3]
.LBB109_269:
	s_wait_xcnt 0x0
	s_or_b32 exec_lo, exec_lo, s0
	s_wait_storecnt_dscnt 0x0
	s_barrier_signal -1
	s_barrier_wait -1
	s_clause 0x5
	scratch_load_b128 v[96:99], off, off offset:64
	scratch_load_b128 v[100:103], off, off offset:80
	;; [unrolled: 1-line block ×6, first 2 shown]
	v_mov_b32_e32 v2, 0
	ds_load_2addr_b64 v[120:123], v2 offset0:55 offset1:56
	ds_load_2addr_b64 v[124:127], v2 offset0:57 offset1:58
	scratch_load_b128 v[128:131], off, off offset:160
	s_mov_b32 s0, exec_lo
	s_wait_loadcnt_dscnt 0x601
	v_fma_f64 v[132:133], v[98:99], v[120:121], 0
	s_wait_loadcnt 0x5
	s_delay_alu instid0(VALU_DEP_1) | instskip(SKIP_4) | instid1(VALU_DEP_1)
	v_fmac_f64_e32 v[132:133], v[100:101], v[122:123]
	scratch_load_b128 v[98:101], off, off offset:176
	s_wait_dscnt 0x0
	v_fmac_f64_e32 v[132:133], v[102:103], v[124:125]
	s_wait_loadcnt 0x5
	v_fmac_f64_e32 v[132:133], v[104:105], v[126:127]
	ds_load_2addr_b64 v[102:105], v2 offset0:59 offset1:60
	ds_load_2addr_b64 v[120:123], v2 offset0:61 offset1:62
	scratch_load_b128 v[124:127], off, off offset:192
	s_wait_dscnt 0x1
	v_fmac_f64_e32 v[132:133], v[106:107], v[102:103]
	s_wait_loadcnt 0x5
	s_delay_alu instid0(VALU_DEP_1) | instskip(SKIP_4) | instid1(VALU_DEP_1)
	v_fmac_f64_e32 v[132:133], v[108:109], v[104:105]
	scratch_load_b128 v[102:105], off, off offset:208
	s_wait_dscnt 0x0
	v_fmac_f64_e32 v[132:133], v[110:111], v[120:121]
	s_wait_loadcnt 0x5
	v_fmac_f64_e32 v[132:133], v[112:113], v[122:123]
	ds_load_2addr_b64 v[106:109], v2 offset0:63 offset1:64
	ds_load_2addr_b64 v[110:113], v2 offset0:65 offset1:66
	scratch_load_b128 v[120:123], off, off offset:224
	s_wait_dscnt 0x1
	v_fmac_f64_e32 v[132:133], v[114:115], v[106:107]
	s_wait_loadcnt 0x5
	s_delay_alu instid0(VALU_DEP_1) | instskip(SKIP_4) | instid1(VALU_DEP_1)
	v_fmac_f64_e32 v[132:133], v[116:117], v[108:109]
	scratch_load_b128 v[106:109], off, off offset:240
	s_wait_dscnt 0x0
	v_fmac_f64_e32 v[132:133], v[118:119], v[110:111]
	s_wait_loadcnt 0x5
	v_fmac_f64_e32 v[132:133], v[128:129], v[112:113]
	ds_load_2addr_b64 v[110:113], v2 offset0:67 offset1:68
	ds_load_2addr_b64 v[114:117], v2 offset0:69 offset1:70
	s_wait_dscnt 0x1
	v_fmac_f64_e32 v[132:133], v[130:131], v[110:111]
	scratch_load_b128 v[128:131], off, off offset:256
	s_wait_loadcnt 0x5
	v_fmac_f64_e32 v[132:133], v[98:99], v[112:113]
	s_wait_dscnt 0x0
	s_delay_alu instid0(VALU_DEP_1)
	v_fmac_f64_e32 v[132:133], v[100:101], v[114:115]
	scratch_load_b128 v[98:101], off, off offset:272
	s_wait_loadcnt 0x5
	v_fmac_f64_e32 v[132:133], v[124:125], v[116:117]
	ds_load_2addr_b64 v[110:113], v2 offset0:71 offset1:72
	ds_load_2addr_b64 v[114:117], v2 offset0:73 offset1:74
	s_wait_dscnt 0x1
	v_fmac_f64_e32 v[132:133], v[126:127], v[110:111]
	s_wait_loadcnt 0x4
	s_delay_alu instid0(VALU_DEP_1)
	v_fmac_f64_e32 v[132:133], v[102:103], v[112:113]
	scratch_load_b128 v[110:113], off, off offset:288
	s_wait_dscnt 0x0
	v_fmac_f64_e32 v[132:133], v[104:105], v[114:115]
	scratch_load_b128 v[102:105], off, off offset:304
	s_wait_loadcnt 0x5
	v_fmac_f64_e32 v[132:133], v[120:121], v[116:117]
	ds_load_2addr_b64 v[114:117], v2 offset0:75 offset1:76
	ds_load_2addr_b64 v[118:121], v2 offset0:77 offset1:78
	s_wait_dscnt 0x1
	v_fmac_f64_e32 v[132:133], v[122:123], v[114:115]
	s_wait_loadcnt 0x4
	s_delay_alu instid0(VALU_DEP_1)
	v_fmac_f64_e32 v[132:133], v[106:107], v[116:117]
	scratch_load_b128 v[114:117], off, off offset:320
	s_wait_dscnt 0x0
	v_fmac_f64_e32 v[132:133], v[108:109], v[118:119]
	scratch_load_b128 v[106:109], off, off offset:336
	s_wait_loadcnt 0x5
	v_fmac_f64_e32 v[132:133], v[128:129], v[120:121]
	ds_load_2addr_b64 v[118:121], v2 offset0:79 offset1:80
	ds_load_2addr_b64 v[122:125], v2 offset0:81 offset1:82
	s_wait_dscnt 0x1
	v_fmac_f64_e32 v[132:133], v[130:131], v[118:119]
	s_wait_loadcnt 0x4
	s_delay_alu instid0(VALU_DEP_1) | instskip(SKIP_4) | instid1(VALU_DEP_1)
	v_fmac_f64_e32 v[132:133], v[98:99], v[120:121]
	scratch_load_b128 v[118:121], off, off offset:352
	s_wait_dscnt 0x0
	v_fmac_f64_e32 v[132:133], v[100:101], v[122:123]
	s_wait_loadcnt 0x4
	v_fmac_f64_e32 v[132:133], v[110:111], v[124:125]
	ds_load_2addr_b64 v[98:101], v2 offset0:83 offset1:84
	ds_load_2addr_b64 v[122:125], v2 offset0:85 offset1:86
	s_wait_dscnt 0x1
	v_fmac_f64_e32 v[132:133], v[112:113], v[98:99]
	s_wait_loadcnt 0x3
	s_delay_alu instid0(VALU_DEP_1) | instskip(SKIP_1) | instid1(VALU_DEP_1)
	v_fmac_f64_e32 v[132:133], v[102:103], v[100:101]
	s_wait_dscnt 0x0
	v_fmac_f64_e32 v[132:133], v[104:105], v[122:123]
	ds_load_2addr_b64 v[98:101], v2 offset0:87 offset1:88
	ds_load_2addr_b64 v[102:105], v2 offset0:89 offset1:90
	s_wait_loadcnt 0x2
	v_fmac_f64_e32 v[132:133], v[114:115], v[124:125]
	s_wait_dscnt 0x1
	s_delay_alu instid0(VALU_DEP_1) | instskip(SKIP_4) | instid1(VALU_DEP_1)
	v_fmac_f64_e32 v[132:133], v[116:117], v[98:99]
	ds_load_b64 v[98:99], v2 offset:728
	s_wait_loadcnt 0x1
	v_fmac_f64_e32 v[132:133], v[106:107], v[100:101]
	s_wait_dscnt 0x1
	v_fmac_f64_e32 v[132:133], v[108:109], v[102:103]
	s_wait_loadcnt 0x0
	s_delay_alu instid0(VALU_DEP_1) | instskip(SKIP_1) | instid1(VALU_DEP_1)
	v_fmac_f64_e32 v[132:133], v[118:119], v[104:105]
	s_wait_dscnt 0x0
	v_fmac_f64_e32 v[132:133], v[120:121], v[98:99]
	s_delay_alu instid0(VALU_DEP_1)
	v_add_f64_e64 v[96:97], v[96:97], -v[132:133]
	scratch_store_b64 off, v[96:97], off offset:64
	s_wait_xcnt 0x0
	v_cmpx_lt_u32_e32 7, v0
	s_cbranch_execz .LBB109_271
; %bb.270:
	scratch_load_b64 v[96:97], off, off offset:56
	v_mov_b64_e32 v[98:99], 0
	scratch_store_b64 off, v[98:99], off offset:56
	s_wait_loadcnt 0x0
	ds_store_b64 v1, v[96:97]
.LBB109_271:
	s_wait_xcnt 0x0
	s_or_b32 exec_lo, exec_lo, s0
	s_wait_storecnt_dscnt 0x0
	s_barrier_signal -1
	s_barrier_wait -1
	s_clause 0x5
	scratch_load_b128 v[96:99], off, off offset:56
	scratch_load_b128 v[100:103], off, off offset:72
	;; [unrolled: 1-line block ×6, first 2 shown]
	ds_load_b128 v[120:123], v2 offset:432
	ds_load_b128 v[124:127], v2 offset:448
	scratch_load_b128 v[128:131], off, off offset:152
	s_mov_b32 s0, exec_lo
	s_wait_loadcnt_dscnt 0x601
	v_fma_f64 v[132:133], v[98:99], v[120:121], 0
	s_wait_loadcnt 0x5
	s_delay_alu instid0(VALU_DEP_1) | instskip(SKIP_4) | instid1(VALU_DEP_1)
	v_fmac_f64_e32 v[132:133], v[100:101], v[122:123]
	scratch_load_b128 v[98:101], off, off offset:168
	s_wait_dscnt 0x0
	v_fmac_f64_e32 v[132:133], v[102:103], v[124:125]
	s_wait_loadcnt 0x5
	v_fmac_f64_e32 v[132:133], v[104:105], v[126:127]
	ds_load_b128 v[102:105], v2 offset:464
	ds_load_b128 v[120:123], v2 offset:480
	scratch_load_b128 v[124:127], off, off offset:184
	s_wait_dscnt 0x1
	v_fmac_f64_e32 v[132:133], v[106:107], v[102:103]
	s_wait_loadcnt 0x5
	s_delay_alu instid0(VALU_DEP_1) | instskip(SKIP_4) | instid1(VALU_DEP_1)
	v_fmac_f64_e32 v[132:133], v[108:109], v[104:105]
	scratch_load_b128 v[102:105], off, off offset:200
	s_wait_dscnt 0x0
	v_fmac_f64_e32 v[132:133], v[110:111], v[120:121]
	s_wait_loadcnt 0x5
	v_fmac_f64_e32 v[132:133], v[112:113], v[122:123]
	ds_load_b128 v[106:109], v2 offset:496
	ds_load_b128 v[110:113], v2 offset:512
	scratch_load_b128 v[120:123], off, off offset:216
	s_wait_dscnt 0x1
	v_fmac_f64_e32 v[132:133], v[114:115], v[106:107]
	s_wait_loadcnt 0x5
	s_delay_alu instid0(VALU_DEP_1) | instskip(SKIP_4) | instid1(VALU_DEP_1)
	v_fmac_f64_e32 v[132:133], v[116:117], v[108:109]
	scratch_load_b128 v[106:109], off, off offset:232
	s_wait_dscnt 0x0
	v_fmac_f64_e32 v[132:133], v[118:119], v[110:111]
	s_wait_loadcnt 0x5
	v_fmac_f64_e32 v[132:133], v[128:129], v[112:113]
	ds_load_b128 v[110:113], v2 offset:528
	ds_load_b128 v[114:117], v2 offset:544
	s_wait_dscnt 0x1
	v_fmac_f64_e32 v[132:133], v[130:131], v[110:111]
	scratch_load_b128 v[128:131], off, off offset:248
	s_wait_loadcnt 0x5
	v_fmac_f64_e32 v[132:133], v[98:99], v[112:113]
	s_wait_dscnt 0x0
	s_delay_alu instid0(VALU_DEP_1)
	v_fmac_f64_e32 v[132:133], v[100:101], v[114:115]
	scratch_load_b128 v[98:101], off, off offset:264
	s_wait_loadcnt 0x5
	v_fmac_f64_e32 v[132:133], v[124:125], v[116:117]
	ds_load_b128 v[110:113], v2 offset:560
	ds_load_b128 v[114:117], v2 offset:576
	s_wait_dscnt 0x1
	v_fmac_f64_e32 v[132:133], v[126:127], v[110:111]
	scratch_load_b128 v[124:127], off, off offset:280
	s_wait_loadcnt 0x5
	v_fmac_f64_e32 v[132:133], v[102:103], v[112:113]
	s_wait_dscnt 0x0
	s_delay_alu instid0(VALU_DEP_1)
	v_fmac_f64_e32 v[132:133], v[104:105], v[114:115]
	scratch_load_b128 v[102:105], off, off offset:296
	s_wait_loadcnt 0x5
	v_fmac_f64_e32 v[132:133], v[120:121], v[116:117]
	ds_load_b128 v[110:113], v2 offset:592
	ds_load_b128 v[114:117], v2 offset:608
	s_wait_dscnt 0x1
	v_fmac_f64_e32 v[132:133], v[122:123], v[110:111]
	s_wait_loadcnt 0x4
	s_delay_alu instid0(VALU_DEP_1)
	v_fmac_f64_e32 v[132:133], v[106:107], v[112:113]
	scratch_load_b128 v[110:113], off, off offset:312
	s_wait_dscnt 0x0
	v_fmac_f64_e32 v[132:133], v[108:109], v[114:115]
	scratch_load_b128 v[106:109], off, off offset:328
	s_wait_loadcnt 0x5
	v_fmac_f64_e32 v[132:133], v[128:129], v[116:117]
	ds_load_b128 v[114:117], v2 offset:624
	ds_load_b128 v[118:121], v2 offset:640
	scratch_load_b64 v[122:123], off, off offset:360
	s_wait_dscnt 0x1
	v_fmac_f64_e32 v[132:133], v[130:131], v[114:115]
	s_wait_loadcnt 0x5
	s_delay_alu instid0(VALU_DEP_1) | instskip(SKIP_4) | instid1(VALU_DEP_1)
	v_fmac_f64_e32 v[132:133], v[98:99], v[116:117]
	scratch_load_b128 v[114:117], off, off offset:344
	s_wait_dscnt 0x0
	v_fmac_f64_e32 v[132:133], v[100:101], v[118:119]
	s_wait_loadcnt 0x5
	v_fmac_f64_e32 v[132:133], v[124:125], v[120:121]
	ds_load_b128 v[98:101], v2 offset:656
	ds_load_b128 v[118:121], v2 offset:672
	s_wait_dscnt 0x1
	v_fmac_f64_e32 v[132:133], v[126:127], v[98:99]
	s_wait_loadcnt 0x4
	s_delay_alu instid0(VALU_DEP_1) | instskip(SKIP_1) | instid1(VALU_DEP_1)
	v_fmac_f64_e32 v[132:133], v[102:103], v[100:101]
	s_wait_dscnt 0x0
	v_fmac_f64_e32 v[132:133], v[104:105], v[118:119]
	ds_load_b128 v[98:101], v2 offset:688
	ds_load_b128 v[102:105], v2 offset:704
	s_wait_loadcnt 0x3
	v_fmac_f64_e32 v[132:133], v[110:111], v[120:121]
	s_wait_dscnt 0x1
	s_delay_alu instid0(VALU_DEP_1) | instskip(SKIP_1) | instid1(VALU_DEP_1)
	v_fmac_f64_e32 v[132:133], v[112:113], v[98:99]
	s_wait_loadcnt 0x2
	v_fmac_f64_e32 v[132:133], v[106:107], v[100:101]
	ds_load_b128 v[98:101], v2 offset:720
	s_wait_dscnt 0x1
	v_fmac_f64_e32 v[132:133], v[108:109], v[102:103]
	s_wait_loadcnt 0x0
	s_delay_alu instid0(VALU_DEP_1) | instskip(SKIP_1) | instid1(VALU_DEP_1)
	v_fmac_f64_e32 v[132:133], v[114:115], v[104:105]
	s_wait_dscnt 0x0
	v_fmac_f64_e32 v[132:133], v[116:117], v[98:99]
	s_delay_alu instid0(VALU_DEP_1) | instskip(NEXT) | instid1(VALU_DEP_1)
	v_fmac_f64_e32 v[132:133], v[122:123], v[100:101]
	v_add_f64_e64 v[2:3], v[96:97], -v[132:133]
	scratch_store_b64 off, v[2:3], off offset:56
	s_wait_xcnt 0x0
	v_cmpx_lt_u32_e32 6, v0
	s_cbranch_execz .LBB109_273
; %bb.272:
	scratch_load_b64 v[2:3], off, off offset:48
	v_mov_b64_e32 v[96:97], 0
	scratch_store_b64 off, v[96:97], off offset:48
	s_wait_loadcnt 0x0
	ds_store_b64 v1, v[2:3]
.LBB109_273:
	s_wait_xcnt 0x0
	s_or_b32 exec_lo, exec_lo, s0
	s_wait_storecnt_dscnt 0x0
	s_barrier_signal -1
	s_barrier_wait -1
	s_clause 0x5
	scratch_load_b128 v[96:99], off, off offset:48
	scratch_load_b128 v[100:103], off, off offset:64
	;; [unrolled: 1-line block ×6, first 2 shown]
	v_mov_b32_e32 v2, 0
	ds_load_2addr_b64 v[120:123], v2 offset0:53 offset1:54
	ds_load_2addr_b64 v[124:127], v2 offset0:55 offset1:56
	scratch_load_b128 v[128:131], off, off offset:144
	s_mov_b32 s0, exec_lo
	s_wait_loadcnt_dscnt 0x601
	v_fma_f64 v[132:133], v[98:99], v[120:121], 0
	s_wait_loadcnt 0x5
	s_delay_alu instid0(VALU_DEP_1) | instskip(SKIP_4) | instid1(VALU_DEP_1)
	v_fmac_f64_e32 v[132:133], v[100:101], v[122:123]
	scratch_load_b128 v[98:101], off, off offset:160
	s_wait_dscnt 0x0
	v_fmac_f64_e32 v[132:133], v[102:103], v[124:125]
	s_wait_loadcnt 0x5
	v_fmac_f64_e32 v[132:133], v[104:105], v[126:127]
	ds_load_2addr_b64 v[102:105], v2 offset0:57 offset1:58
	ds_load_2addr_b64 v[120:123], v2 offset0:59 offset1:60
	scratch_load_b128 v[124:127], off, off offset:176
	s_wait_dscnt 0x1
	v_fmac_f64_e32 v[132:133], v[106:107], v[102:103]
	s_wait_loadcnt 0x5
	s_delay_alu instid0(VALU_DEP_1) | instskip(SKIP_4) | instid1(VALU_DEP_1)
	v_fmac_f64_e32 v[132:133], v[108:109], v[104:105]
	scratch_load_b128 v[102:105], off, off offset:192
	s_wait_dscnt 0x0
	v_fmac_f64_e32 v[132:133], v[110:111], v[120:121]
	s_wait_loadcnt 0x5
	v_fmac_f64_e32 v[132:133], v[112:113], v[122:123]
	ds_load_2addr_b64 v[106:109], v2 offset0:61 offset1:62
	ds_load_2addr_b64 v[110:113], v2 offset0:63 offset1:64
	scratch_load_b128 v[120:123], off, off offset:208
	s_wait_dscnt 0x1
	v_fmac_f64_e32 v[132:133], v[114:115], v[106:107]
	s_wait_loadcnt 0x5
	s_delay_alu instid0(VALU_DEP_1) | instskip(SKIP_4) | instid1(VALU_DEP_1)
	v_fmac_f64_e32 v[132:133], v[116:117], v[108:109]
	scratch_load_b128 v[106:109], off, off offset:224
	s_wait_dscnt 0x0
	v_fmac_f64_e32 v[132:133], v[118:119], v[110:111]
	s_wait_loadcnt 0x5
	v_fmac_f64_e32 v[132:133], v[128:129], v[112:113]
	ds_load_2addr_b64 v[110:113], v2 offset0:65 offset1:66
	ds_load_2addr_b64 v[114:117], v2 offset0:67 offset1:68
	s_wait_dscnt 0x1
	v_fmac_f64_e32 v[132:133], v[130:131], v[110:111]
	scratch_load_b128 v[128:131], off, off offset:240
	s_wait_loadcnt 0x5
	v_fmac_f64_e32 v[132:133], v[98:99], v[112:113]
	s_wait_dscnt 0x0
	s_delay_alu instid0(VALU_DEP_1)
	v_fmac_f64_e32 v[132:133], v[100:101], v[114:115]
	scratch_load_b128 v[98:101], off, off offset:256
	s_wait_loadcnt 0x5
	v_fmac_f64_e32 v[132:133], v[124:125], v[116:117]
	ds_load_2addr_b64 v[110:113], v2 offset0:69 offset1:70
	ds_load_2addr_b64 v[114:117], v2 offset0:71 offset1:72
	s_wait_dscnt 0x1
	v_fmac_f64_e32 v[132:133], v[126:127], v[110:111]
	scratch_load_b128 v[124:127], off, off offset:272
	s_wait_loadcnt 0x5
	v_fmac_f64_e32 v[132:133], v[102:103], v[112:113]
	s_wait_dscnt 0x0
	s_delay_alu instid0(VALU_DEP_1)
	v_fmac_f64_e32 v[132:133], v[104:105], v[114:115]
	scratch_load_b128 v[102:105], off, off offset:288
	s_wait_loadcnt 0x5
	v_fmac_f64_e32 v[132:133], v[120:121], v[116:117]
	ds_load_2addr_b64 v[110:113], v2 offset0:73 offset1:74
	ds_load_2addr_b64 v[114:117], v2 offset0:75 offset1:76
	s_wait_dscnt 0x1
	v_fmac_f64_e32 v[132:133], v[122:123], v[110:111]
	s_wait_loadcnt 0x4
	s_delay_alu instid0(VALU_DEP_1)
	v_fmac_f64_e32 v[132:133], v[106:107], v[112:113]
	scratch_load_b128 v[110:113], off, off offset:304
	s_wait_dscnt 0x0
	v_fmac_f64_e32 v[132:133], v[108:109], v[114:115]
	scratch_load_b128 v[106:109], off, off offset:320
	s_wait_loadcnt 0x5
	v_fmac_f64_e32 v[132:133], v[128:129], v[116:117]
	ds_load_2addr_b64 v[114:117], v2 offset0:77 offset1:78
	ds_load_2addr_b64 v[118:121], v2 offset0:79 offset1:80
	s_wait_dscnt 0x1
	v_fmac_f64_e32 v[132:133], v[130:131], v[114:115]
	s_wait_loadcnt 0x4
	s_delay_alu instid0(VALU_DEP_1)
	v_fmac_f64_e32 v[132:133], v[98:99], v[116:117]
	scratch_load_b128 v[114:117], off, off offset:336
	s_wait_dscnt 0x0
	v_fmac_f64_e32 v[132:133], v[100:101], v[118:119]
	scratch_load_b128 v[98:101], off, off offset:352
	s_wait_loadcnt 0x5
	v_fmac_f64_e32 v[132:133], v[124:125], v[120:121]
	ds_load_2addr_b64 v[118:121], v2 offset0:81 offset1:82
	ds_load_2addr_b64 v[122:125], v2 offset0:83 offset1:84
	s_wait_dscnt 0x1
	v_fmac_f64_e32 v[132:133], v[126:127], v[118:119]
	s_wait_loadcnt 0x4
	s_delay_alu instid0(VALU_DEP_1) | instskip(SKIP_1) | instid1(VALU_DEP_1)
	v_fmac_f64_e32 v[132:133], v[102:103], v[120:121]
	s_wait_dscnt 0x0
	v_fmac_f64_e32 v[132:133], v[104:105], v[122:123]
	ds_load_2addr_b64 v[102:105], v2 offset0:85 offset1:86
	ds_load_2addr_b64 v[118:121], v2 offset0:87 offset1:88
	s_wait_loadcnt 0x3
	v_fmac_f64_e32 v[132:133], v[110:111], v[124:125]
	s_wait_dscnt 0x1
	s_delay_alu instid0(VALU_DEP_1) | instskip(SKIP_1) | instid1(VALU_DEP_1)
	v_fmac_f64_e32 v[132:133], v[112:113], v[102:103]
	s_wait_loadcnt 0x2
	v_fmac_f64_e32 v[132:133], v[106:107], v[104:105]
	ds_load_2addr_b64 v[102:105], v2 offset0:89 offset1:90
	ds_load_b64 v[106:107], v2 offset:728
	s_wait_dscnt 0x2
	v_fmac_f64_e32 v[132:133], v[108:109], v[118:119]
	s_wait_loadcnt 0x1
	s_delay_alu instid0(VALU_DEP_1) | instskip(SKIP_1) | instid1(VALU_DEP_1)
	v_fmac_f64_e32 v[132:133], v[114:115], v[120:121]
	s_wait_dscnt 0x1
	v_fmac_f64_e32 v[132:133], v[116:117], v[102:103]
	s_wait_loadcnt 0x0
	s_delay_alu instid0(VALU_DEP_1) | instskip(SKIP_1) | instid1(VALU_DEP_1)
	v_fmac_f64_e32 v[132:133], v[98:99], v[104:105]
	s_wait_dscnt 0x0
	v_fmac_f64_e32 v[132:133], v[100:101], v[106:107]
	s_delay_alu instid0(VALU_DEP_1)
	v_add_f64_e64 v[96:97], v[96:97], -v[132:133]
	scratch_store_b64 off, v[96:97], off offset:48
	s_wait_xcnt 0x0
	v_cmpx_lt_u32_e32 5, v0
	s_cbranch_execz .LBB109_275
; %bb.274:
	scratch_load_b64 v[96:97], off, off offset:40
	v_mov_b64_e32 v[98:99], 0
	scratch_store_b64 off, v[98:99], off offset:40
	s_wait_loadcnt 0x0
	ds_store_b64 v1, v[96:97]
.LBB109_275:
	s_wait_xcnt 0x0
	s_or_b32 exec_lo, exec_lo, s0
	s_wait_storecnt_dscnt 0x0
	s_barrier_signal -1
	s_barrier_wait -1
	s_clause 0x5
	scratch_load_b128 v[96:99], off, off offset:40
	scratch_load_b128 v[100:103], off, off offset:56
	scratch_load_b128 v[104:107], off, off offset:72
	scratch_load_b128 v[108:111], off, off offset:88
	scratch_load_b128 v[112:115], off, off offset:104
	scratch_load_b128 v[116:119], off, off offset:120
	ds_load_b128 v[120:123], v2 offset:416
	ds_load_b128 v[124:127], v2 offset:432
	scratch_load_b128 v[128:131], off, off offset:136
	s_mov_b32 s0, exec_lo
	s_wait_loadcnt_dscnt 0x601
	v_fma_f64 v[132:133], v[98:99], v[120:121], 0
	s_wait_loadcnt 0x5
	s_delay_alu instid0(VALU_DEP_1) | instskip(SKIP_4) | instid1(VALU_DEP_1)
	v_fmac_f64_e32 v[132:133], v[100:101], v[122:123]
	scratch_load_b128 v[98:101], off, off offset:152
	s_wait_dscnt 0x0
	v_fmac_f64_e32 v[132:133], v[102:103], v[124:125]
	s_wait_loadcnt 0x5
	v_fmac_f64_e32 v[132:133], v[104:105], v[126:127]
	ds_load_b128 v[102:105], v2 offset:448
	ds_load_b128 v[120:123], v2 offset:464
	scratch_load_b128 v[124:127], off, off offset:168
	s_wait_dscnt 0x1
	v_fmac_f64_e32 v[132:133], v[106:107], v[102:103]
	s_wait_loadcnt 0x5
	s_delay_alu instid0(VALU_DEP_1) | instskip(SKIP_4) | instid1(VALU_DEP_1)
	v_fmac_f64_e32 v[132:133], v[108:109], v[104:105]
	scratch_load_b128 v[102:105], off, off offset:184
	s_wait_dscnt 0x0
	v_fmac_f64_e32 v[132:133], v[110:111], v[120:121]
	s_wait_loadcnt 0x5
	v_fmac_f64_e32 v[132:133], v[112:113], v[122:123]
	ds_load_b128 v[106:109], v2 offset:480
	ds_load_b128 v[110:113], v2 offset:496
	scratch_load_b128 v[120:123], off, off offset:200
	s_wait_dscnt 0x1
	v_fmac_f64_e32 v[132:133], v[114:115], v[106:107]
	s_wait_loadcnt 0x5
	s_delay_alu instid0(VALU_DEP_1) | instskip(SKIP_4) | instid1(VALU_DEP_1)
	v_fmac_f64_e32 v[132:133], v[116:117], v[108:109]
	scratch_load_b128 v[106:109], off, off offset:216
	s_wait_dscnt 0x0
	v_fmac_f64_e32 v[132:133], v[118:119], v[110:111]
	s_wait_loadcnt 0x5
	v_fmac_f64_e32 v[132:133], v[128:129], v[112:113]
	ds_load_b128 v[110:113], v2 offset:512
	ds_load_b128 v[114:117], v2 offset:528
	s_wait_dscnt 0x1
	v_fmac_f64_e32 v[132:133], v[130:131], v[110:111]
	scratch_load_b128 v[128:131], off, off offset:232
	s_wait_loadcnt 0x5
	v_fmac_f64_e32 v[132:133], v[98:99], v[112:113]
	s_wait_dscnt 0x0
	s_delay_alu instid0(VALU_DEP_1)
	v_fmac_f64_e32 v[132:133], v[100:101], v[114:115]
	scratch_load_b128 v[98:101], off, off offset:248
	s_wait_loadcnt 0x5
	v_fmac_f64_e32 v[132:133], v[124:125], v[116:117]
	ds_load_b128 v[110:113], v2 offset:544
	ds_load_b128 v[114:117], v2 offset:560
	s_wait_dscnt 0x1
	v_fmac_f64_e32 v[132:133], v[126:127], v[110:111]
	scratch_load_b128 v[124:127], off, off offset:264
	s_wait_loadcnt 0x5
	v_fmac_f64_e32 v[132:133], v[102:103], v[112:113]
	s_wait_dscnt 0x0
	s_delay_alu instid0(VALU_DEP_1)
	v_fmac_f64_e32 v[132:133], v[104:105], v[114:115]
	scratch_load_b128 v[102:105], off, off offset:280
	s_wait_loadcnt 0x5
	v_fmac_f64_e32 v[132:133], v[120:121], v[116:117]
	ds_load_b128 v[110:113], v2 offset:576
	ds_load_b128 v[114:117], v2 offset:592
	s_wait_dscnt 0x1
	v_fmac_f64_e32 v[132:133], v[122:123], v[110:111]
	s_wait_loadcnt 0x4
	s_delay_alu instid0(VALU_DEP_1)
	v_fmac_f64_e32 v[132:133], v[106:107], v[112:113]
	scratch_load_b128 v[110:113], off, off offset:296
	s_wait_dscnt 0x0
	v_fmac_f64_e32 v[132:133], v[108:109], v[114:115]
	scratch_load_b128 v[106:109], off, off offset:312
	s_wait_loadcnt 0x5
	v_fmac_f64_e32 v[132:133], v[128:129], v[116:117]
	ds_load_b128 v[114:117], v2 offset:608
	ds_load_b128 v[118:121], v2 offset:624
	s_wait_dscnt 0x1
	v_fmac_f64_e32 v[132:133], v[130:131], v[114:115]
	s_wait_loadcnt 0x4
	s_delay_alu instid0(VALU_DEP_1)
	v_fmac_f64_e32 v[132:133], v[98:99], v[116:117]
	scratch_load_b128 v[114:117], off, off offset:328
	s_wait_dscnt 0x0
	v_fmac_f64_e32 v[132:133], v[100:101], v[118:119]
	scratch_load_b128 v[98:101], off, off offset:344
	s_wait_loadcnt 0x5
	v_fmac_f64_e32 v[132:133], v[124:125], v[120:121]
	ds_load_b128 v[118:121], v2 offset:640
	ds_load_b128 v[122:125], v2 offset:656
	s_wait_dscnt 0x1
	v_fmac_f64_e32 v[132:133], v[126:127], v[118:119]
	scratch_load_b64 v[126:127], off, off offset:360
	s_wait_loadcnt 0x5
	v_fmac_f64_e32 v[132:133], v[102:103], v[120:121]
	s_wait_dscnt 0x0
	s_delay_alu instid0(VALU_DEP_1)
	v_fmac_f64_e32 v[132:133], v[104:105], v[122:123]
	ds_load_b128 v[102:105], v2 offset:672
	ds_load_b128 v[118:121], v2 offset:688
	s_wait_loadcnt 0x4
	v_fmac_f64_e32 v[132:133], v[110:111], v[124:125]
	s_wait_dscnt 0x1
	s_delay_alu instid0(VALU_DEP_1) | instskip(SKIP_1) | instid1(VALU_DEP_1)
	v_fmac_f64_e32 v[132:133], v[112:113], v[102:103]
	s_wait_loadcnt 0x3
	v_fmac_f64_e32 v[132:133], v[106:107], v[104:105]
	s_wait_dscnt 0x0
	s_delay_alu instid0(VALU_DEP_1)
	v_fmac_f64_e32 v[132:133], v[108:109], v[118:119]
	ds_load_b128 v[102:105], v2 offset:704
	ds_load_b128 v[106:109], v2 offset:720
	s_wait_loadcnt 0x2
	v_fmac_f64_e32 v[132:133], v[114:115], v[120:121]
	s_wait_dscnt 0x1
	s_delay_alu instid0(VALU_DEP_1) | instskip(SKIP_1) | instid1(VALU_DEP_1)
	v_fmac_f64_e32 v[132:133], v[116:117], v[102:103]
	s_wait_loadcnt 0x1
	v_fmac_f64_e32 v[132:133], v[98:99], v[104:105]
	s_wait_dscnt 0x0
	s_delay_alu instid0(VALU_DEP_1) | instskip(SKIP_1) | instid1(VALU_DEP_1)
	v_fmac_f64_e32 v[132:133], v[100:101], v[106:107]
	s_wait_loadcnt 0x0
	v_fmac_f64_e32 v[132:133], v[126:127], v[108:109]
	s_delay_alu instid0(VALU_DEP_1)
	v_add_f64_e64 v[2:3], v[96:97], -v[132:133]
	scratch_store_b64 off, v[2:3], off offset:40
	s_wait_xcnt 0x0
	v_cmpx_lt_u32_e32 4, v0
	s_cbranch_execz .LBB109_277
; %bb.276:
	scratch_load_b64 v[2:3], off, off offset:32
	v_mov_b64_e32 v[96:97], 0
	scratch_store_b64 off, v[96:97], off offset:32
	s_wait_loadcnt 0x0
	ds_store_b64 v1, v[2:3]
.LBB109_277:
	s_wait_xcnt 0x0
	s_or_b32 exec_lo, exec_lo, s0
	s_wait_storecnt_dscnt 0x0
	s_barrier_signal -1
	s_barrier_wait -1
	s_clause 0x5
	scratch_load_b128 v[96:99], off, off offset:32
	scratch_load_b128 v[100:103], off, off offset:48
	;; [unrolled: 1-line block ×6, first 2 shown]
	v_mov_b32_e32 v2, 0
	ds_load_2addr_b64 v[120:123], v2 offset0:51 offset1:52
	ds_load_2addr_b64 v[124:127], v2 offset0:53 offset1:54
	scratch_load_b128 v[128:131], off, off offset:128
	s_mov_b32 s0, exec_lo
	s_wait_loadcnt_dscnt 0x601
	v_fma_f64 v[132:133], v[98:99], v[120:121], 0
	s_wait_loadcnt 0x5
	s_delay_alu instid0(VALU_DEP_1) | instskip(SKIP_4) | instid1(VALU_DEP_1)
	v_fmac_f64_e32 v[132:133], v[100:101], v[122:123]
	scratch_load_b128 v[98:101], off, off offset:144
	s_wait_dscnt 0x0
	v_fmac_f64_e32 v[132:133], v[102:103], v[124:125]
	s_wait_loadcnt 0x5
	v_fmac_f64_e32 v[132:133], v[104:105], v[126:127]
	ds_load_2addr_b64 v[102:105], v2 offset0:55 offset1:56
	ds_load_2addr_b64 v[120:123], v2 offset0:57 offset1:58
	scratch_load_b128 v[124:127], off, off offset:160
	s_wait_dscnt 0x1
	v_fmac_f64_e32 v[132:133], v[106:107], v[102:103]
	s_wait_loadcnt 0x5
	s_delay_alu instid0(VALU_DEP_1) | instskip(SKIP_4) | instid1(VALU_DEP_1)
	v_fmac_f64_e32 v[132:133], v[108:109], v[104:105]
	scratch_load_b128 v[102:105], off, off offset:176
	s_wait_dscnt 0x0
	v_fmac_f64_e32 v[132:133], v[110:111], v[120:121]
	s_wait_loadcnt 0x5
	v_fmac_f64_e32 v[132:133], v[112:113], v[122:123]
	ds_load_2addr_b64 v[106:109], v2 offset0:59 offset1:60
	ds_load_2addr_b64 v[110:113], v2 offset0:61 offset1:62
	scratch_load_b128 v[120:123], off, off offset:192
	s_wait_dscnt 0x1
	v_fmac_f64_e32 v[132:133], v[114:115], v[106:107]
	s_wait_loadcnt 0x5
	s_delay_alu instid0(VALU_DEP_1) | instskip(SKIP_4) | instid1(VALU_DEP_1)
	v_fmac_f64_e32 v[132:133], v[116:117], v[108:109]
	scratch_load_b128 v[106:109], off, off offset:208
	s_wait_dscnt 0x0
	v_fmac_f64_e32 v[132:133], v[118:119], v[110:111]
	s_wait_loadcnt 0x5
	v_fmac_f64_e32 v[132:133], v[128:129], v[112:113]
	ds_load_2addr_b64 v[110:113], v2 offset0:63 offset1:64
	ds_load_2addr_b64 v[114:117], v2 offset0:65 offset1:66
	s_wait_dscnt 0x1
	v_fmac_f64_e32 v[132:133], v[130:131], v[110:111]
	scratch_load_b128 v[128:131], off, off offset:224
	s_wait_loadcnt 0x5
	v_fmac_f64_e32 v[132:133], v[98:99], v[112:113]
	s_wait_dscnt 0x0
	s_delay_alu instid0(VALU_DEP_1)
	v_fmac_f64_e32 v[132:133], v[100:101], v[114:115]
	scratch_load_b128 v[98:101], off, off offset:240
	s_wait_loadcnt 0x5
	v_fmac_f64_e32 v[132:133], v[124:125], v[116:117]
	ds_load_2addr_b64 v[110:113], v2 offset0:67 offset1:68
	ds_load_2addr_b64 v[114:117], v2 offset0:69 offset1:70
	s_wait_dscnt 0x1
	v_fmac_f64_e32 v[132:133], v[126:127], v[110:111]
	scratch_load_b128 v[124:127], off, off offset:256
	s_wait_loadcnt 0x5
	v_fmac_f64_e32 v[132:133], v[102:103], v[112:113]
	s_wait_dscnt 0x0
	s_delay_alu instid0(VALU_DEP_1)
	v_fmac_f64_e32 v[132:133], v[104:105], v[114:115]
	scratch_load_b128 v[102:105], off, off offset:272
	s_wait_loadcnt 0x5
	v_fmac_f64_e32 v[132:133], v[120:121], v[116:117]
	ds_load_2addr_b64 v[110:113], v2 offset0:71 offset1:72
	ds_load_2addr_b64 v[114:117], v2 offset0:73 offset1:74
	s_wait_dscnt 0x1
	v_fmac_f64_e32 v[132:133], v[122:123], v[110:111]
	s_wait_loadcnt 0x4
	s_delay_alu instid0(VALU_DEP_1)
	v_fmac_f64_e32 v[132:133], v[106:107], v[112:113]
	scratch_load_b128 v[110:113], off, off offset:288
	s_wait_dscnt 0x0
	v_fmac_f64_e32 v[132:133], v[108:109], v[114:115]
	scratch_load_b128 v[106:109], off, off offset:304
	s_wait_loadcnt 0x5
	v_fmac_f64_e32 v[132:133], v[128:129], v[116:117]
	ds_load_2addr_b64 v[114:117], v2 offset0:75 offset1:76
	ds_load_2addr_b64 v[118:121], v2 offset0:77 offset1:78
	s_wait_dscnt 0x1
	v_fmac_f64_e32 v[132:133], v[130:131], v[114:115]
	s_wait_loadcnt 0x4
	s_delay_alu instid0(VALU_DEP_1)
	v_fmac_f64_e32 v[132:133], v[98:99], v[116:117]
	scratch_load_b128 v[114:117], off, off offset:320
	s_wait_dscnt 0x0
	v_fmac_f64_e32 v[132:133], v[100:101], v[118:119]
	scratch_load_b128 v[98:101], off, off offset:336
	s_wait_loadcnt 0x5
	v_fmac_f64_e32 v[132:133], v[124:125], v[120:121]
	ds_load_2addr_b64 v[118:121], v2 offset0:79 offset1:80
	ds_load_2addr_b64 v[122:125], v2 offset0:81 offset1:82
	s_wait_dscnt 0x1
	v_fmac_f64_e32 v[132:133], v[126:127], v[118:119]
	s_wait_loadcnt 0x4
	s_delay_alu instid0(VALU_DEP_1) | instskip(SKIP_4) | instid1(VALU_DEP_1)
	v_fmac_f64_e32 v[132:133], v[102:103], v[120:121]
	scratch_load_b128 v[118:121], off, off offset:352
	s_wait_dscnt 0x0
	v_fmac_f64_e32 v[132:133], v[104:105], v[122:123]
	s_wait_loadcnt 0x4
	v_fmac_f64_e32 v[132:133], v[110:111], v[124:125]
	ds_load_2addr_b64 v[102:105], v2 offset0:83 offset1:84
	ds_load_2addr_b64 v[122:125], v2 offset0:85 offset1:86
	s_wait_dscnt 0x1
	v_fmac_f64_e32 v[132:133], v[112:113], v[102:103]
	s_wait_loadcnt 0x3
	s_delay_alu instid0(VALU_DEP_1) | instskip(SKIP_1) | instid1(VALU_DEP_1)
	v_fmac_f64_e32 v[132:133], v[106:107], v[104:105]
	s_wait_dscnt 0x0
	v_fmac_f64_e32 v[132:133], v[108:109], v[122:123]
	ds_load_2addr_b64 v[102:105], v2 offset0:87 offset1:88
	ds_load_2addr_b64 v[106:109], v2 offset0:89 offset1:90
	s_wait_loadcnt 0x2
	v_fmac_f64_e32 v[132:133], v[114:115], v[124:125]
	s_wait_dscnt 0x1
	s_delay_alu instid0(VALU_DEP_1) | instskip(SKIP_1) | instid1(VALU_DEP_1)
	v_fmac_f64_e32 v[132:133], v[116:117], v[102:103]
	s_wait_loadcnt 0x1
	v_fmac_f64_e32 v[132:133], v[98:99], v[104:105]
	ds_load_b64 v[98:99], v2 offset:728
	s_wait_dscnt 0x1
	v_fmac_f64_e32 v[132:133], v[100:101], v[106:107]
	s_wait_loadcnt 0x0
	s_delay_alu instid0(VALU_DEP_1) | instskip(SKIP_1) | instid1(VALU_DEP_1)
	v_fmac_f64_e32 v[132:133], v[118:119], v[108:109]
	s_wait_dscnt 0x0
	v_fmac_f64_e32 v[132:133], v[120:121], v[98:99]
	s_delay_alu instid0(VALU_DEP_1)
	v_add_f64_e64 v[96:97], v[96:97], -v[132:133]
	scratch_store_b64 off, v[96:97], off offset:32
	s_wait_xcnt 0x0
	v_cmpx_lt_u32_e32 3, v0
	s_cbranch_execz .LBB109_279
; %bb.278:
	scratch_load_b64 v[96:97], off, off offset:24
	v_mov_b64_e32 v[98:99], 0
	scratch_store_b64 off, v[98:99], off offset:24
	s_wait_loadcnt 0x0
	ds_store_b64 v1, v[96:97]
.LBB109_279:
	s_wait_xcnt 0x0
	s_or_b32 exec_lo, exec_lo, s0
	s_wait_storecnt_dscnt 0x0
	s_barrier_signal -1
	s_barrier_wait -1
	s_clause 0x5
	scratch_load_b128 v[96:99], off, off offset:24
	scratch_load_b128 v[100:103], off, off offset:40
	;; [unrolled: 1-line block ×6, first 2 shown]
	ds_load_b128 v[120:123], v2 offset:400
	ds_load_b128 v[124:127], v2 offset:416
	scratch_load_b128 v[128:131], off, off offset:120
	s_mov_b32 s0, exec_lo
	s_wait_loadcnt_dscnt 0x601
	v_fma_f64 v[132:133], v[98:99], v[120:121], 0
	s_wait_loadcnt 0x5
	s_delay_alu instid0(VALU_DEP_1) | instskip(SKIP_4) | instid1(VALU_DEP_1)
	v_fmac_f64_e32 v[132:133], v[100:101], v[122:123]
	scratch_load_b128 v[98:101], off, off offset:136
	s_wait_dscnt 0x0
	v_fmac_f64_e32 v[132:133], v[102:103], v[124:125]
	s_wait_loadcnt 0x5
	v_fmac_f64_e32 v[132:133], v[104:105], v[126:127]
	ds_load_b128 v[102:105], v2 offset:432
	ds_load_b128 v[120:123], v2 offset:448
	scratch_load_b128 v[124:127], off, off offset:152
	s_wait_dscnt 0x1
	v_fmac_f64_e32 v[132:133], v[106:107], v[102:103]
	s_wait_loadcnt 0x5
	s_delay_alu instid0(VALU_DEP_1) | instskip(SKIP_4) | instid1(VALU_DEP_1)
	v_fmac_f64_e32 v[132:133], v[108:109], v[104:105]
	scratch_load_b128 v[102:105], off, off offset:168
	s_wait_dscnt 0x0
	v_fmac_f64_e32 v[132:133], v[110:111], v[120:121]
	s_wait_loadcnt 0x5
	v_fmac_f64_e32 v[132:133], v[112:113], v[122:123]
	ds_load_b128 v[106:109], v2 offset:464
	ds_load_b128 v[110:113], v2 offset:480
	scratch_load_b128 v[120:123], off, off offset:184
	s_wait_dscnt 0x1
	v_fmac_f64_e32 v[132:133], v[114:115], v[106:107]
	s_wait_loadcnt 0x5
	s_delay_alu instid0(VALU_DEP_1) | instskip(SKIP_4) | instid1(VALU_DEP_1)
	v_fmac_f64_e32 v[132:133], v[116:117], v[108:109]
	scratch_load_b128 v[106:109], off, off offset:200
	s_wait_dscnt 0x0
	v_fmac_f64_e32 v[132:133], v[118:119], v[110:111]
	s_wait_loadcnt 0x5
	v_fmac_f64_e32 v[132:133], v[128:129], v[112:113]
	ds_load_b128 v[110:113], v2 offset:496
	ds_load_b128 v[114:117], v2 offset:512
	s_wait_dscnt 0x1
	v_fmac_f64_e32 v[132:133], v[130:131], v[110:111]
	scratch_load_b128 v[128:131], off, off offset:216
	s_wait_loadcnt 0x5
	v_fmac_f64_e32 v[132:133], v[98:99], v[112:113]
	s_wait_dscnt 0x0
	s_delay_alu instid0(VALU_DEP_1)
	v_fmac_f64_e32 v[132:133], v[100:101], v[114:115]
	scratch_load_b128 v[98:101], off, off offset:232
	s_wait_loadcnt 0x5
	v_fmac_f64_e32 v[132:133], v[124:125], v[116:117]
	ds_load_b128 v[110:113], v2 offset:528
	ds_load_b128 v[114:117], v2 offset:544
	s_wait_dscnt 0x1
	v_fmac_f64_e32 v[132:133], v[126:127], v[110:111]
	scratch_load_b128 v[124:127], off, off offset:248
	s_wait_loadcnt 0x5
	v_fmac_f64_e32 v[132:133], v[102:103], v[112:113]
	s_wait_dscnt 0x0
	s_delay_alu instid0(VALU_DEP_1)
	v_fmac_f64_e32 v[132:133], v[104:105], v[114:115]
	scratch_load_b128 v[102:105], off, off offset:264
	s_wait_loadcnt 0x5
	v_fmac_f64_e32 v[132:133], v[120:121], v[116:117]
	ds_load_b128 v[110:113], v2 offset:560
	ds_load_b128 v[114:117], v2 offset:576
	scratch_load_b128 v[118:121], off, off offset:280
	s_wait_dscnt 0x1
	v_fmac_f64_e32 v[132:133], v[122:123], v[110:111]
	s_wait_loadcnt 0x5
	s_delay_alu instid0(VALU_DEP_1) | instskip(SKIP_1) | instid1(VALU_DEP_1)
	v_fmac_f64_e32 v[132:133], v[106:107], v[112:113]
	s_wait_dscnt 0x0
	v_fmac_f64_e32 v[132:133], v[108:109], v[114:115]
	scratch_load_b128 v[106:109], off, off offset:296
	s_wait_loadcnt 0x5
	v_fmac_f64_e32 v[132:133], v[128:129], v[116:117]
	ds_load_b128 v[110:113], v2 offset:592
	ds_load_b128 v[114:117], v2 offset:608
	s_wait_dscnt 0x1
	v_fmac_f64_e32 v[132:133], v[130:131], v[110:111]
	s_wait_loadcnt 0x4
	s_delay_alu instid0(VALU_DEP_1)
	v_fmac_f64_e32 v[132:133], v[98:99], v[112:113]
	scratch_load_b128 v[110:113], off, off offset:312
	s_wait_dscnt 0x0
	v_fmac_f64_e32 v[132:133], v[100:101], v[114:115]
	scratch_load_b128 v[98:101], off, off offset:328
	s_wait_loadcnt 0x5
	v_fmac_f64_e32 v[132:133], v[124:125], v[116:117]
	ds_load_b128 v[114:117], v2 offset:624
	ds_load_b128 v[122:125], v2 offset:640
	s_wait_dscnt 0x1
	v_fmac_f64_e32 v[132:133], v[126:127], v[114:115]
	s_wait_loadcnt 0x4
	s_delay_alu instid0(VALU_DEP_1) | instskip(SKIP_4) | instid1(VALU_DEP_1)
	v_fmac_f64_e32 v[132:133], v[102:103], v[116:117]
	scratch_load_b128 v[114:117], off, off offset:344
	s_wait_dscnt 0x0
	v_fmac_f64_e32 v[132:133], v[104:105], v[122:123]
	s_wait_loadcnt 0x4
	v_fmac_f64_e32 v[132:133], v[118:119], v[124:125]
	scratch_load_b64 v[118:119], off, off offset:360
	ds_load_b128 v[102:105], v2 offset:656
	ds_load_b128 v[122:125], v2 offset:672
	s_wait_dscnt 0x1
	v_fmac_f64_e32 v[132:133], v[120:121], v[102:103]
	s_wait_loadcnt 0x4
	s_delay_alu instid0(VALU_DEP_1) | instskip(SKIP_1) | instid1(VALU_DEP_1)
	v_fmac_f64_e32 v[132:133], v[106:107], v[104:105]
	s_wait_dscnt 0x0
	v_fmac_f64_e32 v[132:133], v[108:109], v[122:123]
	ds_load_b128 v[102:105], v2 offset:688
	ds_load_b128 v[106:109], v2 offset:704
	s_wait_loadcnt 0x3
	v_fmac_f64_e32 v[132:133], v[110:111], v[124:125]
	s_wait_dscnt 0x1
	s_delay_alu instid0(VALU_DEP_1) | instskip(SKIP_1) | instid1(VALU_DEP_1)
	v_fmac_f64_e32 v[132:133], v[112:113], v[102:103]
	s_wait_loadcnt 0x2
	v_fmac_f64_e32 v[132:133], v[98:99], v[104:105]
	s_wait_dscnt 0x0
	s_delay_alu instid0(VALU_DEP_1) | instskip(SKIP_4) | instid1(VALU_DEP_1)
	v_fmac_f64_e32 v[132:133], v[100:101], v[106:107]
	ds_load_b128 v[98:101], v2 offset:720
	s_wait_loadcnt 0x1
	v_fmac_f64_e32 v[132:133], v[114:115], v[108:109]
	s_wait_dscnt 0x0
	v_fmac_f64_e32 v[132:133], v[116:117], v[98:99]
	s_wait_loadcnt 0x0
	s_delay_alu instid0(VALU_DEP_1) | instskip(NEXT) | instid1(VALU_DEP_1)
	v_fmac_f64_e32 v[132:133], v[118:119], v[100:101]
	v_add_f64_e64 v[2:3], v[96:97], -v[132:133]
	scratch_store_b64 off, v[2:3], off offset:24
	s_wait_xcnt 0x0
	v_cmpx_lt_u32_e32 2, v0
	s_cbranch_execz .LBB109_281
; %bb.280:
	scratch_load_b64 v[2:3], off, off offset:16
	v_mov_b64_e32 v[96:97], 0
	scratch_store_b64 off, v[96:97], off offset:16
	s_wait_loadcnt 0x0
	ds_store_b64 v1, v[2:3]
.LBB109_281:
	s_wait_xcnt 0x0
	s_or_b32 exec_lo, exec_lo, s0
	s_wait_storecnt_dscnt 0x0
	s_barrier_signal -1
	s_barrier_wait -1
	s_clause 0x5
	scratch_load_b128 v[96:99], off, off offset:16
	scratch_load_b128 v[100:103], off, off offset:32
	;; [unrolled: 1-line block ×6, first 2 shown]
	v_mov_b32_e32 v2, 0
	ds_load_2addr_b64 v[120:123], v2 offset0:49 offset1:50
	ds_load_2addr_b64 v[124:127], v2 offset0:51 offset1:52
	scratch_load_b128 v[128:131], off, off offset:112
	s_mov_b32 s0, exec_lo
	s_wait_loadcnt_dscnt 0x601
	v_fma_f64 v[132:133], v[98:99], v[120:121], 0
	s_wait_loadcnt 0x5
	s_delay_alu instid0(VALU_DEP_1) | instskip(SKIP_4) | instid1(VALU_DEP_1)
	v_fmac_f64_e32 v[132:133], v[100:101], v[122:123]
	scratch_load_b128 v[98:101], off, off offset:128
	s_wait_dscnt 0x0
	v_fmac_f64_e32 v[132:133], v[102:103], v[124:125]
	s_wait_loadcnt 0x5
	v_fmac_f64_e32 v[132:133], v[104:105], v[126:127]
	ds_load_2addr_b64 v[102:105], v2 offset0:53 offset1:54
	ds_load_2addr_b64 v[120:123], v2 offset0:55 offset1:56
	scratch_load_b128 v[124:127], off, off offset:144
	s_wait_dscnt 0x1
	v_fmac_f64_e32 v[132:133], v[106:107], v[102:103]
	s_wait_loadcnt 0x5
	s_delay_alu instid0(VALU_DEP_1) | instskip(SKIP_4) | instid1(VALU_DEP_1)
	v_fmac_f64_e32 v[132:133], v[108:109], v[104:105]
	scratch_load_b128 v[102:105], off, off offset:160
	s_wait_dscnt 0x0
	v_fmac_f64_e32 v[132:133], v[110:111], v[120:121]
	s_wait_loadcnt 0x5
	v_fmac_f64_e32 v[132:133], v[112:113], v[122:123]
	ds_load_2addr_b64 v[106:109], v2 offset0:57 offset1:58
	ds_load_2addr_b64 v[110:113], v2 offset0:59 offset1:60
	scratch_load_b128 v[120:123], off, off offset:176
	s_wait_dscnt 0x1
	v_fmac_f64_e32 v[132:133], v[114:115], v[106:107]
	s_wait_loadcnt 0x5
	s_delay_alu instid0(VALU_DEP_1) | instskip(SKIP_4) | instid1(VALU_DEP_1)
	v_fmac_f64_e32 v[132:133], v[116:117], v[108:109]
	scratch_load_b128 v[106:109], off, off offset:192
	s_wait_dscnt 0x0
	v_fmac_f64_e32 v[132:133], v[118:119], v[110:111]
	s_wait_loadcnt 0x5
	v_fmac_f64_e32 v[132:133], v[128:129], v[112:113]
	ds_load_2addr_b64 v[110:113], v2 offset0:61 offset1:62
	ds_load_2addr_b64 v[114:117], v2 offset0:63 offset1:64
	s_wait_dscnt 0x1
	v_fmac_f64_e32 v[132:133], v[130:131], v[110:111]
	scratch_load_b128 v[128:131], off, off offset:208
	s_wait_loadcnt 0x5
	v_fmac_f64_e32 v[132:133], v[98:99], v[112:113]
	s_wait_dscnt 0x0
	s_delay_alu instid0(VALU_DEP_1)
	v_fmac_f64_e32 v[132:133], v[100:101], v[114:115]
	scratch_load_b128 v[98:101], off, off offset:224
	s_wait_loadcnt 0x5
	v_fmac_f64_e32 v[132:133], v[124:125], v[116:117]
	ds_load_2addr_b64 v[110:113], v2 offset0:65 offset1:66
	ds_load_2addr_b64 v[114:117], v2 offset0:67 offset1:68
	s_wait_dscnt 0x1
	v_fmac_f64_e32 v[132:133], v[126:127], v[110:111]
	scratch_load_b128 v[124:127], off, off offset:240
	s_wait_loadcnt 0x5
	v_fmac_f64_e32 v[132:133], v[102:103], v[112:113]
	s_wait_dscnt 0x0
	s_delay_alu instid0(VALU_DEP_1)
	v_fmac_f64_e32 v[132:133], v[104:105], v[114:115]
	scratch_load_b128 v[102:105], off, off offset:256
	s_wait_loadcnt 0x5
	v_fmac_f64_e32 v[132:133], v[120:121], v[116:117]
	ds_load_2addr_b64 v[110:113], v2 offset0:69 offset1:70
	ds_load_2addr_b64 v[114:117], v2 offset0:71 offset1:72
	scratch_load_b128 v[118:121], off, off offset:272
	s_wait_dscnt 0x1
	v_fmac_f64_e32 v[132:133], v[122:123], v[110:111]
	s_wait_loadcnt 0x5
	s_delay_alu instid0(VALU_DEP_1) | instskip(SKIP_1) | instid1(VALU_DEP_1)
	v_fmac_f64_e32 v[132:133], v[106:107], v[112:113]
	s_wait_dscnt 0x0
	v_fmac_f64_e32 v[132:133], v[108:109], v[114:115]
	scratch_load_b128 v[106:109], off, off offset:288
	s_wait_loadcnt 0x5
	v_fmac_f64_e32 v[132:133], v[128:129], v[116:117]
	ds_load_2addr_b64 v[110:113], v2 offset0:73 offset1:74
	ds_load_2addr_b64 v[114:117], v2 offset0:75 offset1:76
	s_wait_dscnt 0x1
	v_fmac_f64_e32 v[132:133], v[130:131], v[110:111]
	s_wait_loadcnt 0x4
	s_delay_alu instid0(VALU_DEP_1)
	v_fmac_f64_e32 v[132:133], v[98:99], v[112:113]
	scratch_load_b128 v[110:113], off, off offset:304
	s_wait_dscnt 0x0
	v_fmac_f64_e32 v[132:133], v[100:101], v[114:115]
	scratch_load_b128 v[98:101], off, off offset:320
	s_wait_loadcnt 0x5
	v_fmac_f64_e32 v[132:133], v[124:125], v[116:117]
	ds_load_2addr_b64 v[114:117], v2 offset0:77 offset1:78
	ds_load_2addr_b64 v[122:125], v2 offset0:79 offset1:80
	s_wait_dscnt 0x1
	v_fmac_f64_e32 v[132:133], v[126:127], v[114:115]
	s_wait_loadcnt 0x4
	s_delay_alu instid0(VALU_DEP_1)
	v_fmac_f64_e32 v[132:133], v[102:103], v[116:117]
	scratch_load_b128 v[114:117], off, off offset:336
	s_wait_dscnt 0x0
	v_fmac_f64_e32 v[132:133], v[104:105], v[122:123]
	scratch_load_b128 v[102:105], off, off offset:352
	s_wait_loadcnt 0x5
	v_fmac_f64_e32 v[132:133], v[118:119], v[124:125]
	ds_load_2addr_b64 v[122:125], v2 offset0:81 offset1:82
	ds_load_2addr_b64 v[126:129], v2 offset0:83 offset1:84
	s_wait_dscnt 0x1
	v_fmac_f64_e32 v[132:133], v[120:121], v[122:123]
	s_wait_loadcnt 0x4
	s_delay_alu instid0(VALU_DEP_1) | instskip(SKIP_1) | instid1(VALU_DEP_1)
	v_fmac_f64_e32 v[132:133], v[106:107], v[124:125]
	s_wait_dscnt 0x0
	v_fmac_f64_e32 v[132:133], v[108:109], v[126:127]
	ds_load_2addr_b64 v[106:109], v2 offset0:85 offset1:86
	ds_load_2addr_b64 v[118:121], v2 offset0:87 offset1:88
	s_wait_loadcnt 0x3
	v_fmac_f64_e32 v[132:133], v[110:111], v[128:129]
	s_wait_dscnt 0x1
	s_delay_alu instid0(VALU_DEP_1) | instskip(SKIP_1) | instid1(VALU_DEP_1)
	v_fmac_f64_e32 v[132:133], v[112:113], v[106:107]
	s_wait_loadcnt 0x2
	v_fmac_f64_e32 v[132:133], v[98:99], v[108:109]
	s_wait_dscnt 0x0
	s_delay_alu instid0(VALU_DEP_1)
	v_fmac_f64_e32 v[132:133], v[100:101], v[118:119]
	ds_load_2addr_b64 v[98:101], v2 offset0:89 offset1:90
	ds_load_b64 v[106:107], v2 offset:728
	s_wait_loadcnt 0x1
	v_fmac_f64_e32 v[132:133], v[114:115], v[120:121]
	s_wait_dscnt 0x1
	s_delay_alu instid0(VALU_DEP_1) | instskip(SKIP_1) | instid1(VALU_DEP_1)
	v_fmac_f64_e32 v[132:133], v[116:117], v[98:99]
	s_wait_loadcnt 0x0
	v_fmac_f64_e32 v[132:133], v[102:103], v[100:101]
	s_wait_dscnt 0x0
	s_delay_alu instid0(VALU_DEP_1) | instskip(NEXT) | instid1(VALU_DEP_1)
	v_fmac_f64_e32 v[132:133], v[104:105], v[106:107]
	v_add_f64_e64 v[96:97], v[96:97], -v[132:133]
	scratch_store_b64 off, v[96:97], off offset:16
	s_wait_xcnt 0x0
	v_cmpx_lt_u32_e32 1, v0
	s_cbranch_execz .LBB109_283
; %bb.282:
	scratch_load_b64 v[96:97], off, off offset:8
	v_mov_b64_e32 v[98:99], 0
	scratch_store_b64 off, v[98:99], off offset:8
	s_wait_loadcnt 0x0
	ds_store_b64 v1, v[96:97]
.LBB109_283:
	s_wait_xcnt 0x0
	s_or_b32 exec_lo, exec_lo, s0
	s_wait_storecnt_dscnt 0x0
	s_barrier_signal -1
	s_barrier_wait -1
	s_clause 0x4
	scratch_load_b128 v[96:99], off, off offset:8
	scratch_load_b128 v[100:103], off, off offset:24
	;; [unrolled: 1-line block ×5, first 2 shown]
	ds_load_b128 v[116:119], v2 offset:384
	ds_load_b128 v[120:123], v2 offset:400
	scratch_load_b128 v[124:127], off, off offset:88
	v_dual_ashrrev_i32 v9, 31, v8 :: v_dual_ashrrev_i32 v11, 31, v10
	v_dual_ashrrev_i32 v13, 31, v12 :: v_dual_ashrrev_i32 v15, 31, v14
	;; [unrolled: 1-line block ×21, first 2 shown]
	v_ashrrev_i32_e32 v93, 31, v92
	s_mov_b32 s0, exec_lo
	v_ashrrev_i32_e32 v43, 31, v42
	s_wait_loadcnt_dscnt 0x501
	v_fma_f64 v[128:129], v[98:99], v[116:117], 0
	s_wait_loadcnt 0x4
	s_delay_alu instid0(VALU_DEP_1) | instskip(SKIP_4) | instid1(VALU_DEP_1)
	v_fmac_f64_e32 v[128:129], v[100:101], v[118:119]
	scratch_load_b128 v[98:101], off, off offset:104
	s_wait_dscnt 0x0
	v_fmac_f64_e32 v[128:129], v[102:103], v[120:121]
	s_wait_loadcnt 0x4
	v_fmac_f64_e32 v[128:129], v[104:105], v[122:123]
	ds_load_b128 v[102:105], v2 offset:416
	ds_load_b128 v[116:119], v2 offset:432
	scratch_load_b128 v[120:123], off, off offset:120
	s_wait_dscnt 0x1
	v_fmac_f64_e32 v[128:129], v[106:107], v[102:103]
	s_wait_loadcnt 0x4
	s_delay_alu instid0(VALU_DEP_1) | instskip(SKIP_4) | instid1(VALU_DEP_1)
	v_fmac_f64_e32 v[128:129], v[108:109], v[104:105]
	scratch_load_b128 v[102:105], off, off offset:136
	s_wait_dscnt 0x0
	v_fmac_f64_e32 v[128:129], v[110:111], v[116:117]
	s_wait_loadcnt 0x4
	v_fmac_f64_e32 v[128:129], v[112:113], v[118:119]
	ds_load_b128 v[106:109], v2 offset:448
	ds_load_b128 v[110:113], v2 offset:464
	s_wait_dscnt 0x1
	v_fmac_f64_e32 v[128:129], v[114:115], v[106:107]
	scratch_load_b128 v[114:117], off, off offset:152
	s_wait_loadcnt 0x4
	v_fmac_f64_e32 v[128:129], v[124:125], v[108:109]
	scratch_load_b128 v[106:109], off, off offset:168
	s_wait_dscnt 0x0
	v_fmac_f64_e32 v[128:129], v[126:127], v[110:111]
	s_wait_loadcnt 0x4
	s_delay_alu instid0(VALU_DEP_1)
	v_fmac_f64_e32 v[128:129], v[98:99], v[112:113]
	ds_load_b128 v[110:113], v2 offset:480
	ds_load_b128 v[124:127], v2 offset:496
	s_wait_dscnt 0x1
	v_fmac_f64_e32 v[128:129], v[100:101], v[110:111]
	scratch_load_b128 v[98:101], off, off offset:184
	s_wait_loadcnt 0x4
	v_fmac_f64_e32 v[128:129], v[120:121], v[112:113]
	scratch_load_b128 v[110:113], off, off offset:200
	s_wait_dscnt 0x0
	v_fmac_f64_e32 v[128:129], v[122:123], v[124:125]
	ds_load_b128 v[118:121], v2 offset:512
	ds_load_b128 v[122:125], v2 offset:528
	s_wait_loadcnt 0x4
	v_fmac_f64_e32 v[128:129], v[102:103], v[126:127]
	s_wait_dscnt 0x1
	s_delay_alu instid0(VALU_DEP_1) | instskip(SKIP_4) | instid1(VALU_DEP_1)
	v_fmac_f64_e32 v[128:129], v[104:105], v[118:119]
	scratch_load_b128 v[102:105], off, off offset:216
	s_wait_loadcnt 0x4
	v_fmac_f64_e32 v[128:129], v[114:115], v[120:121]
	s_wait_dscnt 0x0
	v_fmac_f64_e32 v[128:129], v[116:117], v[122:123]
	scratch_load_b128 v[114:117], off, off offset:232
	s_wait_loadcnt 0x4
	v_fmac_f64_e32 v[128:129], v[106:107], v[124:125]
	ds_load_b128 v[118:121], v2 offset:544
	ds_load_b128 v[122:125], v2 offset:560
	s_wait_dscnt 0x1
	v_fmac_f64_e32 v[128:129], v[108:109], v[118:119]
	scratch_load_b128 v[106:109], off, off offset:248
	s_wait_loadcnt 0x4
	v_fmac_f64_e32 v[128:129], v[98:99], v[120:121]
	scratch_load_b128 v[118:121], off, off offset:264
	s_wait_dscnt 0x0
	v_fmac_f64_e32 v[128:129], v[100:101], v[122:123]
	s_wait_loadcnt 0x4
	s_delay_alu instid0(VALU_DEP_1)
	v_fmac_f64_e32 v[128:129], v[110:111], v[124:125]
	ds_load_b128 v[98:101], v2 offset:576
	ds_load_b128 v[122:125], v2 offset:592
	s_wait_dscnt 0x1
	v_fmac_f64_e32 v[128:129], v[112:113], v[98:99]
	scratch_load_b128 v[110:113], off, off offset:280
	s_wait_loadcnt 0x4
	v_fmac_f64_e32 v[128:129], v[102:103], v[100:101]
	scratch_load_b128 v[98:101], off, off offset:296
	s_wait_dscnt 0x0
	v_fmac_f64_e32 v[128:129], v[104:105], v[122:123]
	s_wait_loadcnt 0x4
	s_delay_alu instid0(VALU_DEP_1)
	;; [unrolled: 13-line block ×3, first 2 shown]
	v_fmac_f64_e32 v[128:129], v[118:119], v[124:125]
	ds_load_b128 v[106:109], v2 offset:640
	ds_load_b128 v[122:125], v2 offset:656
	scratch_load_b64 v[126:127], off, off offset:360
	s_wait_dscnt 0x1
	v_fmac_f64_e32 v[128:129], v[120:121], v[106:107]
	scratch_load_b128 v[118:121], off, off offset:344
	s_wait_loadcnt 0x5
	v_fmac_f64_e32 v[128:129], v[110:111], v[108:109]
	s_wait_dscnt 0x0
	s_delay_alu instid0(VALU_DEP_1)
	v_fmac_f64_e32 v[128:129], v[112:113], v[122:123]
	ds_load_b128 v[106:109], v2 offset:672
	ds_load_b128 v[110:113], v2 offset:688
	s_wait_loadcnt 0x4
	v_fmac_f64_e32 v[128:129], v[98:99], v[124:125]
	s_wait_dscnt 0x1
	s_delay_alu instid0(VALU_DEP_1) | instskip(SKIP_1) | instid1(VALU_DEP_1)
	v_fmac_f64_e32 v[128:129], v[100:101], v[106:107]
	s_wait_loadcnt 0x3
	v_fmac_f64_e32 v[128:129], v[114:115], v[108:109]
	ds_load_b128 v[98:101], v2 offset:704
	ds_load_b128 v[106:109], v2 offset:720
	s_wait_dscnt 0x2
	v_fmac_f64_e32 v[128:129], v[116:117], v[110:111]
	s_wait_loadcnt 0x2
	s_delay_alu instid0(VALU_DEP_1) | instskip(SKIP_1) | instid1(VALU_DEP_1)
	v_fmac_f64_e32 v[128:129], v[102:103], v[112:113]
	s_wait_dscnt 0x1
	v_fmac_f64_e32 v[128:129], v[104:105], v[98:99]
	s_wait_loadcnt 0x0
	s_delay_alu instid0(VALU_DEP_1) | instskip(SKIP_1) | instid1(VALU_DEP_1)
	v_fmac_f64_e32 v[128:129], v[118:119], v[100:101]
	s_wait_dscnt 0x0
	v_fmac_f64_e32 v[128:129], v[120:121], v[106:107]
	s_delay_alu instid0(VALU_DEP_1) | instskip(NEXT) | instid1(VALU_DEP_1)
	v_fmac_f64_e32 v[128:129], v[126:127], v[108:109]
	v_add_f64_e64 v[2:3], v[96:97], -v[128:129]
	scratch_store_b64 off, v[2:3], off offset:8
	s_wait_xcnt 0x0
	v_cmpx_ne_u32_e32 0, v0
	s_cbranch_execz .LBB109_285
; %bb.284:
	scratch_load_b64 v[2:3], off, off
	v_mov_b64_e32 v[96:97], 0
	scratch_store_b64 off, v[96:97], off
	s_wait_loadcnt 0x0
	ds_store_b64 v1, v[2:3]
.LBB109_285:
	s_wait_xcnt 0x0
	s_or_b32 exec_lo, exec_lo, s0
	s_wait_storecnt_dscnt 0x0
	s_barrier_signal -1
	s_barrier_wait -1
	s_clause 0x5
	scratch_load_b128 v[100:103], off, off
	scratch_load_b128 v[0:3], off, off offset:16
	scratch_load_b128 v[104:107], off, off offset:32
	;; [unrolled: 1-line block ×5, first 2 shown]
	v_mov_b32_e32 v98, 0
	scratch_load_b128 v[124:127], off, off offset:96
	s_and_b32 vcc_lo, exec_lo, s12
	ds_load_2addr_b64 v[120:123], v98 offset0:47 offset1:48
	s_wait_loadcnt_dscnt 0x600
	v_fma_f64 v[96:97], v[102:103], v[120:121], 0
	s_wait_loadcnt 0x5
	s_delay_alu instid0(VALU_DEP_1)
	v_fmac_f64_e32 v[96:97], v[0:1], v[122:123]
	ds_load_2addr_b64 v[120:123], v98 offset0:49 offset1:50
	s_wait_dscnt 0x0
	v_fmac_f64_e32 v[96:97], v[2:3], v[120:121]
	scratch_load_b128 v[0:3], off, off offset:112
	s_wait_loadcnt 0x5
	v_fmac_f64_e32 v[96:97], v[104:105], v[122:123]
	ds_load_2addr_b64 v[102:105], v98 offset0:51 offset1:52
	scratch_load_b128 v[120:123], off, off offset:128
	s_wait_dscnt 0x0
	v_fmac_f64_e32 v[96:97], v[106:107], v[102:103]
	s_wait_loadcnt 0x5
	s_delay_alu instid0(VALU_DEP_1)
	v_fmac_f64_e32 v[96:97], v[108:109], v[104:105]
	ds_load_2addr_b64 v[102:105], v98 offset0:53 offset1:54
	scratch_load_b128 v[106:109], off, off offset:144
	s_wait_dscnt 0x0
	v_fmac_f64_e32 v[96:97], v[110:111], v[102:103]
	s_wait_loadcnt 0x5
	s_delay_alu instid0(VALU_DEP_1)
	;; [unrolled: 7-line block ×4, first 2 shown]
	v_fmac_f64_e32 v[96:97], v[124:125], v[104:105]
	ds_load_2addr_b64 v[102:105], v98 offset0:59 offset1:60
	s_wait_dscnt 0x0
	v_fmac_f64_e32 v[96:97], v[126:127], v[102:103]
	scratch_load_b128 v[124:127], off, off offset:192
	s_wait_loadcnt 0x5
	v_fmac_f64_e32 v[96:97], v[0:1], v[104:105]
	ds_load_2addr_b64 v[102:105], v98 offset0:61 offset1:62
	s_wait_dscnt 0x0
	v_fmac_f64_e32 v[96:97], v[2:3], v[102:103]
	scratch_load_b128 v[0:3], off, off offset:208
	s_wait_loadcnt 0x5
	v_fmac_f64_e32 v[96:97], v[120:121], v[104:105]
	ds_load_2addr_b64 v[102:105], v98 offset0:63 offset1:64
	scratch_load_b128 v[118:121], off, off offset:224
	s_wait_dscnt 0x0
	v_fmac_f64_e32 v[96:97], v[122:123], v[102:103]
	s_wait_loadcnt 0x5
	s_delay_alu instid0(VALU_DEP_1)
	v_fmac_f64_e32 v[96:97], v[106:107], v[104:105]
	ds_load_2addr_b64 v[102:105], v98 offset0:65 offset1:66
	s_wait_dscnt 0x0
	v_fmac_f64_e32 v[96:97], v[108:109], v[102:103]
	scratch_load_b128 v[106:109], off, off offset:240
	s_wait_loadcnt 0x5
	v_fmac_f64_e32 v[96:97], v[110:111], v[104:105]
	ds_load_2addr_b64 v[102:105], v98 offset0:67 offset1:68
	s_wait_dscnt 0x0
	v_fmac_f64_e32 v[96:97], v[112:113], v[102:103]
	scratch_load_b128 v[110:113], off, off offset:256
	s_wait_loadcnt 0x5
	;; [unrolled: 6-line block ×3, first 2 shown]
	v_fmac_f64_e32 v[96:97], v[124:125], v[104:105]
	ds_load_2addr_b64 v[102:105], v98 offset0:71 offset1:72
	scratch_load_b128 v[122:125], off, off offset:288
	s_wait_dscnt 0x0
	v_fmac_f64_e32 v[96:97], v[126:127], v[102:103]
	scratch_load_b128 v[126:129], off, off offset:304
	s_wait_loadcnt 0x6
	v_fmac_f64_e32 v[96:97], v[0:1], v[104:105]
	ds_load_2addr_b64 v[102:105], v98 offset0:73 offset1:74
	s_wait_dscnt 0x0
	v_fmac_f64_e32 v[96:97], v[2:3], v[102:103]
	ds_load_2addr_b64 v[0:3], v98 offset0:75 offset1:76
	s_wait_loadcnt 0x5
	v_fmac_f64_e32 v[96:97], v[118:119], v[104:105]
	scratch_load_b128 v[102:105], off, off offset:320
	s_wait_dscnt 0x0
	v_fmac_f64_e32 v[96:97], v[120:121], v[0:1]
	ds_load_2addr_b64 v[118:121], v98 offset0:79 offset1:80
	s_wait_loadcnt 0x5
	v_fmac_f64_e32 v[96:97], v[106:107], v[2:3]
	ds_load_2addr_b64 v[0:3], v98 offset0:77 offset1:78
	s_wait_dscnt 0x0
	v_fmac_f64_e32 v[96:97], v[108:109], v[0:1]
	scratch_load_b128 v[106:109], off, off offset:336
	s_wait_loadcnt 0x5
	v_fmac_f64_e32 v[96:97], v[110:111], v[2:3]
	scratch_load_b128 v[0:3], off, off offset:352
	v_fmac_f64_e32 v[96:97], v[112:113], v[118:119]
	ds_load_2addr_b64 v[110:113], v98 offset0:81 offset1:82
	s_wait_loadcnt 0x5
	v_fmac_f64_e32 v[96:97], v[114:115], v[120:121]
	s_wait_dscnt 0x0
	s_delay_alu instid0(VALU_DEP_1) | instskip(SKIP_1) | instid1(VALU_DEP_1)
	v_fmac_f64_e32 v[96:97], v[116:117], v[110:111]
	s_wait_loadcnt 0x4
	v_fmac_f64_e32 v[96:97], v[122:123], v[112:113]
	ds_load_2addr_b64 v[110:113], v98 offset0:83 offset1:84
	s_wait_dscnt 0x0
	v_fmac_f64_e32 v[96:97], v[124:125], v[110:111]
	s_wait_loadcnt 0x3
	s_delay_alu instid0(VALU_DEP_1) | instskip(SKIP_4) | instid1(VALU_DEP_1)
	v_fmac_f64_e32 v[96:97], v[126:127], v[112:113]
	ds_load_2addr_b64 v[110:113], v98 offset0:85 offset1:86
	s_wait_dscnt 0x0
	v_fmac_f64_e32 v[96:97], v[128:129], v[110:111]
	s_wait_loadcnt 0x2
	v_fmac_f64_e32 v[96:97], v[102:103], v[112:113]
	ds_load_2addr_b64 v[110:113], v98 offset0:87 offset1:88
	s_wait_dscnt 0x0
	v_fmac_f64_e32 v[96:97], v[104:105], v[110:111]
	ds_load_2addr_b64 v[102:105], v98 offset0:89 offset1:90
	s_wait_loadcnt 0x1
	v_fmac_f64_e32 v[96:97], v[106:107], v[112:113]
	s_wait_dscnt 0x0
	s_delay_alu instid0(VALU_DEP_1) | instskip(SKIP_4) | instid1(VALU_DEP_1)
	v_fmac_f64_e32 v[96:97], v[108:109], v[102:103]
	ds_load_b64 v[102:103], v98 offset:728
	s_wait_loadcnt 0x0
	v_fmac_f64_e32 v[96:97], v[0:1], v[104:105]
	s_wait_dscnt 0x0
	v_fmac_f64_e32 v[96:97], v[2:3], v[102:103]
	s_delay_alu instid0(VALU_DEP_1)
	v_add_f64_e64 v[96:97], v[100:101], -v[96:97]
	scratch_store_b64 off, v[96:97], off
	s_cbranch_vccz .LBB109_376
; %bb.286:
	global_load_b32 v2, v98, s[8:9] offset:176
	s_wait_loadcnt 0x0
	v_cmp_ne_u32_e32 vcc_lo, 45, v2
	s_cbranch_vccz .LBB109_288
; %bb.287:
	v_lshlrev_b32_e32 v2, 3, v2
	s_wait_xcnt 0x1
	s_delay_alu instid0(VALU_DEP_1)
	v_mov_b32_e32 v96, v2
	scratch_load_b64 v[2:3], v96, off offset:-8
	s_wait_loadcnt 0x0
	scratch_store_b64 off, v[2:3], off offset:352
	scratch_store_b64 v96, v[0:1], off offset:-8
.LBB109_288:
	s_wait_xcnt 0x0
	v_mov_b32_e32 v0, 0
	global_load_b32 v1, v0, s[8:9] offset:172
	s_wait_loadcnt 0x0
	v_cmp_eq_u32_e32 vcc_lo, 44, v1
	s_cbranch_vccnz .LBB109_290
; %bb.289:
	v_lshlrev_b32_e32 v1, 3, v1
	scratch_load_b64 v[2:3], v1, off offset:-8
	scratch_load_b64 v[96:97], off, off offset:344
	s_wait_loadcnt 0x1
	scratch_store_b64 off, v[2:3], off offset:344
	s_wait_loadcnt 0x0
	scratch_store_b64 v1, v[96:97], off offset:-8
.LBB109_290:
	global_load_b32 v0, v0, s[8:9] offset:168
	s_wait_loadcnt 0x0
	v_cmp_eq_u32_e32 vcc_lo, 43, v0
	s_cbranch_vccnz .LBB109_292
; %bb.291:
	s_wait_xcnt 0x0
	v_lshlrev_b32_e32 v0, 3, v0
	s_delay_alu instid0(VALU_DEP_1)
	v_mov_b32_e32 v96, v0
	scratch_load_b64 v[0:1], v96, off offset:-8
	scratch_load_b64 v[2:3], off, off offset:336
	s_wait_loadcnt 0x1
	scratch_store_b64 off, v[0:1], off offset:336
	s_wait_loadcnt 0x0
	scratch_store_b64 v96, v[2:3], off offset:-8
.LBB109_292:
	s_wait_xcnt 0x0
	v_mov_b32_e32 v0, 0
	global_load_b32 v1, v0, s[8:9] offset:164
	s_wait_loadcnt 0x0
	v_cmp_eq_u32_e32 vcc_lo, 42, v1
	s_cbranch_vccnz .LBB109_294
; %bb.293:
	v_lshlrev_b32_e32 v1, 3, v1
	scratch_load_b64 v[2:3], v1, off offset:-8
	scratch_load_b64 v[96:97], off, off offset:328
	s_wait_loadcnt 0x1
	scratch_store_b64 off, v[2:3], off offset:328
	s_wait_loadcnt 0x0
	scratch_store_b64 v1, v[96:97], off offset:-8
.LBB109_294:
	global_load_b32 v0, v0, s[8:9] offset:160
	s_wait_loadcnt 0x0
	v_cmp_eq_u32_e32 vcc_lo, 41, v0
	s_cbranch_vccnz .LBB109_296
; %bb.295:
	s_wait_xcnt 0x0
	v_lshlrev_b32_e32 v0, 3, v0
	s_delay_alu instid0(VALU_DEP_1)
	v_mov_b32_e32 v96, v0
	scratch_load_b64 v[0:1], v96, off offset:-8
	scratch_load_b64 v[2:3], off, off offset:320
	s_wait_loadcnt 0x1
	scratch_store_b64 off, v[0:1], off offset:320
	s_wait_loadcnt 0x0
	scratch_store_b64 v96, v[2:3], off offset:-8
.LBB109_296:
	;; [unrolled: 31-line block ×21, first 2 shown]
	s_wait_xcnt 0x0
	v_mov_b32_e32 v0, 0
	global_load_b32 v1, v0, s[8:9] offset:4
	s_wait_loadcnt 0x0
	v_cmp_eq_u32_e32 vcc_lo, 2, v1
	s_cbranch_vccnz .LBB109_374
; %bb.373:
	v_lshlrev_b32_e32 v1, 3, v1
	scratch_load_b64 v[2:3], v1, off offset:-8
	scratch_load_b64 v[96:97], off, off offset:8
	s_wait_loadcnt 0x1
	scratch_store_b64 off, v[2:3], off offset:8
	s_wait_loadcnt 0x0
	scratch_store_b64 v1, v[96:97], off offset:-8
.LBB109_374:
	global_load_b32 v0, v0, s[8:9]
	scratch_load_b64 v[96:97], off, off
	s_wait_loadcnt 0x1
	v_cmp_eq_u32_e32 vcc_lo, 1, v0
	s_cbranch_vccnz .LBB109_376
; %bb.375:
	s_wait_xcnt 0x1
	v_lshlrev_b32_e32 v0, 3, v0
	s_delay_alu instid0(VALU_DEP_1)
	v_mov_b32_e32 v2, v0
	scratch_load_b64 v[0:1], v2, off offset:-8
	s_wait_loadcnt 0x0
	scratch_store_b64 off, v[0:1], off
	scratch_store_b64 v2, v[96:97], off offset:-8
	scratch_load_b64 v[96:97], off, off
.LBB109_376:
	s_wait_loadcnt 0x0
	flat_store_b64 v[4:5], v[96:97]
	scratch_load_b64 v[4:5], off, off offset:8
	v_lshl_add_u64 v[138:139], v[8:9], 3, s[2:3]
	v_lshl_add_u64 v[136:137], v[10:11], 3, s[2:3]
	;; [unrolled: 1-line block ×44, first 2 shown]
	s_wait_loadcnt 0x0
	flat_store_b64 v[6:7], v[4:5]
	scratch_load_b64 v[4:5], off, off offset:16
	s_wait_loadcnt 0x0
	flat_store_b64 v[138:139], v[4:5]
	scratch_load_b64 v[4:5], off, off offset:24
	;; [unrolled: 3-line block ×44, first 2 shown]
	s_wait_loadcnt 0x0
	flat_store_b64 v[0:1], v[2:3]
	s_sendmsg sendmsg(MSG_DEALLOC_VGPRS)
	s_endpgm
	.section	.rodata,"a",@progbits
	.p2align	6, 0x0
	.amdhsa_kernel _ZN9rocsolver6v33100L18getri_kernel_smallILi46EdPKPdEEvT1_iilPiilS6_bb
		.amdhsa_group_segment_fixed_size 744
		.amdhsa_private_segment_fixed_size 384
		.amdhsa_kernarg_size 60
		.amdhsa_user_sgpr_count 2
		.amdhsa_user_sgpr_dispatch_ptr 0
		.amdhsa_user_sgpr_queue_ptr 0
		.amdhsa_user_sgpr_kernarg_segment_ptr 1
		.amdhsa_user_sgpr_dispatch_id 0
		.amdhsa_user_sgpr_kernarg_preload_length 0
		.amdhsa_user_sgpr_kernarg_preload_offset 0
		.amdhsa_user_sgpr_private_segment_size 0
		.amdhsa_wavefront_size32 1
		.amdhsa_uses_dynamic_stack 0
		.amdhsa_enable_private_segment 1
		.amdhsa_system_sgpr_workgroup_id_x 1
		.amdhsa_system_sgpr_workgroup_id_y 0
		.amdhsa_system_sgpr_workgroup_id_z 0
		.amdhsa_system_sgpr_workgroup_info 0
		.amdhsa_system_vgpr_workitem_id 0
		.amdhsa_next_free_vgpr 140
		.amdhsa_next_free_sgpr 19
		.amdhsa_named_barrier_count 0
		.amdhsa_reserve_vcc 1
		.amdhsa_float_round_mode_32 0
		.amdhsa_float_round_mode_16_64 0
		.amdhsa_float_denorm_mode_32 3
		.amdhsa_float_denorm_mode_16_64 3
		.amdhsa_fp16_overflow 0
		.amdhsa_memory_ordered 1
		.amdhsa_forward_progress 1
		.amdhsa_inst_pref_size 255
		.amdhsa_round_robin_scheduling 0
		.amdhsa_exception_fp_ieee_invalid_op 0
		.amdhsa_exception_fp_denorm_src 0
		.amdhsa_exception_fp_ieee_div_zero 0
		.amdhsa_exception_fp_ieee_overflow 0
		.amdhsa_exception_fp_ieee_underflow 0
		.amdhsa_exception_fp_ieee_inexact 0
		.amdhsa_exception_int_div_zero 0
	.end_amdhsa_kernel
	.section	.text._ZN9rocsolver6v33100L18getri_kernel_smallILi46EdPKPdEEvT1_iilPiilS6_bb,"axG",@progbits,_ZN9rocsolver6v33100L18getri_kernel_smallILi46EdPKPdEEvT1_iilPiilS6_bb,comdat
.Lfunc_end109:
	.size	_ZN9rocsolver6v33100L18getri_kernel_smallILi46EdPKPdEEvT1_iilPiilS6_bb, .Lfunc_end109-_ZN9rocsolver6v33100L18getri_kernel_smallILi46EdPKPdEEvT1_iilPiilS6_bb
                                        ; -- End function
	.set _ZN9rocsolver6v33100L18getri_kernel_smallILi46EdPKPdEEvT1_iilPiilS6_bb.num_vgpr, 140
	.set _ZN9rocsolver6v33100L18getri_kernel_smallILi46EdPKPdEEvT1_iilPiilS6_bb.num_agpr, 0
	.set _ZN9rocsolver6v33100L18getri_kernel_smallILi46EdPKPdEEvT1_iilPiilS6_bb.numbered_sgpr, 19
	.set _ZN9rocsolver6v33100L18getri_kernel_smallILi46EdPKPdEEvT1_iilPiilS6_bb.num_named_barrier, 0
	.set _ZN9rocsolver6v33100L18getri_kernel_smallILi46EdPKPdEEvT1_iilPiilS6_bb.private_seg_size, 384
	.set _ZN9rocsolver6v33100L18getri_kernel_smallILi46EdPKPdEEvT1_iilPiilS6_bb.uses_vcc, 1
	.set _ZN9rocsolver6v33100L18getri_kernel_smallILi46EdPKPdEEvT1_iilPiilS6_bb.uses_flat_scratch, 1
	.set _ZN9rocsolver6v33100L18getri_kernel_smallILi46EdPKPdEEvT1_iilPiilS6_bb.has_dyn_sized_stack, 0
	.set _ZN9rocsolver6v33100L18getri_kernel_smallILi46EdPKPdEEvT1_iilPiilS6_bb.has_recursion, 0
	.set _ZN9rocsolver6v33100L18getri_kernel_smallILi46EdPKPdEEvT1_iilPiilS6_bb.has_indirect_call, 0
	.section	.AMDGPU.csdata,"",@progbits
; Kernel info:
; codeLenInByte = 42724
; TotalNumSgprs: 21
; NumVgprs: 140
; ScratchSize: 384
; MemoryBound: 0
; FloatMode: 240
; IeeeMode: 1
; LDSByteSize: 744 bytes/workgroup (compile time only)
; SGPRBlocks: 0
; VGPRBlocks: 8
; NumSGPRsForWavesPerEU: 21
; NumVGPRsForWavesPerEU: 140
; NamedBarCnt: 0
; Occupancy: 7
; WaveLimiterHint : 1
; COMPUTE_PGM_RSRC2:SCRATCH_EN: 1
; COMPUTE_PGM_RSRC2:USER_SGPR: 2
; COMPUTE_PGM_RSRC2:TRAP_HANDLER: 0
; COMPUTE_PGM_RSRC2:TGID_X_EN: 1
; COMPUTE_PGM_RSRC2:TGID_Y_EN: 0
; COMPUTE_PGM_RSRC2:TGID_Z_EN: 0
; COMPUTE_PGM_RSRC2:TIDIG_COMP_CNT: 0
	.section	.text._ZN9rocsolver6v33100L18getri_kernel_smallILi47EdPKPdEEvT1_iilPiilS6_bb,"axG",@progbits,_ZN9rocsolver6v33100L18getri_kernel_smallILi47EdPKPdEEvT1_iilPiilS6_bb,comdat
	.globl	_ZN9rocsolver6v33100L18getri_kernel_smallILi47EdPKPdEEvT1_iilPiilS6_bb ; -- Begin function _ZN9rocsolver6v33100L18getri_kernel_smallILi47EdPKPdEEvT1_iilPiilS6_bb
	.p2align	8
	.type	_ZN9rocsolver6v33100L18getri_kernel_smallILi47EdPKPdEEvT1_iilPiilS6_bb,@function
_ZN9rocsolver6v33100L18getri_kernel_smallILi47EdPKPdEEvT1_iilPiilS6_bb: ; @_ZN9rocsolver6v33100L18getri_kernel_smallILi47EdPKPdEEvT1_iilPiilS6_bb
; %bb.0:
	s_mov_b32 s2, exec_lo
	v_cmpx_gt_u32_e32 47, v0
	s_cbranch_execz .LBB110_198
; %bb.1:
	s_clause 0x1
	s_load_b32 s13, s[0:1], 0x38
	s_load_b64 s[2:3], s[0:1], 0x0
	s_getreg_b32 s6, hwreg(HW_REG_IB_STS2, 6, 4)
	s_wait_kmcnt 0x0
	s_bitcmp1_b32 s13, 8
	s_cselect_b32 s12, -1, 0
	s_bfe_u32 s4, ttmp6, 0x4000c
	s_and_b32 s5, ttmp6, 15
	s_add_co_i32 s4, s4, 1
	s_delay_alu instid0(SALU_CYCLE_1) | instskip(NEXT) | instid1(SALU_CYCLE_1)
	s_mul_i32 s4, ttmp9, s4
	s_add_co_i32 s5, s5, s4
	s_cmp_eq_u32 s6, 0
	s_cselect_b32 s10, ttmp9, s5
	s_load_b128 s[4:7], s[0:1], 0x28
	s_ashr_i32 s11, s10, 31
	s_delay_alu instid0(SALU_CYCLE_1) | instskip(NEXT) | instid1(SALU_CYCLE_1)
	s_lshl_b64 s[8:9], s[10:11], 3
	s_add_nc_u64 s[2:3], s[2:3], s[8:9]
	s_bfe_u32 s8, s13, 0x10008
	s_load_b64 s[2:3], s[2:3], 0x0
	s_cmp_eq_u32 s8, 0
                                        ; implicit-def: $sgpr8_sgpr9
	s_cbranch_scc1 .LBB110_3
; %bb.2:
	s_load_b96 s[16:18], s[0:1], 0x18
	s_wait_kmcnt 0x0
	s_mul_u64 s[4:5], s[4:5], s[10:11]
	s_delay_alu instid0(SALU_CYCLE_1) | instskip(SKIP_4) | instid1(SALU_CYCLE_1)
	s_lshl_b64 s[4:5], s[4:5], 2
	s_ashr_i32 s9, s18, 31
	s_mov_b32 s8, s18
	s_add_nc_u64 s[4:5], s[16:17], s[4:5]
	s_lshl_b64 s[8:9], s[8:9], 2
	s_add_nc_u64 s[8:9], s[4:5], s[8:9]
.LBB110_3:
	s_wait_kmcnt 0x0
	s_clause 0x1
	s_load_b64 s[4:5], s[0:1], 0x8
	s_load_b32 s13, s[0:1], 0x38
	v_dual_mov_b32 v3, 0 :: v_dual_lshlrev_b32 v2, 3, v0
	s_wait_kmcnt 0x0
	s_ashr_i32 s1, s4, 31
	s_mov_b32 s0, s4
	s_delay_alu instid0(SALU_CYCLE_1) | instskip(NEXT) | instid1(SALU_CYCLE_1)
	s_lshl_b64 s[0:1], s[0:1], 3
	s_add_nc_u64 s[2:3], s[2:3], s[0:1]
	s_ashr_i32 s1, s5, 31
	flat_load_b64 v[8:9], v0, s[2:3] scale_offset
	v_add_nc_u64_e32 v[4:5], s[2:3], v[2:3]
	s_mov_b32 s0, s5
	s_bitcmp0_b32 s13, 0
	s_delay_alu instid0(VALU_DEP_1)
	v_lshl_add_u64 v[6:7], s[0:1], 3, v[4:5]
	s_mov_b32 s1, -1
	s_wait_loadcnt_dscnt 0x0
	scratch_store_b64 off, v[8:9], off
	flat_load_b64 v[10:11], v[6:7]
	s_wait_xcnt 0x1
	v_add3_u32 v8, s5, s5, v0
	s_wait_loadcnt_dscnt 0x0
	scratch_store_b64 off, v[10:11], off offset:8
	flat_load_b64 v[12:13], v8, s[2:3] scale_offset
	s_wait_xcnt 0x1
	v_add_nc_u32_e32 v10, s5, v8
	s_wait_loadcnt_dscnt 0x0
	scratch_store_b64 off, v[12:13], off offset:16
	flat_load_b64 v[14:15], v10, s[2:3] scale_offset
	s_wait_xcnt 0x1
	v_add_nc_u32_e32 v12, s5, v10
	;; [unrolled: 5-line block ×44, first 2 shown]
	s_wait_loadcnt_dscnt 0x0
	scratch_store_b64 off, v[98:99], off offset:360
	flat_load_b64 v[98:99], v96, s[2:3] scale_offset
	s_wait_loadcnt_dscnt 0x0
	scratch_store_b64 off, v[98:99], off offset:368
	s_cbranch_scc1 .LBB110_196
; %bb.4:
	v_cmp_eq_u32_e64 s0, 0, v0
	s_wait_xcnt 0x0
	s_and_saveexec_b32 s1, s0
; %bb.5:
	v_mov_b32_e32 v1, 0
	ds_store_b32 v1, v1 offset:376
; %bb.6:
	s_or_b32 exec_lo, exec_lo, s1
	s_wait_storecnt_dscnt 0x0
	s_barrier_signal -1
	s_barrier_wait -1
	scratch_load_b64 v[98:99], v0, off scale_offset
	s_mov_b32 s4, exec_lo
	s_wait_loadcnt 0x0
	v_cmpx_eq_f64_e32 0, v[98:99]
	s_cbranch_execz .LBB110_10
; %bb.7:
	v_mov_b32_e32 v1, 0
	s_mov_b32 s5, 0
	ds_load_b32 v3, v1 offset:376
	s_wait_dscnt 0x0
	v_readfirstlane_b32 s1, v3
	v_add_nc_u32_e32 v3, 1, v0
	s_cmp_eq_u32 s1, 0
	s_delay_alu instid0(VALU_DEP_1) | instskip(SKIP_1) | instid1(SALU_CYCLE_1)
	v_cmp_gt_i32_e32 vcc_lo, s1, v3
	s_cselect_b32 s13, -1, 0
	s_or_b32 s13, s13, vcc_lo
	s_delay_alu instid0(SALU_CYCLE_1)
	s_and_b32 exec_lo, exec_lo, s13
	s_cbranch_execz .LBB110_10
; %bb.8:
	v_mov_b32_e32 v9, s1
.LBB110_9:                              ; =>This Inner Loop Header: Depth=1
	ds_cmpstore_rtn_b32 v9, v1, v3, v9 offset:376
	s_wait_dscnt 0x0
	v_cmp_ne_u32_e32 vcc_lo, 0, v9
	v_cmp_le_i32_e64 s1, v9, v3
	s_and_b32 s1, vcc_lo, s1
	s_delay_alu instid0(SALU_CYCLE_1) | instskip(NEXT) | instid1(SALU_CYCLE_1)
	s_and_b32 s1, exec_lo, s1
	s_or_b32 s5, s1, s5
	s_delay_alu instid0(SALU_CYCLE_1)
	s_and_not1_b32 exec_lo, exec_lo, s5
	s_cbranch_execnz .LBB110_9
.LBB110_10:
	s_or_b32 exec_lo, exec_lo, s4
	v_mov_b32_e32 v1, 0
	s_barrier_signal -1
	s_barrier_wait -1
	ds_load_b32 v3, v1 offset:376
	s_and_saveexec_b32 s1, s0
	s_cbranch_execz .LBB110_12
; %bb.11:
	s_lshl_b64 s[4:5], s[10:11], 2
	s_delay_alu instid0(SALU_CYCLE_1)
	s_add_nc_u64 s[4:5], s[6:7], s[4:5]
	s_wait_dscnt 0x0
	global_store_b32 v1, v3, s[4:5]
.LBB110_12:
	s_wait_xcnt 0x0
	s_or_b32 exec_lo, exec_lo, s1
	s_wait_dscnt 0x0
	v_cmp_ne_u32_e32 vcc_lo, 0, v3
	s_mov_b32 s1, 0
	s_cbranch_vccnz .LBB110_196
; %bb.13:
	v_lshl_add_u32 v3, v0, 3, 0
	v_add_nc_u32_e32 v1, 0x180, v2
	scratch_load_b64 v[98:99], v3, off
	s_wait_loadcnt 0x0
	v_div_scale_f64 v[100:101], null, v[98:99], v[98:99], 1.0
	v_div_scale_f64 v[106:107], vcc_lo, 1.0, v[98:99], 1.0
	s_delay_alu instid0(VALU_DEP_2) | instskip(SKIP_1) | instid1(TRANS32_DEP_1)
	v_rcp_f64_e32 v[102:103], v[100:101]
	v_nop
	v_fma_f64 v[104:105], -v[100:101], v[102:103], 1.0
	s_delay_alu instid0(VALU_DEP_1) | instskip(NEXT) | instid1(VALU_DEP_1)
	v_fmac_f64_e32 v[102:103], v[102:103], v[104:105]
	v_fma_f64 v[104:105], -v[100:101], v[102:103], 1.0
	s_delay_alu instid0(VALU_DEP_1) | instskip(NEXT) | instid1(VALU_DEP_1)
	v_fmac_f64_e32 v[102:103], v[102:103], v[104:105]
	v_mul_f64_e32 v[104:105], v[106:107], v[102:103]
	s_delay_alu instid0(VALU_DEP_1) | instskip(NEXT) | instid1(VALU_DEP_1)
	v_fma_f64 v[100:101], -v[100:101], v[104:105], v[106:107]
	v_div_fmas_f64 v[100:101], v[100:101], v[102:103], v[104:105]
	s_delay_alu instid0(VALU_DEP_1)
	v_div_fixup_f64 v[98:99], v[100:101], v[98:99], 1.0
	scratch_store_b64 v3, v[98:99], off
	scratch_load_b64 v[100:101], off, off offset:8
	s_wait_xcnt 0x1
	v_xor_b32_e32 v99, 0x80000000, v99
	s_wait_loadcnt 0x0
	ds_store_2addr_b64 v2, v[98:99], v[100:101] offset1:48
	s_wait_storecnt_dscnt 0x0
	s_barrier_signal -1
	s_barrier_wait -1
	s_wait_xcnt 0x0
	s_and_saveexec_b32 s1, s0
	s_cbranch_execz .LBB110_15
; %bb.14:
	scratch_load_b64 v[98:99], v3, off
	ds_load_b64 v[100:101], v1
	s_wait_loadcnt_dscnt 0x0
	v_fma_f64 v[98:99], v[98:99], v[100:101], 0
	v_mov_b32_e32 v9, 0
	ds_load_b64 v[102:103], v9 offset:8
	s_wait_dscnt 0x0
	v_mul_f64_e32 v[98:99], v[98:99], v[102:103]
	scratch_store_b64 off, v[98:99], off offset:8
.LBB110_15:
	s_wait_xcnt 0x0
	s_or_b32 exec_lo, exec_lo, s1
	s_wait_storecnt 0x0
	s_barrier_signal -1
	s_barrier_wait -1
	scratch_load_b64 v[98:99], off, off offset:16
	s_mov_b32 s1, exec_lo
	s_wait_loadcnt 0x0
	ds_store_b64 v1, v[98:99]
	s_wait_dscnt 0x0
	s_barrier_signal -1
	s_barrier_wait -1
	v_cmpx_gt_u32_e32 2, v0
	s_cbranch_execz .LBB110_19
; %bb.16:
	scratch_load_b64 v[98:99], v3, off
	ds_load_b64 v[100:101], v1
	s_wait_loadcnt_dscnt 0x0
	v_fma_f64 v[98:99], v[98:99], v[100:101], 0
	s_and_saveexec_b32 s4, s0
	s_cbranch_execz .LBB110_18
; %bb.17:
	scratch_load_b64 v[100:101], off, off offset:8
	v_mov_b32_e32 v3, 0
	ds_load_b64 v[102:103], v3 offset:392
	s_wait_loadcnt_dscnt 0x0
	v_fmac_f64_e32 v[98:99], v[100:101], v[102:103]
.LBB110_18:
	s_or_b32 exec_lo, exec_lo, s4
	v_mov_b32_e32 v3, 0
	ds_load_b64 v[100:101], v3 offset:16
	s_wait_dscnt 0x0
	v_mul_f64_e32 v[98:99], v[98:99], v[100:101]
	scratch_store_b64 off, v[98:99], off offset:16
.LBB110_19:
	s_wait_xcnt 0x0
	s_or_b32 exec_lo, exec_lo, s1
	s_wait_storecnt 0x0
	s_barrier_signal -1
	s_barrier_wait -1
	scratch_load_b64 v[98:99], off, off offset:24
	v_add_nc_u32_e32 v3, -1, v0
	s_mov_b32 s0, exec_lo
	s_wait_loadcnt 0x0
	ds_store_b64 v1, v[98:99]
	s_wait_dscnt 0x0
	s_barrier_signal -1
	s_barrier_wait -1
	v_cmpx_gt_u32_e32 3, v0
	s_cbranch_execz .LBB110_23
; %bb.20:
	v_mov_b64_e32 v[98:99], 0
	v_dual_add_nc_u32 v9, -1, v0 :: v_dual_mov_b32 v13, v2
	v_add_nc_u32_e32 v11, 0x180, v2
	s_mov_b32 s1, 0
.LBB110_21:                             ; =>This Inner Loop Header: Depth=1
	scratch_load_b64 v[100:101], v13, off
	ds_load_b64 v[102:103], v11
	v_dual_add_nc_u32 v9, 1, v9 :: v_dual_add_nc_u32 v11, 8, v11
	s_wait_xcnt 0x0
	v_add_nc_u32_e32 v13, 8, v13
	s_delay_alu instid0(VALU_DEP_2)
	v_cmp_lt_u32_e32 vcc_lo, 1, v9
	s_or_b32 s1, vcc_lo, s1
	s_wait_loadcnt_dscnt 0x0
	v_fmac_f64_e32 v[98:99], v[100:101], v[102:103]
	s_and_not1_b32 exec_lo, exec_lo, s1
	s_cbranch_execnz .LBB110_21
; %bb.22:
	s_or_b32 exec_lo, exec_lo, s1
	v_mov_b32_e32 v9, 0
	ds_load_b64 v[100:101], v9 offset:24
	s_wait_dscnt 0x0
	v_mul_f64_e32 v[98:99], v[98:99], v[100:101]
	scratch_store_b64 off, v[98:99], off offset:24
.LBB110_23:
	s_wait_xcnt 0x0
	s_or_b32 exec_lo, exec_lo, s0
	s_wait_storecnt 0x0
	s_barrier_signal -1
	s_barrier_wait -1
	scratch_load_b64 v[98:99], off, off offset:32
	s_mov_b32 s0, exec_lo
	s_wait_loadcnt 0x0
	ds_store_b64 v1, v[98:99]
	s_wait_dscnt 0x0
	s_barrier_signal -1
	s_barrier_wait -1
	v_cmpx_gt_u32_e32 4, v0
	s_cbranch_execz .LBB110_27
; %bb.24:
	v_mov_b64_e32 v[98:99], 0
	v_dual_add_nc_u32 v9, -1, v0 :: v_dual_mov_b32 v13, v2
	v_add_nc_u32_e32 v11, 0x180, v2
	s_mov_b32 s1, 0
.LBB110_25:                             ; =>This Inner Loop Header: Depth=1
	scratch_load_b64 v[100:101], v13, off
	ds_load_b64 v[102:103], v11
	v_dual_add_nc_u32 v9, 1, v9 :: v_dual_add_nc_u32 v11, 8, v11
	s_wait_xcnt 0x0
	v_add_nc_u32_e32 v13, 8, v13
	s_delay_alu instid0(VALU_DEP_2)
	v_cmp_lt_u32_e32 vcc_lo, 2, v9
	s_or_b32 s1, vcc_lo, s1
	s_wait_loadcnt_dscnt 0x0
	v_fmac_f64_e32 v[98:99], v[100:101], v[102:103]
	s_and_not1_b32 exec_lo, exec_lo, s1
	s_cbranch_execnz .LBB110_25
; %bb.26:
	s_or_b32 exec_lo, exec_lo, s1
	v_mov_b32_e32 v9, 0
	ds_load_b64 v[100:101], v9 offset:32
	s_wait_dscnt 0x0
	v_mul_f64_e32 v[98:99], v[98:99], v[100:101]
	scratch_store_b64 off, v[98:99], off offset:32
.LBB110_27:
	s_wait_xcnt 0x0
	s_or_b32 exec_lo, exec_lo, s0
	s_wait_storecnt 0x0
	s_barrier_signal -1
	s_barrier_wait -1
	scratch_load_b64 v[98:99], off, off offset:40
	;; [unrolled: 40-line block ×20, first 2 shown]
	s_mov_b32 s0, exec_lo
	s_wait_loadcnt 0x0
	ds_store_b64 v1, v[98:99]
	s_wait_dscnt 0x0
	s_barrier_signal -1
	s_barrier_wait -1
	v_cmpx_gt_u32_e32 23, v0
	s_cbranch_execz .LBB110_103
; %bb.100:
	v_mov_b64_e32 v[98:99], 0
	v_dual_add_nc_u32 v9, -1, v0 :: v_dual_mov_b32 v13, v2
	v_add_nc_u32_e32 v11, 0x180, v2
	s_mov_b32 s1, 0
.LBB110_101:                            ; =>This Inner Loop Header: Depth=1
	scratch_load_b64 v[100:101], v13, off
	ds_load_b64 v[102:103], v11
	v_dual_add_nc_u32 v9, 1, v9 :: v_dual_add_nc_u32 v11, 8, v11
	s_wait_xcnt 0x0
	v_add_nc_u32_e32 v13, 8, v13
	s_delay_alu instid0(VALU_DEP_2)
	v_cmp_lt_u32_e32 vcc_lo, 21, v9
	s_or_b32 s1, vcc_lo, s1
	s_wait_loadcnt_dscnt 0x0
	v_fmac_f64_e32 v[98:99], v[100:101], v[102:103]
	s_and_not1_b32 exec_lo, exec_lo, s1
	s_cbranch_execnz .LBB110_101
; %bb.102:
	s_or_b32 exec_lo, exec_lo, s1
	v_mov_b32_e32 v9, 0
	ds_load_b64 v[100:101], v9 offset:184
	s_wait_dscnt 0x0
	v_mul_f64_e32 v[98:99], v[98:99], v[100:101]
	scratch_store_b64 off, v[98:99], off offset:184
.LBB110_103:
	s_wait_xcnt 0x0
	s_or_b32 exec_lo, exec_lo, s0
	s_wait_storecnt 0x0
	s_barrier_signal -1
	s_barrier_wait -1
	scratch_load_b64 v[98:99], off, off offset:192
	s_mov_b32 s0, exec_lo
	s_wait_loadcnt 0x0
	ds_store_b64 v1, v[98:99]
	s_wait_dscnt 0x0
	s_barrier_signal -1
	s_barrier_wait -1
	v_cmpx_gt_u32_e32 24, v0
	s_cbranch_execz .LBB110_107
; %bb.104:
	v_mov_b64_e32 v[98:99], 0
	v_dual_add_nc_u32 v9, -1, v0 :: v_dual_mov_b32 v13, v2
	v_add_nc_u32_e32 v11, 0x180, v2
	s_mov_b32 s1, 0
.LBB110_105:                            ; =>This Inner Loop Header: Depth=1
	scratch_load_b64 v[100:101], v13, off
	ds_load_b64 v[102:103], v11
	v_dual_add_nc_u32 v9, 1, v9 :: v_dual_add_nc_u32 v11, 8, v11
	s_wait_xcnt 0x0
	v_add_nc_u32_e32 v13, 8, v13
	s_delay_alu instid0(VALU_DEP_2)
	v_cmp_lt_u32_e32 vcc_lo, 22, v9
	s_or_b32 s1, vcc_lo, s1
	s_wait_loadcnt_dscnt 0x0
	v_fmac_f64_e32 v[98:99], v[100:101], v[102:103]
	s_and_not1_b32 exec_lo, exec_lo, s1
	s_cbranch_execnz .LBB110_105
; %bb.106:
	s_or_b32 exec_lo, exec_lo, s1
	v_mov_b32_e32 v9, 0
	ds_load_b64 v[100:101], v9 offset:192
	s_wait_dscnt 0x0
	v_mul_f64_e32 v[98:99], v[98:99], v[100:101]
	scratch_store_b64 off, v[98:99], off offset:192
.LBB110_107:
	s_wait_xcnt 0x0
	s_or_b32 exec_lo, exec_lo, s0
	s_wait_storecnt 0x0
	s_barrier_signal -1
	s_barrier_wait -1
	scratch_load_b64 v[98:99], off, off offset:200
	;; [unrolled: 40-line block ×23, first 2 shown]
	s_mov_b32 s0, exec_lo
	s_wait_loadcnt 0x0
	ds_store_b64 v1, v[98:99]
	s_wait_dscnt 0x0
	s_barrier_signal -1
	s_barrier_wait -1
	v_cmpx_ne_u32_e32 46, v0
	s_cbranch_execz .LBB110_195
; %bb.192:
	v_mov_b64_e32 v[98:99], 0
	s_mov_b32 s1, 0
.LBB110_193:                            ; =>This Inner Loop Header: Depth=1
	scratch_load_b64 v[100:101], v2, off
	ds_load_b64 v[102:103], v1
	v_dual_add_nc_u32 v3, 1, v3 :: v_dual_add_nc_u32 v1, 8, v1
	s_wait_xcnt 0x0
	v_add_nc_u32_e32 v2, 8, v2
	s_delay_alu instid0(VALU_DEP_2)
	v_cmp_lt_u32_e32 vcc_lo, 44, v3
	s_or_b32 s1, vcc_lo, s1
	s_wait_loadcnt_dscnt 0x0
	v_fmac_f64_e32 v[98:99], v[100:101], v[102:103]
	s_and_not1_b32 exec_lo, exec_lo, s1
	s_cbranch_execnz .LBB110_193
; %bb.194:
	s_or_b32 exec_lo, exec_lo, s1
	v_mov_b32_e32 v1, 0
	ds_load_b64 v[2:3], v1 offset:368
	s_wait_dscnt 0x0
	v_mul_f64_e32 v[2:3], v[98:99], v[2:3]
	scratch_store_b64 off, v[2:3], off offset:368
.LBB110_195:
	s_wait_xcnt 0x0
	s_or_b32 exec_lo, exec_lo, s0
	s_mov_b32 s1, -1
	s_wait_storecnt 0x0
	s_barrier_signal -1
	s_barrier_wait -1
.LBB110_196:
	s_and_b32 vcc_lo, exec_lo, s1
	s_cbranch_vccz .LBB110_198
; %bb.197:
	v_mov_b32_e32 v1, 0
	s_lshl_b64 s[0:1], s[10:11], 2
	s_delay_alu instid0(SALU_CYCLE_1)
	s_add_nc_u64 s[0:1], s[6:7], s[0:1]
	global_load_b32 v1, v1, s[0:1]
	s_wait_loadcnt 0x0
	v_cmp_ne_u32_e32 vcc_lo, 0, v1
	s_cbranch_vccz .LBB110_199
.LBB110_198:
	s_sendmsg sendmsg(MSG_DEALLOC_VGPRS)
	s_endpgm
.LBB110_199:
	s_wait_xcnt 0x0
	v_lshl_add_u32 v1, v0, 3, 0x180
	s_mov_b32 s0, exec_lo
	v_cmpx_eq_u32_e32 46, v0
	s_cbranch_execz .LBB110_201
; %bb.200:
	scratch_load_b64 v[2:3], off, off offset:360
	v_mov_b64_e32 v[98:99], 0
	scratch_store_b64 off, v[98:99], off offset:360
	s_wait_loadcnt 0x0
	ds_store_b64 v1, v[2:3]
.LBB110_201:
	s_wait_xcnt 0x0
	s_or_b32 exec_lo, exec_lo, s0
	s_wait_storecnt_dscnt 0x0
	s_barrier_signal -1
	s_barrier_wait -1
	scratch_load_b128 v[98:101], off, off offset:360
	v_mov_b32_e32 v2, 0
	s_mov_b32 s0, exec_lo
	ds_load_b64 v[102:103], v2 offset:752
	s_wait_loadcnt_dscnt 0x0
	v_fma_f64 v[100:101], v[100:101], v[102:103], 0
	s_delay_alu instid0(VALU_DEP_1)
	v_add_f64_e64 v[98:99], v[98:99], -v[100:101]
	scratch_store_b64 off, v[98:99], off offset:360
	s_wait_xcnt 0x0
	v_cmpx_lt_u32_e32 44, v0
	s_cbranch_execz .LBB110_203
; %bb.202:
	scratch_load_b64 v[98:99], off, off offset:352
	v_mov_b64_e32 v[100:101], 0
	scratch_store_b64 off, v[100:101], off offset:352
	s_wait_loadcnt 0x0
	ds_store_b64 v1, v[98:99]
.LBB110_203:
	s_wait_xcnt 0x0
	s_or_b32 exec_lo, exec_lo, s0
	s_wait_storecnt_dscnt 0x0
	s_barrier_signal -1
	s_barrier_wait -1
	s_clause 0x1
	scratch_load_b128 v[98:101], off, off offset:352
	scratch_load_b64 v[106:107], off, off offset:368
	ds_load_2addr_b64 v[102:105], v2 offset0:93 offset1:94
	s_mov_b32 s0, exec_lo
	s_wait_loadcnt_dscnt 0x100
	v_fma_f64 v[2:3], v[100:101], v[102:103], 0
	s_wait_loadcnt 0x0
	s_delay_alu instid0(VALU_DEP_1) | instskip(NEXT) | instid1(VALU_DEP_1)
	v_fmac_f64_e32 v[2:3], v[106:107], v[104:105]
	v_add_f64_e64 v[2:3], v[98:99], -v[2:3]
	scratch_store_b64 off, v[2:3], off offset:352
	s_wait_xcnt 0x0
	v_cmpx_lt_u32_e32 43, v0
	s_cbranch_execz .LBB110_205
; %bb.204:
	scratch_load_b64 v[2:3], off, off offset:344
	v_mov_b64_e32 v[98:99], 0
	scratch_store_b64 off, v[98:99], off offset:344
	s_wait_loadcnt 0x0
	ds_store_b64 v1, v[2:3]
.LBB110_205:
	s_wait_xcnt 0x0
	s_or_b32 exec_lo, exec_lo, s0
	s_wait_storecnt_dscnt 0x0
	s_barrier_signal -1
	s_barrier_wait -1
	s_clause 0x1
	scratch_load_b128 v[98:101], off, off offset:344
	scratch_load_b128 v[102:105], off, off offset:360
	v_mov_b32_e32 v2, 0
	ds_load_b128 v[106:109], v2 offset:736
	ds_load_b64 v[110:111], v2 offset:752
	s_mov_b32 s0, exec_lo
	s_wait_loadcnt_dscnt 0x101
	v_fma_f64 v[100:101], v[100:101], v[106:107], 0
	s_wait_loadcnt 0x0
	s_delay_alu instid0(VALU_DEP_1) | instskip(SKIP_1) | instid1(VALU_DEP_1)
	v_fmac_f64_e32 v[100:101], v[102:103], v[108:109]
	s_wait_dscnt 0x0
	v_fmac_f64_e32 v[100:101], v[104:105], v[110:111]
	s_delay_alu instid0(VALU_DEP_1)
	v_add_f64_e64 v[98:99], v[98:99], -v[100:101]
	scratch_store_b64 off, v[98:99], off offset:344
	s_wait_xcnt 0x0
	v_cmpx_lt_u32_e32 42, v0
	s_cbranch_execz .LBB110_207
; %bb.206:
	scratch_load_b64 v[98:99], off, off offset:336
	v_mov_b64_e32 v[100:101], 0
	scratch_store_b64 off, v[100:101], off offset:336
	s_wait_loadcnt 0x0
	ds_store_b64 v1, v[98:99]
.LBB110_207:
	s_wait_xcnt 0x0
	s_or_b32 exec_lo, exec_lo, s0
	s_wait_storecnt_dscnt 0x0
	s_barrier_signal -1
	s_barrier_wait -1
	s_clause 0x2
	scratch_load_b128 v[98:101], off, off offset:336
	scratch_load_b128 v[102:105], off, off offset:352
	scratch_load_b64 v[114:115], off, off offset:368
	ds_load_2addr_b64 v[106:109], v2 offset0:91 offset1:92
	ds_load_2addr_b64 v[110:113], v2 offset0:93 offset1:94
	s_mov_b32 s0, exec_lo
	s_wait_loadcnt_dscnt 0x201
	v_fma_f64 v[2:3], v[100:101], v[106:107], 0
	s_wait_loadcnt 0x1
	s_delay_alu instid0(VALU_DEP_1) | instskip(SKIP_1) | instid1(VALU_DEP_1)
	v_fmac_f64_e32 v[2:3], v[102:103], v[108:109]
	s_wait_dscnt 0x0
	v_fmac_f64_e32 v[2:3], v[104:105], v[110:111]
	s_wait_loadcnt 0x0
	s_delay_alu instid0(VALU_DEP_1) | instskip(NEXT) | instid1(VALU_DEP_1)
	v_fmac_f64_e32 v[2:3], v[114:115], v[112:113]
	v_add_f64_e64 v[2:3], v[98:99], -v[2:3]
	scratch_store_b64 off, v[2:3], off offset:336
	s_wait_xcnt 0x0
	v_cmpx_lt_u32_e32 41, v0
	s_cbranch_execz .LBB110_209
; %bb.208:
	scratch_load_b64 v[2:3], off, off offset:328
	v_mov_b64_e32 v[98:99], 0
	scratch_store_b64 off, v[98:99], off offset:328
	s_wait_loadcnt 0x0
	ds_store_b64 v1, v[2:3]
.LBB110_209:
	s_wait_xcnt 0x0
	s_or_b32 exec_lo, exec_lo, s0
	s_wait_storecnt_dscnt 0x0
	s_barrier_signal -1
	s_barrier_wait -1
	s_clause 0x2
	scratch_load_b128 v[98:101], off, off offset:328
	scratch_load_b128 v[102:105], off, off offset:344
	scratch_load_b128 v[106:109], off, off offset:360
	v_mov_b32_e32 v2, 0
	ds_load_b128 v[110:113], v2 offset:720
	ds_load_b128 v[114:117], v2 offset:736
	s_mov_b32 s0, exec_lo
	s_wait_loadcnt_dscnt 0x201
	v_fma_f64 v[100:101], v[100:101], v[110:111], 0
	s_wait_loadcnt 0x1
	s_delay_alu instid0(VALU_DEP_1) | instskip(SKIP_4) | instid1(VALU_DEP_1)
	v_fmac_f64_e32 v[100:101], v[102:103], v[112:113]
	ds_load_b64 v[102:103], v2 offset:752
	s_wait_dscnt 0x1
	v_fmac_f64_e32 v[100:101], v[104:105], v[114:115]
	s_wait_loadcnt 0x0
	v_fmac_f64_e32 v[100:101], v[106:107], v[116:117]
	s_wait_dscnt 0x0
	s_delay_alu instid0(VALU_DEP_1) | instskip(NEXT) | instid1(VALU_DEP_1)
	v_fmac_f64_e32 v[100:101], v[108:109], v[102:103]
	v_add_f64_e64 v[98:99], v[98:99], -v[100:101]
	scratch_store_b64 off, v[98:99], off offset:328
	s_wait_xcnt 0x0
	v_cmpx_lt_u32_e32 40, v0
	s_cbranch_execz .LBB110_211
; %bb.210:
	scratch_load_b64 v[98:99], off, off offset:320
	v_mov_b64_e32 v[100:101], 0
	scratch_store_b64 off, v[100:101], off offset:320
	s_wait_loadcnt 0x0
	ds_store_b64 v1, v[98:99]
.LBB110_211:
	s_wait_xcnt 0x0
	s_or_b32 exec_lo, exec_lo, s0
	s_wait_storecnt_dscnt 0x0
	s_barrier_signal -1
	s_barrier_wait -1
	s_clause 0x3
	scratch_load_b128 v[98:101], off, off offset:320
	scratch_load_b128 v[102:105], off, off offset:336
	;; [unrolled: 1-line block ×3, first 2 shown]
	scratch_load_b64 v[118:119], off, off offset:368
	ds_load_2addr_b64 v[110:113], v2 offset0:89 offset1:90
	ds_load_2addr_b64 v[114:117], v2 offset0:91 offset1:92
	s_mov_b32 s0, exec_lo
	s_wait_loadcnt_dscnt 0x301
	v_fma_f64 v[110:111], v[100:101], v[110:111], 0
	s_wait_loadcnt 0x2
	s_delay_alu instid0(VALU_DEP_1) | instskip(SKIP_4) | instid1(VALU_DEP_1)
	v_fmac_f64_e32 v[110:111], v[102:103], v[112:113]
	ds_load_2addr_b64 v[100:103], v2 offset0:93 offset1:94
	s_wait_dscnt 0x1
	v_fmac_f64_e32 v[110:111], v[104:105], v[114:115]
	s_wait_loadcnt 0x1
	v_fmac_f64_e32 v[110:111], v[106:107], v[116:117]
	s_wait_dscnt 0x0
	s_delay_alu instid0(VALU_DEP_1) | instskip(SKIP_1) | instid1(VALU_DEP_1)
	v_fmac_f64_e32 v[110:111], v[108:109], v[100:101]
	s_wait_loadcnt 0x0
	v_fmac_f64_e32 v[110:111], v[118:119], v[102:103]
	s_delay_alu instid0(VALU_DEP_1)
	v_add_f64_e64 v[2:3], v[98:99], -v[110:111]
	scratch_store_b64 off, v[2:3], off offset:320
	s_wait_xcnt 0x0
	v_cmpx_lt_u32_e32 39, v0
	s_cbranch_execz .LBB110_213
; %bb.212:
	scratch_load_b64 v[2:3], off, off offset:312
	v_mov_b64_e32 v[98:99], 0
	scratch_store_b64 off, v[98:99], off offset:312
	s_wait_loadcnt 0x0
	ds_store_b64 v1, v[2:3]
.LBB110_213:
	s_wait_xcnt 0x0
	s_or_b32 exec_lo, exec_lo, s0
	s_wait_storecnt_dscnt 0x0
	s_barrier_signal -1
	s_barrier_wait -1
	s_clause 0x3
	scratch_load_b128 v[98:101], off, off offset:312
	scratch_load_b128 v[102:105], off, off offset:328
	;; [unrolled: 1-line block ×4, first 2 shown]
	v_mov_b32_e32 v2, 0
	ds_load_b128 v[114:117], v2 offset:704
	ds_load_b128 v[118:121], v2 offset:720
	s_mov_b32 s0, exec_lo
	s_wait_loadcnt_dscnt 0x301
	v_fma_f64 v[114:115], v[100:101], v[114:115], 0
	s_wait_loadcnt 0x2
	s_delay_alu instid0(VALU_DEP_1) | instskip(SKIP_1) | instid1(VALU_DEP_1)
	v_fmac_f64_e32 v[114:115], v[102:103], v[116:117]
	s_wait_dscnt 0x0
	v_fmac_f64_e32 v[114:115], v[104:105], v[118:119]
	ds_load_b128 v[100:103], v2 offset:736
	ds_load_b64 v[104:105], v2 offset:752
	s_wait_loadcnt 0x1
	v_fmac_f64_e32 v[114:115], v[106:107], v[120:121]
	s_wait_dscnt 0x1
	s_delay_alu instid0(VALU_DEP_1) | instskip(SKIP_1) | instid1(VALU_DEP_1)
	v_fmac_f64_e32 v[114:115], v[108:109], v[100:101]
	s_wait_loadcnt 0x0
	v_fmac_f64_e32 v[114:115], v[110:111], v[102:103]
	s_wait_dscnt 0x0
	s_delay_alu instid0(VALU_DEP_1) | instskip(NEXT) | instid1(VALU_DEP_1)
	v_fmac_f64_e32 v[114:115], v[112:113], v[104:105]
	v_add_f64_e64 v[98:99], v[98:99], -v[114:115]
	scratch_store_b64 off, v[98:99], off offset:312
	s_wait_xcnt 0x0
	v_cmpx_lt_u32_e32 38, v0
	s_cbranch_execz .LBB110_215
; %bb.214:
	scratch_load_b64 v[98:99], off, off offset:304
	v_mov_b64_e32 v[100:101], 0
	scratch_store_b64 off, v[100:101], off offset:304
	s_wait_loadcnt 0x0
	ds_store_b64 v1, v[98:99]
.LBB110_215:
	s_wait_xcnt 0x0
	s_or_b32 exec_lo, exec_lo, s0
	s_wait_storecnt_dscnt 0x0
	s_barrier_signal -1
	s_barrier_wait -1
	s_clause 0x4
	scratch_load_b128 v[98:101], off, off offset:304
	scratch_load_b128 v[102:105], off, off offset:320
	;; [unrolled: 1-line block ×4, first 2 shown]
	scratch_load_b64 v[122:123], off, off offset:368
	ds_load_2addr_b64 v[114:117], v2 offset0:87 offset1:88
	ds_load_2addr_b64 v[118:121], v2 offset0:89 offset1:90
	s_mov_b32 s0, exec_lo
	s_wait_loadcnt_dscnt 0x401
	v_fma_f64 v[114:115], v[100:101], v[114:115], 0
	s_wait_loadcnt 0x3
	s_delay_alu instid0(VALU_DEP_1) | instskip(SKIP_1) | instid1(VALU_DEP_1)
	v_fmac_f64_e32 v[114:115], v[102:103], v[116:117]
	s_wait_dscnt 0x0
	v_fmac_f64_e32 v[114:115], v[104:105], v[118:119]
	s_wait_loadcnt 0x2
	s_delay_alu instid0(VALU_DEP_1)
	v_fmac_f64_e32 v[114:115], v[106:107], v[120:121]
	ds_load_2addr_b64 v[100:103], v2 offset0:91 offset1:92
	ds_load_2addr_b64 v[104:107], v2 offset0:93 offset1:94
	s_wait_dscnt 0x1
	v_fmac_f64_e32 v[114:115], v[108:109], v[100:101]
	s_wait_loadcnt 0x1
	s_delay_alu instid0(VALU_DEP_1) | instskip(SKIP_1) | instid1(VALU_DEP_1)
	v_fmac_f64_e32 v[114:115], v[110:111], v[102:103]
	s_wait_dscnt 0x0
	v_fmac_f64_e32 v[114:115], v[112:113], v[104:105]
	s_wait_loadcnt 0x0
	s_delay_alu instid0(VALU_DEP_1) | instskip(NEXT) | instid1(VALU_DEP_1)
	v_fmac_f64_e32 v[114:115], v[122:123], v[106:107]
	v_add_f64_e64 v[2:3], v[98:99], -v[114:115]
	scratch_store_b64 off, v[2:3], off offset:304
	s_wait_xcnt 0x0
	v_cmpx_lt_u32_e32 37, v0
	s_cbranch_execz .LBB110_217
; %bb.216:
	scratch_load_b64 v[2:3], off, off offset:296
	v_mov_b64_e32 v[98:99], 0
	scratch_store_b64 off, v[98:99], off offset:296
	s_wait_loadcnt 0x0
	ds_store_b64 v1, v[2:3]
.LBB110_217:
	s_wait_xcnt 0x0
	s_or_b32 exec_lo, exec_lo, s0
	s_wait_storecnt_dscnt 0x0
	s_barrier_signal -1
	s_barrier_wait -1
	s_clause 0x4
	scratch_load_b128 v[98:101], off, off offset:296
	scratch_load_b128 v[102:105], off, off offset:312
	;; [unrolled: 1-line block ×5, first 2 shown]
	v_mov_b32_e32 v2, 0
	ds_load_b128 v[118:121], v2 offset:688
	ds_load_b128 v[122:125], v2 offset:704
	s_mov_b32 s0, exec_lo
	s_wait_loadcnt_dscnt 0x401
	v_fma_f64 v[118:119], v[100:101], v[118:119], 0
	s_wait_loadcnt 0x3
	s_delay_alu instid0(VALU_DEP_1) | instskip(SKIP_1) | instid1(VALU_DEP_1)
	v_fmac_f64_e32 v[118:119], v[102:103], v[120:121]
	s_wait_dscnt 0x0
	v_fmac_f64_e32 v[118:119], v[104:105], v[122:123]
	s_wait_loadcnt 0x2
	s_delay_alu instid0(VALU_DEP_1)
	v_fmac_f64_e32 v[118:119], v[106:107], v[124:125]
	ds_load_b128 v[100:103], v2 offset:720
	ds_load_b128 v[104:107], v2 offset:736
	s_wait_dscnt 0x1
	v_fmac_f64_e32 v[118:119], v[108:109], v[100:101]
	ds_load_b64 v[100:101], v2 offset:752
	s_wait_loadcnt 0x1
	v_fmac_f64_e32 v[118:119], v[110:111], v[102:103]
	s_wait_dscnt 0x1
	s_delay_alu instid0(VALU_DEP_1) | instskip(SKIP_1) | instid1(VALU_DEP_1)
	v_fmac_f64_e32 v[118:119], v[112:113], v[104:105]
	s_wait_loadcnt 0x0
	v_fmac_f64_e32 v[118:119], v[114:115], v[106:107]
	s_wait_dscnt 0x0
	s_delay_alu instid0(VALU_DEP_1) | instskip(NEXT) | instid1(VALU_DEP_1)
	v_fmac_f64_e32 v[118:119], v[116:117], v[100:101]
	v_add_f64_e64 v[98:99], v[98:99], -v[118:119]
	scratch_store_b64 off, v[98:99], off offset:296
	s_wait_xcnt 0x0
	v_cmpx_lt_u32_e32 36, v0
	s_cbranch_execz .LBB110_219
; %bb.218:
	scratch_load_b64 v[98:99], off, off offset:288
	v_mov_b64_e32 v[100:101], 0
	scratch_store_b64 off, v[100:101], off offset:288
	s_wait_loadcnt 0x0
	ds_store_b64 v1, v[98:99]
.LBB110_219:
	s_wait_xcnt 0x0
	s_or_b32 exec_lo, exec_lo, s0
	s_wait_storecnt_dscnt 0x0
	s_barrier_signal -1
	s_barrier_wait -1
	s_clause 0x5
	scratch_load_b128 v[98:101], off, off offset:288
	scratch_load_b128 v[102:105], off, off offset:304
	;; [unrolled: 1-line block ×5, first 2 shown]
	scratch_load_b64 v[126:127], off, off offset:368
	ds_load_2addr_b64 v[118:121], v2 offset0:85 offset1:86
	ds_load_2addr_b64 v[122:125], v2 offset0:87 offset1:88
	s_mov_b32 s0, exec_lo
	s_wait_loadcnt_dscnt 0x501
	v_fma_f64 v[118:119], v[100:101], v[118:119], 0
	s_wait_loadcnt 0x4
	s_delay_alu instid0(VALU_DEP_1) | instskip(SKIP_1) | instid1(VALU_DEP_1)
	v_fmac_f64_e32 v[118:119], v[102:103], v[120:121]
	s_wait_dscnt 0x0
	v_fmac_f64_e32 v[118:119], v[104:105], v[122:123]
	s_wait_loadcnt 0x3
	s_delay_alu instid0(VALU_DEP_1)
	v_fmac_f64_e32 v[118:119], v[106:107], v[124:125]
	ds_load_2addr_b64 v[100:103], v2 offset0:89 offset1:90
	ds_load_2addr_b64 v[104:107], v2 offset0:91 offset1:92
	s_wait_dscnt 0x1
	v_fmac_f64_e32 v[118:119], v[108:109], v[100:101]
	s_wait_loadcnt 0x2
	s_delay_alu instid0(VALU_DEP_1) | instskip(SKIP_4) | instid1(VALU_DEP_1)
	v_fmac_f64_e32 v[118:119], v[110:111], v[102:103]
	ds_load_2addr_b64 v[100:103], v2 offset0:93 offset1:94
	s_wait_dscnt 0x1
	v_fmac_f64_e32 v[118:119], v[112:113], v[104:105]
	s_wait_loadcnt 0x1
	v_fmac_f64_e32 v[118:119], v[114:115], v[106:107]
	s_wait_dscnt 0x0
	s_delay_alu instid0(VALU_DEP_1) | instskip(SKIP_1) | instid1(VALU_DEP_1)
	v_fmac_f64_e32 v[118:119], v[116:117], v[100:101]
	s_wait_loadcnt 0x0
	v_fmac_f64_e32 v[118:119], v[126:127], v[102:103]
	s_delay_alu instid0(VALU_DEP_1)
	v_add_f64_e64 v[2:3], v[98:99], -v[118:119]
	scratch_store_b64 off, v[2:3], off offset:288
	s_wait_xcnt 0x0
	v_cmpx_lt_u32_e32 35, v0
	s_cbranch_execz .LBB110_221
; %bb.220:
	scratch_load_b64 v[2:3], off, off offset:280
	v_mov_b64_e32 v[98:99], 0
	scratch_store_b64 off, v[98:99], off offset:280
	s_wait_loadcnt 0x0
	ds_store_b64 v1, v[2:3]
.LBB110_221:
	s_wait_xcnt 0x0
	s_or_b32 exec_lo, exec_lo, s0
	s_wait_storecnt_dscnt 0x0
	s_barrier_signal -1
	s_barrier_wait -1
	s_clause 0x5
	scratch_load_b128 v[98:101], off, off offset:280
	scratch_load_b128 v[102:105], off, off offset:296
	;; [unrolled: 1-line block ×6, first 2 shown]
	v_mov_b32_e32 v2, 0
	ds_load_b128 v[122:125], v2 offset:672
	ds_load_b128 v[126:129], v2 offset:688
	s_mov_b32 s0, exec_lo
	s_wait_loadcnt_dscnt 0x501
	v_fma_f64 v[122:123], v[100:101], v[122:123], 0
	s_wait_loadcnt 0x4
	s_delay_alu instid0(VALU_DEP_1) | instskip(SKIP_1) | instid1(VALU_DEP_1)
	v_fmac_f64_e32 v[122:123], v[102:103], v[124:125]
	s_wait_dscnt 0x0
	v_fmac_f64_e32 v[122:123], v[104:105], v[126:127]
	s_wait_loadcnt 0x3
	s_delay_alu instid0(VALU_DEP_1)
	v_fmac_f64_e32 v[122:123], v[106:107], v[128:129]
	ds_load_b128 v[100:103], v2 offset:704
	ds_load_b128 v[104:107], v2 offset:720
	s_wait_dscnt 0x1
	v_fmac_f64_e32 v[122:123], v[108:109], v[100:101]
	s_wait_loadcnt 0x2
	s_delay_alu instid0(VALU_DEP_1) | instskip(SKIP_1) | instid1(VALU_DEP_1)
	v_fmac_f64_e32 v[122:123], v[110:111], v[102:103]
	s_wait_dscnt 0x0
	v_fmac_f64_e32 v[122:123], v[112:113], v[104:105]
	ds_load_b128 v[100:103], v2 offset:736
	ds_load_b64 v[104:105], v2 offset:752
	s_wait_loadcnt 0x1
	v_fmac_f64_e32 v[122:123], v[114:115], v[106:107]
	s_wait_dscnt 0x1
	s_delay_alu instid0(VALU_DEP_1) | instskip(SKIP_1) | instid1(VALU_DEP_1)
	v_fmac_f64_e32 v[122:123], v[116:117], v[100:101]
	s_wait_loadcnt 0x0
	v_fmac_f64_e32 v[122:123], v[118:119], v[102:103]
	s_wait_dscnt 0x0
	s_delay_alu instid0(VALU_DEP_1) | instskip(NEXT) | instid1(VALU_DEP_1)
	v_fmac_f64_e32 v[122:123], v[120:121], v[104:105]
	v_add_f64_e64 v[98:99], v[98:99], -v[122:123]
	scratch_store_b64 off, v[98:99], off offset:280
	s_wait_xcnt 0x0
	v_cmpx_lt_u32_e32 34, v0
	s_cbranch_execz .LBB110_223
; %bb.222:
	scratch_load_b64 v[98:99], off, off offset:272
	v_mov_b64_e32 v[100:101], 0
	scratch_store_b64 off, v[100:101], off offset:272
	s_wait_loadcnt 0x0
	ds_store_b64 v1, v[98:99]
.LBB110_223:
	s_wait_xcnt 0x0
	s_or_b32 exec_lo, exec_lo, s0
	s_wait_storecnt_dscnt 0x0
	s_barrier_signal -1
	s_barrier_wait -1
	s_clause 0x5
	scratch_load_b128 v[98:101], off, off offset:272
	scratch_load_b128 v[102:105], off, off offset:288
	scratch_load_b128 v[106:109], off, off offset:304
	scratch_load_b128 v[110:113], off, off offset:320
	scratch_load_b128 v[114:117], off, off offset:336
	scratch_load_b128 v[118:121], off, off offset:352
	ds_load_2addr_b64 v[122:125], v2 offset0:83 offset1:84
	ds_load_2addr_b64 v[126:129], v2 offset0:85 offset1:86
	s_mov_b32 s0, exec_lo
	s_wait_loadcnt_dscnt 0x501
	v_fma_f64 v[122:123], v[100:101], v[122:123], 0
	s_wait_loadcnt 0x4
	s_delay_alu instid0(VALU_DEP_1) | instskip(SKIP_4) | instid1(VALU_DEP_1)
	v_fmac_f64_e32 v[122:123], v[102:103], v[124:125]
	scratch_load_b64 v[124:125], off, off offset:368
	s_wait_dscnt 0x0
	v_fmac_f64_e32 v[122:123], v[104:105], v[126:127]
	s_wait_loadcnt 0x4
	v_fmac_f64_e32 v[122:123], v[106:107], v[128:129]
	ds_load_2addr_b64 v[100:103], v2 offset0:87 offset1:88
	ds_load_2addr_b64 v[104:107], v2 offset0:89 offset1:90
	s_wait_dscnt 0x1
	v_fmac_f64_e32 v[122:123], v[108:109], v[100:101]
	s_wait_loadcnt 0x3
	s_delay_alu instid0(VALU_DEP_1) | instskip(SKIP_1) | instid1(VALU_DEP_1)
	v_fmac_f64_e32 v[122:123], v[110:111], v[102:103]
	s_wait_dscnt 0x0
	v_fmac_f64_e32 v[122:123], v[112:113], v[104:105]
	s_wait_loadcnt 0x2
	s_delay_alu instid0(VALU_DEP_1)
	v_fmac_f64_e32 v[122:123], v[114:115], v[106:107]
	ds_load_2addr_b64 v[100:103], v2 offset0:91 offset1:92
	ds_load_2addr_b64 v[104:107], v2 offset0:93 offset1:94
	s_wait_dscnt 0x1
	v_fmac_f64_e32 v[122:123], v[116:117], v[100:101]
	s_wait_loadcnt 0x1
	s_delay_alu instid0(VALU_DEP_1) | instskip(SKIP_1) | instid1(VALU_DEP_1)
	v_fmac_f64_e32 v[122:123], v[118:119], v[102:103]
	s_wait_dscnt 0x0
	v_fmac_f64_e32 v[122:123], v[120:121], v[104:105]
	s_wait_loadcnt 0x0
	s_delay_alu instid0(VALU_DEP_1) | instskip(NEXT) | instid1(VALU_DEP_1)
	v_fmac_f64_e32 v[122:123], v[124:125], v[106:107]
	v_add_f64_e64 v[2:3], v[98:99], -v[122:123]
	scratch_store_b64 off, v[2:3], off offset:272
	s_wait_xcnt 0x0
	v_cmpx_lt_u32_e32 33, v0
	s_cbranch_execz .LBB110_225
; %bb.224:
	scratch_load_b64 v[2:3], off, off offset:264
	v_mov_b64_e32 v[98:99], 0
	scratch_store_b64 off, v[98:99], off offset:264
	s_wait_loadcnt 0x0
	ds_store_b64 v1, v[2:3]
.LBB110_225:
	s_wait_xcnt 0x0
	s_or_b32 exec_lo, exec_lo, s0
	s_wait_storecnt_dscnt 0x0
	s_barrier_signal -1
	s_barrier_wait -1
	s_clause 0x5
	scratch_load_b128 v[98:101], off, off offset:264
	scratch_load_b128 v[102:105], off, off offset:280
	;; [unrolled: 1-line block ×6, first 2 shown]
	v_mov_b32_e32 v2, 0
	ds_load_b128 v[122:125], v2 offset:656
	ds_load_b128 v[126:129], v2 offset:672
	s_mov_b32 s0, exec_lo
	s_wait_loadcnt_dscnt 0x501
	v_fma_f64 v[130:131], v[100:101], v[122:123], 0
	s_wait_loadcnt 0x4
	s_delay_alu instid0(VALU_DEP_1) | instskip(SKIP_4) | instid1(VALU_DEP_1)
	v_fmac_f64_e32 v[130:131], v[102:103], v[124:125]
	scratch_load_b128 v[100:103], off, off offset:360
	s_wait_dscnt 0x0
	v_fmac_f64_e32 v[130:131], v[104:105], v[126:127]
	s_wait_loadcnt 0x4
	v_fmac_f64_e32 v[130:131], v[106:107], v[128:129]
	ds_load_b128 v[104:107], v2 offset:688
	ds_load_b128 v[122:125], v2 offset:704
	s_wait_dscnt 0x1
	v_fmac_f64_e32 v[130:131], v[108:109], v[104:105]
	s_wait_loadcnt 0x3
	s_delay_alu instid0(VALU_DEP_1)
	v_fmac_f64_e32 v[130:131], v[110:111], v[106:107]
	ds_load_b128 v[104:107], v2 offset:720
	ds_load_b128 v[108:111], v2 offset:736
	s_wait_dscnt 0x2
	v_fmac_f64_e32 v[130:131], v[112:113], v[122:123]
	s_wait_loadcnt 0x2
	s_delay_alu instid0(VALU_DEP_1) | instskip(SKIP_1) | instid1(VALU_DEP_1)
	v_fmac_f64_e32 v[130:131], v[114:115], v[124:125]
	s_wait_dscnt 0x1
	v_fmac_f64_e32 v[130:131], v[116:117], v[104:105]
	s_wait_loadcnt 0x1
	s_delay_alu instid0(VALU_DEP_1) | instskip(SKIP_1) | instid1(VALU_DEP_1)
	v_fmac_f64_e32 v[130:131], v[118:119], v[106:107]
	s_wait_dscnt 0x0
	v_fmac_f64_e32 v[130:131], v[120:121], v[108:109]
	s_wait_loadcnt 0x0
	s_delay_alu instid0(VALU_DEP_1) | instskip(SKIP_3) | instid1(VALU_DEP_1)
	v_fmac_f64_e32 v[130:131], v[100:101], v[110:111]
	ds_load_b64 v[100:101], v2 offset:752
	s_wait_dscnt 0x0
	v_fmac_f64_e32 v[130:131], v[102:103], v[100:101]
	v_add_f64_e64 v[98:99], v[98:99], -v[130:131]
	scratch_store_b64 off, v[98:99], off offset:264
	s_wait_xcnt 0x0
	v_cmpx_lt_u32_e32 32, v0
	s_cbranch_execz .LBB110_227
; %bb.226:
	scratch_load_b64 v[98:99], off, off offset:256
	v_mov_b64_e32 v[100:101], 0
	scratch_store_b64 off, v[100:101], off offset:256
	s_wait_loadcnt 0x0
	ds_store_b64 v1, v[98:99]
.LBB110_227:
	s_wait_xcnt 0x0
	s_or_b32 exec_lo, exec_lo, s0
	s_wait_storecnt_dscnt 0x0
	s_barrier_signal -1
	s_barrier_wait -1
	s_clause 0x5
	scratch_load_b128 v[98:101], off, off offset:256
	scratch_load_b128 v[102:105], off, off offset:272
	scratch_load_b128 v[106:109], off, off offset:288
	scratch_load_b128 v[110:113], off, off offset:304
	scratch_load_b128 v[114:117], off, off offset:320
	scratch_load_b128 v[118:121], off, off offset:336
	ds_load_2addr_b64 v[122:125], v2 offset0:81 offset1:82
	ds_load_2addr_b64 v[126:129], v2 offset0:83 offset1:84
	s_mov_b32 s0, exec_lo
	s_wait_loadcnt_dscnt 0x501
	v_fma_f64 v[130:131], v[100:101], v[122:123], 0
	s_wait_loadcnt 0x4
	s_delay_alu instid0(VALU_DEP_1)
	v_fmac_f64_e32 v[130:131], v[102:103], v[124:125]
	scratch_load_b128 v[100:103], off, off offset:352
	s_wait_dscnt 0x0
	v_fmac_f64_e32 v[130:131], v[104:105], v[126:127]
	scratch_load_b64 v[126:127], off, off offset:368
	s_wait_loadcnt 0x5
	v_fmac_f64_e32 v[130:131], v[106:107], v[128:129]
	ds_load_2addr_b64 v[104:107], v2 offset0:85 offset1:86
	ds_load_2addr_b64 v[122:125], v2 offset0:87 offset1:88
	s_wait_dscnt 0x1
	v_fmac_f64_e32 v[130:131], v[108:109], v[104:105]
	s_wait_loadcnt 0x4
	s_delay_alu instid0(VALU_DEP_1)
	v_fmac_f64_e32 v[130:131], v[110:111], v[106:107]
	ds_load_2addr_b64 v[104:107], v2 offset0:89 offset1:90
	ds_load_2addr_b64 v[108:111], v2 offset0:91 offset1:92
	s_wait_dscnt 0x2
	v_fmac_f64_e32 v[130:131], v[112:113], v[122:123]
	s_wait_loadcnt 0x3
	s_delay_alu instid0(VALU_DEP_1) | instskip(SKIP_1) | instid1(VALU_DEP_1)
	v_fmac_f64_e32 v[130:131], v[114:115], v[124:125]
	s_wait_dscnt 0x1
	v_fmac_f64_e32 v[130:131], v[116:117], v[104:105]
	s_wait_loadcnt 0x2
	s_delay_alu instid0(VALU_DEP_1) | instskip(SKIP_4) | instid1(VALU_DEP_1)
	v_fmac_f64_e32 v[130:131], v[118:119], v[106:107]
	ds_load_2addr_b64 v[104:107], v2 offset0:93 offset1:94
	s_wait_dscnt 0x1
	v_fmac_f64_e32 v[130:131], v[120:121], v[108:109]
	s_wait_loadcnt 0x1
	v_fmac_f64_e32 v[130:131], v[100:101], v[110:111]
	s_wait_dscnt 0x0
	s_delay_alu instid0(VALU_DEP_1) | instskip(SKIP_1) | instid1(VALU_DEP_1)
	v_fmac_f64_e32 v[130:131], v[102:103], v[104:105]
	s_wait_loadcnt 0x0
	v_fmac_f64_e32 v[130:131], v[126:127], v[106:107]
	s_delay_alu instid0(VALU_DEP_1)
	v_add_f64_e64 v[2:3], v[98:99], -v[130:131]
	scratch_store_b64 off, v[2:3], off offset:256
	s_wait_xcnt 0x0
	v_cmpx_lt_u32_e32 31, v0
	s_cbranch_execz .LBB110_229
; %bb.228:
	scratch_load_b64 v[2:3], off, off offset:248
	v_mov_b64_e32 v[98:99], 0
	scratch_store_b64 off, v[98:99], off offset:248
	s_wait_loadcnt 0x0
	ds_store_b64 v1, v[2:3]
.LBB110_229:
	s_wait_xcnt 0x0
	s_or_b32 exec_lo, exec_lo, s0
	s_wait_storecnt_dscnt 0x0
	s_barrier_signal -1
	s_barrier_wait -1
	s_clause 0x5
	scratch_load_b128 v[98:101], off, off offset:248
	scratch_load_b128 v[102:105], off, off offset:264
	;; [unrolled: 1-line block ×6, first 2 shown]
	v_mov_b32_e32 v2, 0
	ds_load_b128 v[122:125], v2 offset:640
	ds_load_b128 v[126:129], v2 offset:656
	s_mov_b32 s0, exec_lo
	s_wait_loadcnt_dscnt 0x501
	v_fma_f64 v[130:131], v[100:101], v[122:123], 0
	s_wait_loadcnt 0x4
	s_delay_alu instid0(VALU_DEP_1) | instskip(SKIP_4) | instid1(VALU_DEP_1)
	v_fmac_f64_e32 v[130:131], v[102:103], v[124:125]
	scratch_load_b128 v[100:103], off, off offset:344
	s_wait_dscnt 0x0
	v_fmac_f64_e32 v[130:131], v[104:105], v[126:127]
	s_wait_loadcnt 0x4
	v_fmac_f64_e32 v[130:131], v[106:107], v[128:129]
	scratch_load_b128 v[104:107], off, off offset:360
	ds_load_b128 v[122:125], v2 offset:672
	ds_load_b128 v[126:129], v2 offset:688
	s_wait_dscnt 0x1
	v_fmac_f64_e32 v[130:131], v[108:109], v[122:123]
	s_wait_loadcnt 0x4
	s_delay_alu instid0(VALU_DEP_1) | instskip(SKIP_1) | instid1(VALU_DEP_1)
	v_fmac_f64_e32 v[130:131], v[110:111], v[124:125]
	s_wait_dscnt 0x0
	v_fmac_f64_e32 v[130:131], v[112:113], v[126:127]
	s_wait_loadcnt 0x3
	s_delay_alu instid0(VALU_DEP_1)
	v_fmac_f64_e32 v[130:131], v[114:115], v[128:129]
	ds_load_b128 v[108:111], v2 offset:704
	ds_load_b128 v[112:115], v2 offset:720
	s_wait_dscnt 0x1
	v_fmac_f64_e32 v[130:131], v[116:117], v[108:109]
	s_wait_loadcnt 0x2
	s_delay_alu instid0(VALU_DEP_1) | instskip(SKIP_1) | instid1(VALU_DEP_1)
	v_fmac_f64_e32 v[130:131], v[118:119], v[110:111]
	s_wait_dscnt 0x0
	v_fmac_f64_e32 v[130:131], v[120:121], v[112:113]
	s_wait_loadcnt 0x1
	s_delay_alu instid0(VALU_DEP_1)
	v_fmac_f64_e32 v[130:131], v[100:101], v[114:115]
	ds_load_b128 v[108:111], v2 offset:736
	ds_load_b64 v[100:101], v2 offset:752
	s_wait_dscnt 0x1
	v_fmac_f64_e32 v[130:131], v[102:103], v[108:109]
	s_wait_loadcnt 0x0
	s_delay_alu instid0(VALU_DEP_1) | instskip(SKIP_1) | instid1(VALU_DEP_1)
	v_fmac_f64_e32 v[130:131], v[104:105], v[110:111]
	s_wait_dscnt 0x0
	v_fmac_f64_e32 v[130:131], v[106:107], v[100:101]
	s_delay_alu instid0(VALU_DEP_1)
	v_add_f64_e64 v[98:99], v[98:99], -v[130:131]
	scratch_store_b64 off, v[98:99], off offset:248
	s_wait_xcnt 0x0
	v_cmpx_lt_u32_e32 30, v0
	s_cbranch_execz .LBB110_231
; %bb.230:
	scratch_load_b64 v[98:99], off, off offset:240
	v_mov_b64_e32 v[100:101], 0
	scratch_store_b64 off, v[100:101], off offset:240
	s_wait_loadcnt 0x0
	ds_store_b64 v1, v[98:99]
.LBB110_231:
	s_wait_xcnt 0x0
	s_or_b32 exec_lo, exec_lo, s0
	s_wait_storecnt_dscnt 0x0
	s_barrier_signal -1
	s_barrier_wait -1
	s_clause 0x5
	scratch_load_b128 v[98:101], off, off offset:240
	scratch_load_b128 v[102:105], off, off offset:256
	;; [unrolled: 1-line block ×6, first 2 shown]
	ds_load_2addr_b64 v[122:125], v2 offset0:79 offset1:80
	ds_load_2addr_b64 v[126:129], v2 offset0:81 offset1:82
	s_mov_b32 s0, exec_lo
	s_wait_loadcnt_dscnt 0x501
	v_fma_f64 v[130:131], v[100:101], v[122:123], 0
	s_wait_loadcnt 0x4
	s_delay_alu instid0(VALU_DEP_1) | instskip(SKIP_4) | instid1(VALU_DEP_1)
	v_fmac_f64_e32 v[130:131], v[102:103], v[124:125]
	scratch_load_b128 v[100:103], off, off offset:336
	s_wait_dscnt 0x0
	v_fmac_f64_e32 v[130:131], v[104:105], v[126:127]
	s_wait_loadcnt 0x4
	v_fmac_f64_e32 v[130:131], v[106:107], v[128:129]
	scratch_load_b128 v[104:107], off, off offset:352
	ds_load_2addr_b64 v[122:125], v2 offset0:83 offset1:84
	ds_load_2addr_b64 v[126:129], v2 offset0:85 offset1:86
	s_wait_dscnt 0x1
	v_fmac_f64_e32 v[130:131], v[108:109], v[122:123]
	scratch_load_b64 v[122:123], off, off offset:368
	s_wait_loadcnt 0x5
	v_fmac_f64_e32 v[130:131], v[110:111], v[124:125]
	s_wait_dscnt 0x0
	s_delay_alu instid0(VALU_DEP_1) | instskip(SKIP_1) | instid1(VALU_DEP_1)
	v_fmac_f64_e32 v[130:131], v[112:113], v[126:127]
	s_wait_loadcnt 0x4
	v_fmac_f64_e32 v[130:131], v[114:115], v[128:129]
	ds_load_2addr_b64 v[108:111], v2 offset0:87 offset1:88
	ds_load_2addr_b64 v[112:115], v2 offset0:89 offset1:90
	s_wait_dscnt 0x1
	v_fmac_f64_e32 v[130:131], v[116:117], v[108:109]
	s_wait_loadcnt 0x3
	s_delay_alu instid0(VALU_DEP_1) | instskip(SKIP_1) | instid1(VALU_DEP_1)
	v_fmac_f64_e32 v[130:131], v[118:119], v[110:111]
	s_wait_dscnt 0x0
	v_fmac_f64_e32 v[130:131], v[120:121], v[112:113]
	s_wait_loadcnt 0x2
	s_delay_alu instid0(VALU_DEP_1)
	v_fmac_f64_e32 v[130:131], v[100:101], v[114:115]
	ds_load_2addr_b64 v[108:111], v2 offset0:91 offset1:92
	ds_load_2addr_b64 v[112:115], v2 offset0:93 offset1:94
	s_wait_dscnt 0x1
	v_fmac_f64_e32 v[130:131], v[102:103], v[108:109]
	s_wait_loadcnt 0x1
	s_delay_alu instid0(VALU_DEP_1) | instskip(SKIP_1) | instid1(VALU_DEP_1)
	v_fmac_f64_e32 v[130:131], v[104:105], v[110:111]
	s_wait_dscnt 0x0
	v_fmac_f64_e32 v[130:131], v[106:107], v[112:113]
	s_wait_loadcnt 0x0
	s_delay_alu instid0(VALU_DEP_1) | instskip(NEXT) | instid1(VALU_DEP_1)
	v_fmac_f64_e32 v[130:131], v[122:123], v[114:115]
	v_add_f64_e64 v[2:3], v[98:99], -v[130:131]
	scratch_store_b64 off, v[2:3], off offset:240
	s_wait_xcnt 0x0
	v_cmpx_lt_u32_e32 29, v0
	s_cbranch_execz .LBB110_233
; %bb.232:
	scratch_load_b64 v[2:3], off, off offset:232
	v_mov_b64_e32 v[98:99], 0
	scratch_store_b64 off, v[98:99], off offset:232
	s_wait_loadcnt 0x0
	ds_store_b64 v1, v[2:3]
.LBB110_233:
	s_wait_xcnt 0x0
	s_or_b32 exec_lo, exec_lo, s0
	s_wait_storecnt_dscnt 0x0
	s_barrier_signal -1
	s_barrier_wait -1
	s_clause 0x5
	scratch_load_b128 v[98:101], off, off offset:232
	scratch_load_b128 v[102:105], off, off offset:248
	;; [unrolled: 1-line block ×6, first 2 shown]
	v_mov_b32_e32 v2, 0
	ds_load_b128 v[122:125], v2 offset:624
	ds_load_b128 v[126:129], v2 offset:640
	s_mov_b32 s0, exec_lo
	s_wait_loadcnt_dscnt 0x501
	v_fma_f64 v[130:131], v[100:101], v[122:123], 0
	s_wait_loadcnt 0x4
	s_delay_alu instid0(VALU_DEP_1) | instskip(SKIP_4) | instid1(VALU_DEP_1)
	v_fmac_f64_e32 v[130:131], v[102:103], v[124:125]
	scratch_load_b128 v[100:103], off, off offset:328
	s_wait_dscnt 0x0
	v_fmac_f64_e32 v[130:131], v[104:105], v[126:127]
	s_wait_loadcnt 0x4
	v_fmac_f64_e32 v[130:131], v[106:107], v[128:129]
	scratch_load_b128 v[104:107], off, off offset:344
	ds_load_b128 v[122:125], v2 offset:656
	ds_load_b128 v[126:129], v2 offset:672
	s_wait_dscnt 0x1
	v_fmac_f64_e32 v[130:131], v[108:109], v[122:123]
	s_wait_loadcnt 0x4
	s_delay_alu instid0(VALU_DEP_1) | instskip(SKIP_4) | instid1(VALU_DEP_1)
	v_fmac_f64_e32 v[130:131], v[110:111], v[124:125]
	scratch_load_b128 v[108:111], off, off offset:360
	s_wait_dscnt 0x0
	v_fmac_f64_e32 v[130:131], v[112:113], v[126:127]
	s_wait_loadcnt 0x4
	v_fmac_f64_e32 v[130:131], v[114:115], v[128:129]
	ds_load_b128 v[112:115], v2 offset:688
	ds_load_b128 v[122:125], v2 offset:704
	s_wait_dscnt 0x1
	v_fmac_f64_e32 v[130:131], v[116:117], v[112:113]
	s_wait_loadcnt 0x3
	s_delay_alu instid0(VALU_DEP_1)
	v_fmac_f64_e32 v[130:131], v[118:119], v[114:115]
	ds_load_b128 v[112:115], v2 offset:720
	ds_load_b128 v[116:119], v2 offset:736
	s_wait_dscnt 0x2
	v_fmac_f64_e32 v[130:131], v[120:121], v[122:123]
	s_wait_loadcnt 0x2
	s_delay_alu instid0(VALU_DEP_1) | instskip(SKIP_4) | instid1(VALU_DEP_1)
	v_fmac_f64_e32 v[130:131], v[100:101], v[124:125]
	ds_load_b64 v[100:101], v2 offset:752
	s_wait_dscnt 0x2
	v_fmac_f64_e32 v[130:131], v[102:103], v[112:113]
	s_wait_loadcnt 0x1
	v_fmac_f64_e32 v[130:131], v[104:105], v[114:115]
	s_wait_dscnt 0x1
	s_delay_alu instid0(VALU_DEP_1) | instskip(SKIP_1) | instid1(VALU_DEP_1)
	v_fmac_f64_e32 v[130:131], v[106:107], v[116:117]
	s_wait_loadcnt 0x0
	v_fmac_f64_e32 v[130:131], v[108:109], v[118:119]
	s_wait_dscnt 0x0
	s_delay_alu instid0(VALU_DEP_1) | instskip(NEXT) | instid1(VALU_DEP_1)
	v_fmac_f64_e32 v[130:131], v[110:111], v[100:101]
	v_add_f64_e64 v[98:99], v[98:99], -v[130:131]
	scratch_store_b64 off, v[98:99], off offset:232
	s_wait_xcnt 0x0
	v_cmpx_lt_u32_e32 28, v0
	s_cbranch_execz .LBB110_235
; %bb.234:
	scratch_load_b64 v[98:99], off, off offset:224
	v_mov_b64_e32 v[100:101], 0
	scratch_store_b64 off, v[100:101], off offset:224
	s_wait_loadcnt 0x0
	ds_store_b64 v1, v[98:99]
.LBB110_235:
	s_wait_xcnt 0x0
	s_or_b32 exec_lo, exec_lo, s0
	s_wait_storecnt_dscnt 0x0
	s_barrier_signal -1
	s_barrier_wait -1
	s_clause 0x5
	scratch_load_b128 v[98:101], off, off offset:224
	scratch_load_b128 v[102:105], off, off offset:240
	scratch_load_b128 v[106:109], off, off offset:256
	scratch_load_b128 v[110:113], off, off offset:272
	scratch_load_b128 v[114:117], off, off offset:288
	scratch_load_b128 v[118:121], off, off offset:304
	ds_load_2addr_b64 v[122:125], v2 offset0:77 offset1:78
	ds_load_2addr_b64 v[126:129], v2 offset0:79 offset1:80
	s_mov_b32 s0, exec_lo
	s_wait_loadcnt_dscnt 0x501
	v_fma_f64 v[130:131], v[100:101], v[122:123], 0
	s_wait_loadcnt 0x4
	s_delay_alu instid0(VALU_DEP_1) | instskip(SKIP_4) | instid1(VALU_DEP_1)
	v_fmac_f64_e32 v[130:131], v[102:103], v[124:125]
	scratch_load_b128 v[100:103], off, off offset:320
	s_wait_dscnt 0x0
	v_fmac_f64_e32 v[130:131], v[104:105], v[126:127]
	s_wait_loadcnt 0x4
	v_fmac_f64_e32 v[130:131], v[106:107], v[128:129]
	scratch_load_b128 v[104:107], off, off offset:336
	ds_load_2addr_b64 v[122:125], v2 offset0:81 offset1:82
	ds_load_2addr_b64 v[126:129], v2 offset0:83 offset1:84
	s_wait_dscnt 0x1
	v_fmac_f64_e32 v[130:131], v[108:109], v[122:123]
	s_wait_loadcnt 0x4
	s_delay_alu instid0(VALU_DEP_1)
	v_fmac_f64_e32 v[130:131], v[110:111], v[124:125]
	scratch_load_b128 v[108:111], off, off offset:352
	s_wait_dscnt 0x0
	v_fmac_f64_e32 v[130:131], v[112:113], v[126:127]
	scratch_load_b64 v[126:127], off, off offset:368
	s_wait_loadcnt 0x5
	v_fmac_f64_e32 v[130:131], v[114:115], v[128:129]
	ds_load_2addr_b64 v[112:115], v2 offset0:85 offset1:86
	ds_load_2addr_b64 v[122:125], v2 offset0:87 offset1:88
	s_wait_dscnt 0x1
	v_fmac_f64_e32 v[130:131], v[116:117], v[112:113]
	s_wait_loadcnt 0x4
	s_delay_alu instid0(VALU_DEP_1)
	v_fmac_f64_e32 v[130:131], v[118:119], v[114:115]
	ds_load_2addr_b64 v[112:115], v2 offset0:89 offset1:90
	ds_load_2addr_b64 v[116:119], v2 offset0:91 offset1:92
	s_wait_dscnt 0x2
	v_fmac_f64_e32 v[130:131], v[120:121], v[122:123]
	s_wait_loadcnt 0x3
	s_delay_alu instid0(VALU_DEP_1) | instskip(SKIP_1) | instid1(VALU_DEP_1)
	v_fmac_f64_e32 v[130:131], v[100:101], v[124:125]
	s_wait_dscnt 0x1
	v_fmac_f64_e32 v[130:131], v[102:103], v[112:113]
	ds_load_2addr_b64 v[100:103], v2 offset0:93 offset1:94
	s_wait_loadcnt 0x2
	v_fmac_f64_e32 v[130:131], v[104:105], v[114:115]
	s_wait_dscnt 0x1
	s_delay_alu instid0(VALU_DEP_1) | instskip(SKIP_1) | instid1(VALU_DEP_1)
	v_fmac_f64_e32 v[130:131], v[106:107], v[116:117]
	s_wait_loadcnt 0x1
	v_fmac_f64_e32 v[130:131], v[108:109], v[118:119]
	s_wait_dscnt 0x0
	s_delay_alu instid0(VALU_DEP_1) | instskip(SKIP_1) | instid1(VALU_DEP_1)
	v_fmac_f64_e32 v[130:131], v[110:111], v[100:101]
	s_wait_loadcnt 0x0
	v_fmac_f64_e32 v[130:131], v[126:127], v[102:103]
	s_delay_alu instid0(VALU_DEP_1)
	v_add_f64_e64 v[2:3], v[98:99], -v[130:131]
	scratch_store_b64 off, v[2:3], off offset:224
	s_wait_xcnt 0x0
	v_cmpx_lt_u32_e32 27, v0
	s_cbranch_execz .LBB110_237
; %bb.236:
	scratch_load_b64 v[2:3], off, off offset:216
	v_mov_b64_e32 v[98:99], 0
	scratch_store_b64 off, v[98:99], off offset:216
	s_wait_loadcnt 0x0
	ds_store_b64 v1, v[2:3]
.LBB110_237:
	s_wait_xcnt 0x0
	s_or_b32 exec_lo, exec_lo, s0
	s_wait_storecnt_dscnt 0x0
	s_barrier_signal -1
	s_barrier_wait -1
	s_clause 0x5
	scratch_load_b128 v[98:101], off, off offset:216
	scratch_load_b128 v[102:105], off, off offset:232
	scratch_load_b128 v[106:109], off, off offset:248
	scratch_load_b128 v[110:113], off, off offset:264
	scratch_load_b128 v[114:117], off, off offset:280
	scratch_load_b128 v[118:121], off, off offset:296
	v_mov_b32_e32 v2, 0
	ds_load_b128 v[122:125], v2 offset:608
	ds_load_b128 v[126:129], v2 offset:624
	s_mov_b32 s0, exec_lo
	s_wait_loadcnt_dscnt 0x501
	v_fma_f64 v[130:131], v[100:101], v[122:123], 0
	s_wait_loadcnt 0x4
	s_delay_alu instid0(VALU_DEP_1) | instskip(SKIP_4) | instid1(VALU_DEP_1)
	v_fmac_f64_e32 v[130:131], v[102:103], v[124:125]
	scratch_load_b128 v[100:103], off, off offset:312
	s_wait_dscnt 0x0
	v_fmac_f64_e32 v[130:131], v[104:105], v[126:127]
	s_wait_loadcnt 0x4
	v_fmac_f64_e32 v[130:131], v[106:107], v[128:129]
	scratch_load_b128 v[104:107], off, off offset:328
	ds_load_b128 v[122:125], v2 offset:640
	ds_load_b128 v[126:129], v2 offset:656
	s_wait_dscnt 0x1
	v_fmac_f64_e32 v[130:131], v[108:109], v[122:123]
	s_wait_loadcnt 0x4
	s_delay_alu instid0(VALU_DEP_1) | instskip(SKIP_4) | instid1(VALU_DEP_1)
	v_fmac_f64_e32 v[130:131], v[110:111], v[124:125]
	scratch_load_b128 v[108:111], off, off offset:344
	s_wait_dscnt 0x0
	v_fmac_f64_e32 v[130:131], v[112:113], v[126:127]
	s_wait_loadcnt 0x4
	v_fmac_f64_e32 v[130:131], v[114:115], v[128:129]
	scratch_load_b128 v[112:115], off, off offset:360
	ds_load_b128 v[122:125], v2 offset:672
	ds_load_b128 v[126:129], v2 offset:688
	s_wait_dscnt 0x1
	v_fmac_f64_e32 v[130:131], v[116:117], v[122:123]
	s_wait_loadcnt 0x4
	s_delay_alu instid0(VALU_DEP_1) | instskip(SKIP_1) | instid1(VALU_DEP_1)
	v_fmac_f64_e32 v[130:131], v[118:119], v[124:125]
	s_wait_dscnt 0x0
	v_fmac_f64_e32 v[130:131], v[120:121], v[126:127]
	ds_load_b128 v[116:119], v2 offset:704
	ds_load_b128 v[120:123], v2 offset:720
	s_wait_loadcnt 0x3
	v_fmac_f64_e32 v[130:131], v[100:101], v[128:129]
	s_wait_dscnt 0x1
	s_delay_alu instid0(VALU_DEP_1) | instskip(SKIP_1) | instid1(VALU_DEP_1)
	v_fmac_f64_e32 v[130:131], v[102:103], v[116:117]
	s_wait_loadcnt 0x2
	v_fmac_f64_e32 v[130:131], v[104:105], v[118:119]
	ds_load_b128 v[100:103], v2 offset:736
	ds_load_b64 v[104:105], v2 offset:752
	s_wait_dscnt 0x2
	v_fmac_f64_e32 v[130:131], v[106:107], v[120:121]
	s_wait_loadcnt 0x1
	s_delay_alu instid0(VALU_DEP_1) | instskip(SKIP_1) | instid1(VALU_DEP_1)
	v_fmac_f64_e32 v[130:131], v[108:109], v[122:123]
	s_wait_dscnt 0x1
	v_fmac_f64_e32 v[130:131], v[110:111], v[100:101]
	s_wait_loadcnt 0x0
	s_delay_alu instid0(VALU_DEP_1) | instskip(SKIP_1) | instid1(VALU_DEP_1)
	v_fmac_f64_e32 v[130:131], v[112:113], v[102:103]
	s_wait_dscnt 0x0
	v_fmac_f64_e32 v[130:131], v[114:115], v[104:105]
	s_delay_alu instid0(VALU_DEP_1)
	v_add_f64_e64 v[98:99], v[98:99], -v[130:131]
	scratch_store_b64 off, v[98:99], off offset:216
	s_wait_xcnt 0x0
	v_cmpx_lt_u32_e32 26, v0
	s_cbranch_execz .LBB110_239
; %bb.238:
	scratch_load_b64 v[98:99], off, off offset:208
	v_mov_b64_e32 v[100:101], 0
	scratch_store_b64 off, v[100:101], off offset:208
	s_wait_loadcnt 0x0
	ds_store_b64 v1, v[98:99]
.LBB110_239:
	s_wait_xcnt 0x0
	s_or_b32 exec_lo, exec_lo, s0
	s_wait_storecnt_dscnt 0x0
	s_barrier_signal -1
	s_barrier_wait -1
	s_clause 0x5
	scratch_load_b128 v[98:101], off, off offset:208
	scratch_load_b128 v[102:105], off, off offset:224
	;; [unrolled: 1-line block ×6, first 2 shown]
	ds_load_2addr_b64 v[122:125], v2 offset0:75 offset1:76
	ds_load_2addr_b64 v[126:129], v2 offset0:77 offset1:78
	s_mov_b32 s0, exec_lo
	s_wait_loadcnt_dscnt 0x501
	v_fma_f64 v[130:131], v[100:101], v[122:123], 0
	s_wait_loadcnt 0x4
	s_delay_alu instid0(VALU_DEP_1) | instskip(SKIP_4) | instid1(VALU_DEP_1)
	v_fmac_f64_e32 v[130:131], v[102:103], v[124:125]
	scratch_load_b128 v[100:103], off, off offset:304
	s_wait_dscnt 0x0
	v_fmac_f64_e32 v[130:131], v[104:105], v[126:127]
	s_wait_loadcnt 0x4
	v_fmac_f64_e32 v[130:131], v[106:107], v[128:129]
	scratch_load_b128 v[104:107], off, off offset:320
	ds_load_2addr_b64 v[122:125], v2 offset0:79 offset1:80
	ds_load_2addr_b64 v[126:129], v2 offset0:81 offset1:82
	s_wait_dscnt 0x1
	v_fmac_f64_e32 v[130:131], v[108:109], v[122:123]
	s_wait_loadcnt 0x4
	s_delay_alu instid0(VALU_DEP_1) | instskip(SKIP_4) | instid1(VALU_DEP_1)
	v_fmac_f64_e32 v[130:131], v[110:111], v[124:125]
	scratch_load_b128 v[108:111], off, off offset:336
	s_wait_dscnt 0x0
	v_fmac_f64_e32 v[130:131], v[112:113], v[126:127]
	s_wait_loadcnt 0x4
	v_fmac_f64_e32 v[130:131], v[114:115], v[128:129]
	scratch_load_b128 v[112:115], off, off offset:352
	ds_load_2addr_b64 v[122:125], v2 offset0:83 offset1:84
	ds_load_2addr_b64 v[126:129], v2 offset0:85 offset1:86
	s_wait_dscnt 0x1
	v_fmac_f64_e32 v[130:131], v[116:117], v[122:123]
	s_wait_loadcnt 0x4
	s_delay_alu instid0(VALU_DEP_1)
	v_fmac_f64_e32 v[130:131], v[118:119], v[124:125]
	scratch_load_b64 v[124:125], off, off offset:368
	s_wait_dscnt 0x0
	v_fmac_f64_e32 v[130:131], v[120:121], v[126:127]
	ds_load_2addr_b64 v[116:119], v2 offset0:87 offset1:88
	ds_load_2addr_b64 v[120:123], v2 offset0:89 offset1:90
	s_wait_loadcnt 0x4
	v_fmac_f64_e32 v[130:131], v[100:101], v[128:129]
	s_wait_dscnt 0x1
	s_delay_alu instid0(VALU_DEP_1) | instskip(SKIP_1) | instid1(VALU_DEP_1)
	v_fmac_f64_e32 v[130:131], v[102:103], v[116:117]
	s_wait_loadcnt 0x3
	v_fmac_f64_e32 v[130:131], v[104:105], v[118:119]
	s_wait_dscnt 0x0
	s_delay_alu instid0(VALU_DEP_1)
	v_fmac_f64_e32 v[130:131], v[106:107], v[120:121]
	ds_load_2addr_b64 v[100:103], v2 offset0:91 offset1:92
	ds_load_2addr_b64 v[104:107], v2 offset0:93 offset1:94
	s_wait_loadcnt 0x2
	v_fmac_f64_e32 v[130:131], v[108:109], v[122:123]
	s_wait_dscnt 0x1
	s_delay_alu instid0(VALU_DEP_1) | instskip(SKIP_1) | instid1(VALU_DEP_1)
	v_fmac_f64_e32 v[130:131], v[110:111], v[100:101]
	s_wait_loadcnt 0x1
	v_fmac_f64_e32 v[130:131], v[112:113], v[102:103]
	s_wait_dscnt 0x0
	s_delay_alu instid0(VALU_DEP_1) | instskip(SKIP_1) | instid1(VALU_DEP_1)
	v_fmac_f64_e32 v[130:131], v[114:115], v[104:105]
	s_wait_loadcnt 0x0
	v_fmac_f64_e32 v[130:131], v[124:125], v[106:107]
	s_delay_alu instid0(VALU_DEP_1)
	v_add_f64_e64 v[2:3], v[98:99], -v[130:131]
	scratch_store_b64 off, v[2:3], off offset:208
	s_wait_xcnt 0x0
	v_cmpx_lt_u32_e32 25, v0
	s_cbranch_execz .LBB110_241
; %bb.240:
	scratch_load_b64 v[2:3], off, off offset:200
	v_mov_b64_e32 v[98:99], 0
	scratch_store_b64 off, v[98:99], off offset:200
	s_wait_loadcnt 0x0
	ds_store_b64 v1, v[2:3]
.LBB110_241:
	s_wait_xcnt 0x0
	s_or_b32 exec_lo, exec_lo, s0
	s_wait_storecnt_dscnt 0x0
	s_barrier_signal -1
	s_barrier_wait -1
	s_clause 0x5
	scratch_load_b128 v[98:101], off, off offset:200
	scratch_load_b128 v[102:105], off, off offset:216
	scratch_load_b128 v[106:109], off, off offset:232
	scratch_load_b128 v[110:113], off, off offset:248
	scratch_load_b128 v[114:117], off, off offset:264
	scratch_load_b128 v[118:121], off, off offset:280
	v_mov_b32_e32 v2, 0
	ds_load_b128 v[122:125], v2 offset:592
	ds_load_b128 v[126:129], v2 offset:608
	s_mov_b32 s0, exec_lo
	s_wait_loadcnt_dscnt 0x501
	v_fma_f64 v[130:131], v[100:101], v[122:123], 0
	s_wait_loadcnt 0x4
	s_delay_alu instid0(VALU_DEP_1) | instskip(SKIP_4) | instid1(VALU_DEP_1)
	v_fmac_f64_e32 v[130:131], v[102:103], v[124:125]
	scratch_load_b128 v[100:103], off, off offset:296
	s_wait_dscnt 0x0
	v_fmac_f64_e32 v[130:131], v[104:105], v[126:127]
	s_wait_loadcnt 0x4
	v_fmac_f64_e32 v[130:131], v[106:107], v[128:129]
	scratch_load_b128 v[104:107], off, off offset:312
	ds_load_b128 v[122:125], v2 offset:624
	ds_load_b128 v[126:129], v2 offset:640
	s_wait_dscnt 0x1
	v_fmac_f64_e32 v[130:131], v[108:109], v[122:123]
	s_wait_loadcnt 0x4
	s_delay_alu instid0(VALU_DEP_1) | instskip(SKIP_4) | instid1(VALU_DEP_1)
	v_fmac_f64_e32 v[130:131], v[110:111], v[124:125]
	scratch_load_b128 v[108:111], off, off offset:328
	s_wait_dscnt 0x0
	v_fmac_f64_e32 v[130:131], v[112:113], v[126:127]
	s_wait_loadcnt 0x4
	v_fmac_f64_e32 v[130:131], v[114:115], v[128:129]
	scratch_load_b128 v[112:115], off, off offset:344
	ds_load_b128 v[122:125], v2 offset:656
	ds_load_b128 v[126:129], v2 offset:672
	s_wait_dscnt 0x1
	v_fmac_f64_e32 v[130:131], v[116:117], v[122:123]
	s_wait_loadcnt 0x4
	s_delay_alu instid0(VALU_DEP_1)
	v_fmac_f64_e32 v[130:131], v[118:119], v[124:125]
	scratch_load_b128 v[116:119], off, off offset:360
	s_wait_dscnt 0x0
	v_fmac_f64_e32 v[130:131], v[120:121], v[126:127]
	ds_load_b128 v[120:123], v2 offset:688
	ds_load_b128 v[124:127], v2 offset:704
	s_wait_loadcnt 0x4
	v_fmac_f64_e32 v[130:131], v[100:101], v[128:129]
	s_wait_dscnt 0x1
	s_delay_alu instid0(VALU_DEP_1) | instskip(SKIP_1) | instid1(VALU_DEP_1)
	v_fmac_f64_e32 v[130:131], v[102:103], v[120:121]
	s_wait_loadcnt 0x3
	v_fmac_f64_e32 v[130:131], v[104:105], v[122:123]
	s_wait_dscnt 0x0
	s_delay_alu instid0(VALU_DEP_1)
	v_fmac_f64_e32 v[130:131], v[106:107], v[124:125]
	ds_load_b128 v[100:103], v2 offset:720
	ds_load_b128 v[104:107], v2 offset:736
	s_wait_loadcnt 0x2
	v_fmac_f64_e32 v[130:131], v[108:109], v[126:127]
	s_wait_dscnt 0x1
	s_delay_alu instid0(VALU_DEP_1) | instskip(SKIP_4) | instid1(VALU_DEP_1)
	v_fmac_f64_e32 v[130:131], v[110:111], v[100:101]
	ds_load_b64 v[100:101], v2 offset:752
	s_wait_loadcnt 0x1
	v_fmac_f64_e32 v[130:131], v[112:113], v[102:103]
	s_wait_dscnt 0x1
	v_fmac_f64_e32 v[130:131], v[114:115], v[104:105]
	s_wait_loadcnt 0x0
	s_delay_alu instid0(VALU_DEP_1) | instskip(SKIP_1) | instid1(VALU_DEP_1)
	v_fmac_f64_e32 v[130:131], v[116:117], v[106:107]
	s_wait_dscnt 0x0
	v_fmac_f64_e32 v[130:131], v[118:119], v[100:101]
	s_delay_alu instid0(VALU_DEP_1)
	v_add_f64_e64 v[98:99], v[98:99], -v[130:131]
	scratch_store_b64 off, v[98:99], off offset:200
	s_wait_xcnt 0x0
	v_cmpx_lt_u32_e32 24, v0
	s_cbranch_execz .LBB110_243
; %bb.242:
	scratch_load_b64 v[98:99], off, off offset:192
	v_mov_b64_e32 v[100:101], 0
	scratch_store_b64 off, v[100:101], off offset:192
	s_wait_loadcnt 0x0
	ds_store_b64 v1, v[98:99]
.LBB110_243:
	s_wait_xcnt 0x0
	s_or_b32 exec_lo, exec_lo, s0
	s_wait_storecnt_dscnt 0x0
	s_barrier_signal -1
	s_barrier_wait -1
	s_clause 0x5
	scratch_load_b128 v[98:101], off, off offset:192
	scratch_load_b128 v[102:105], off, off offset:208
	;; [unrolled: 1-line block ×6, first 2 shown]
	ds_load_2addr_b64 v[122:125], v2 offset0:73 offset1:74
	ds_load_2addr_b64 v[126:129], v2 offset0:75 offset1:76
	scratch_load_b128 v[130:133], off, off offset:288
	s_mov_b32 s0, exec_lo
	s_wait_loadcnt_dscnt 0x601
	v_fma_f64 v[134:135], v[100:101], v[122:123], 0
	s_wait_loadcnt 0x5
	s_delay_alu instid0(VALU_DEP_1) | instskip(SKIP_4) | instid1(VALU_DEP_1)
	v_fmac_f64_e32 v[134:135], v[102:103], v[124:125]
	scratch_load_b128 v[100:103], off, off offset:304
	s_wait_dscnt 0x0
	v_fmac_f64_e32 v[134:135], v[104:105], v[126:127]
	s_wait_loadcnt 0x5
	v_fmac_f64_e32 v[134:135], v[106:107], v[128:129]
	ds_load_2addr_b64 v[104:107], v2 offset0:77 offset1:78
	ds_load_2addr_b64 v[122:125], v2 offset0:79 offset1:80
	s_wait_dscnt 0x1
	v_fmac_f64_e32 v[134:135], v[108:109], v[104:105]
	s_wait_loadcnt 0x4
	s_delay_alu instid0(VALU_DEP_1)
	v_fmac_f64_e32 v[134:135], v[110:111], v[106:107]
	s_clause 0x1
	scratch_load_b128 v[104:107], off, off offset:320
	scratch_load_b128 v[108:111], off, off offset:336
	s_wait_dscnt 0x0
	v_fmac_f64_e32 v[134:135], v[112:113], v[122:123]
	s_wait_loadcnt 0x5
	s_delay_alu instid0(VALU_DEP_1)
	v_fmac_f64_e32 v[134:135], v[114:115], v[124:125]
	ds_load_2addr_b64 v[112:115], v2 offset0:81 offset1:82
	ds_load_2addr_b64 v[122:125], v2 offset0:83 offset1:84
	s_wait_dscnt 0x1
	v_fmac_f64_e32 v[134:135], v[116:117], v[112:113]
	s_wait_loadcnt 0x4
	s_delay_alu instid0(VALU_DEP_1) | instskip(SKIP_4) | instid1(VALU_DEP_1)
	v_fmac_f64_e32 v[134:135], v[118:119], v[114:115]
	scratch_load_b128 v[112:115], off, off offset:352
	s_wait_dscnt 0x0
	v_fmac_f64_e32 v[134:135], v[120:121], v[122:123]
	s_wait_loadcnt 0x4
	v_fmac_f64_e32 v[134:135], v[130:131], v[124:125]
	scratch_load_b64 v[124:125], off, off offset:368
	ds_load_2addr_b64 v[116:119], v2 offset0:85 offset1:86
	ds_load_2addr_b64 v[120:123], v2 offset0:87 offset1:88
	s_wait_dscnt 0x1
	v_fmac_f64_e32 v[134:135], v[132:133], v[116:117]
	s_wait_loadcnt 0x4
	s_delay_alu instid0(VALU_DEP_1) | instskip(SKIP_1) | instid1(VALU_DEP_1)
	v_fmac_f64_e32 v[134:135], v[100:101], v[118:119]
	s_wait_dscnt 0x0
	v_fmac_f64_e32 v[134:135], v[102:103], v[120:121]
	ds_load_2addr_b64 v[100:103], v2 offset0:89 offset1:90
	ds_load_2addr_b64 v[116:119], v2 offset0:91 offset1:92
	s_wait_loadcnt 0x3
	v_fmac_f64_e32 v[134:135], v[104:105], v[122:123]
	s_wait_dscnt 0x1
	s_delay_alu instid0(VALU_DEP_1) | instskip(SKIP_1) | instid1(VALU_DEP_1)
	v_fmac_f64_e32 v[134:135], v[106:107], v[100:101]
	s_wait_loadcnt 0x2
	v_fmac_f64_e32 v[134:135], v[108:109], v[102:103]
	ds_load_2addr_b64 v[100:103], v2 offset0:93 offset1:94
	s_wait_dscnt 0x1
	v_fmac_f64_e32 v[134:135], v[110:111], v[116:117]
	s_wait_loadcnt 0x1
	s_delay_alu instid0(VALU_DEP_1) | instskip(SKIP_1) | instid1(VALU_DEP_1)
	v_fmac_f64_e32 v[134:135], v[112:113], v[118:119]
	s_wait_dscnt 0x0
	v_fmac_f64_e32 v[134:135], v[114:115], v[100:101]
	s_wait_loadcnt 0x0
	s_delay_alu instid0(VALU_DEP_1) | instskip(NEXT) | instid1(VALU_DEP_1)
	v_fmac_f64_e32 v[134:135], v[124:125], v[102:103]
	v_add_f64_e64 v[2:3], v[98:99], -v[134:135]
	scratch_store_b64 off, v[2:3], off offset:192
	s_wait_xcnt 0x0
	v_cmpx_lt_u32_e32 23, v0
	s_cbranch_execz .LBB110_245
; %bb.244:
	scratch_load_b64 v[2:3], off, off offset:184
	v_mov_b64_e32 v[98:99], 0
	scratch_store_b64 off, v[98:99], off offset:184
	s_wait_loadcnt 0x0
	ds_store_b64 v1, v[2:3]
.LBB110_245:
	s_wait_xcnt 0x0
	s_or_b32 exec_lo, exec_lo, s0
	s_wait_storecnt_dscnt 0x0
	s_barrier_signal -1
	s_barrier_wait -1
	s_clause 0x5
	scratch_load_b128 v[98:101], off, off offset:184
	scratch_load_b128 v[102:105], off, off offset:200
	;; [unrolled: 1-line block ×6, first 2 shown]
	v_mov_b32_e32 v2, 0
	ds_load_b128 v[122:125], v2 offset:576
	ds_load_b128 v[126:129], v2 offset:592
	scratch_load_b128 v[130:133], off, off offset:280
	s_mov_b32 s0, exec_lo
	s_wait_loadcnt_dscnt 0x601
	v_fma_f64 v[134:135], v[100:101], v[122:123], 0
	s_wait_loadcnt 0x5
	s_delay_alu instid0(VALU_DEP_1) | instskip(SKIP_4) | instid1(VALU_DEP_1)
	v_fmac_f64_e32 v[134:135], v[102:103], v[124:125]
	scratch_load_b128 v[100:103], off, off offset:296
	s_wait_dscnt 0x0
	v_fmac_f64_e32 v[134:135], v[104:105], v[126:127]
	s_wait_loadcnt 0x5
	v_fmac_f64_e32 v[134:135], v[106:107], v[128:129]
	ds_load_b128 v[104:107], v2 offset:608
	ds_load_b128 v[122:125], v2 offset:624
	s_wait_dscnt 0x1
	v_fmac_f64_e32 v[134:135], v[108:109], v[104:105]
	s_wait_loadcnt 0x4
	s_delay_alu instid0(VALU_DEP_1)
	v_fmac_f64_e32 v[134:135], v[110:111], v[106:107]
	s_clause 0x1
	scratch_load_b128 v[104:107], off, off offset:312
	scratch_load_b128 v[108:111], off, off offset:328
	s_wait_dscnt 0x0
	v_fmac_f64_e32 v[134:135], v[112:113], v[122:123]
	s_wait_loadcnt 0x5
	s_delay_alu instid0(VALU_DEP_1)
	v_fmac_f64_e32 v[134:135], v[114:115], v[124:125]
	ds_load_b128 v[112:115], v2 offset:640
	ds_load_b128 v[122:125], v2 offset:656
	s_wait_dscnt 0x1
	v_fmac_f64_e32 v[134:135], v[116:117], v[112:113]
	s_wait_loadcnt 0x4
	s_delay_alu instid0(VALU_DEP_1)
	v_fmac_f64_e32 v[134:135], v[118:119], v[114:115]
	s_clause 0x1
	scratch_load_b128 v[112:115], off, off offset:344
	scratch_load_b128 v[116:119], off, off offset:360
	s_wait_dscnt 0x0
	v_fmac_f64_e32 v[134:135], v[120:121], v[122:123]
	s_wait_loadcnt 0x5
	s_delay_alu instid0(VALU_DEP_1)
	v_fmac_f64_e32 v[134:135], v[130:131], v[124:125]
	ds_load_b128 v[120:123], v2 offset:672
	ds_load_b128 v[124:127], v2 offset:688
	s_wait_dscnt 0x1
	v_fmac_f64_e32 v[134:135], v[132:133], v[120:121]
	s_wait_loadcnt 0x4
	s_delay_alu instid0(VALU_DEP_1) | instskip(SKIP_1) | instid1(VALU_DEP_1)
	v_fmac_f64_e32 v[134:135], v[100:101], v[122:123]
	s_wait_dscnt 0x0
	v_fmac_f64_e32 v[134:135], v[102:103], v[124:125]
	ds_load_b128 v[100:103], v2 offset:704
	ds_load_b128 v[120:123], v2 offset:720
	s_wait_loadcnt 0x3
	v_fmac_f64_e32 v[134:135], v[104:105], v[126:127]
	s_wait_dscnt 0x1
	s_delay_alu instid0(VALU_DEP_1) | instskip(SKIP_1) | instid1(VALU_DEP_1)
	v_fmac_f64_e32 v[134:135], v[106:107], v[100:101]
	s_wait_loadcnt 0x2
	v_fmac_f64_e32 v[134:135], v[108:109], v[102:103]
	ds_load_b128 v[100:103], v2 offset:736
	ds_load_b64 v[104:105], v2 offset:752
	s_wait_dscnt 0x2
	v_fmac_f64_e32 v[134:135], v[110:111], v[120:121]
	s_wait_loadcnt 0x1
	s_delay_alu instid0(VALU_DEP_1) | instskip(SKIP_1) | instid1(VALU_DEP_1)
	v_fmac_f64_e32 v[134:135], v[112:113], v[122:123]
	s_wait_dscnt 0x1
	v_fmac_f64_e32 v[134:135], v[114:115], v[100:101]
	s_wait_loadcnt 0x0
	s_delay_alu instid0(VALU_DEP_1) | instskip(SKIP_1) | instid1(VALU_DEP_1)
	v_fmac_f64_e32 v[134:135], v[116:117], v[102:103]
	s_wait_dscnt 0x0
	v_fmac_f64_e32 v[134:135], v[118:119], v[104:105]
	s_delay_alu instid0(VALU_DEP_1)
	v_add_f64_e64 v[98:99], v[98:99], -v[134:135]
	scratch_store_b64 off, v[98:99], off offset:184
	s_wait_xcnt 0x0
	v_cmpx_lt_u32_e32 22, v0
	s_cbranch_execz .LBB110_247
; %bb.246:
	scratch_load_b64 v[98:99], off, off offset:176
	v_mov_b64_e32 v[100:101], 0
	scratch_store_b64 off, v[100:101], off offset:176
	s_wait_loadcnt 0x0
	ds_store_b64 v1, v[98:99]
.LBB110_247:
	s_wait_xcnt 0x0
	s_or_b32 exec_lo, exec_lo, s0
	s_wait_storecnt_dscnt 0x0
	s_barrier_signal -1
	s_barrier_wait -1
	s_clause 0x5
	scratch_load_b128 v[98:101], off, off offset:176
	scratch_load_b128 v[102:105], off, off offset:192
	;; [unrolled: 1-line block ×6, first 2 shown]
	ds_load_2addr_b64 v[122:125], v2 offset0:71 offset1:72
	ds_load_2addr_b64 v[126:129], v2 offset0:73 offset1:74
	scratch_load_b128 v[130:133], off, off offset:272
	s_mov_b32 s0, exec_lo
	s_wait_loadcnt_dscnt 0x601
	v_fma_f64 v[134:135], v[100:101], v[122:123], 0
	s_wait_loadcnt 0x5
	s_delay_alu instid0(VALU_DEP_1) | instskip(SKIP_4) | instid1(VALU_DEP_1)
	v_fmac_f64_e32 v[134:135], v[102:103], v[124:125]
	scratch_load_b128 v[100:103], off, off offset:288
	s_wait_dscnt 0x0
	v_fmac_f64_e32 v[134:135], v[104:105], v[126:127]
	s_wait_loadcnt 0x5
	v_fmac_f64_e32 v[134:135], v[106:107], v[128:129]
	ds_load_2addr_b64 v[104:107], v2 offset0:75 offset1:76
	ds_load_2addr_b64 v[122:125], v2 offset0:77 offset1:78
	s_wait_dscnt 0x1
	v_fmac_f64_e32 v[134:135], v[108:109], v[104:105]
	s_wait_loadcnt 0x4
	s_delay_alu instid0(VALU_DEP_1)
	v_fmac_f64_e32 v[134:135], v[110:111], v[106:107]
	s_clause 0x1
	scratch_load_b128 v[104:107], off, off offset:304
	scratch_load_b128 v[108:111], off, off offset:320
	s_wait_dscnt 0x0
	v_fmac_f64_e32 v[134:135], v[112:113], v[122:123]
	s_wait_loadcnt 0x5
	s_delay_alu instid0(VALU_DEP_1)
	v_fmac_f64_e32 v[134:135], v[114:115], v[124:125]
	ds_load_2addr_b64 v[112:115], v2 offset0:79 offset1:80
	ds_load_2addr_b64 v[122:125], v2 offset0:81 offset1:82
	s_wait_dscnt 0x1
	v_fmac_f64_e32 v[134:135], v[116:117], v[112:113]
	s_wait_loadcnt 0x4
	s_delay_alu instid0(VALU_DEP_1)
	v_fmac_f64_e32 v[134:135], v[118:119], v[114:115]
	s_clause 0x1
	scratch_load_b128 v[112:115], off, off offset:336
	scratch_load_b128 v[116:119], off, off offset:352
	s_wait_dscnt 0x0
	v_fmac_f64_e32 v[134:135], v[120:121], v[122:123]
	s_wait_loadcnt 0x5
	s_delay_alu instid0(VALU_DEP_1)
	v_fmac_f64_e32 v[134:135], v[130:131], v[124:125]
	ds_load_2addr_b64 v[120:123], v2 offset0:83 offset1:84
	ds_load_2addr_b64 v[124:127], v2 offset0:85 offset1:86
	scratch_load_b64 v[128:129], off, off offset:368
	s_wait_dscnt 0x1
	v_fmac_f64_e32 v[134:135], v[132:133], v[120:121]
	s_wait_loadcnt 0x5
	s_delay_alu instid0(VALU_DEP_1) | instskip(SKIP_1) | instid1(VALU_DEP_1)
	v_fmac_f64_e32 v[134:135], v[100:101], v[122:123]
	s_wait_dscnt 0x0
	v_fmac_f64_e32 v[134:135], v[102:103], v[124:125]
	ds_load_2addr_b64 v[100:103], v2 offset0:87 offset1:88
	ds_load_2addr_b64 v[120:123], v2 offset0:89 offset1:90
	s_wait_loadcnt 0x4
	v_fmac_f64_e32 v[134:135], v[104:105], v[126:127]
	s_wait_dscnt 0x1
	s_delay_alu instid0(VALU_DEP_1) | instskip(SKIP_1) | instid1(VALU_DEP_1)
	v_fmac_f64_e32 v[134:135], v[106:107], v[100:101]
	s_wait_loadcnt 0x3
	v_fmac_f64_e32 v[134:135], v[108:109], v[102:103]
	ds_load_2addr_b64 v[100:103], v2 offset0:91 offset1:92
	ds_load_2addr_b64 v[104:107], v2 offset0:93 offset1:94
	s_wait_dscnt 0x2
	v_fmac_f64_e32 v[134:135], v[110:111], v[120:121]
	s_wait_loadcnt 0x2
	s_delay_alu instid0(VALU_DEP_1) | instskip(SKIP_1) | instid1(VALU_DEP_1)
	v_fmac_f64_e32 v[134:135], v[112:113], v[122:123]
	s_wait_dscnt 0x1
	v_fmac_f64_e32 v[134:135], v[114:115], v[100:101]
	s_wait_loadcnt 0x1
	s_delay_alu instid0(VALU_DEP_1) | instskip(SKIP_1) | instid1(VALU_DEP_1)
	v_fmac_f64_e32 v[134:135], v[116:117], v[102:103]
	s_wait_dscnt 0x0
	v_fmac_f64_e32 v[134:135], v[118:119], v[104:105]
	s_wait_loadcnt 0x0
	s_delay_alu instid0(VALU_DEP_1) | instskip(NEXT) | instid1(VALU_DEP_1)
	v_fmac_f64_e32 v[134:135], v[128:129], v[106:107]
	v_add_f64_e64 v[2:3], v[98:99], -v[134:135]
	scratch_store_b64 off, v[2:3], off offset:176
	s_wait_xcnt 0x0
	v_cmpx_lt_u32_e32 21, v0
	s_cbranch_execz .LBB110_249
; %bb.248:
	scratch_load_b64 v[2:3], off, off offset:168
	v_mov_b64_e32 v[98:99], 0
	scratch_store_b64 off, v[98:99], off offset:168
	s_wait_loadcnt 0x0
	ds_store_b64 v1, v[2:3]
.LBB110_249:
	s_wait_xcnt 0x0
	s_or_b32 exec_lo, exec_lo, s0
	s_wait_storecnt_dscnt 0x0
	s_barrier_signal -1
	s_barrier_wait -1
	s_clause 0x5
	scratch_load_b128 v[98:101], off, off offset:168
	scratch_load_b128 v[102:105], off, off offset:184
	;; [unrolled: 1-line block ×6, first 2 shown]
	v_mov_b32_e32 v2, 0
	ds_load_b128 v[122:125], v2 offset:560
	ds_load_b128 v[126:129], v2 offset:576
	scratch_load_b128 v[130:133], off, off offset:264
	s_mov_b32 s0, exec_lo
	s_wait_loadcnt_dscnt 0x601
	v_fma_f64 v[134:135], v[100:101], v[122:123], 0
	s_wait_loadcnt 0x5
	s_delay_alu instid0(VALU_DEP_1) | instskip(SKIP_4) | instid1(VALU_DEP_1)
	v_fmac_f64_e32 v[134:135], v[102:103], v[124:125]
	scratch_load_b128 v[100:103], off, off offset:280
	s_wait_dscnt 0x0
	v_fmac_f64_e32 v[134:135], v[104:105], v[126:127]
	s_wait_loadcnt 0x5
	v_fmac_f64_e32 v[134:135], v[106:107], v[128:129]
	ds_load_b128 v[104:107], v2 offset:592
	ds_load_b128 v[122:125], v2 offset:608
	s_wait_dscnt 0x1
	v_fmac_f64_e32 v[134:135], v[108:109], v[104:105]
	s_wait_loadcnt 0x4
	s_delay_alu instid0(VALU_DEP_1)
	v_fmac_f64_e32 v[134:135], v[110:111], v[106:107]
	s_clause 0x1
	scratch_load_b128 v[104:107], off, off offset:296
	scratch_load_b128 v[108:111], off, off offset:312
	s_wait_dscnt 0x0
	v_fmac_f64_e32 v[134:135], v[112:113], v[122:123]
	s_wait_loadcnt 0x5
	s_delay_alu instid0(VALU_DEP_1)
	v_fmac_f64_e32 v[134:135], v[114:115], v[124:125]
	ds_load_b128 v[112:115], v2 offset:624
	ds_load_b128 v[122:125], v2 offset:640
	s_wait_dscnt 0x1
	v_fmac_f64_e32 v[134:135], v[116:117], v[112:113]
	s_wait_loadcnt 0x4
	s_delay_alu instid0(VALU_DEP_1)
	v_fmac_f64_e32 v[134:135], v[118:119], v[114:115]
	s_clause 0x1
	scratch_load_b128 v[112:115], off, off offset:328
	scratch_load_b128 v[116:119], off, off offset:344
	s_wait_dscnt 0x0
	v_fmac_f64_e32 v[134:135], v[120:121], v[122:123]
	s_wait_loadcnt 0x5
	s_delay_alu instid0(VALU_DEP_1)
	v_fmac_f64_e32 v[134:135], v[130:131], v[124:125]
	ds_load_b128 v[120:123], v2 offset:656
	ds_load_b128 v[124:127], v2 offset:672
	s_wait_dscnt 0x1
	v_fmac_f64_e32 v[134:135], v[132:133], v[120:121]
	s_wait_loadcnt 0x4
	s_delay_alu instid0(VALU_DEP_1) | instskip(SKIP_4) | instid1(VALU_DEP_1)
	v_fmac_f64_e32 v[134:135], v[100:101], v[122:123]
	scratch_load_b128 v[120:123], off, off offset:360
	s_wait_dscnt 0x0
	v_fmac_f64_e32 v[134:135], v[102:103], v[124:125]
	s_wait_loadcnt 0x4
	v_fmac_f64_e32 v[134:135], v[104:105], v[126:127]
	ds_load_b128 v[100:103], v2 offset:688
	ds_load_b128 v[124:127], v2 offset:704
	s_wait_dscnt 0x1
	v_fmac_f64_e32 v[134:135], v[106:107], v[100:101]
	s_wait_loadcnt 0x3
	s_delay_alu instid0(VALU_DEP_1)
	v_fmac_f64_e32 v[134:135], v[108:109], v[102:103]
	ds_load_b128 v[100:103], v2 offset:720
	ds_load_b128 v[104:107], v2 offset:736
	s_wait_dscnt 0x2
	v_fmac_f64_e32 v[134:135], v[110:111], v[124:125]
	s_wait_loadcnt 0x2
	s_delay_alu instid0(VALU_DEP_1) | instskip(SKIP_1) | instid1(VALU_DEP_1)
	v_fmac_f64_e32 v[134:135], v[112:113], v[126:127]
	s_wait_dscnt 0x1
	v_fmac_f64_e32 v[134:135], v[114:115], v[100:101]
	ds_load_b64 v[100:101], v2 offset:752
	s_wait_loadcnt 0x1
	v_fmac_f64_e32 v[134:135], v[116:117], v[102:103]
	s_wait_dscnt 0x1
	s_delay_alu instid0(VALU_DEP_1) | instskip(SKIP_1) | instid1(VALU_DEP_1)
	v_fmac_f64_e32 v[134:135], v[118:119], v[104:105]
	s_wait_loadcnt 0x0
	v_fmac_f64_e32 v[134:135], v[120:121], v[106:107]
	s_wait_dscnt 0x0
	s_delay_alu instid0(VALU_DEP_1) | instskip(NEXT) | instid1(VALU_DEP_1)
	v_fmac_f64_e32 v[134:135], v[122:123], v[100:101]
	v_add_f64_e64 v[98:99], v[98:99], -v[134:135]
	scratch_store_b64 off, v[98:99], off offset:168
	s_wait_xcnt 0x0
	v_cmpx_lt_u32_e32 20, v0
	s_cbranch_execz .LBB110_251
; %bb.250:
	scratch_load_b64 v[98:99], off, off offset:160
	v_mov_b64_e32 v[100:101], 0
	scratch_store_b64 off, v[100:101], off offset:160
	s_wait_loadcnt 0x0
	ds_store_b64 v1, v[98:99]
.LBB110_251:
	s_wait_xcnt 0x0
	s_or_b32 exec_lo, exec_lo, s0
	s_wait_storecnt_dscnt 0x0
	s_barrier_signal -1
	s_barrier_wait -1
	s_clause 0x5
	scratch_load_b128 v[98:101], off, off offset:160
	scratch_load_b128 v[102:105], off, off offset:176
	;; [unrolled: 1-line block ×6, first 2 shown]
	ds_load_2addr_b64 v[122:125], v2 offset0:69 offset1:70
	ds_load_2addr_b64 v[126:129], v2 offset0:71 offset1:72
	scratch_load_b128 v[130:133], off, off offset:256
	s_mov_b32 s0, exec_lo
	s_wait_loadcnt_dscnt 0x601
	v_fma_f64 v[134:135], v[100:101], v[122:123], 0
	s_wait_loadcnt 0x5
	s_delay_alu instid0(VALU_DEP_1) | instskip(SKIP_4) | instid1(VALU_DEP_1)
	v_fmac_f64_e32 v[134:135], v[102:103], v[124:125]
	scratch_load_b128 v[100:103], off, off offset:272
	s_wait_dscnt 0x0
	v_fmac_f64_e32 v[134:135], v[104:105], v[126:127]
	s_wait_loadcnt 0x5
	v_fmac_f64_e32 v[134:135], v[106:107], v[128:129]
	ds_load_2addr_b64 v[104:107], v2 offset0:73 offset1:74
	ds_load_2addr_b64 v[122:125], v2 offset0:75 offset1:76
	scratch_load_b128 v[126:129], off, off offset:288
	s_wait_dscnt 0x1
	v_fmac_f64_e32 v[134:135], v[108:109], v[104:105]
	s_wait_loadcnt 0x5
	s_delay_alu instid0(VALU_DEP_1) | instskip(SKIP_4) | instid1(VALU_DEP_1)
	v_fmac_f64_e32 v[134:135], v[110:111], v[106:107]
	scratch_load_b128 v[104:107], off, off offset:304
	s_wait_dscnt 0x0
	v_fmac_f64_e32 v[134:135], v[112:113], v[122:123]
	s_wait_loadcnt 0x5
	v_fmac_f64_e32 v[134:135], v[114:115], v[124:125]
	ds_load_2addr_b64 v[108:111], v2 offset0:77 offset1:78
	ds_load_2addr_b64 v[112:115], v2 offset0:79 offset1:80
	s_wait_dscnt 0x1
	v_fmac_f64_e32 v[134:135], v[116:117], v[108:109]
	s_wait_loadcnt 0x4
	s_delay_alu instid0(VALU_DEP_1) | instskip(SKIP_4) | instid1(VALU_DEP_1)
	v_fmac_f64_e32 v[134:135], v[118:119], v[110:111]
	scratch_load_b128 v[108:111], off, off offset:320
	s_wait_dscnt 0x0
	v_fmac_f64_e32 v[134:135], v[120:121], v[112:113]
	s_wait_loadcnt 0x4
	v_fmac_f64_e32 v[134:135], v[130:131], v[114:115]
	scratch_load_b128 v[112:115], off, off offset:336
	ds_load_2addr_b64 v[116:119], v2 offset0:81 offset1:82
	ds_load_2addr_b64 v[120:123], v2 offset0:83 offset1:84
	scratch_load_b64 v[124:125], off, off offset:368
	s_wait_dscnt 0x1
	v_fmac_f64_e32 v[134:135], v[132:133], v[116:117]
	s_wait_loadcnt 0x5
	s_delay_alu instid0(VALU_DEP_1) | instskip(SKIP_4) | instid1(VALU_DEP_1)
	v_fmac_f64_e32 v[134:135], v[100:101], v[118:119]
	scratch_load_b128 v[116:119], off, off offset:352
	s_wait_dscnt 0x0
	v_fmac_f64_e32 v[134:135], v[102:103], v[120:121]
	s_wait_loadcnt 0x5
	v_fmac_f64_e32 v[134:135], v[126:127], v[122:123]
	ds_load_2addr_b64 v[100:103], v2 offset0:85 offset1:86
	ds_load_2addr_b64 v[120:123], v2 offset0:87 offset1:88
	s_wait_dscnt 0x1
	v_fmac_f64_e32 v[134:135], v[128:129], v[100:101]
	s_wait_loadcnt 0x4
	s_delay_alu instid0(VALU_DEP_1) | instskip(SKIP_1) | instid1(VALU_DEP_1)
	v_fmac_f64_e32 v[134:135], v[104:105], v[102:103]
	s_wait_dscnt 0x0
	v_fmac_f64_e32 v[134:135], v[106:107], v[120:121]
	ds_load_2addr_b64 v[100:103], v2 offset0:89 offset1:90
	ds_load_2addr_b64 v[104:107], v2 offset0:91 offset1:92
	s_wait_loadcnt 0x3
	v_fmac_f64_e32 v[134:135], v[108:109], v[122:123]
	s_wait_dscnt 0x1
	s_delay_alu instid0(VALU_DEP_1) | instskip(SKIP_1) | instid1(VALU_DEP_1)
	v_fmac_f64_e32 v[134:135], v[110:111], v[100:101]
	s_wait_loadcnt 0x2
	v_fmac_f64_e32 v[134:135], v[112:113], v[102:103]
	ds_load_2addr_b64 v[100:103], v2 offset0:93 offset1:94
	s_wait_dscnt 0x1
	v_fmac_f64_e32 v[134:135], v[114:115], v[104:105]
	s_wait_loadcnt 0x0
	s_delay_alu instid0(VALU_DEP_1) | instskip(SKIP_1) | instid1(VALU_DEP_1)
	v_fmac_f64_e32 v[134:135], v[116:117], v[106:107]
	s_wait_dscnt 0x0
	v_fmac_f64_e32 v[134:135], v[118:119], v[100:101]
	s_delay_alu instid0(VALU_DEP_1) | instskip(NEXT) | instid1(VALU_DEP_1)
	v_fmac_f64_e32 v[134:135], v[124:125], v[102:103]
	v_add_f64_e64 v[2:3], v[98:99], -v[134:135]
	scratch_store_b64 off, v[2:3], off offset:160
	s_wait_xcnt 0x0
	v_cmpx_lt_u32_e32 19, v0
	s_cbranch_execz .LBB110_253
; %bb.252:
	scratch_load_b64 v[2:3], off, off offset:152
	v_mov_b64_e32 v[98:99], 0
	scratch_store_b64 off, v[98:99], off offset:152
	s_wait_loadcnt 0x0
	ds_store_b64 v1, v[2:3]
.LBB110_253:
	s_wait_xcnt 0x0
	s_or_b32 exec_lo, exec_lo, s0
	s_wait_storecnt_dscnt 0x0
	s_barrier_signal -1
	s_barrier_wait -1
	s_clause 0x5
	scratch_load_b128 v[98:101], off, off offset:152
	scratch_load_b128 v[102:105], off, off offset:168
	;; [unrolled: 1-line block ×6, first 2 shown]
	v_mov_b32_e32 v2, 0
	ds_load_b128 v[122:125], v2 offset:544
	ds_load_b128 v[126:129], v2 offset:560
	scratch_load_b128 v[130:133], off, off offset:248
	s_mov_b32 s0, exec_lo
	s_wait_loadcnt_dscnt 0x601
	v_fma_f64 v[134:135], v[100:101], v[122:123], 0
	s_wait_loadcnt 0x5
	s_delay_alu instid0(VALU_DEP_1) | instskip(SKIP_4) | instid1(VALU_DEP_1)
	v_fmac_f64_e32 v[134:135], v[102:103], v[124:125]
	scratch_load_b128 v[100:103], off, off offset:264
	s_wait_dscnt 0x0
	v_fmac_f64_e32 v[134:135], v[104:105], v[126:127]
	s_wait_loadcnt 0x5
	v_fmac_f64_e32 v[134:135], v[106:107], v[128:129]
	ds_load_b128 v[104:107], v2 offset:576
	ds_load_b128 v[122:125], v2 offset:592
	scratch_load_b128 v[126:129], off, off offset:280
	s_wait_dscnt 0x1
	v_fmac_f64_e32 v[134:135], v[108:109], v[104:105]
	s_wait_loadcnt 0x5
	s_delay_alu instid0(VALU_DEP_1) | instskip(SKIP_4) | instid1(VALU_DEP_1)
	v_fmac_f64_e32 v[134:135], v[110:111], v[106:107]
	scratch_load_b128 v[104:107], off, off offset:296
	s_wait_dscnt 0x0
	v_fmac_f64_e32 v[134:135], v[112:113], v[122:123]
	s_wait_loadcnt 0x5
	v_fmac_f64_e32 v[134:135], v[114:115], v[124:125]
	ds_load_b128 v[108:111], v2 offset:608
	ds_load_b128 v[112:115], v2 offset:624
	s_wait_dscnt 0x1
	v_fmac_f64_e32 v[134:135], v[116:117], v[108:109]
	s_wait_loadcnt 0x4
	s_delay_alu instid0(VALU_DEP_1) | instskip(SKIP_4) | instid1(VALU_DEP_1)
	v_fmac_f64_e32 v[134:135], v[118:119], v[110:111]
	scratch_load_b128 v[108:111], off, off offset:312
	s_wait_dscnt 0x0
	v_fmac_f64_e32 v[134:135], v[120:121], v[112:113]
	s_wait_loadcnt 0x4
	v_fmac_f64_e32 v[134:135], v[130:131], v[114:115]
	scratch_load_b128 v[112:115], off, off offset:328
	ds_load_b128 v[116:119], v2 offset:640
	ds_load_b128 v[120:123], v2 offset:656
	s_wait_dscnt 0x1
	v_fmac_f64_e32 v[134:135], v[132:133], v[116:117]
	s_wait_loadcnt 0x4
	s_delay_alu instid0(VALU_DEP_1)
	v_fmac_f64_e32 v[134:135], v[100:101], v[118:119]
	scratch_load_b128 v[116:119], off, off offset:344
	s_wait_dscnt 0x0
	v_fmac_f64_e32 v[134:135], v[102:103], v[120:121]
	scratch_load_b128 v[100:103], off, off offset:360
	s_wait_loadcnt 0x5
	v_fmac_f64_e32 v[134:135], v[126:127], v[122:123]
	ds_load_b128 v[120:123], v2 offset:672
	ds_load_b128 v[124:127], v2 offset:688
	s_wait_dscnt 0x1
	v_fmac_f64_e32 v[134:135], v[128:129], v[120:121]
	s_wait_loadcnt 0x4
	s_delay_alu instid0(VALU_DEP_1) | instskip(SKIP_1) | instid1(VALU_DEP_1)
	v_fmac_f64_e32 v[134:135], v[104:105], v[122:123]
	s_wait_dscnt 0x0
	v_fmac_f64_e32 v[134:135], v[106:107], v[124:125]
	ds_load_b128 v[104:107], v2 offset:704
	ds_load_b128 v[120:123], v2 offset:720
	s_wait_loadcnt 0x3
	v_fmac_f64_e32 v[134:135], v[108:109], v[126:127]
	s_wait_dscnt 0x1
	s_delay_alu instid0(VALU_DEP_1) | instskip(SKIP_1) | instid1(VALU_DEP_1)
	v_fmac_f64_e32 v[134:135], v[110:111], v[104:105]
	s_wait_loadcnt 0x2
	v_fmac_f64_e32 v[134:135], v[112:113], v[106:107]
	ds_load_b128 v[104:107], v2 offset:736
	ds_load_b64 v[108:109], v2 offset:752
	s_wait_dscnt 0x2
	v_fmac_f64_e32 v[134:135], v[114:115], v[120:121]
	s_wait_loadcnt 0x1
	s_delay_alu instid0(VALU_DEP_1) | instskip(SKIP_1) | instid1(VALU_DEP_1)
	v_fmac_f64_e32 v[134:135], v[116:117], v[122:123]
	s_wait_dscnt 0x1
	v_fmac_f64_e32 v[134:135], v[118:119], v[104:105]
	s_wait_loadcnt 0x0
	s_delay_alu instid0(VALU_DEP_1) | instskip(SKIP_1) | instid1(VALU_DEP_1)
	v_fmac_f64_e32 v[134:135], v[100:101], v[106:107]
	s_wait_dscnt 0x0
	v_fmac_f64_e32 v[134:135], v[102:103], v[108:109]
	s_delay_alu instid0(VALU_DEP_1)
	v_add_f64_e64 v[98:99], v[98:99], -v[134:135]
	scratch_store_b64 off, v[98:99], off offset:152
	s_wait_xcnt 0x0
	v_cmpx_lt_u32_e32 18, v0
	s_cbranch_execz .LBB110_255
; %bb.254:
	scratch_load_b64 v[98:99], off, off offset:144
	v_mov_b64_e32 v[100:101], 0
	scratch_store_b64 off, v[100:101], off offset:144
	s_wait_loadcnt 0x0
	ds_store_b64 v1, v[98:99]
.LBB110_255:
	s_wait_xcnt 0x0
	s_or_b32 exec_lo, exec_lo, s0
	s_wait_storecnt_dscnt 0x0
	s_barrier_signal -1
	s_barrier_wait -1
	s_clause 0x5
	scratch_load_b128 v[98:101], off, off offset:144
	scratch_load_b128 v[102:105], off, off offset:160
	;; [unrolled: 1-line block ×6, first 2 shown]
	ds_load_2addr_b64 v[122:125], v2 offset0:67 offset1:68
	ds_load_2addr_b64 v[126:129], v2 offset0:69 offset1:70
	scratch_load_b128 v[130:133], off, off offset:240
	s_mov_b32 s0, exec_lo
	s_wait_loadcnt_dscnt 0x601
	v_fma_f64 v[134:135], v[100:101], v[122:123], 0
	s_wait_loadcnt 0x5
	s_delay_alu instid0(VALU_DEP_1) | instskip(SKIP_4) | instid1(VALU_DEP_1)
	v_fmac_f64_e32 v[134:135], v[102:103], v[124:125]
	scratch_load_b128 v[100:103], off, off offset:256
	s_wait_dscnt 0x0
	v_fmac_f64_e32 v[134:135], v[104:105], v[126:127]
	s_wait_loadcnt 0x5
	v_fmac_f64_e32 v[134:135], v[106:107], v[128:129]
	ds_load_2addr_b64 v[104:107], v2 offset0:71 offset1:72
	ds_load_2addr_b64 v[122:125], v2 offset0:73 offset1:74
	scratch_load_b128 v[126:129], off, off offset:272
	s_wait_dscnt 0x1
	v_fmac_f64_e32 v[134:135], v[108:109], v[104:105]
	s_wait_loadcnt 0x5
	s_delay_alu instid0(VALU_DEP_1) | instskip(SKIP_4) | instid1(VALU_DEP_1)
	v_fmac_f64_e32 v[134:135], v[110:111], v[106:107]
	scratch_load_b128 v[104:107], off, off offset:288
	s_wait_dscnt 0x0
	v_fmac_f64_e32 v[134:135], v[112:113], v[122:123]
	s_wait_loadcnt 0x5
	v_fmac_f64_e32 v[134:135], v[114:115], v[124:125]
	ds_load_2addr_b64 v[108:111], v2 offset0:75 offset1:76
	ds_load_2addr_b64 v[112:115], v2 offset0:77 offset1:78
	s_wait_dscnt 0x1
	v_fmac_f64_e32 v[134:135], v[116:117], v[108:109]
	s_wait_loadcnt 0x4
	s_delay_alu instid0(VALU_DEP_1) | instskip(SKIP_4) | instid1(VALU_DEP_1)
	v_fmac_f64_e32 v[134:135], v[118:119], v[110:111]
	scratch_load_b128 v[108:111], off, off offset:304
	s_wait_dscnt 0x0
	v_fmac_f64_e32 v[134:135], v[120:121], v[112:113]
	s_wait_loadcnt 0x4
	v_fmac_f64_e32 v[134:135], v[130:131], v[114:115]
	scratch_load_b128 v[112:115], off, off offset:320
	ds_load_2addr_b64 v[116:119], v2 offset0:79 offset1:80
	ds_load_2addr_b64 v[120:123], v2 offset0:81 offset1:82
	s_wait_dscnt 0x1
	v_fmac_f64_e32 v[134:135], v[132:133], v[116:117]
	s_wait_loadcnt 0x4
	s_delay_alu instid0(VALU_DEP_1)
	v_fmac_f64_e32 v[134:135], v[100:101], v[118:119]
	scratch_load_b128 v[116:119], off, off offset:336
	s_wait_dscnt 0x0
	v_fmac_f64_e32 v[134:135], v[102:103], v[120:121]
	scratch_load_b128 v[100:103], off, off offset:352
	s_wait_loadcnt 0x5
	v_fmac_f64_e32 v[134:135], v[126:127], v[122:123]
	ds_load_2addr_b64 v[120:123], v2 offset0:83 offset1:84
	ds_load_2addr_b64 v[124:127], v2 offset0:85 offset1:86
	s_wait_dscnt 0x1
	v_fmac_f64_e32 v[134:135], v[128:129], v[120:121]
	scratch_load_b64 v[128:129], off, off offset:368
	s_wait_loadcnt 0x5
	v_fmac_f64_e32 v[134:135], v[104:105], v[122:123]
	s_wait_dscnt 0x0
	s_delay_alu instid0(VALU_DEP_1)
	v_fmac_f64_e32 v[134:135], v[106:107], v[124:125]
	ds_load_2addr_b64 v[104:107], v2 offset0:87 offset1:88
	ds_load_2addr_b64 v[120:123], v2 offset0:89 offset1:90
	s_wait_loadcnt 0x4
	v_fmac_f64_e32 v[134:135], v[108:109], v[126:127]
	s_wait_dscnt 0x1
	s_delay_alu instid0(VALU_DEP_1) | instskip(SKIP_1) | instid1(VALU_DEP_1)
	v_fmac_f64_e32 v[134:135], v[110:111], v[104:105]
	s_wait_loadcnt 0x3
	v_fmac_f64_e32 v[134:135], v[112:113], v[106:107]
	ds_load_2addr_b64 v[104:107], v2 offset0:91 offset1:92
	ds_load_2addr_b64 v[108:111], v2 offset0:93 offset1:94
	s_wait_dscnt 0x2
	v_fmac_f64_e32 v[134:135], v[114:115], v[120:121]
	s_wait_loadcnt 0x2
	s_delay_alu instid0(VALU_DEP_1) | instskip(SKIP_1) | instid1(VALU_DEP_1)
	v_fmac_f64_e32 v[134:135], v[116:117], v[122:123]
	s_wait_dscnt 0x1
	v_fmac_f64_e32 v[134:135], v[118:119], v[104:105]
	s_wait_loadcnt 0x1
	s_delay_alu instid0(VALU_DEP_1) | instskip(SKIP_1) | instid1(VALU_DEP_1)
	v_fmac_f64_e32 v[134:135], v[100:101], v[106:107]
	s_wait_dscnt 0x0
	v_fmac_f64_e32 v[134:135], v[102:103], v[108:109]
	s_wait_loadcnt 0x0
	s_delay_alu instid0(VALU_DEP_1) | instskip(NEXT) | instid1(VALU_DEP_1)
	v_fmac_f64_e32 v[134:135], v[128:129], v[110:111]
	v_add_f64_e64 v[2:3], v[98:99], -v[134:135]
	scratch_store_b64 off, v[2:3], off offset:144
	s_wait_xcnt 0x0
	v_cmpx_lt_u32_e32 17, v0
	s_cbranch_execz .LBB110_257
; %bb.256:
	scratch_load_b64 v[2:3], off, off offset:136
	v_mov_b64_e32 v[98:99], 0
	scratch_store_b64 off, v[98:99], off offset:136
	s_wait_loadcnt 0x0
	ds_store_b64 v1, v[2:3]
.LBB110_257:
	s_wait_xcnt 0x0
	s_or_b32 exec_lo, exec_lo, s0
	s_wait_storecnt_dscnt 0x0
	s_barrier_signal -1
	s_barrier_wait -1
	s_clause 0x5
	scratch_load_b128 v[98:101], off, off offset:136
	scratch_load_b128 v[102:105], off, off offset:152
	;; [unrolled: 1-line block ×6, first 2 shown]
	v_mov_b32_e32 v2, 0
	ds_load_b128 v[122:125], v2 offset:528
	ds_load_b128 v[126:129], v2 offset:544
	scratch_load_b128 v[130:133], off, off offset:232
	s_mov_b32 s0, exec_lo
	s_wait_loadcnt_dscnt 0x601
	v_fma_f64 v[134:135], v[100:101], v[122:123], 0
	s_wait_loadcnt 0x5
	s_delay_alu instid0(VALU_DEP_1) | instskip(SKIP_4) | instid1(VALU_DEP_1)
	v_fmac_f64_e32 v[134:135], v[102:103], v[124:125]
	scratch_load_b128 v[100:103], off, off offset:248
	s_wait_dscnt 0x0
	v_fmac_f64_e32 v[134:135], v[104:105], v[126:127]
	s_wait_loadcnt 0x5
	v_fmac_f64_e32 v[134:135], v[106:107], v[128:129]
	ds_load_b128 v[104:107], v2 offset:560
	ds_load_b128 v[122:125], v2 offset:576
	scratch_load_b128 v[126:129], off, off offset:264
	s_wait_dscnt 0x1
	v_fmac_f64_e32 v[134:135], v[108:109], v[104:105]
	s_wait_loadcnt 0x5
	s_delay_alu instid0(VALU_DEP_1) | instskip(SKIP_4) | instid1(VALU_DEP_1)
	v_fmac_f64_e32 v[134:135], v[110:111], v[106:107]
	scratch_load_b128 v[104:107], off, off offset:280
	s_wait_dscnt 0x0
	v_fmac_f64_e32 v[134:135], v[112:113], v[122:123]
	s_wait_loadcnt 0x5
	v_fmac_f64_e32 v[134:135], v[114:115], v[124:125]
	ds_load_b128 v[108:111], v2 offset:592
	ds_load_b128 v[112:115], v2 offset:608
	s_wait_dscnt 0x1
	v_fmac_f64_e32 v[134:135], v[116:117], v[108:109]
	s_wait_loadcnt 0x4
	s_delay_alu instid0(VALU_DEP_1) | instskip(SKIP_4) | instid1(VALU_DEP_1)
	v_fmac_f64_e32 v[134:135], v[118:119], v[110:111]
	scratch_load_b128 v[108:111], off, off offset:296
	s_wait_dscnt 0x0
	v_fmac_f64_e32 v[134:135], v[120:121], v[112:113]
	s_wait_loadcnt 0x4
	v_fmac_f64_e32 v[134:135], v[130:131], v[114:115]
	scratch_load_b128 v[112:115], off, off offset:312
	ds_load_b128 v[116:119], v2 offset:624
	ds_load_b128 v[120:123], v2 offset:640
	s_wait_dscnt 0x1
	v_fmac_f64_e32 v[134:135], v[132:133], v[116:117]
	s_wait_loadcnt 0x4
	s_delay_alu instid0(VALU_DEP_1)
	v_fmac_f64_e32 v[134:135], v[100:101], v[118:119]
	scratch_load_b128 v[116:119], off, off offset:328
	s_wait_dscnt 0x0
	v_fmac_f64_e32 v[134:135], v[102:103], v[120:121]
	scratch_load_b128 v[100:103], off, off offset:344
	s_wait_loadcnt 0x5
	v_fmac_f64_e32 v[134:135], v[126:127], v[122:123]
	ds_load_b128 v[120:123], v2 offset:656
	ds_load_b128 v[124:127], v2 offset:672
	s_wait_dscnt 0x1
	v_fmac_f64_e32 v[134:135], v[128:129], v[120:121]
	s_wait_loadcnt 0x4
	s_delay_alu instid0(VALU_DEP_1) | instskip(SKIP_4) | instid1(VALU_DEP_1)
	v_fmac_f64_e32 v[134:135], v[104:105], v[122:123]
	scratch_load_b128 v[120:123], off, off offset:360
	s_wait_dscnt 0x0
	v_fmac_f64_e32 v[134:135], v[106:107], v[124:125]
	s_wait_loadcnt 0x4
	v_fmac_f64_e32 v[134:135], v[108:109], v[126:127]
	ds_load_b128 v[104:107], v2 offset:688
	ds_load_b128 v[124:127], v2 offset:704
	s_wait_dscnt 0x1
	v_fmac_f64_e32 v[134:135], v[110:111], v[104:105]
	s_wait_loadcnt 0x3
	s_delay_alu instid0(VALU_DEP_1)
	v_fmac_f64_e32 v[134:135], v[112:113], v[106:107]
	ds_load_b128 v[104:107], v2 offset:720
	ds_load_b128 v[108:111], v2 offset:736
	s_wait_dscnt 0x2
	v_fmac_f64_e32 v[134:135], v[114:115], v[124:125]
	s_wait_loadcnt 0x2
	s_delay_alu instid0(VALU_DEP_1) | instskip(SKIP_1) | instid1(VALU_DEP_1)
	v_fmac_f64_e32 v[134:135], v[116:117], v[126:127]
	s_wait_dscnt 0x1
	v_fmac_f64_e32 v[134:135], v[118:119], v[104:105]
	s_wait_loadcnt 0x1
	s_delay_alu instid0(VALU_DEP_1) | instskip(SKIP_4) | instid1(VALU_DEP_1)
	v_fmac_f64_e32 v[134:135], v[100:101], v[106:107]
	ds_load_b64 v[100:101], v2 offset:752
	s_wait_dscnt 0x1
	v_fmac_f64_e32 v[134:135], v[102:103], v[108:109]
	s_wait_loadcnt 0x0
	v_fmac_f64_e32 v[134:135], v[120:121], v[110:111]
	s_wait_dscnt 0x0
	s_delay_alu instid0(VALU_DEP_1) | instskip(NEXT) | instid1(VALU_DEP_1)
	v_fmac_f64_e32 v[134:135], v[122:123], v[100:101]
	v_add_f64_e64 v[98:99], v[98:99], -v[134:135]
	scratch_store_b64 off, v[98:99], off offset:136
	s_wait_xcnt 0x0
	v_cmpx_lt_u32_e32 16, v0
	s_cbranch_execz .LBB110_259
; %bb.258:
	scratch_load_b64 v[98:99], off, off offset:128
	v_mov_b64_e32 v[100:101], 0
	scratch_store_b64 off, v[100:101], off offset:128
	s_wait_loadcnt 0x0
	ds_store_b64 v1, v[98:99]
.LBB110_259:
	s_wait_xcnt 0x0
	s_or_b32 exec_lo, exec_lo, s0
	s_wait_storecnt_dscnt 0x0
	s_barrier_signal -1
	s_barrier_wait -1
	s_clause 0x5
	scratch_load_b128 v[98:101], off, off offset:128
	scratch_load_b128 v[102:105], off, off offset:144
	;; [unrolled: 1-line block ×6, first 2 shown]
	ds_load_2addr_b64 v[122:125], v2 offset0:65 offset1:66
	ds_load_2addr_b64 v[126:129], v2 offset0:67 offset1:68
	scratch_load_b128 v[130:133], off, off offset:224
	s_mov_b32 s0, exec_lo
	s_wait_loadcnt_dscnt 0x601
	v_fma_f64 v[134:135], v[100:101], v[122:123], 0
	s_wait_loadcnt 0x5
	s_delay_alu instid0(VALU_DEP_1) | instskip(SKIP_4) | instid1(VALU_DEP_1)
	v_fmac_f64_e32 v[134:135], v[102:103], v[124:125]
	scratch_load_b128 v[100:103], off, off offset:240
	s_wait_dscnt 0x0
	v_fmac_f64_e32 v[134:135], v[104:105], v[126:127]
	s_wait_loadcnt 0x5
	v_fmac_f64_e32 v[134:135], v[106:107], v[128:129]
	ds_load_2addr_b64 v[104:107], v2 offset0:69 offset1:70
	ds_load_2addr_b64 v[122:125], v2 offset0:71 offset1:72
	scratch_load_b128 v[126:129], off, off offset:256
	s_wait_dscnt 0x1
	v_fmac_f64_e32 v[134:135], v[108:109], v[104:105]
	s_wait_loadcnt 0x5
	s_delay_alu instid0(VALU_DEP_1) | instskip(SKIP_4) | instid1(VALU_DEP_1)
	v_fmac_f64_e32 v[134:135], v[110:111], v[106:107]
	scratch_load_b128 v[104:107], off, off offset:272
	s_wait_dscnt 0x0
	v_fmac_f64_e32 v[134:135], v[112:113], v[122:123]
	s_wait_loadcnt 0x5
	v_fmac_f64_e32 v[134:135], v[114:115], v[124:125]
	ds_load_2addr_b64 v[108:111], v2 offset0:73 offset1:74
	ds_load_2addr_b64 v[112:115], v2 offset0:75 offset1:76
	scratch_load_b128 v[122:125], off, off offset:288
	s_wait_dscnt 0x1
	v_fmac_f64_e32 v[134:135], v[116:117], v[108:109]
	s_wait_loadcnt 0x5
	s_delay_alu instid0(VALU_DEP_1) | instskip(SKIP_4) | instid1(VALU_DEP_1)
	v_fmac_f64_e32 v[134:135], v[118:119], v[110:111]
	scratch_load_b128 v[108:111], off, off offset:304
	s_wait_dscnt 0x0
	v_fmac_f64_e32 v[134:135], v[120:121], v[112:113]
	s_wait_loadcnt 0x5
	v_fmac_f64_e32 v[134:135], v[130:131], v[114:115]
	ds_load_2addr_b64 v[112:115], v2 offset0:77 offset1:78
	ds_load_2addr_b64 v[116:119], v2 offset0:79 offset1:80
	s_wait_dscnt 0x1
	v_fmac_f64_e32 v[134:135], v[132:133], v[112:113]
	s_wait_loadcnt 0x4
	s_delay_alu instid0(VALU_DEP_1)
	v_fmac_f64_e32 v[134:135], v[100:101], v[114:115]
	scratch_load_b128 v[112:115], off, off offset:320
	s_wait_dscnt 0x0
	v_fmac_f64_e32 v[134:135], v[102:103], v[116:117]
	scratch_load_b128 v[100:103], off, off offset:336
	s_wait_loadcnt 0x5
	v_fmac_f64_e32 v[134:135], v[126:127], v[118:119]
	ds_load_2addr_b64 v[116:119], v2 offset0:81 offset1:82
	ds_load_2addr_b64 v[130:133], v2 offset0:83 offset1:84
	scratch_load_b64 v[126:127], off, off offset:368
	s_wait_dscnt 0x1
	v_fmac_f64_e32 v[134:135], v[128:129], v[116:117]
	s_wait_loadcnt 0x5
	s_delay_alu instid0(VALU_DEP_1) | instskip(SKIP_4) | instid1(VALU_DEP_1)
	v_fmac_f64_e32 v[134:135], v[104:105], v[118:119]
	scratch_load_b128 v[116:119], off, off offset:352
	s_wait_dscnt 0x0
	v_fmac_f64_e32 v[134:135], v[106:107], v[130:131]
	s_wait_loadcnt 0x5
	v_fmac_f64_e32 v[134:135], v[122:123], v[132:133]
	ds_load_2addr_b64 v[104:107], v2 offset0:85 offset1:86
	ds_load_2addr_b64 v[120:123], v2 offset0:87 offset1:88
	s_wait_dscnt 0x1
	v_fmac_f64_e32 v[134:135], v[124:125], v[104:105]
	s_wait_loadcnt 0x4
	s_delay_alu instid0(VALU_DEP_1) | instskip(SKIP_1) | instid1(VALU_DEP_1)
	v_fmac_f64_e32 v[134:135], v[108:109], v[106:107]
	s_wait_dscnt 0x0
	v_fmac_f64_e32 v[134:135], v[110:111], v[120:121]
	ds_load_2addr_b64 v[104:107], v2 offset0:89 offset1:90
	ds_load_2addr_b64 v[108:111], v2 offset0:91 offset1:92
	s_wait_loadcnt 0x3
	v_fmac_f64_e32 v[134:135], v[112:113], v[122:123]
	s_wait_dscnt 0x1
	s_delay_alu instid0(VALU_DEP_1) | instskip(SKIP_1) | instid1(VALU_DEP_1)
	v_fmac_f64_e32 v[134:135], v[114:115], v[104:105]
	s_wait_loadcnt 0x2
	v_fmac_f64_e32 v[134:135], v[100:101], v[106:107]
	s_wait_dscnt 0x0
	s_delay_alu instid0(VALU_DEP_1) | instskip(SKIP_4) | instid1(VALU_DEP_1)
	v_fmac_f64_e32 v[134:135], v[102:103], v[108:109]
	ds_load_2addr_b64 v[100:103], v2 offset0:93 offset1:94
	s_wait_loadcnt 0x0
	v_fmac_f64_e32 v[134:135], v[116:117], v[110:111]
	s_wait_dscnt 0x0
	v_fmac_f64_e32 v[134:135], v[118:119], v[100:101]
	s_delay_alu instid0(VALU_DEP_1) | instskip(NEXT) | instid1(VALU_DEP_1)
	v_fmac_f64_e32 v[134:135], v[126:127], v[102:103]
	v_add_f64_e64 v[2:3], v[98:99], -v[134:135]
	scratch_store_b64 off, v[2:3], off offset:128
	s_wait_xcnt 0x0
	v_cmpx_lt_u32_e32 15, v0
	s_cbranch_execz .LBB110_261
; %bb.260:
	scratch_load_b64 v[2:3], off, off offset:120
	v_mov_b64_e32 v[98:99], 0
	scratch_store_b64 off, v[98:99], off offset:120
	s_wait_loadcnt 0x0
	ds_store_b64 v1, v[2:3]
.LBB110_261:
	s_wait_xcnt 0x0
	s_or_b32 exec_lo, exec_lo, s0
	s_wait_storecnt_dscnt 0x0
	s_barrier_signal -1
	s_barrier_wait -1
	s_clause 0x5
	scratch_load_b128 v[98:101], off, off offset:120
	scratch_load_b128 v[102:105], off, off offset:136
	;; [unrolled: 1-line block ×6, first 2 shown]
	v_mov_b32_e32 v2, 0
	ds_load_b128 v[122:125], v2 offset:512
	ds_load_b128 v[126:129], v2 offset:528
	scratch_load_b128 v[130:133], off, off offset:216
	s_mov_b32 s0, exec_lo
	s_wait_loadcnt_dscnt 0x601
	v_fma_f64 v[134:135], v[100:101], v[122:123], 0
	s_wait_loadcnt 0x5
	s_delay_alu instid0(VALU_DEP_1) | instskip(SKIP_4) | instid1(VALU_DEP_1)
	v_fmac_f64_e32 v[134:135], v[102:103], v[124:125]
	scratch_load_b128 v[100:103], off, off offset:232
	s_wait_dscnt 0x0
	v_fmac_f64_e32 v[134:135], v[104:105], v[126:127]
	s_wait_loadcnt 0x5
	v_fmac_f64_e32 v[134:135], v[106:107], v[128:129]
	ds_load_b128 v[104:107], v2 offset:544
	ds_load_b128 v[122:125], v2 offset:560
	scratch_load_b128 v[126:129], off, off offset:248
	s_wait_dscnt 0x1
	v_fmac_f64_e32 v[134:135], v[108:109], v[104:105]
	s_wait_loadcnt 0x5
	s_delay_alu instid0(VALU_DEP_1) | instskip(SKIP_4) | instid1(VALU_DEP_1)
	v_fmac_f64_e32 v[134:135], v[110:111], v[106:107]
	scratch_load_b128 v[104:107], off, off offset:264
	s_wait_dscnt 0x0
	v_fmac_f64_e32 v[134:135], v[112:113], v[122:123]
	s_wait_loadcnt 0x5
	v_fmac_f64_e32 v[134:135], v[114:115], v[124:125]
	ds_load_b128 v[108:111], v2 offset:576
	ds_load_b128 v[112:115], v2 offset:592
	scratch_load_b128 v[122:125], off, off offset:280
	s_wait_dscnt 0x1
	v_fmac_f64_e32 v[134:135], v[116:117], v[108:109]
	s_wait_loadcnt 0x5
	s_delay_alu instid0(VALU_DEP_1) | instskip(SKIP_4) | instid1(VALU_DEP_1)
	v_fmac_f64_e32 v[134:135], v[118:119], v[110:111]
	scratch_load_b128 v[108:111], off, off offset:296
	s_wait_dscnt 0x0
	v_fmac_f64_e32 v[134:135], v[120:121], v[112:113]
	s_wait_loadcnt 0x5
	v_fmac_f64_e32 v[134:135], v[130:131], v[114:115]
	ds_load_b128 v[112:115], v2 offset:608
	ds_load_b128 v[116:119], v2 offset:624
	s_wait_dscnt 0x1
	v_fmac_f64_e32 v[134:135], v[132:133], v[112:113]
	s_wait_loadcnt 0x4
	s_delay_alu instid0(VALU_DEP_1)
	v_fmac_f64_e32 v[134:135], v[100:101], v[114:115]
	scratch_load_b128 v[112:115], off, off offset:312
	s_wait_dscnt 0x0
	v_fmac_f64_e32 v[134:135], v[102:103], v[116:117]
	scratch_load_b128 v[100:103], off, off offset:328
	s_wait_loadcnt 0x5
	v_fmac_f64_e32 v[134:135], v[126:127], v[118:119]
	ds_load_b128 v[116:119], v2 offset:640
	ds_load_b128 v[130:133], v2 offset:656
	s_wait_dscnt 0x1
	v_fmac_f64_e32 v[134:135], v[128:129], v[116:117]
	s_wait_loadcnt 0x4
	s_delay_alu instid0(VALU_DEP_1)
	v_fmac_f64_e32 v[134:135], v[104:105], v[118:119]
	scratch_load_b128 v[116:119], off, off offset:344
	s_wait_dscnt 0x0
	v_fmac_f64_e32 v[134:135], v[106:107], v[130:131]
	scratch_load_b128 v[104:107], off, off offset:360
	s_wait_loadcnt 0x5
	v_fmac_f64_e32 v[134:135], v[122:123], v[132:133]
	ds_load_b128 v[120:123], v2 offset:672
	ds_load_b128 v[126:129], v2 offset:688
	s_wait_dscnt 0x1
	v_fmac_f64_e32 v[134:135], v[124:125], v[120:121]
	s_wait_loadcnt 0x4
	s_delay_alu instid0(VALU_DEP_1) | instskip(SKIP_1) | instid1(VALU_DEP_1)
	v_fmac_f64_e32 v[134:135], v[108:109], v[122:123]
	s_wait_dscnt 0x0
	v_fmac_f64_e32 v[134:135], v[110:111], v[126:127]
	ds_load_b128 v[108:111], v2 offset:704
	ds_load_b128 v[120:123], v2 offset:720
	s_wait_loadcnt 0x3
	v_fmac_f64_e32 v[134:135], v[112:113], v[128:129]
	s_wait_dscnt 0x1
	s_delay_alu instid0(VALU_DEP_1) | instskip(SKIP_1) | instid1(VALU_DEP_1)
	v_fmac_f64_e32 v[134:135], v[114:115], v[108:109]
	s_wait_loadcnt 0x2
	v_fmac_f64_e32 v[134:135], v[100:101], v[110:111]
	s_wait_dscnt 0x0
	s_delay_alu instid0(VALU_DEP_1)
	v_fmac_f64_e32 v[134:135], v[102:103], v[120:121]
	ds_load_b128 v[100:103], v2 offset:736
	ds_load_b64 v[108:109], v2 offset:752
	s_wait_loadcnt 0x1
	v_fmac_f64_e32 v[134:135], v[116:117], v[122:123]
	s_wait_dscnt 0x1
	s_delay_alu instid0(VALU_DEP_1) | instskip(SKIP_1) | instid1(VALU_DEP_1)
	v_fmac_f64_e32 v[134:135], v[118:119], v[100:101]
	s_wait_loadcnt 0x0
	v_fmac_f64_e32 v[134:135], v[104:105], v[102:103]
	s_wait_dscnt 0x0
	s_delay_alu instid0(VALU_DEP_1) | instskip(NEXT) | instid1(VALU_DEP_1)
	v_fmac_f64_e32 v[134:135], v[106:107], v[108:109]
	v_add_f64_e64 v[98:99], v[98:99], -v[134:135]
	scratch_store_b64 off, v[98:99], off offset:120
	s_wait_xcnt 0x0
	v_cmpx_lt_u32_e32 14, v0
	s_cbranch_execz .LBB110_263
; %bb.262:
	scratch_load_b64 v[98:99], off, off offset:112
	v_mov_b64_e32 v[100:101], 0
	scratch_store_b64 off, v[100:101], off offset:112
	s_wait_loadcnt 0x0
	ds_store_b64 v1, v[98:99]
.LBB110_263:
	s_wait_xcnt 0x0
	s_or_b32 exec_lo, exec_lo, s0
	s_wait_storecnt_dscnt 0x0
	s_barrier_signal -1
	s_barrier_wait -1
	s_clause 0x5
	scratch_load_b128 v[98:101], off, off offset:112
	scratch_load_b128 v[102:105], off, off offset:128
	;; [unrolled: 1-line block ×6, first 2 shown]
	ds_load_2addr_b64 v[122:125], v2 offset0:63 offset1:64
	ds_load_2addr_b64 v[126:129], v2 offset0:65 offset1:66
	scratch_load_b128 v[130:133], off, off offset:208
	s_mov_b32 s0, exec_lo
	s_wait_loadcnt_dscnt 0x601
	v_fma_f64 v[134:135], v[100:101], v[122:123], 0
	s_wait_loadcnt 0x5
	s_delay_alu instid0(VALU_DEP_1) | instskip(SKIP_4) | instid1(VALU_DEP_1)
	v_fmac_f64_e32 v[134:135], v[102:103], v[124:125]
	scratch_load_b128 v[100:103], off, off offset:224
	s_wait_dscnt 0x0
	v_fmac_f64_e32 v[134:135], v[104:105], v[126:127]
	s_wait_loadcnt 0x5
	v_fmac_f64_e32 v[134:135], v[106:107], v[128:129]
	ds_load_2addr_b64 v[104:107], v2 offset0:67 offset1:68
	ds_load_2addr_b64 v[122:125], v2 offset0:69 offset1:70
	scratch_load_b128 v[126:129], off, off offset:240
	s_wait_dscnt 0x1
	v_fmac_f64_e32 v[134:135], v[108:109], v[104:105]
	s_wait_loadcnt 0x5
	s_delay_alu instid0(VALU_DEP_1) | instskip(SKIP_4) | instid1(VALU_DEP_1)
	v_fmac_f64_e32 v[134:135], v[110:111], v[106:107]
	scratch_load_b128 v[104:107], off, off offset:256
	s_wait_dscnt 0x0
	v_fmac_f64_e32 v[134:135], v[112:113], v[122:123]
	s_wait_loadcnt 0x5
	v_fmac_f64_e32 v[134:135], v[114:115], v[124:125]
	ds_load_2addr_b64 v[108:111], v2 offset0:71 offset1:72
	ds_load_2addr_b64 v[112:115], v2 offset0:73 offset1:74
	scratch_load_b128 v[122:125], off, off offset:272
	s_wait_dscnt 0x1
	v_fmac_f64_e32 v[134:135], v[116:117], v[108:109]
	s_wait_loadcnt 0x5
	s_delay_alu instid0(VALU_DEP_1) | instskip(SKIP_4) | instid1(VALU_DEP_1)
	v_fmac_f64_e32 v[134:135], v[118:119], v[110:111]
	scratch_load_b128 v[108:111], off, off offset:288
	s_wait_dscnt 0x0
	v_fmac_f64_e32 v[134:135], v[120:121], v[112:113]
	s_wait_loadcnt 0x5
	v_fmac_f64_e32 v[134:135], v[130:131], v[114:115]
	ds_load_2addr_b64 v[112:115], v2 offset0:75 offset1:76
	ds_load_2addr_b64 v[116:119], v2 offset0:77 offset1:78
	s_wait_dscnt 0x1
	v_fmac_f64_e32 v[134:135], v[132:133], v[112:113]
	s_wait_loadcnt 0x4
	s_delay_alu instid0(VALU_DEP_1)
	v_fmac_f64_e32 v[134:135], v[100:101], v[114:115]
	scratch_load_b128 v[112:115], off, off offset:304
	s_wait_dscnt 0x0
	v_fmac_f64_e32 v[134:135], v[102:103], v[116:117]
	scratch_load_b128 v[100:103], off, off offset:320
	s_wait_loadcnt 0x5
	v_fmac_f64_e32 v[134:135], v[126:127], v[118:119]
	ds_load_2addr_b64 v[116:119], v2 offset0:79 offset1:80
	ds_load_2addr_b64 v[130:133], v2 offset0:81 offset1:82
	s_wait_dscnt 0x1
	v_fmac_f64_e32 v[134:135], v[128:129], v[116:117]
	s_wait_loadcnt 0x4
	s_delay_alu instid0(VALU_DEP_1)
	v_fmac_f64_e32 v[134:135], v[104:105], v[118:119]
	scratch_load_b128 v[116:119], off, off offset:336
	s_wait_dscnt 0x0
	v_fmac_f64_e32 v[134:135], v[106:107], v[130:131]
	scratch_load_b128 v[104:107], off, off offset:352
	s_wait_loadcnt 0x5
	v_fmac_f64_e32 v[134:135], v[122:123], v[132:133]
	ds_load_2addr_b64 v[120:123], v2 offset0:83 offset1:84
	ds_load_2addr_b64 v[126:129], v2 offset0:85 offset1:86
	s_wait_dscnt 0x1
	v_fmac_f64_e32 v[134:135], v[124:125], v[120:121]
	scratch_load_b64 v[124:125], off, off offset:368
	s_wait_loadcnt 0x5
	v_fmac_f64_e32 v[134:135], v[108:109], v[122:123]
	s_wait_dscnt 0x0
	s_delay_alu instid0(VALU_DEP_1)
	v_fmac_f64_e32 v[134:135], v[110:111], v[126:127]
	ds_load_2addr_b64 v[108:111], v2 offset0:87 offset1:88
	ds_load_2addr_b64 v[120:123], v2 offset0:89 offset1:90
	s_wait_loadcnt 0x4
	v_fmac_f64_e32 v[134:135], v[112:113], v[128:129]
	s_wait_dscnt 0x1
	s_delay_alu instid0(VALU_DEP_1) | instskip(SKIP_1) | instid1(VALU_DEP_1)
	v_fmac_f64_e32 v[134:135], v[114:115], v[108:109]
	s_wait_loadcnt 0x3
	v_fmac_f64_e32 v[134:135], v[100:101], v[110:111]
	s_wait_dscnt 0x0
	s_delay_alu instid0(VALU_DEP_1)
	v_fmac_f64_e32 v[134:135], v[102:103], v[120:121]
	ds_load_2addr_b64 v[100:103], v2 offset0:91 offset1:92
	ds_load_2addr_b64 v[108:111], v2 offset0:93 offset1:94
	s_wait_loadcnt 0x2
	v_fmac_f64_e32 v[134:135], v[116:117], v[122:123]
	s_wait_dscnt 0x1
	s_delay_alu instid0(VALU_DEP_1) | instskip(SKIP_1) | instid1(VALU_DEP_1)
	v_fmac_f64_e32 v[134:135], v[118:119], v[100:101]
	s_wait_loadcnt 0x1
	v_fmac_f64_e32 v[134:135], v[104:105], v[102:103]
	s_wait_dscnt 0x0
	s_delay_alu instid0(VALU_DEP_1) | instskip(SKIP_1) | instid1(VALU_DEP_1)
	v_fmac_f64_e32 v[134:135], v[106:107], v[108:109]
	s_wait_loadcnt 0x0
	v_fmac_f64_e32 v[134:135], v[124:125], v[110:111]
	s_delay_alu instid0(VALU_DEP_1)
	v_add_f64_e64 v[2:3], v[98:99], -v[134:135]
	scratch_store_b64 off, v[2:3], off offset:112
	s_wait_xcnt 0x0
	v_cmpx_lt_u32_e32 13, v0
	s_cbranch_execz .LBB110_265
; %bb.264:
	scratch_load_b64 v[2:3], off, off offset:104
	v_mov_b64_e32 v[98:99], 0
	scratch_store_b64 off, v[98:99], off offset:104
	s_wait_loadcnt 0x0
	ds_store_b64 v1, v[2:3]
.LBB110_265:
	s_wait_xcnt 0x0
	s_or_b32 exec_lo, exec_lo, s0
	s_wait_storecnt_dscnt 0x0
	s_barrier_signal -1
	s_barrier_wait -1
	s_clause 0x5
	scratch_load_b128 v[98:101], off, off offset:104
	scratch_load_b128 v[102:105], off, off offset:120
	;; [unrolled: 1-line block ×6, first 2 shown]
	v_mov_b32_e32 v2, 0
	ds_load_b128 v[122:125], v2 offset:496
	ds_load_b128 v[126:129], v2 offset:512
	scratch_load_b128 v[130:133], off, off offset:200
	s_mov_b32 s0, exec_lo
	s_wait_loadcnt_dscnt 0x601
	v_fma_f64 v[134:135], v[100:101], v[122:123], 0
	s_wait_loadcnt 0x5
	s_delay_alu instid0(VALU_DEP_1) | instskip(SKIP_4) | instid1(VALU_DEP_1)
	v_fmac_f64_e32 v[134:135], v[102:103], v[124:125]
	scratch_load_b128 v[100:103], off, off offset:216
	s_wait_dscnt 0x0
	v_fmac_f64_e32 v[134:135], v[104:105], v[126:127]
	s_wait_loadcnt 0x5
	v_fmac_f64_e32 v[134:135], v[106:107], v[128:129]
	ds_load_b128 v[104:107], v2 offset:528
	ds_load_b128 v[122:125], v2 offset:544
	scratch_load_b128 v[126:129], off, off offset:232
	s_wait_dscnt 0x1
	v_fmac_f64_e32 v[134:135], v[108:109], v[104:105]
	s_wait_loadcnt 0x5
	s_delay_alu instid0(VALU_DEP_1) | instskip(SKIP_4) | instid1(VALU_DEP_1)
	v_fmac_f64_e32 v[134:135], v[110:111], v[106:107]
	scratch_load_b128 v[104:107], off, off offset:248
	s_wait_dscnt 0x0
	v_fmac_f64_e32 v[134:135], v[112:113], v[122:123]
	s_wait_loadcnt 0x5
	v_fmac_f64_e32 v[134:135], v[114:115], v[124:125]
	ds_load_b128 v[108:111], v2 offset:560
	ds_load_b128 v[112:115], v2 offset:576
	scratch_load_b128 v[122:125], off, off offset:264
	s_wait_dscnt 0x1
	v_fmac_f64_e32 v[134:135], v[116:117], v[108:109]
	s_wait_loadcnt 0x5
	s_delay_alu instid0(VALU_DEP_1) | instskip(SKIP_4) | instid1(VALU_DEP_1)
	v_fmac_f64_e32 v[134:135], v[118:119], v[110:111]
	scratch_load_b128 v[108:111], off, off offset:280
	s_wait_dscnt 0x0
	v_fmac_f64_e32 v[134:135], v[120:121], v[112:113]
	s_wait_loadcnt 0x5
	v_fmac_f64_e32 v[134:135], v[130:131], v[114:115]
	ds_load_b128 v[112:115], v2 offset:592
	ds_load_b128 v[116:119], v2 offset:608
	s_wait_dscnt 0x1
	v_fmac_f64_e32 v[134:135], v[132:133], v[112:113]
	s_wait_loadcnt 0x4
	s_delay_alu instid0(VALU_DEP_1)
	v_fmac_f64_e32 v[134:135], v[100:101], v[114:115]
	scratch_load_b128 v[112:115], off, off offset:296
	s_wait_dscnt 0x0
	v_fmac_f64_e32 v[134:135], v[102:103], v[116:117]
	scratch_load_b128 v[100:103], off, off offset:312
	s_wait_loadcnt 0x5
	v_fmac_f64_e32 v[134:135], v[126:127], v[118:119]
	ds_load_b128 v[116:119], v2 offset:624
	ds_load_b128 v[130:133], v2 offset:640
	s_wait_dscnt 0x1
	v_fmac_f64_e32 v[134:135], v[128:129], v[116:117]
	s_wait_loadcnt 0x4
	s_delay_alu instid0(VALU_DEP_1)
	v_fmac_f64_e32 v[134:135], v[104:105], v[118:119]
	scratch_load_b128 v[116:119], off, off offset:328
	s_wait_dscnt 0x0
	v_fmac_f64_e32 v[134:135], v[106:107], v[130:131]
	scratch_load_b128 v[104:107], off, off offset:344
	s_wait_loadcnt 0x5
	v_fmac_f64_e32 v[134:135], v[122:123], v[132:133]
	ds_load_b128 v[120:123], v2 offset:656
	ds_load_b128 v[126:129], v2 offset:672
	s_wait_dscnt 0x1
	v_fmac_f64_e32 v[134:135], v[124:125], v[120:121]
	s_wait_loadcnt 0x4
	s_delay_alu instid0(VALU_DEP_1)
	v_fmac_f64_e32 v[134:135], v[108:109], v[122:123]
	scratch_load_b128 v[120:123], off, off offset:360
	s_wait_dscnt 0x0
	v_fmac_f64_e32 v[134:135], v[110:111], v[126:127]
	ds_load_b128 v[108:111], v2 offset:688
	ds_load_b128 v[124:127], v2 offset:704
	s_wait_loadcnt 0x4
	v_fmac_f64_e32 v[134:135], v[112:113], v[128:129]
	s_wait_dscnt 0x1
	s_delay_alu instid0(VALU_DEP_1) | instskip(SKIP_1) | instid1(VALU_DEP_1)
	v_fmac_f64_e32 v[134:135], v[114:115], v[108:109]
	s_wait_loadcnt 0x3
	v_fmac_f64_e32 v[134:135], v[100:101], v[110:111]
	s_wait_dscnt 0x0
	s_delay_alu instid0(VALU_DEP_1)
	v_fmac_f64_e32 v[134:135], v[102:103], v[124:125]
	ds_load_b128 v[100:103], v2 offset:720
	ds_load_b128 v[108:111], v2 offset:736
	s_wait_loadcnt 0x2
	v_fmac_f64_e32 v[134:135], v[116:117], v[126:127]
	s_wait_dscnt 0x1
	s_delay_alu instid0(VALU_DEP_1) | instskip(SKIP_4) | instid1(VALU_DEP_1)
	v_fmac_f64_e32 v[134:135], v[118:119], v[100:101]
	ds_load_b64 v[100:101], v2 offset:752
	s_wait_loadcnt 0x1
	v_fmac_f64_e32 v[134:135], v[104:105], v[102:103]
	s_wait_dscnt 0x1
	v_fmac_f64_e32 v[134:135], v[106:107], v[108:109]
	s_wait_loadcnt 0x0
	s_delay_alu instid0(VALU_DEP_1) | instskip(SKIP_1) | instid1(VALU_DEP_1)
	v_fmac_f64_e32 v[134:135], v[120:121], v[110:111]
	s_wait_dscnt 0x0
	v_fmac_f64_e32 v[134:135], v[122:123], v[100:101]
	s_delay_alu instid0(VALU_DEP_1)
	v_add_f64_e64 v[98:99], v[98:99], -v[134:135]
	scratch_store_b64 off, v[98:99], off offset:104
	s_wait_xcnt 0x0
	v_cmpx_lt_u32_e32 12, v0
	s_cbranch_execz .LBB110_267
; %bb.266:
	scratch_load_b64 v[98:99], off, off offset:96
	v_mov_b64_e32 v[100:101], 0
	scratch_store_b64 off, v[100:101], off offset:96
	s_wait_loadcnt 0x0
	ds_store_b64 v1, v[98:99]
.LBB110_267:
	s_wait_xcnt 0x0
	s_or_b32 exec_lo, exec_lo, s0
	s_wait_storecnt_dscnt 0x0
	s_barrier_signal -1
	s_barrier_wait -1
	s_clause 0x5
	scratch_load_b128 v[98:101], off, off offset:96
	scratch_load_b128 v[102:105], off, off offset:112
	;; [unrolled: 1-line block ×6, first 2 shown]
	ds_load_2addr_b64 v[122:125], v2 offset0:61 offset1:62
	ds_load_2addr_b64 v[126:129], v2 offset0:63 offset1:64
	scratch_load_b128 v[130:133], off, off offset:192
	s_mov_b32 s0, exec_lo
	s_wait_loadcnt_dscnt 0x601
	v_fma_f64 v[134:135], v[100:101], v[122:123], 0
	s_wait_loadcnt 0x5
	s_delay_alu instid0(VALU_DEP_1) | instskip(SKIP_4) | instid1(VALU_DEP_1)
	v_fmac_f64_e32 v[134:135], v[102:103], v[124:125]
	scratch_load_b128 v[100:103], off, off offset:208
	s_wait_dscnt 0x0
	v_fmac_f64_e32 v[134:135], v[104:105], v[126:127]
	s_wait_loadcnt 0x5
	v_fmac_f64_e32 v[134:135], v[106:107], v[128:129]
	ds_load_2addr_b64 v[104:107], v2 offset0:65 offset1:66
	ds_load_2addr_b64 v[122:125], v2 offset0:67 offset1:68
	scratch_load_b128 v[126:129], off, off offset:224
	s_wait_dscnt 0x1
	v_fmac_f64_e32 v[134:135], v[108:109], v[104:105]
	s_wait_loadcnt 0x5
	s_delay_alu instid0(VALU_DEP_1) | instskip(SKIP_4) | instid1(VALU_DEP_1)
	v_fmac_f64_e32 v[134:135], v[110:111], v[106:107]
	scratch_load_b128 v[104:107], off, off offset:240
	s_wait_dscnt 0x0
	v_fmac_f64_e32 v[134:135], v[112:113], v[122:123]
	s_wait_loadcnt 0x5
	v_fmac_f64_e32 v[134:135], v[114:115], v[124:125]
	ds_load_2addr_b64 v[108:111], v2 offset0:69 offset1:70
	ds_load_2addr_b64 v[112:115], v2 offset0:71 offset1:72
	scratch_load_b128 v[122:125], off, off offset:256
	s_wait_dscnt 0x1
	v_fmac_f64_e32 v[134:135], v[116:117], v[108:109]
	s_wait_loadcnt 0x5
	s_delay_alu instid0(VALU_DEP_1) | instskip(SKIP_4) | instid1(VALU_DEP_1)
	v_fmac_f64_e32 v[134:135], v[118:119], v[110:111]
	scratch_load_b128 v[108:111], off, off offset:272
	s_wait_dscnt 0x0
	v_fmac_f64_e32 v[134:135], v[120:121], v[112:113]
	s_wait_loadcnt 0x5
	v_fmac_f64_e32 v[134:135], v[130:131], v[114:115]
	ds_load_2addr_b64 v[112:115], v2 offset0:73 offset1:74
	ds_load_2addr_b64 v[116:119], v2 offset0:75 offset1:76
	s_wait_dscnt 0x1
	v_fmac_f64_e32 v[134:135], v[132:133], v[112:113]
	scratch_load_b128 v[130:133], off, off offset:288
	s_wait_loadcnt 0x5
	v_fmac_f64_e32 v[134:135], v[100:101], v[114:115]
	s_wait_dscnt 0x0
	s_delay_alu instid0(VALU_DEP_1)
	v_fmac_f64_e32 v[134:135], v[102:103], v[116:117]
	scratch_load_b128 v[100:103], off, off offset:304
	s_wait_loadcnt 0x5
	v_fmac_f64_e32 v[134:135], v[126:127], v[118:119]
	ds_load_2addr_b64 v[112:115], v2 offset0:77 offset1:78
	ds_load_2addr_b64 v[116:119], v2 offset0:79 offset1:80
	s_wait_dscnt 0x1
	v_fmac_f64_e32 v[134:135], v[128:129], v[112:113]
	s_wait_loadcnt 0x4
	s_delay_alu instid0(VALU_DEP_1)
	v_fmac_f64_e32 v[134:135], v[104:105], v[114:115]
	scratch_load_b128 v[112:115], off, off offset:320
	s_wait_dscnt 0x0
	v_fmac_f64_e32 v[134:135], v[106:107], v[116:117]
	scratch_load_b128 v[104:107], off, off offset:336
	s_wait_loadcnt 0x5
	v_fmac_f64_e32 v[134:135], v[122:123], v[118:119]
	ds_load_2addr_b64 v[116:119], v2 offset0:81 offset1:82
	ds_load_2addr_b64 v[120:123], v2 offset0:83 offset1:84
	s_wait_dscnt 0x1
	v_fmac_f64_e32 v[134:135], v[124:125], v[116:117]
	scratch_load_b64 v[124:125], off, off offset:368
	s_wait_loadcnt 0x5
	v_fmac_f64_e32 v[134:135], v[108:109], v[118:119]
	scratch_load_b128 v[116:119], off, off offset:352
	s_wait_dscnt 0x0
	v_fmac_f64_e32 v[134:135], v[110:111], v[120:121]
	s_wait_loadcnt 0x5
	s_delay_alu instid0(VALU_DEP_1)
	v_fmac_f64_e32 v[134:135], v[130:131], v[122:123]
	ds_load_2addr_b64 v[108:111], v2 offset0:85 offset1:86
	ds_load_2addr_b64 v[120:123], v2 offset0:87 offset1:88
	s_wait_dscnt 0x1
	v_fmac_f64_e32 v[134:135], v[132:133], v[108:109]
	s_wait_loadcnt 0x4
	s_delay_alu instid0(VALU_DEP_1) | instskip(SKIP_1) | instid1(VALU_DEP_1)
	v_fmac_f64_e32 v[134:135], v[100:101], v[110:111]
	s_wait_dscnt 0x0
	v_fmac_f64_e32 v[134:135], v[102:103], v[120:121]
	ds_load_2addr_b64 v[100:103], v2 offset0:89 offset1:90
	ds_load_2addr_b64 v[108:111], v2 offset0:91 offset1:92
	s_wait_loadcnt 0x3
	v_fmac_f64_e32 v[134:135], v[112:113], v[122:123]
	s_wait_dscnt 0x1
	s_delay_alu instid0(VALU_DEP_1) | instskip(SKIP_1) | instid1(VALU_DEP_1)
	v_fmac_f64_e32 v[134:135], v[114:115], v[100:101]
	s_wait_loadcnt 0x2
	v_fmac_f64_e32 v[134:135], v[104:105], v[102:103]
	ds_load_2addr_b64 v[100:103], v2 offset0:93 offset1:94
	s_wait_dscnt 0x1
	v_fmac_f64_e32 v[134:135], v[106:107], v[108:109]
	s_wait_loadcnt 0x0
	s_delay_alu instid0(VALU_DEP_1) | instskip(SKIP_1) | instid1(VALU_DEP_1)
	v_fmac_f64_e32 v[134:135], v[116:117], v[110:111]
	s_wait_dscnt 0x0
	v_fmac_f64_e32 v[134:135], v[118:119], v[100:101]
	s_delay_alu instid0(VALU_DEP_1) | instskip(NEXT) | instid1(VALU_DEP_1)
	v_fmac_f64_e32 v[134:135], v[124:125], v[102:103]
	v_add_f64_e64 v[2:3], v[98:99], -v[134:135]
	scratch_store_b64 off, v[2:3], off offset:96
	s_wait_xcnt 0x0
	v_cmpx_lt_u32_e32 11, v0
	s_cbranch_execz .LBB110_269
; %bb.268:
	scratch_load_b64 v[2:3], off, off offset:88
	v_mov_b64_e32 v[98:99], 0
	scratch_store_b64 off, v[98:99], off offset:88
	s_wait_loadcnt 0x0
	ds_store_b64 v1, v[2:3]
.LBB110_269:
	s_wait_xcnt 0x0
	s_or_b32 exec_lo, exec_lo, s0
	s_wait_storecnt_dscnt 0x0
	s_barrier_signal -1
	s_barrier_wait -1
	s_clause 0x5
	scratch_load_b128 v[98:101], off, off offset:88
	scratch_load_b128 v[102:105], off, off offset:104
	scratch_load_b128 v[106:109], off, off offset:120
	scratch_load_b128 v[110:113], off, off offset:136
	scratch_load_b128 v[114:117], off, off offset:152
	scratch_load_b128 v[118:121], off, off offset:168
	v_mov_b32_e32 v2, 0
	ds_load_b128 v[122:125], v2 offset:480
	ds_load_b128 v[126:129], v2 offset:496
	scratch_load_b128 v[130:133], off, off offset:184
	s_mov_b32 s0, exec_lo
	s_wait_loadcnt_dscnt 0x601
	v_fma_f64 v[134:135], v[100:101], v[122:123], 0
	s_wait_loadcnt 0x5
	s_delay_alu instid0(VALU_DEP_1) | instskip(SKIP_4) | instid1(VALU_DEP_1)
	v_fmac_f64_e32 v[134:135], v[102:103], v[124:125]
	scratch_load_b128 v[100:103], off, off offset:200
	s_wait_dscnt 0x0
	v_fmac_f64_e32 v[134:135], v[104:105], v[126:127]
	s_wait_loadcnt 0x5
	v_fmac_f64_e32 v[134:135], v[106:107], v[128:129]
	ds_load_b128 v[104:107], v2 offset:512
	ds_load_b128 v[122:125], v2 offset:528
	scratch_load_b128 v[126:129], off, off offset:216
	s_wait_dscnt 0x1
	v_fmac_f64_e32 v[134:135], v[108:109], v[104:105]
	s_wait_loadcnt 0x5
	s_delay_alu instid0(VALU_DEP_1) | instskip(SKIP_4) | instid1(VALU_DEP_1)
	v_fmac_f64_e32 v[134:135], v[110:111], v[106:107]
	scratch_load_b128 v[104:107], off, off offset:232
	s_wait_dscnt 0x0
	v_fmac_f64_e32 v[134:135], v[112:113], v[122:123]
	s_wait_loadcnt 0x5
	v_fmac_f64_e32 v[134:135], v[114:115], v[124:125]
	ds_load_b128 v[108:111], v2 offset:544
	ds_load_b128 v[112:115], v2 offset:560
	scratch_load_b128 v[122:125], off, off offset:248
	s_wait_dscnt 0x1
	v_fmac_f64_e32 v[134:135], v[116:117], v[108:109]
	s_wait_loadcnt 0x5
	s_delay_alu instid0(VALU_DEP_1) | instskip(SKIP_4) | instid1(VALU_DEP_1)
	v_fmac_f64_e32 v[134:135], v[118:119], v[110:111]
	scratch_load_b128 v[108:111], off, off offset:264
	s_wait_dscnt 0x0
	v_fmac_f64_e32 v[134:135], v[120:121], v[112:113]
	s_wait_loadcnt 0x5
	v_fmac_f64_e32 v[134:135], v[130:131], v[114:115]
	ds_load_b128 v[112:115], v2 offset:576
	ds_load_b128 v[116:119], v2 offset:592
	s_wait_dscnt 0x1
	v_fmac_f64_e32 v[134:135], v[132:133], v[112:113]
	scratch_load_b128 v[130:133], off, off offset:280
	s_wait_loadcnt 0x5
	v_fmac_f64_e32 v[134:135], v[100:101], v[114:115]
	s_wait_dscnt 0x0
	s_delay_alu instid0(VALU_DEP_1)
	v_fmac_f64_e32 v[134:135], v[102:103], v[116:117]
	scratch_load_b128 v[100:103], off, off offset:296
	s_wait_loadcnt 0x5
	v_fmac_f64_e32 v[134:135], v[126:127], v[118:119]
	ds_load_b128 v[112:115], v2 offset:608
	ds_load_b128 v[116:119], v2 offset:624
	s_wait_dscnt 0x1
	v_fmac_f64_e32 v[134:135], v[128:129], v[112:113]
	s_wait_loadcnt 0x4
	s_delay_alu instid0(VALU_DEP_1)
	v_fmac_f64_e32 v[134:135], v[104:105], v[114:115]
	scratch_load_b128 v[112:115], off, off offset:312
	s_wait_dscnt 0x0
	v_fmac_f64_e32 v[134:135], v[106:107], v[116:117]
	scratch_load_b128 v[104:107], off, off offset:328
	s_wait_loadcnt 0x5
	v_fmac_f64_e32 v[134:135], v[122:123], v[118:119]
	ds_load_b128 v[116:119], v2 offset:640
	ds_load_b128 v[120:123], v2 offset:656
	s_wait_dscnt 0x1
	v_fmac_f64_e32 v[134:135], v[124:125], v[116:117]
	s_wait_loadcnt 0x4
	s_delay_alu instid0(VALU_DEP_1)
	v_fmac_f64_e32 v[134:135], v[108:109], v[118:119]
	scratch_load_b128 v[116:119], off, off offset:344
	s_wait_dscnt 0x0
	v_fmac_f64_e32 v[134:135], v[110:111], v[120:121]
	scratch_load_b128 v[108:111], off, off offset:360
	s_wait_loadcnt 0x5
	v_fmac_f64_e32 v[134:135], v[130:131], v[122:123]
	ds_load_b128 v[120:123], v2 offset:672
	ds_load_b128 v[124:127], v2 offset:688
	s_wait_dscnt 0x1
	v_fmac_f64_e32 v[134:135], v[132:133], v[120:121]
	s_wait_loadcnt 0x4
	s_delay_alu instid0(VALU_DEP_1) | instskip(SKIP_1) | instid1(VALU_DEP_1)
	v_fmac_f64_e32 v[134:135], v[100:101], v[122:123]
	s_wait_dscnt 0x0
	v_fmac_f64_e32 v[134:135], v[102:103], v[124:125]
	ds_load_b128 v[100:103], v2 offset:704
	ds_load_b128 v[120:123], v2 offset:720
	s_wait_loadcnt 0x3
	v_fmac_f64_e32 v[134:135], v[112:113], v[126:127]
	s_wait_dscnt 0x1
	s_delay_alu instid0(VALU_DEP_1) | instskip(SKIP_1) | instid1(VALU_DEP_1)
	v_fmac_f64_e32 v[134:135], v[114:115], v[100:101]
	s_wait_loadcnt 0x2
	v_fmac_f64_e32 v[134:135], v[104:105], v[102:103]
	ds_load_b128 v[100:103], v2 offset:736
	ds_load_b64 v[104:105], v2 offset:752
	s_wait_dscnt 0x2
	v_fmac_f64_e32 v[134:135], v[106:107], v[120:121]
	s_wait_loadcnt 0x1
	s_delay_alu instid0(VALU_DEP_1) | instskip(SKIP_1) | instid1(VALU_DEP_1)
	v_fmac_f64_e32 v[134:135], v[116:117], v[122:123]
	s_wait_dscnt 0x1
	v_fmac_f64_e32 v[134:135], v[118:119], v[100:101]
	s_wait_loadcnt 0x0
	s_delay_alu instid0(VALU_DEP_1) | instskip(SKIP_1) | instid1(VALU_DEP_1)
	v_fmac_f64_e32 v[134:135], v[108:109], v[102:103]
	s_wait_dscnt 0x0
	v_fmac_f64_e32 v[134:135], v[110:111], v[104:105]
	s_delay_alu instid0(VALU_DEP_1)
	v_add_f64_e64 v[98:99], v[98:99], -v[134:135]
	scratch_store_b64 off, v[98:99], off offset:88
	s_wait_xcnt 0x0
	v_cmpx_lt_u32_e32 10, v0
	s_cbranch_execz .LBB110_271
; %bb.270:
	scratch_load_b64 v[98:99], off, off offset:80
	v_mov_b64_e32 v[100:101], 0
	scratch_store_b64 off, v[100:101], off offset:80
	s_wait_loadcnt 0x0
	ds_store_b64 v1, v[98:99]
.LBB110_271:
	s_wait_xcnt 0x0
	s_or_b32 exec_lo, exec_lo, s0
	s_wait_storecnt_dscnt 0x0
	s_barrier_signal -1
	s_barrier_wait -1
	s_clause 0x5
	scratch_load_b128 v[98:101], off, off offset:80
	scratch_load_b128 v[102:105], off, off offset:96
	;; [unrolled: 1-line block ×6, first 2 shown]
	ds_load_2addr_b64 v[122:125], v2 offset0:59 offset1:60
	ds_load_2addr_b64 v[126:129], v2 offset0:61 offset1:62
	scratch_load_b128 v[130:133], off, off offset:176
	s_mov_b32 s0, exec_lo
	s_wait_loadcnt_dscnt 0x601
	v_fma_f64 v[134:135], v[100:101], v[122:123], 0
	s_wait_loadcnt 0x5
	s_delay_alu instid0(VALU_DEP_1) | instskip(SKIP_4) | instid1(VALU_DEP_1)
	v_fmac_f64_e32 v[134:135], v[102:103], v[124:125]
	scratch_load_b128 v[100:103], off, off offset:192
	s_wait_dscnt 0x0
	v_fmac_f64_e32 v[134:135], v[104:105], v[126:127]
	s_wait_loadcnt 0x5
	v_fmac_f64_e32 v[134:135], v[106:107], v[128:129]
	ds_load_2addr_b64 v[104:107], v2 offset0:63 offset1:64
	ds_load_2addr_b64 v[122:125], v2 offset0:65 offset1:66
	scratch_load_b128 v[126:129], off, off offset:208
	s_wait_dscnt 0x1
	v_fmac_f64_e32 v[134:135], v[108:109], v[104:105]
	s_wait_loadcnt 0x5
	s_delay_alu instid0(VALU_DEP_1) | instskip(SKIP_4) | instid1(VALU_DEP_1)
	v_fmac_f64_e32 v[134:135], v[110:111], v[106:107]
	scratch_load_b128 v[104:107], off, off offset:224
	s_wait_dscnt 0x0
	v_fmac_f64_e32 v[134:135], v[112:113], v[122:123]
	s_wait_loadcnt 0x5
	v_fmac_f64_e32 v[134:135], v[114:115], v[124:125]
	ds_load_2addr_b64 v[108:111], v2 offset0:67 offset1:68
	ds_load_2addr_b64 v[112:115], v2 offset0:69 offset1:70
	scratch_load_b128 v[122:125], off, off offset:240
	s_wait_dscnt 0x1
	v_fmac_f64_e32 v[134:135], v[116:117], v[108:109]
	s_wait_loadcnt 0x5
	s_delay_alu instid0(VALU_DEP_1) | instskip(SKIP_4) | instid1(VALU_DEP_1)
	v_fmac_f64_e32 v[134:135], v[118:119], v[110:111]
	scratch_load_b128 v[108:111], off, off offset:256
	s_wait_dscnt 0x0
	v_fmac_f64_e32 v[134:135], v[120:121], v[112:113]
	s_wait_loadcnt 0x5
	v_fmac_f64_e32 v[134:135], v[130:131], v[114:115]
	ds_load_2addr_b64 v[112:115], v2 offset0:71 offset1:72
	ds_load_2addr_b64 v[116:119], v2 offset0:73 offset1:74
	s_wait_dscnt 0x1
	v_fmac_f64_e32 v[134:135], v[132:133], v[112:113]
	scratch_load_b128 v[130:133], off, off offset:272
	s_wait_loadcnt 0x5
	v_fmac_f64_e32 v[134:135], v[100:101], v[114:115]
	s_wait_dscnt 0x0
	s_delay_alu instid0(VALU_DEP_1)
	v_fmac_f64_e32 v[134:135], v[102:103], v[116:117]
	scratch_load_b128 v[100:103], off, off offset:288
	s_wait_loadcnt 0x5
	v_fmac_f64_e32 v[134:135], v[126:127], v[118:119]
	ds_load_2addr_b64 v[112:115], v2 offset0:75 offset1:76
	ds_load_2addr_b64 v[116:119], v2 offset0:77 offset1:78
	s_wait_dscnt 0x1
	v_fmac_f64_e32 v[134:135], v[128:129], v[112:113]
	s_wait_loadcnt 0x4
	s_delay_alu instid0(VALU_DEP_1)
	v_fmac_f64_e32 v[134:135], v[104:105], v[114:115]
	scratch_load_b128 v[112:115], off, off offset:304
	s_wait_dscnt 0x0
	v_fmac_f64_e32 v[134:135], v[106:107], v[116:117]
	scratch_load_b128 v[104:107], off, off offset:320
	s_wait_loadcnt 0x5
	v_fmac_f64_e32 v[134:135], v[122:123], v[118:119]
	ds_load_2addr_b64 v[116:119], v2 offset0:79 offset1:80
	ds_load_2addr_b64 v[120:123], v2 offset0:81 offset1:82
	s_wait_dscnt 0x1
	v_fmac_f64_e32 v[134:135], v[124:125], v[116:117]
	s_wait_loadcnt 0x4
	s_delay_alu instid0(VALU_DEP_1)
	v_fmac_f64_e32 v[134:135], v[108:109], v[118:119]
	scratch_load_b128 v[116:119], off, off offset:336
	s_wait_dscnt 0x0
	v_fmac_f64_e32 v[134:135], v[110:111], v[120:121]
	scratch_load_b128 v[108:111], off, off offset:352
	s_wait_loadcnt 0x5
	v_fmac_f64_e32 v[134:135], v[130:131], v[122:123]
	ds_load_2addr_b64 v[120:123], v2 offset0:83 offset1:84
	ds_load_2addr_b64 v[124:127], v2 offset0:85 offset1:86
	scratch_load_b64 v[128:129], off, off offset:368
	s_wait_dscnt 0x1
	v_fmac_f64_e32 v[134:135], v[132:133], v[120:121]
	s_wait_loadcnt 0x5
	s_delay_alu instid0(VALU_DEP_1) | instskip(SKIP_1) | instid1(VALU_DEP_1)
	v_fmac_f64_e32 v[134:135], v[100:101], v[122:123]
	s_wait_dscnt 0x0
	v_fmac_f64_e32 v[134:135], v[102:103], v[124:125]
	ds_load_2addr_b64 v[100:103], v2 offset0:87 offset1:88
	ds_load_2addr_b64 v[120:123], v2 offset0:89 offset1:90
	s_wait_loadcnt 0x4
	v_fmac_f64_e32 v[134:135], v[112:113], v[126:127]
	s_wait_dscnt 0x1
	s_delay_alu instid0(VALU_DEP_1) | instskip(SKIP_1) | instid1(VALU_DEP_1)
	v_fmac_f64_e32 v[134:135], v[114:115], v[100:101]
	s_wait_loadcnt 0x3
	v_fmac_f64_e32 v[134:135], v[104:105], v[102:103]
	s_wait_dscnt 0x0
	s_delay_alu instid0(VALU_DEP_1)
	v_fmac_f64_e32 v[134:135], v[106:107], v[120:121]
	ds_load_2addr_b64 v[100:103], v2 offset0:91 offset1:92
	ds_load_2addr_b64 v[104:107], v2 offset0:93 offset1:94
	s_wait_loadcnt 0x2
	v_fmac_f64_e32 v[134:135], v[116:117], v[122:123]
	s_wait_dscnt 0x1
	s_delay_alu instid0(VALU_DEP_1) | instskip(SKIP_1) | instid1(VALU_DEP_1)
	v_fmac_f64_e32 v[134:135], v[118:119], v[100:101]
	s_wait_loadcnt 0x1
	v_fmac_f64_e32 v[134:135], v[108:109], v[102:103]
	s_wait_dscnt 0x0
	s_delay_alu instid0(VALU_DEP_1) | instskip(SKIP_1) | instid1(VALU_DEP_1)
	v_fmac_f64_e32 v[134:135], v[110:111], v[104:105]
	s_wait_loadcnt 0x0
	v_fmac_f64_e32 v[134:135], v[128:129], v[106:107]
	s_delay_alu instid0(VALU_DEP_1)
	v_add_f64_e64 v[2:3], v[98:99], -v[134:135]
	scratch_store_b64 off, v[2:3], off offset:80
	s_wait_xcnt 0x0
	v_cmpx_lt_u32_e32 9, v0
	s_cbranch_execz .LBB110_273
; %bb.272:
	scratch_load_b64 v[2:3], off, off offset:72
	v_mov_b64_e32 v[98:99], 0
	scratch_store_b64 off, v[98:99], off offset:72
	s_wait_loadcnt 0x0
	ds_store_b64 v1, v[2:3]
.LBB110_273:
	s_wait_xcnt 0x0
	s_or_b32 exec_lo, exec_lo, s0
	s_wait_storecnt_dscnt 0x0
	s_barrier_signal -1
	s_barrier_wait -1
	s_clause 0x5
	scratch_load_b128 v[98:101], off, off offset:72
	scratch_load_b128 v[102:105], off, off offset:88
	;; [unrolled: 1-line block ×6, first 2 shown]
	v_mov_b32_e32 v2, 0
	ds_load_b128 v[122:125], v2 offset:464
	ds_load_b128 v[126:129], v2 offset:480
	scratch_load_b128 v[130:133], off, off offset:168
	s_mov_b32 s0, exec_lo
	s_wait_loadcnt_dscnt 0x601
	v_fma_f64 v[134:135], v[100:101], v[122:123], 0
	s_wait_loadcnt 0x5
	s_delay_alu instid0(VALU_DEP_1) | instskip(SKIP_4) | instid1(VALU_DEP_1)
	v_fmac_f64_e32 v[134:135], v[102:103], v[124:125]
	scratch_load_b128 v[100:103], off, off offset:184
	s_wait_dscnt 0x0
	v_fmac_f64_e32 v[134:135], v[104:105], v[126:127]
	s_wait_loadcnt 0x5
	v_fmac_f64_e32 v[134:135], v[106:107], v[128:129]
	ds_load_b128 v[104:107], v2 offset:496
	ds_load_b128 v[122:125], v2 offset:512
	scratch_load_b128 v[126:129], off, off offset:200
	s_wait_dscnt 0x1
	v_fmac_f64_e32 v[134:135], v[108:109], v[104:105]
	s_wait_loadcnt 0x5
	s_delay_alu instid0(VALU_DEP_1) | instskip(SKIP_4) | instid1(VALU_DEP_1)
	v_fmac_f64_e32 v[134:135], v[110:111], v[106:107]
	scratch_load_b128 v[104:107], off, off offset:216
	s_wait_dscnt 0x0
	v_fmac_f64_e32 v[134:135], v[112:113], v[122:123]
	s_wait_loadcnt 0x5
	v_fmac_f64_e32 v[134:135], v[114:115], v[124:125]
	ds_load_b128 v[108:111], v2 offset:528
	ds_load_b128 v[112:115], v2 offset:544
	scratch_load_b128 v[122:125], off, off offset:232
	s_wait_dscnt 0x1
	v_fmac_f64_e32 v[134:135], v[116:117], v[108:109]
	s_wait_loadcnt 0x5
	s_delay_alu instid0(VALU_DEP_1) | instskip(SKIP_4) | instid1(VALU_DEP_1)
	v_fmac_f64_e32 v[134:135], v[118:119], v[110:111]
	scratch_load_b128 v[108:111], off, off offset:248
	s_wait_dscnt 0x0
	v_fmac_f64_e32 v[134:135], v[120:121], v[112:113]
	s_wait_loadcnt 0x5
	v_fmac_f64_e32 v[134:135], v[130:131], v[114:115]
	ds_load_b128 v[112:115], v2 offset:560
	ds_load_b128 v[116:119], v2 offset:576
	s_wait_dscnt 0x1
	v_fmac_f64_e32 v[134:135], v[132:133], v[112:113]
	scratch_load_b128 v[130:133], off, off offset:264
	s_wait_loadcnt 0x5
	v_fmac_f64_e32 v[134:135], v[100:101], v[114:115]
	s_wait_dscnt 0x0
	s_delay_alu instid0(VALU_DEP_1)
	v_fmac_f64_e32 v[134:135], v[102:103], v[116:117]
	scratch_load_b128 v[100:103], off, off offset:280
	s_wait_loadcnt 0x5
	v_fmac_f64_e32 v[134:135], v[126:127], v[118:119]
	ds_load_b128 v[112:115], v2 offset:592
	ds_load_b128 v[116:119], v2 offset:608
	s_wait_dscnt 0x1
	v_fmac_f64_e32 v[134:135], v[128:129], v[112:113]
	s_wait_loadcnt 0x4
	s_delay_alu instid0(VALU_DEP_1)
	v_fmac_f64_e32 v[134:135], v[104:105], v[114:115]
	scratch_load_b128 v[112:115], off, off offset:296
	s_wait_dscnt 0x0
	v_fmac_f64_e32 v[134:135], v[106:107], v[116:117]
	scratch_load_b128 v[104:107], off, off offset:312
	s_wait_loadcnt 0x5
	v_fmac_f64_e32 v[134:135], v[122:123], v[118:119]
	ds_load_b128 v[116:119], v2 offset:624
	ds_load_b128 v[120:123], v2 offset:640
	s_wait_dscnt 0x1
	v_fmac_f64_e32 v[134:135], v[124:125], v[116:117]
	s_wait_loadcnt 0x4
	s_delay_alu instid0(VALU_DEP_1)
	v_fmac_f64_e32 v[134:135], v[108:109], v[118:119]
	scratch_load_b128 v[116:119], off, off offset:328
	s_wait_dscnt 0x0
	v_fmac_f64_e32 v[134:135], v[110:111], v[120:121]
	scratch_load_b128 v[108:111], off, off offset:344
	s_wait_loadcnt 0x5
	v_fmac_f64_e32 v[134:135], v[130:131], v[122:123]
	ds_load_b128 v[120:123], v2 offset:656
	ds_load_b128 v[124:127], v2 offset:672
	s_wait_dscnt 0x1
	v_fmac_f64_e32 v[134:135], v[132:133], v[120:121]
	s_wait_loadcnt 0x4
	s_delay_alu instid0(VALU_DEP_1) | instskip(SKIP_4) | instid1(VALU_DEP_1)
	v_fmac_f64_e32 v[134:135], v[100:101], v[122:123]
	scratch_load_b128 v[120:123], off, off offset:360
	s_wait_dscnt 0x0
	v_fmac_f64_e32 v[134:135], v[102:103], v[124:125]
	s_wait_loadcnt 0x4
	v_fmac_f64_e32 v[134:135], v[112:113], v[126:127]
	ds_load_b128 v[100:103], v2 offset:688
	ds_load_b128 v[124:127], v2 offset:704
	s_wait_dscnt 0x1
	v_fmac_f64_e32 v[134:135], v[114:115], v[100:101]
	s_wait_loadcnt 0x3
	s_delay_alu instid0(VALU_DEP_1) | instskip(SKIP_1) | instid1(VALU_DEP_1)
	v_fmac_f64_e32 v[134:135], v[104:105], v[102:103]
	s_wait_dscnt 0x0
	v_fmac_f64_e32 v[134:135], v[106:107], v[124:125]
	ds_load_b128 v[100:103], v2 offset:720
	ds_load_b128 v[104:107], v2 offset:736
	s_wait_loadcnt 0x2
	v_fmac_f64_e32 v[134:135], v[116:117], v[126:127]
	s_wait_dscnt 0x1
	s_delay_alu instid0(VALU_DEP_1) | instskip(SKIP_4) | instid1(VALU_DEP_1)
	v_fmac_f64_e32 v[134:135], v[118:119], v[100:101]
	ds_load_b64 v[100:101], v2 offset:752
	s_wait_loadcnt 0x1
	v_fmac_f64_e32 v[134:135], v[108:109], v[102:103]
	s_wait_dscnt 0x1
	v_fmac_f64_e32 v[134:135], v[110:111], v[104:105]
	s_wait_loadcnt 0x0
	s_delay_alu instid0(VALU_DEP_1) | instskip(SKIP_1) | instid1(VALU_DEP_1)
	v_fmac_f64_e32 v[134:135], v[120:121], v[106:107]
	s_wait_dscnt 0x0
	v_fmac_f64_e32 v[134:135], v[122:123], v[100:101]
	s_delay_alu instid0(VALU_DEP_1)
	v_add_f64_e64 v[98:99], v[98:99], -v[134:135]
	scratch_store_b64 off, v[98:99], off offset:72
	s_wait_xcnt 0x0
	v_cmpx_lt_u32_e32 8, v0
	s_cbranch_execz .LBB110_275
; %bb.274:
	scratch_load_b64 v[98:99], off, off offset:64
	v_mov_b64_e32 v[100:101], 0
	scratch_store_b64 off, v[100:101], off offset:64
	s_wait_loadcnt 0x0
	ds_store_b64 v1, v[98:99]
.LBB110_275:
	s_wait_xcnt 0x0
	s_or_b32 exec_lo, exec_lo, s0
	s_wait_storecnt_dscnt 0x0
	s_barrier_signal -1
	s_barrier_wait -1
	s_clause 0x5
	scratch_load_b128 v[98:101], off, off offset:64
	scratch_load_b128 v[102:105], off, off offset:80
	;; [unrolled: 1-line block ×6, first 2 shown]
	ds_load_2addr_b64 v[122:125], v2 offset0:57 offset1:58
	ds_load_2addr_b64 v[126:129], v2 offset0:59 offset1:60
	scratch_load_b128 v[130:133], off, off offset:160
	s_mov_b32 s0, exec_lo
	s_wait_loadcnt_dscnt 0x601
	v_fma_f64 v[134:135], v[100:101], v[122:123], 0
	s_wait_loadcnt 0x5
	s_delay_alu instid0(VALU_DEP_1) | instskip(SKIP_4) | instid1(VALU_DEP_1)
	v_fmac_f64_e32 v[134:135], v[102:103], v[124:125]
	scratch_load_b128 v[100:103], off, off offset:176
	s_wait_dscnt 0x0
	v_fmac_f64_e32 v[134:135], v[104:105], v[126:127]
	s_wait_loadcnt 0x5
	v_fmac_f64_e32 v[134:135], v[106:107], v[128:129]
	ds_load_2addr_b64 v[104:107], v2 offset0:61 offset1:62
	ds_load_2addr_b64 v[122:125], v2 offset0:63 offset1:64
	scratch_load_b128 v[126:129], off, off offset:192
	s_wait_dscnt 0x1
	v_fmac_f64_e32 v[134:135], v[108:109], v[104:105]
	s_wait_loadcnt 0x5
	s_delay_alu instid0(VALU_DEP_1) | instskip(SKIP_4) | instid1(VALU_DEP_1)
	v_fmac_f64_e32 v[134:135], v[110:111], v[106:107]
	scratch_load_b128 v[104:107], off, off offset:208
	s_wait_dscnt 0x0
	v_fmac_f64_e32 v[134:135], v[112:113], v[122:123]
	s_wait_loadcnt 0x5
	v_fmac_f64_e32 v[134:135], v[114:115], v[124:125]
	ds_load_2addr_b64 v[108:111], v2 offset0:65 offset1:66
	ds_load_2addr_b64 v[112:115], v2 offset0:67 offset1:68
	scratch_load_b128 v[122:125], off, off offset:224
	s_wait_dscnt 0x1
	v_fmac_f64_e32 v[134:135], v[116:117], v[108:109]
	s_wait_loadcnt 0x5
	s_delay_alu instid0(VALU_DEP_1) | instskip(SKIP_4) | instid1(VALU_DEP_1)
	v_fmac_f64_e32 v[134:135], v[118:119], v[110:111]
	scratch_load_b128 v[108:111], off, off offset:240
	s_wait_dscnt 0x0
	v_fmac_f64_e32 v[134:135], v[120:121], v[112:113]
	s_wait_loadcnt 0x5
	v_fmac_f64_e32 v[134:135], v[130:131], v[114:115]
	ds_load_2addr_b64 v[112:115], v2 offset0:69 offset1:70
	ds_load_2addr_b64 v[116:119], v2 offset0:71 offset1:72
	s_wait_dscnt 0x1
	v_fmac_f64_e32 v[134:135], v[132:133], v[112:113]
	scratch_load_b128 v[130:133], off, off offset:256
	s_wait_loadcnt 0x5
	v_fmac_f64_e32 v[134:135], v[100:101], v[114:115]
	s_wait_dscnt 0x0
	s_delay_alu instid0(VALU_DEP_1)
	v_fmac_f64_e32 v[134:135], v[102:103], v[116:117]
	scratch_load_b128 v[100:103], off, off offset:272
	s_wait_loadcnt 0x5
	v_fmac_f64_e32 v[134:135], v[126:127], v[118:119]
	ds_load_2addr_b64 v[112:115], v2 offset0:73 offset1:74
	ds_load_2addr_b64 v[116:119], v2 offset0:75 offset1:76
	s_wait_dscnt 0x1
	v_fmac_f64_e32 v[134:135], v[128:129], v[112:113]
	scratch_load_b128 v[126:129], off, off offset:288
	s_wait_loadcnt 0x5
	v_fmac_f64_e32 v[134:135], v[104:105], v[114:115]
	s_wait_dscnt 0x0
	s_delay_alu instid0(VALU_DEP_1)
	v_fmac_f64_e32 v[134:135], v[106:107], v[116:117]
	scratch_load_b128 v[104:107], off, off offset:304
	s_wait_loadcnt 0x5
	v_fmac_f64_e32 v[134:135], v[122:123], v[118:119]
	ds_load_2addr_b64 v[112:115], v2 offset0:77 offset1:78
	ds_load_2addr_b64 v[116:119], v2 offset0:79 offset1:80
	s_wait_dscnt 0x1
	v_fmac_f64_e32 v[134:135], v[124:125], v[112:113]
	s_wait_loadcnt 0x4
	s_delay_alu instid0(VALU_DEP_1)
	v_fmac_f64_e32 v[134:135], v[108:109], v[114:115]
	scratch_load_b128 v[112:115], off, off offset:320
	s_wait_dscnt 0x0
	v_fmac_f64_e32 v[134:135], v[110:111], v[116:117]
	scratch_load_b128 v[108:111], off, off offset:336
	s_wait_loadcnt 0x5
	v_fmac_f64_e32 v[134:135], v[130:131], v[118:119]
	ds_load_2addr_b64 v[116:119], v2 offset0:81 offset1:82
	ds_load_2addr_b64 v[120:123], v2 offset0:83 offset1:84
	scratch_load_b64 v[124:125], off, off offset:368
	s_wait_dscnt 0x1
	v_fmac_f64_e32 v[134:135], v[132:133], v[116:117]
	s_wait_loadcnt 0x5
	s_delay_alu instid0(VALU_DEP_1) | instskip(SKIP_4) | instid1(VALU_DEP_1)
	v_fmac_f64_e32 v[134:135], v[100:101], v[118:119]
	scratch_load_b128 v[116:119], off, off offset:352
	s_wait_dscnt 0x0
	v_fmac_f64_e32 v[134:135], v[102:103], v[120:121]
	s_wait_loadcnt 0x5
	v_fmac_f64_e32 v[134:135], v[126:127], v[122:123]
	ds_load_2addr_b64 v[100:103], v2 offset0:85 offset1:86
	ds_load_2addr_b64 v[120:123], v2 offset0:87 offset1:88
	s_wait_dscnt 0x1
	v_fmac_f64_e32 v[134:135], v[128:129], v[100:101]
	s_wait_loadcnt 0x4
	s_delay_alu instid0(VALU_DEP_1) | instskip(SKIP_1) | instid1(VALU_DEP_1)
	v_fmac_f64_e32 v[134:135], v[104:105], v[102:103]
	s_wait_dscnt 0x0
	v_fmac_f64_e32 v[134:135], v[106:107], v[120:121]
	ds_load_2addr_b64 v[100:103], v2 offset0:89 offset1:90
	ds_load_2addr_b64 v[104:107], v2 offset0:91 offset1:92
	s_wait_loadcnt 0x3
	v_fmac_f64_e32 v[134:135], v[112:113], v[122:123]
	s_wait_dscnt 0x1
	s_delay_alu instid0(VALU_DEP_1) | instskip(SKIP_1) | instid1(VALU_DEP_1)
	v_fmac_f64_e32 v[134:135], v[114:115], v[100:101]
	s_wait_loadcnt 0x2
	v_fmac_f64_e32 v[134:135], v[108:109], v[102:103]
	ds_load_2addr_b64 v[100:103], v2 offset0:93 offset1:94
	s_wait_dscnt 0x1
	v_fmac_f64_e32 v[134:135], v[110:111], v[104:105]
	s_wait_loadcnt 0x0
	s_delay_alu instid0(VALU_DEP_1) | instskip(SKIP_1) | instid1(VALU_DEP_1)
	v_fmac_f64_e32 v[134:135], v[116:117], v[106:107]
	s_wait_dscnt 0x0
	v_fmac_f64_e32 v[134:135], v[118:119], v[100:101]
	s_delay_alu instid0(VALU_DEP_1) | instskip(NEXT) | instid1(VALU_DEP_1)
	v_fmac_f64_e32 v[134:135], v[124:125], v[102:103]
	v_add_f64_e64 v[2:3], v[98:99], -v[134:135]
	scratch_store_b64 off, v[2:3], off offset:64
	s_wait_xcnt 0x0
	v_cmpx_lt_u32_e32 7, v0
	s_cbranch_execz .LBB110_277
; %bb.276:
	scratch_load_b64 v[2:3], off, off offset:56
	v_mov_b64_e32 v[98:99], 0
	scratch_store_b64 off, v[98:99], off offset:56
	s_wait_loadcnt 0x0
	ds_store_b64 v1, v[2:3]
.LBB110_277:
	s_wait_xcnt 0x0
	s_or_b32 exec_lo, exec_lo, s0
	s_wait_storecnt_dscnt 0x0
	s_barrier_signal -1
	s_barrier_wait -1
	s_clause 0x5
	scratch_load_b128 v[98:101], off, off offset:56
	scratch_load_b128 v[102:105], off, off offset:72
	;; [unrolled: 1-line block ×6, first 2 shown]
	v_mov_b32_e32 v2, 0
	ds_load_b128 v[122:125], v2 offset:448
	ds_load_b128 v[126:129], v2 offset:464
	scratch_load_b128 v[130:133], off, off offset:152
	s_mov_b32 s0, exec_lo
	s_wait_loadcnt_dscnt 0x601
	v_fma_f64 v[134:135], v[100:101], v[122:123], 0
	s_wait_loadcnt 0x5
	s_delay_alu instid0(VALU_DEP_1) | instskip(SKIP_4) | instid1(VALU_DEP_1)
	v_fmac_f64_e32 v[134:135], v[102:103], v[124:125]
	scratch_load_b128 v[100:103], off, off offset:168
	s_wait_dscnt 0x0
	v_fmac_f64_e32 v[134:135], v[104:105], v[126:127]
	s_wait_loadcnt 0x5
	v_fmac_f64_e32 v[134:135], v[106:107], v[128:129]
	ds_load_b128 v[104:107], v2 offset:480
	ds_load_b128 v[122:125], v2 offset:496
	scratch_load_b128 v[126:129], off, off offset:184
	s_wait_dscnt 0x1
	v_fmac_f64_e32 v[134:135], v[108:109], v[104:105]
	s_wait_loadcnt 0x5
	s_delay_alu instid0(VALU_DEP_1) | instskip(SKIP_4) | instid1(VALU_DEP_1)
	v_fmac_f64_e32 v[134:135], v[110:111], v[106:107]
	scratch_load_b128 v[104:107], off, off offset:200
	s_wait_dscnt 0x0
	v_fmac_f64_e32 v[134:135], v[112:113], v[122:123]
	s_wait_loadcnt 0x5
	v_fmac_f64_e32 v[134:135], v[114:115], v[124:125]
	ds_load_b128 v[108:111], v2 offset:512
	ds_load_b128 v[112:115], v2 offset:528
	scratch_load_b128 v[122:125], off, off offset:216
	s_wait_dscnt 0x1
	v_fmac_f64_e32 v[134:135], v[116:117], v[108:109]
	s_wait_loadcnt 0x5
	s_delay_alu instid0(VALU_DEP_1) | instskip(SKIP_4) | instid1(VALU_DEP_1)
	v_fmac_f64_e32 v[134:135], v[118:119], v[110:111]
	scratch_load_b128 v[108:111], off, off offset:232
	s_wait_dscnt 0x0
	v_fmac_f64_e32 v[134:135], v[120:121], v[112:113]
	s_wait_loadcnt 0x5
	v_fmac_f64_e32 v[134:135], v[130:131], v[114:115]
	ds_load_b128 v[112:115], v2 offset:544
	ds_load_b128 v[116:119], v2 offset:560
	s_wait_dscnt 0x1
	v_fmac_f64_e32 v[134:135], v[132:133], v[112:113]
	scratch_load_b128 v[130:133], off, off offset:248
	s_wait_loadcnt 0x5
	v_fmac_f64_e32 v[134:135], v[100:101], v[114:115]
	s_wait_dscnt 0x0
	s_delay_alu instid0(VALU_DEP_1)
	v_fmac_f64_e32 v[134:135], v[102:103], v[116:117]
	scratch_load_b128 v[100:103], off, off offset:264
	s_wait_loadcnt 0x5
	v_fmac_f64_e32 v[134:135], v[126:127], v[118:119]
	ds_load_b128 v[112:115], v2 offset:576
	ds_load_b128 v[116:119], v2 offset:592
	s_wait_dscnt 0x1
	v_fmac_f64_e32 v[134:135], v[128:129], v[112:113]
	scratch_load_b128 v[126:129], off, off offset:280
	s_wait_loadcnt 0x5
	v_fmac_f64_e32 v[134:135], v[104:105], v[114:115]
	s_wait_dscnt 0x0
	s_delay_alu instid0(VALU_DEP_1)
	v_fmac_f64_e32 v[134:135], v[106:107], v[116:117]
	scratch_load_b128 v[104:107], off, off offset:296
	s_wait_loadcnt 0x5
	v_fmac_f64_e32 v[134:135], v[122:123], v[118:119]
	ds_load_b128 v[112:115], v2 offset:608
	ds_load_b128 v[116:119], v2 offset:624
	s_wait_dscnt 0x1
	v_fmac_f64_e32 v[134:135], v[124:125], v[112:113]
	s_wait_loadcnt 0x4
	s_delay_alu instid0(VALU_DEP_1)
	v_fmac_f64_e32 v[134:135], v[108:109], v[114:115]
	scratch_load_b128 v[112:115], off, off offset:312
	s_wait_dscnt 0x0
	v_fmac_f64_e32 v[134:135], v[110:111], v[116:117]
	scratch_load_b128 v[108:111], off, off offset:328
	s_wait_loadcnt 0x5
	v_fmac_f64_e32 v[134:135], v[130:131], v[118:119]
	ds_load_b128 v[116:119], v2 offset:640
	ds_load_b128 v[120:123], v2 offset:656
	s_wait_dscnt 0x1
	v_fmac_f64_e32 v[134:135], v[132:133], v[116:117]
	s_wait_loadcnt 0x4
	s_delay_alu instid0(VALU_DEP_1)
	v_fmac_f64_e32 v[134:135], v[100:101], v[118:119]
	scratch_load_b128 v[116:119], off, off offset:344
	s_wait_dscnt 0x0
	v_fmac_f64_e32 v[134:135], v[102:103], v[120:121]
	scratch_load_b128 v[100:103], off, off offset:360
	s_wait_loadcnt 0x5
	v_fmac_f64_e32 v[134:135], v[126:127], v[122:123]
	ds_load_b128 v[120:123], v2 offset:672
	ds_load_b128 v[124:127], v2 offset:688
	s_wait_dscnt 0x1
	v_fmac_f64_e32 v[134:135], v[128:129], v[120:121]
	s_wait_loadcnt 0x4
	s_delay_alu instid0(VALU_DEP_1) | instskip(SKIP_1) | instid1(VALU_DEP_1)
	v_fmac_f64_e32 v[134:135], v[104:105], v[122:123]
	s_wait_dscnt 0x0
	v_fmac_f64_e32 v[134:135], v[106:107], v[124:125]
	ds_load_b128 v[104:107], v2 offset:704
	ds_load_b128 v[120:123], v2 offset:720
	s_wait_loadcnt 0x3
	v_fmac_f64_e32 v[134:135], v[112:113], v[126:127]
	s_wait_dscnt 0x1
	s_delay_alu instid0(VALU_DEP_1) | instskip(SKIP_1) | instid1(VALU_DEP_1)
	v_fmac_f64_e32 v[134:135], v[114:115], v[104:105]
	s_wait_loadcnt 0x2
	v_fmac_f64_e32 v[134:135], v[108:109], v[106:107]
	ds_load_b128 v[104:107], v2 offset:736
	ds_load_b64 v[108:109], v2 offset:752
	s_wait_dscnt 0x2
	v_fmac_f64_e32 v[134:135], v[110:111], v[120:121]
	s_wait_loadcnt 0x1
	s_delay_alu instid0(VALU_DEP_1) | instskip(SKIP_1) | instid1(VALU_DEP_1)
	v_fmac_f64_e32 v[134:135], v[116:117], v[122:123]
	s_wait_dscnt 0x1
	v_fmac_f64_e32 v[134:135], v[118:119], v[104:105]
	s_wait_loadcnt 0x0
	s_delay_alu instid0(VALU_DEP_1) | instskip(SKIP_1) | instid1(VALU_DEP_1)
	v_fmac_f64_e32 v[134:135], v[100:101], v[106:107]
	s_wait_dscnt 0x0
	v_fmac_f64_e32 v[134:135], v[102:103], v[108:109]
	s_delay_alu instid0(VALU_DEP_1)
	v_add_f64_e64 v[98:99], v[98:99], -v[134:135]
	scratch_store_b64 off, v[98:99], off offset:56
	s_wait_xcnt 0x0
	v_cmpx_lt_u32_e32 6, v0
	s_cbranch_execz .LBB110_279
; %bb.278:
	scratch_load_b64 v[98:99], off, off offset:48
	v_mov_b64_e32 v[100:101], 0
	scratch_store_b64 off, v[100:101], off offset:48
	s_wait_loadcnt 0x0
	ds_store_b64 v1, v[98:99]
.LBB110_279:
	s_wait_xcnt 0x0
	s_or_b32 exec_lo, exec_lo, s0
	s_wait_storecnt_dscnt 0x0
	s_barrier_signal -1
	s_barrier_wait -1
	s_clause 0x5
	scratch_load_b128 v[98:101], off, off offset:48
	scratch_load_b128 v[102:105], off, off offset:64
	;; [unrolled: 1-line block ×6, first 2 shown]
	ds_load_2addr_b64 v[122:125], v2 offset0:55 offset1:56
	ds_load_2addr_b64 v[126:129], v2 offset0:57 offset1:58
	scratch_load_b128 v[130:133], off, off offset:144
	s_mov_b32 s0, exec_lo
	s_wait_loadcnt_dscnt 0x601
	v_fma_f64 v[134:135], v[100:101], v[122:123], 0
	s_wait_loadcnt 0x5
	s_delay_alu instid0(VALU_DEP_1) | instskip(SKIP_4) | instid1(VALU_DEP_1)
	v_fmac_f64_e32 v[134:135], v[102:103], v[124:125]
	scratch_load_b128 v[100:103], off, off offset:160
	s_wait_dscnt 0x0
	v_fmac_f64_e32 v[134:135], v[104:105], v[126:127]
	s_wait_loadcnt 0x5
	v_fmac_f64_e32 v[134:135], v[106:107], v[128:129]
	ds_load_2addr_b64 v[104:107], v2 offset0:59 offset1:60
	ds_load_2addr_b64 v[122:125], v2 offset0:61 offset1:62
	scratch_load_b128 v[126:129], off, off offset:176
	s_wait_dscnt 0x1
	v_fmac_f64_e32 v[134:135], v[108:109], v[104:105]
	s_wait_loadcnt 0x5
	s_delay_alu instid0(VALU_DEP_1) | instskip(SKIP_4) | instid1(VALU_DEP_1)
	v_fmac_f64_e32 v[134:135], v[110:111], v[106:107]
	scratch_load_b128 v[104:107], off, off offset:192
	s_wait_dscnt 0x0
	v_fmac_f64_e32 v[134:135], v[112:113], v[122:123]
	s_wait_loadcnt 0x5
	v_fmac_f64_e32 v[134:135], v[114:115], v[124:125]
	ds_load_2addr_b64 v[108:111], v2 offset0:63 offset1:64
	ds_load_2addr_b64 v[112:115], v2 offset0:65 offset1:66
	scratch_load_b128 v[122:125], off, off offset:208
	s_wait_dscnt 0x1
	v_fmac_f64_e32 v[134:135], v[116:117], v[108:109]
	s_wait_loadcnt 0x5
	s_delay_alu instid0(VALU_DEP_1) | instskip(SKIP_4) | instid1(VALU_DEP_1)
	v_fmac_f64_e32 v[134:135], v[118:119], v[110:111]
	scratch_load_b128 v[108:111], off, off offset:224
	s_wait_dscnt 0x0
	v_fmac_f64_e32 v[134:135], v[120:121], v[112:113]
	s_wait_loadcnt 0x5
	v_fmac_f64_e32 v[134:135], v[130:131], v[114:115]
	ds_load_2addr_b64 v[112:115], v2 offset0:67 offset1:68
	ds_load_2addr_b64 v[116:119], v2 offset0:69 offset1:70
	s_wait_dscnt 0x1
	v_fmac_f64_e32 v[134:135], v[132:133], v[112:113]
	scratch_load_b128 v[130:133], off, off offset:240
	s_wait_loadcnt 0x5
	v_fmac_f64_e32 v[134:135], v[100:101], v[114:115]
	s_wait_dscnt 0x0
	s_delay_alu instid0(VALU_DEP_1)
	v_fmac_f64_e32 v[134:135], v[102:103], v[116:117]
	scratch_load_b128 v[100:103], off, off offset:256
	s_wait_loadcnt 0x5
	v_fmac_f64_e32 v[134:135], v[126:127], v[118:119]
	ds_load_2addr_b64 v[112:115], v2 offset0:71 offset1:72
	ds_load_2addr_b64 v[116:119], v2 offset0:73 offset1:74
	s_wait_dscnt 0x1
	v_fmac_f64_e32 v[134:135], v[128:129], v[112:113]
	scratch_load_b128 v[126:129], off, off offset:272
	s_wait_loadcnt 0x5
	v_fmac_f64_e32 v[134:135], v[104:105], v[114:115]
	s_wait_dscnt 0x0
	s_delay_alu instid0(VALU_DEP_1)
	v_fmac_f64_e32 v[134:135], v[106:107], v[116:117]
	scratch_load_b128 v[104:107], off, off offset:288
	s_wait_loadcnt 0x5
	v_fmac_f64_e32 v[134:135], v[122:123], v[118:119]
	ds_load_2addr_b64 v[112:115], v2 offset0:75 offset1:76
	ds_load_2addr_b64 v[116:119], v2 offset0:77 offset1:78
	s_wait_dscnt 0x1
	v_fmac_f64_e32 v[134:135], v[124:125], v[112:113]
	s_wait_loadcnt 0x4
	s_delay_alu instid0(VALU_DEP_1)
	v_fmac_f64_e32 v[134:135], v[108:109], v[114:115]
	scratch_load_b128 v[112:115], off, off offset:304
	s_wait_dscnt 0x0
	v_fmac_f64_e32 v[134:135], v[110:111], v[116:117]
	scratch_load_b128 v[108:111], off, off offset:320
	s_wait_loadcnt 0x5
	v_fmac_f64_e32 v[134:135], v[130:131], v[118:119]
	ds_load_2addr_b64 v[116:119], v2 offset0:79 offset1:80
	ds_load_2addr_b64 v[120:123], v2 offset0:81 offset1:82
	s_wait_dscnt 0x1
	v_fmac_f64_e32 v[134:135], v[132:133], v[116:117]
	s_wait_loadcnt 0x4
	s_delay_alu instid0(VALU_DEP_1)
	v_fmac_f64_e32 v[134:135], v[100:101], v[118:119]
	scratch_load_b128 v[116:119], off, off offset:336
	s_wait_dscnt 0x0
	v_fmac_f64_e32 v[134:135], v[102:103], v[120:121]
	scratch_load_b128 v[100:103], off, off offset:352
	s_wait_loadcnt 0x5
	v_fmac_f64_e32 v[134:135], v[126:127], v[122:123]
	ds_load_2addr_b64 v[120:123], v2 offset0:83 offset1:84
	ds_load_2addr_b64 v[124:127], v2 offset0:85 offset1:86
	s_wait_dscnt 0x1
	v_fmac_f64_e32 v[134:135], v[128:129], v[120:121]
	scratch_load_b64 v[128:129], off, off offset:368
	s_wait_loadcnt 0x5
	v_fmac_f64_e32 v[134:135], v[104:105], v[122:123]
	s_wait_dscnt 0x0
	s_delay_alu instid0(VALU_DEP_1)
	v_fmac_f64_e32 v[134:135], v[106:107], v[124:125]
	ds_load_2addr_b64 v[104:107], v2 offset0:87 offset1:88
	ds_load_2addr_b64 v[120:123], v2 offset0:89 offset1:90
	s_wait_loadcnt 0x4
	v_fmac_f64_e32 v[134:135], v[112:113], v[126:127]
	s_wait_dscnt 0x1
	s_delay_alu instid0(VALU_DEP_1) | instskip(SKIP_1) | instid1(VALU_DEP_1)
	v_fmac_f64_e32 v[134:135], v[114:115], v[104:105]
	s_wait_loadcnt 0x3
	v_fmac_f64_e32 v[134:135], v[108:109], v[106:107]
	s_wait_dscnt 0x0
	s_delay_alu instid0(VALU_DEP_1)
	v_fmac_f64_e32 v[134:135], v[110:111], v[120:121]
	ds_load_2addr_b64 v[104:107], v2 offset0:91 offset1:92
	ds_load_2addr_b64 v[108:111], v2 offset0:93 offset1:94
	s_wait_loadcnt 0x2
	v_fmac_f64_e32 v[134:135], v[116:117], v[122:123]
	s_wait_dscnt 0x1
	s_delay_alu instid0(VALU_DEP_1) | instskip(SKIP_1) | instid1(VALU_DEP_1)
	v_fmac_f64_e32 v[134:135], v[118:119], v[104:105]
	s_wait_loadcnt 0x1
	v_fmac_f64_e32 v[134:135], v[100:101], v[106:107]
	s_wait_dscnt 0x0
	s_delay_alu instid0(VALU_DEP_1) | instskip(SKIP_1) | instid1(VALU_DEP_1)
	v_fmac_f64_e32 v[134:135], v[102:103], v[108:109]
	s_wait_loadcnt 0x0
	v_fmac_f64_e32 v[134:135], v[128:129], v[110:111]
	s_delay_alu instid0(VALU_DEP_1)
	v_add_f64_e64 v[2:3], v[98:99], -v[134:135]
	scratch_store_b64 off, v[2:3], off offset:48
	s_wait_xcnt 0x0
	v_cmpx_lt_u32_e32 5, v0
	s_cbranch_execz .LBB110_281
; %bb.280:
	scratch_load_b64 v[2:3], off, off offset:40
	v_mov_b64_e32 v[98:99], 0
	scratch_store_b64 off, v[98:99], off offset:40
	s_wait_loadcnt 0x0
	ds_store_b64 v1, v[2:3]
.LBB110_281:
	s_wait_xcnt 0x0
	s_or_b32 exec_lo, exec_lo, s0
	s_wait_storecnt_dscnt 0x0
	s_barrier_signal -1
	s_barrier_wait -1
	s_clause 0x5
	scratch_load_b128 v[98:101], off, off offset:40
	scratch_load_b128 v[102:105], off, off offset:56
	;; [unrolled: 1-line block ×6, first 2 shown]
	v_mov_b32_e32 v2, 0
	ds_load_b128 v[122:125], v2 offset:432
	ds_load_b128 v[126:129], v2 offset:448
	scratch_load_b128 v[130:133], off, off offset:136
	s_mov_b32 s0, exec_lo
	s_wait_loadcnt_dscnt 0x601
	v_fma_f64 v[134:135], v[100:101], v[122:123], 0
	s_wait_loadcnt 0x5
	s_delay_alu instid0(VALU_DEP_1) | instskip(SKIP_4) | instid1(VALU_DEP_1)
	v_fmac_f64_e32 v[134:135], v[102:103], v[124:125]
	scratch_load_b128 v[100:103], off, off offset:152
	s_wait_dscnt 0x0
	v_fmac_f64_e32 v[134:135], v[104:105], v[126:127]
	s_wait_loadcnt 0x5
	v_fmac_f64_e32 v[134:135], v[106:107], v[128:129]
	ds_load_b128 v[104:107], v2 offset:464
	ds_load_b128 v[122:125], v2 offset:480
	scratch_load_b128 v[126:129], off, off offset:168
	s_wait_dscnt 0x1
	v_fmac_f64_e32 v[134:135], v[108:109], v[104:105]
	s_wait_loadcnt 0x5
	s_delay_alu instid0(VALU_DEP_1) | instskip(SKIP_4) | instid1(VALU_DEP_1)
	v_fmac_f64_e32 v[134:135], v[110:111], v[106:107]
	scratch_load_b128 v[104:107], off, off offset:184
	s_wait_dscnt 0x0
	v_fmac_f64_e32 v[134:135], v[112:113], v[122:123]
	s_wait_loadcnt 0x5
	v_fmac_f64_e32 v[134:135], v[114:115], v[124:125]
	ds_load_b128 v[108:111], v2 offset:496
	ds_load_b128 v[112:115], v2 offset:512
	scratch_load_b128 v[122:125], off, off offset:200
	s_wait_dscnt 0x1
	v_fmac_f64_e32 v[134:135], v[116:117], v[108:109]
	s_wait_loadcnt 0x5
	s_delay_alu instid0(VALU_DEP_1) | instskip(SKIP_4) | instid1(VALU_DEP_1)
	v_fmac_f64_e32 v[134:135], v[118:119], v[110:111]
	scratch_load_b128 v[108:111], off, off offset:216
	s_wait_dscnt 0x0
	v_fmac_f64_e32 v[134:135], v[120:121], v[112:113]
	s_wait_loadcnt 0x5
	v_fmac_f64_e32 v[134:135], v[130:131], v[114:115]
	ds_load_b128 v[112:115], v2 offset:528
	ds_load_b128 v[116:119], v2 offset:544
	s_wait_dscnt 0x1
	v_fmac_f64_e32 v[134:135], v[132:133], v[112:113]
	scratch_load_b128 v[130:133], off, off offset:232
	s_wait_loadcnt 0x5
	v_fmac_f64_e32 v[134:135], v[100:101], v[114:115]
	s_wait_dscnt 0x0
	s_delay_alu instid0(VALU_DEP_1)
	v_fmac_f64_e32 v[134:135], v[102:103], v[116:117]
	scratch_load_b128 v[100:103], off, off offset:248
	s_wait_loadcnt 0x5
	v_fmac_f64_e32 v[134:135], v[126:127], v[118:119]
	ds_load_b128 v[112:115], v2 offset:560
	ds_load_b128 v[116:119], v2 offset:576
	s_wait_dscnt 0x1
	v_fmac_f64_e32 v[134:135], v[128:129], v[112:113]
	scratch_load_b128 v[126:129], off, off offset:264
	s_wait_loadcnt 0x5
	v_fmac_f64_e32 v[134:135], v[104:105], v[114:115]
	s_wait_dscnt 0x0
	s_delay_alu instid0(VALU_DEP_1)
	v_fmac_f64_e32 v[134:135], v[106:107], v[116:117]
	scratch_load_b128 v[104:107], off, off offset:280
	s_wait_loadcnt 0x5
	v_fmac_f64_e32 v[134:135], v[122:123], v[118:119]
	ds_load_b128 v[112:115], v2 offset:592
	ds_load_b128 v[116:119], v2 offset:608
	s_wait_dscnt 0x1
	v_fmac_f64_e32 v[134:135], v[124:125], v[112:113]
	s_wait_loadcnt 0x4
	s_delay_alu instid0(VALU_DEP_1)
	v_fmac_f64_e32 v[134:135], v[108:109], v[114:115]
	scratch_load_b128 v[112:115], off, off offset:296
	s_wait_dscnt 0x0
	v_fmac_f64_e32 v[134:135], v[110:111], v[116:117]
	scratch_load_b128 v[108:111], off, off offset:312
	s_wait_loadcnt 0x5
	v_fmac_f64_e32 v[134:135], v[130:131], v[118:119]
	ds_load_b128 v[116:119], v2 offset:624
	ds_load_b128 v[120:123], v2 offset:640
	s_wait_dscnt 0x1
	v_fmac_f64_e32 v[134:135], v[132:133], v[116:117]
	s_wait_loadcnt 0x4
	s_delay_alu instid0(VALU_DEP_1)
	v_fmac_f64_e32 v[134:135], v[100:101], v[118:119]
	scratch_load_b128 v[116:119], off, off offset:328
	s_wait_dscnt 0x0
	v_fmac_f64_e32 v[134:135], v[102:103], v[120:121]
	scratch_load_b128 v[100:103], off, off offset:344
	s_wait_loadcnt 0x5
	v_fmac_f64_e32 v[134:135], v[126:127], v[122:123]
	ds_load_b128 v[120:123], v2 offset:656
	ds_load_b128 v[124:127], v2 offset:672
	s_wait_dscnt 0x1
	v_fmac_f64_e32 v[134:135], v[128:129], v[120:121]
	s_wait_loadcnt 0x4
	s_delay_alu instid0(VALU_DEP_1) | instskip(SKIP_4) | instid1(VALU_DEP_1)
	v_fmac_f64_e32 v[134:135], v[104:105], v[122:123]
	scratch_load_b128 v[120:123], off, off offset:360
	s_wait_dscnt 0x0
	v_fmac_f64_e32 v[134:135], v[106:107], v[124:125]
	s_wait_loadcnt 0x4
	v_fmac_f64_e32 v[134:135], v[112:113], v[126:127]
	ds_load_b128 v[104:107], v2 offset:688
	ds_load_b128 v[124:127], v2 offset:704
	s_wait_dscnt 0x1
	v_fmac_f64_e32 v[134:135], v[114:115], v[104:105]
	s_wait_loadcnt 0x3
	s_delay_alu instid0(VALU_DEP_1) | instskip(SKIP_1) | instid1(VALU_DEP_1)
	v_fmac_f64_e32 v[134:135], v[108:109], v[106:107]
	s_wait_dscnt 0x0
	v_fmac_f64_e32 v[134:135], v[110:111], v[124:125]
	ds_load_b128 v[104:107], v2 offset:720
	ds_load_b128 v[108:111], v2 offset:736
	s_wait_loadcnt 0x2
	v_fmac_f64_e32 v[134:135], v[116:117], v[126:127]
	s_wait_dscnt 0x1
	s_delay_alu instid0(VALU_DEP_1) | instskip(SKIP_1) | instid1(VALU_DEP_1)
	v_fmac_f64_e32 v[134:135], v[118:119], v[104:105]
	s_wait_loadcnt 0x1
	v_fmac_f64_e32 v[134:135], v[100:101], v[106:107]
	ds_load_b64 v[100:101], v2 offset:752
	s_wait_dscnt 0x1
	v_fmac_f64_e32 v[134:135], v[102:103], v[108:109]
	s_wait_loadcnt 0x0
	s_delay_alu instid0(VALU_DEP_1) | instskip(SKIP_1) | instid1(VALU_DEP_1)
	v_fmac_f64_e32 v[134:135], v[120:121], v[110:111]
	s_wait_dscnt 0x0
	v_fmac_f64_e32 v[134:135], v[122:123], v[100:101]
	s_delay_alu instid0(VALU_DEP_1)
	v_add_f64_e64 v[98:99], v[98:99], -v[134:135]
	scratch_store_b64 off, v[98:99], off offset:40
	s_wait_xcnt 0x0
	v_cmpx_lt_u32_e32 4, v0
	s_cbranch_execz .LBB110_283
; %bb.282:
	scratch_load_b64 v[98:99], off, off offset:32
	v_mov_b64_e32 v[100:101], 0
	scratch_store_b64 off, v[100:101], off offset:32
	s_wait_loadcnt 0x0
	ds_store_b64 v1, v[98:99]
.LBB110_283:
	s_wait_xcnt 0x0
	s_or_b32 exec_lo, exec_lo, s0
	s_wait_storecnt_dscnt 0x0
	s_barrier_signal -1
	s_barrier_wait -1
	s_clause 0x5
	scratch_load_b128 v[98:101], off, off offset:32
	scratch_load_b128 v[102:105], off, off offset:48
	;; [unrolled: 1-line block ×6, first 2 shown]
	ds_load_2addr_b64 v[122:125], v2 offset0:53 offset1:54
	ds_load_2addr_b64 v[126:129], v2 offset0:55 offset1:56
	scratch_load_b128 v[130:133], off, off offset:128
	s_mov_b32 s0, exec_lo
	s_wait_loadcnt_dscnt 0x601
	v_fma_f64 v[134:135], v[100:101], v[122:123], 0
	s_wait_loadcnt 0x5
	s_delay_alu instid0(VALU_DEP_1) | instskip(SKIP_4) | instid1(VALU_DEP_1)
	v_fmac_f64_e32 v[134:135], v[102:103], v[124:125]
	scratch_load_b128 v[100:103], off, off offset:144
	s_wait_dscnt 0x0
	v_fmac_f64_e32 v[134:135], v[104:105], v[126:127]
	s_wait_loadcnt 0x5
	v_fmac_f64_e32 v[134:135], v[106:107], v[128:129]
	ds_load_2addr_b64 v[104:107], v2 offset0:57 offset1:58
	ds_load_2addr_b64 v[122:125], v2 offset0:59 offset1:60
	scratch_load_b128 v[126:129], off, off offset:160
	s_wait_dscnt 0x1
	v_fmac_f64_e32 v[134:135], v[108:109], v[104:105]
	s_wait_loadcnt 0x5
	s_delay_alu instid0(VALU_DEP_1) | instskip(SKIP_4) | instid1(VALU_DEP_1)
	v_fmac_f64_e32 v[134:135], v[110:111], v[106:107]
	scratch_load_b128 v[104:107], off, off offset:176
	s_wait_dscnt 0x0
	v_fmac_f64_e32 v[134:135], v[112:113], v[122:123]
	s_wait_loadcnt 0x5
	v_fmac_f64_e32 v[134:135], v[114:115], v[124:125]
	ds_load_2addr_b64 v[108:111], v2 offset0:61 offset1:62
	ds_load_2addr_b64 v[112:115], v2 offset0:63 offset1:64
	scratch_load_b128 v[122:125], off, off offset:192
	s_wait_dscnt 0x1
	v_fmac_f64_e32 v[134:135], v[116:117], v[108:109]
	s_wait_loadcnt 0x5
	s_delay_alu instid0(VALU_DEP_1) | instskip(SKIP_4) | instid1(VALU_DEP_1)
	v_fmac_f64_e32 v[134:135], v[118:119], v[110:111]
	scratch_load_b128 v[108:111], off, off offset:208
	s_wait_dscnt 0x0
	v_fmac_f64_e32 v[134:135], v[120:121], v[112:113]
	s_wait_loadcnt 0x5
	v_fmac_f64_e32 v[134:135], v[130:131], v[114:115]
	ds_load_2addr_b64 v[112:115], v2 offset0:65 offset1:66
	ds_load_2addr_b64 v[116:119], v2 offset0:67 offset1:68
	s_wait_dscnt 0x1
	v_fmac_f64_e32 v[134:135], v[132:133], v[112:113]
	scratch_load_b128 v[130:133], off, off offset:224
	s_wait_loadcnt 0x5
	v_fmac_f64_e32 v[134:135], v[100:101], v[114:115]
	s_wait_dscnt 0x0
	s_delay_alu instid0(VALU_DEP_1)
	v_fmac_f64_e32 v[134:135], v[102:103], v[116:117]
	scratch_load_b128 v[100:103], off, off offset:240
	s_wait_loadcnt 0x5
	v_fmac_f64_e32 v[134:135], v[126:127], v[118:119]
	ds_load_2addr_b64 v[112:115], v2 offset0:69 offset1:70
	ds_load_2addr_b64 v[116:119], v2 offset0:71 offset1:72
	s_wait_dscnt 0x1
	v_fmac_f64_e32 v[134:135], v[128:129], v[112:113]
	scratch_load_b128 v[126:129], off, off offset:256
	s_wait_loadcnt 0x5
	v_fmac_f64_e32 v[134:135], v[104:105], v[114:115]
	s_wait_dscnt 0x0
	s_delay_alu instid0(VALU_DEP_1)
	v_fmac_f64_e32 v[134:135], v[106:107], v[116:117]
	scratch_load_b128 v[104:107], off, off offset:272
	s_wait_loadcnt 0x5
	v_fmac_f64_e32 v[134:135], v[122:123], v[118:119]
	ds_load_2addr_b64 v[112:115], v2 offset0:73 offset1:74
	ds_load_2addr_b64 v[116:119], v2 offset0:75 offset1:76
	scratch_load_b128 v[120:123], off, off offset:288
	s_wait_dscnt 0x1
	v_fmac_f64_e32 v[134:135], v[124:125], v[112:113]
	s_wait_loadcnt 0x5
	s_delay_alu instid0(VALU_DEP_1) | instskip(SKIP_1) | instid1(VALU_DEP_1)
	v_fmac_f64_e32 v[134:135], v[108:109], v[114:115]
	s_wait_dscnt 0x0
	v_fmac_f64_e32 v[134:135], v[110:111], v[116:117]
	scratch_load_b128 v[108:111], off, off offset:304
	s_wait_loadcnt 0x5
	v_fmac_f64_e32 v[134:135], v[130:131], v[118:119]
	ds_load_2addr_b64 v[112:115], v2 offset0:77 offset1:78
	ds_load_2addr_b64 v[116:119], v2 offset0:79 offset1:80
	s_wait_dscnt 0x1
	v_fmac_f64_e32 v[134:135], v[132:133], v[112:113]
	s_wait_loadcnt 0x4
	s_delay_alu instid0(VALU_DEP_1)
	v_fmac_f64_e32 v[134:135], v[100:101], v[114:115]
	scratch_load_b128 v[112:115], off, off offset:320
	s_wait_dscnt 0x0
	v_fmac_f64_e32 v[134:135], v[102:103], v[116:117]
	scratch_load_b128 v[100:103], off, off offset:336
	s_wait_loadcnt 0x5
	v_fmac_f64_e32 v[134:135], v[126:127], v[118:119]
	ds_load_2addr_b64 v[116:119], v2 offset0:81 offset1:82
	ds_load_2addr_b64 v[124:127], v2 offset0:83 offset1:84
	s_wait_dscnt 0x1
	v_fmac_f64_e32 v[134:135], v[128:129], v[116:117]
	s_wait_loadcnt 0x4
	s_delay_alu instid0(VALU_DEP_1) | instskip(SKIP_4) | instid1(VALU_DEP_1)
	v_fmac_f64_e32 v[134:135], v[104:105], v[118:119]
	scratch_load_b128 v[116:119], off, off offset:352
	s_wait_dscnt 0x0
	v_fmac_f64_e32 v[134:135], v[106:107], v[124:125]
	s_wait_loadcnt 0x4
	v_fmac_f64_e32 v[134:135], v[120:121], v[126:127]
	scratch_load_b64 v[120:121], off, off offset:368
	ds_load_2addr_b64 v[104:107], v2 offset0:85 offset1:86
	ds_load_2addr_b64 v[124:127], v2 offset0:87 offset1:88
	s_wait_dscnt 0x1
	v_fmac_f64_e32 v[134:135], v[122:123], v[104:105]
	s_wait_loadcnt 0x4
	s_delay_alu instid0(VALU_DEP_1) | instskip(SKIP_1) | instid1(VALU_DEP_1)
	v_fmac_f64_e32 v[134:135], v[108:109], v[106:107]
	s_wait_dscnt 0x0
	v_fmac_f64_e32 v[134:135], v[110:111], v[124:125]
	ds_load_2addr_b64 v[104:107], v2 offset0:89 offset1:90
	ds_load_2addr_b64 v[108:111], v2 offset0:91 offset1:92
	s_wait_loadcnt 0x3
	v_fmac_f64_e32 v[134:135], v[112:113], v[126:127]
	s_wait_dscnt 0x1
	s_delay_alu instid0(VALU_DEP_1) | instskip(SKIP_1) | instid1(VALU_DEP_1)
	v_fmac_f64_e32 v[134:135], v[114:115], v[104:105]
	s_wait_loadcnt 0x2
	v_fmac_f64_e32 v[134:135], v[100:101], v[106:107]
	s_wait_dscnt 0x0
	s_delay_alu instid0(VALU_DEP_1) | instskip(SKIP_4) | instid1(VALU_DEP_1)
	v_fmac_f64_e32 v[134:135], v[102:103], v[108:109]
	ds_load_2addr_b64 v[100:103], v2 offset0:93 offset1:94
	s_wait_loadcnt 0x1
	v_fmac_f64_e32 v[134:135], v[116:117], v[110:111]
	s_wait_dscnt 0x0
	v_fmac_f64_e32 v[134:135], v[118:119], v[100:101]
	s_wait_loadcnt 0x0
	s_delay_alu instid0(VALU_DEP_1) | instskip(NEXT) | instid1(VALU_DEP_1)
	v_fmac_f64_e32 v[134:135], v[120:121], v[102:103]
	v_add_f64_e64 v[2:3], v[98:99], -v[134:135]
	scratch_store_b64 off, v[2:3], off offset:32
	s_wait_xcnt 0x0
	v_cmpx_lt_u32_e32 3, v0
	s_cbranch_execz .LBB110_285
; %bb.284:
	scratch_load_b64 v[2:3], off, off offset:24
	v_mov_b64_e32 v[98:99], 0
	scratch_store_b64 off, v[98:99], off offset:24
	s_wait_loadcnt 0x0
	ds_store_b64 v1, v[2:3]
.LBB110_285:
	s_wait_xcnt 0x0
	s_or_b32 exec_lo, exec_lo, s0
	s_wait_storecnt_dscnt 0x0
	s_barrier_signal -1
	s_barrier_wait -1
	s_clause 0x5
	scratch_load_b128 v[98:101], off, off offset:24
	scratch_load_b128 v[102:105], off, off offset:40
	;; [unrolled: 1-line block ×6, first 2 shown]
	v_mov_b32_e32 v2, 0
	ds_load_b128 v[122:125], v2 offset:416
	ds_load_b128 v[126:129], v2 offset:432
	scratch_load_b128 v[130:133], off, off offset:120
	s_mov_b32 s0, exec_lo
	s_wait_loadcnt_dscnt 0x601
	v_fma_f64 v[134:135], v[100:101], v[122:123], 0
	s_wait_loadcnt 0x5
	s_delay_alu instid0(VALU_DEP_1) | instskip(SKIP_4) | instid1(VALU_DEP_1)
	v_fmac_f64_e32 v[134:135], v[102:103], v[124:125]
	scratch_load_b128 v[100:103], off, off offset:136
	s_wait_dscnt 0x0
	v_fmac_f64_e32 v[134:135], v[104:105], v[126:127]
	s_wait_loadcnt 0x5
	v_fmac_f64_e32 v[134:135], v[106:107], v[128:129]
	ds_load_b128 v[104:107], v2 offset:448
	ds_load_b128 v[122:125], v2 offset:464
	scratch_load_b128 v[126:129], off, off offset:152
	s_wait_dscnt 0x1
	v_fmac_f64_e32 v[134:135], v[108:109], v[104:105]
	s_wait_loadcnt 0x5
	s_delay_alu instid0(VALU_DEP_1) | instskip(SKIP_4) | instid1(VALU_DEP_1)
	v_fmac_f64_e32 v[134:135], v[110:111], v[106:107]
	scratch_load_b128 v[104:107], off, off offset:168
	s_wait_dscnt 0x0
	v_fmac_f64_e32 v[134:135], v[112:113], v[122:123]
	s_wait_loadcnt 0x5
	v_fmac_f64_e32 v[134:135], v[114:115], v[124:125]
	ds_load_b128 v[108:111], v2 offset:480
	ds_load_b128 v[112:115], v2 offset:496
	scratch_load_b128 v[122:125], off, off offset:184
	s_wait_dscnt 0x1
	v_fmac_f64_e32 v[134:135], v[116:117], v[108:109]
	s_wait_loadcnt 0x5
	s_delay_alu instid0(VALU_DEP_1) | instskip(SKIP_4) | instid1(VALU_DEP_1)
	v_fmac_f64_e32 v[134:135], v[118:119], v[110:111]
	scratch_load_b128 v[108:111], off, off offset:200
	s_wait_dscnt 0x0
	v_fmac_f64_e32 v[134:135], v[120:121], v[112:113]
	s_wait_loadcnt 0x5
	v_fmac_f64_e32 v[134:135], v[130:131], v[114:115]
	ds_load_b128 v[112:115], v2 offset:512
	ds_load_b128 v[116:119], v2 offset:528
	s_wait_dscnt 0x1
	v_fmac_f64_e32 v[134:135], v[132:133], v[112:113]
	scratch_load_b128 v[130:133], off, off offset:216
	s_wait_loadcnt 0x5
	v_fmac_f64_e32 v[134:135], v[100:101], v[114:115]
	s_wait_dscnt 0x0
	s_delay_alu instid0(VALU_DEP_1)
	v_fmac_f64_e32 v[134:135], v[102:103], v[116:117]
	scratch_load_b128 v[100:103], off, off offset:232
	s_wait_loadcnt 0x5
	v_fmac_f64_e32 v[134:135], v[126:127], v[118:119]
	ds_load_b128 v[112:115], v2 offset:544
	ds_load_b128 v[116:119], v2 offset:560
	s_wait_dscnt 0x1
	v_fmac_f64_e32 v[134:135], v[128:129], v[112:113]
	scratch_load_b128 v[126:129], off, off offset:248
	s_wait_loadcnt 0x5
	v_fmac_f64_e32 v[134:135], v[104:105], v[114:115]
	s_wait_dscnt 0x0
	s_delay_alu instid0(VALU_DEP_1)
	v_fmac_f64_e32 v[134:135], v[106:107], v[116:117]
	scratch_load_b128 v[104:107], off, off offset:264
	s_wait_loadcnt 0x5
	v_fmac_f64_e32 v[134:135], v[122:123], v[118:119]
	ds_load_b128 v[112:115], v2 offset:576
	ds_load_b128 v[116:119], v2 offset:592
	scratch_load_b128 v[120:123], off, off offset:280
	s_wait_dscnt 0x1
	v_fmac_f64_e32 v[134:135], v[124:125], v[112:113]
	s_wait_loadcnt 0x5
	s_delay_alu instid0(VALU_DEP_1) | instskip(SKIP_1) | instid1(VALU_DEP_1)
	v_fmac_f64_e32 v[134:135], v[108:109], v[114:115]
	s_wait_dscnt 0x0
	v_fmac_f64_e32 v[134:135], v[110:111], v[116:117]
	scratch_load_b128 v[108:111], off, off offset:296
	s_wait_loadcnt 0x5
	v_fmac_f64_e32 v[134:135], v[130:131], v[118:119]
	ds_load_b128 v[112:115], v2 offset:608
	ds_load_b128 v[116:119], v2 offset:624
	s_wait_dscnt 0x1
	v_fmac_f64_e32 v[134:135], v[132:133], v[112:113]
	s_wait_loadcnt 0x4
	s_delay_alu instid0(VALU_DEP_1)
	v_fmac_f64_e32 v[134:135], v[100:101], v[114:115]
	scratch_load_b128 v[112:115], off, off offset:312
	s_wait_dscnt 0x0
	v_fmac_f64_e32 v[134:135], v[102:103], v[116:117]
	scratch_load_b128 v[100:103], off, off offset:328
	s_wait_loadcnt 0x5
	v_fmac_f64_e32 v[134:135], v[126:127], v[118:119]
	ds_load_b128 v[116:119], v2 offset:640
	ds_load_b128 v[124:127], v2 offset:656
	s_wait_dscnt 0x1
	v_fmac_f64_e32 v[134:135], v[128:129], v[116:117]
	s_wait_loadcnt 0x4
	s_delay_alu instid0(VALU_DEP_1)
	v_fmac_f64_e32 v[134:135], v[104:105], v[118:119]
	scratch_load_b128 v[116:119], off, off offset:344
	s_wait_dscnt 0x0
	v_fmac_f64_e32 v[134:135], v[106:107], v[124:125]
	scratch_load_b128 v[104:107], off, off offset:360
	s_wait_loadcnt 0x5
	v_fmac_f64_e32 v[134:135], v[120:121], v[126:127]
	ds_load_b128 v[124:127], v2 offset:672
	ds_load_b128 v[128:131], v2 offset:688
	s_wait_dscnt 0x1
	v_fmac_f64_e32 v[134:135], v[122:123], v[124:125]
	s_wait_loadcnt 0x4
	s_delay_alu instid0(VALU_DEP_1) | instskip(SKIP_1) | instid1(VALU_DEP_1)
	v_fmac_f64_e32 v[134:135], v[108:109], v[126:127]
	s_wait_dscnt 0x0
	v_fmac_f64_e32 v[134:135], v[110:111], v[128:129]
	ds_load_b128 v[108:111], v2 offset:704
	ds_load_b128 v[120:123], v2 offset:720
	s_wait_loadcnt 0x3
	v_fmac_f64_e32 v[134:135], v[112:113], v[130:131]
	s_wait_dscnt 0x1
	s_delay_alu instid0(VALU_DEP_1) | instskip(SKIP_1) | instid1(VALU_DEP_1)
	v_fmac_f64_e32 v[134:135], v[114:115], v[108:109]
	s_wait_loadcnt 0x2
	v_fmac_f64_e32 v[134:135], v[100:101], v[110:111]
	s_wait_dscnt 0x0
	s_delay_alu instid0(VALU_DEP_1)
	v_fmac_f64_e32 v[134:135], v[102:103], v[120:121]
	ds_load_b128 v[100:103], v2 offset:736
	ds_load_b64 v[108:109], v2 offset:752
	s_wait_loadcnt 0x1
	v_fmac_f64_e32 v[134:135], v[116:117], v[122:123]
	s_wait_dscnt 0x1
	s_delay_alu instid0(VALU_DEP_1) | instskip(SKIP_1) | instid1(VALU_DEP_1)
	v_fmac_f64_e32 v[134:135], v[118:119], v[100:101]
	s_wait_loadcnt 0x0
	v_fmac_f64_e32 v[134:135], v[104:105], v[102:103]
	s_wait_dscnt 0x0
	s_delay_alu instid0(VALU_DEP_1) | instskip(NEXT) | instid1(VALU_DEP_1)
	v_fmac_f64_e32 v[134:135], v[106:107], v[108:109]
	v_add_f64_e64 v[98:99], v[98:99], -v[134:135]
	scratch_store_b64 off, v[98:99], off offset:24
	s_wait_xcnt 0x0
	v_cmpx_lt_u32_e32 2, v0
	s_cbranch_execz .LBB110_287
; %bb.286:
	scratch_load_b64 v[98:99], off, off offset:16
	v_mov_b64_e32 v[100:101], 0
	scratch_store_b64 off, v[100:101], off offset:16
	s_wait_loadcnt 0x0
	ds_store_b64 v1, v[98:99]
.LBB110_287:
	s_wait_xcnt 0x0
	s_or_b32 exec_lo, exec_lo, s0
	s_wait_storecnt_dscnt 0x0
	s_barrier_signal -1
	s_barrier_wait -1
	s_clause 0x5
	scratch_load_b128 v[98:101], off, off offset:16
	scratch_load_b128 v[102:105], off, off offset:32
	;; [unrolled: 1-line block ×6, first 2 shown]
	ds_load_2addr_b64 v[122:125], v2 offset0:51 offset1:52
	ds_load_2addr_b64 v[126:129], v2 offset0:53 offset1:54
	scratch_load_b128 v[130:133], off, off offset:112
	s_mov_b32 s0, exec_lo
	s_wait_loadcnt_dscnt 0x601
	v_fma_f64 v[134:135], v[100:101], v[122:123], 0
	s_wait_loadcnt 0x5
	s_delay_alu instid0(VALU_DEP_1) | instskip(SKIP_4) | instid1(VALU_DEP_1)
	v_fmac_f64_e32 v[134:135], v[102:103], v[124:125]
	scratch_load_b128 v[100:103], off, off offset:128
	s_wait_dscnt 0x0
	v_fmac_f64_e32 v[134:135], v[104:105], v[126:127]
	s_wait_loadcnt 0x5
	v_fmac_f64_e32 v[134:135], v[106:107], v[128:129]
	ds_load_2addr_b64 v[104:107], v2 offset0:55 offset1:56
	ds_load_2addr_b64 v[122:125], v2 offset0:57 offset1:58
	scratch_load_b128 v[126:129], off, off offset:144
	s_wait_dscnt 0x1
	v_fmac_f64_e32 v[134:135], v[108:109], v[104:105]
	s_wait_loadcnt 0x5
	s_delay_alu instid0(VALU_DEP_1) | instskip(SKIP_4) | instid1(VALU_DEP_1)
	v_fmac_f64_e32 v[134:135], v[110:111], v[106:107]
	scratch_load_b128 v[104:107], off, off offset:160
	s_wait_dscnt 0x0
	v_fmac_f64_e32 v[134:135], v[112:113], v[122:123]
	s_wait_loadcnt 0x5
	v_fmac_f64_e32 v[134:135], v[114:115], v[124:125]
	ds_load_2addr_b64 v[108:111], v2 offset0:59 offset1:60
	ds_load_2addr_b64 v[112:115], v2 offset0:61 offset1:62
	scratch_load_b128 v[122:125], off, off offset:176
	s_wait_dscnt 0x1
	v_fmac_f64_e32 v[134:135], v[116:117], v[108:109]
	s_wait_loadcnt 0x5
	s_delay_alu instid0(VALU_DEP_1) | instskip(SKIP_4) | instid1(VALU_DEP_1)
	v_fmac_f64_e32 v[134:135], v[118:119], v[110:111]
	scratch_load_b128 v[108:111], off, off offset:192
	s_wait_dscnt 0x0
	v_fmac_f64_e32 v[134:135], v[120:121], v[112:113]
	s_wait_loadcnt 0x5
	v_fmac_f64_e32 v[134:135], v[130:131], v[114:115]
	ds_load_2addr_b64 v[112:115], v2 offset0:63 offset1:64
	ds_load_2addr_b64 v[116:119], v2 offset0:65 offset1:66
	s_wait_dscnt 0x1
	v_fmac_f64_e32 v[134:135], v[132:133], v[112:113]
	scratch_load_b128 v[130:133], off, off offset:208
	s_wait_loadcnt 0x5
	v_fmac_f64_e32 v[134:135], v[100:101], v[114:115]
	s_wait_dscnt 0x0
	s_delay_alu instid0(VALU_DEP_1)
	v_fmac_f64_e32 v[134:135], v[102:103], v[116:117]
	scratch_load_b128 v[100:103], off, off offset:224
	s_wait_loadcnt 0x5
	v_fmac_f64_e32 v[134:135], v[126:127], v[118:119]
	ds_load_2addr_b64 v[112:115], v2 offset0:67 offset1:68
	ds_load_2addr_b64 v[116:119], v2 offset0:69 offset1:70
	s_wait_dscnt 0x1
	v_fmac_f64_e32 v[134:135], v[128:129], v[112:113]
	scratch_load_b128 v[126:129], off, off offset:240
	s_wait_loadcnt 0x5
	v_fmac_f64_e32 v[134:135], v[104:105], v[114:115]
	s_wait_dscnt 0x0
	s_delay_alu instid0(VALU_DEP_1)
	v_fmac_f64_e32 v[134:135], v[106:107], v[116:117]
	scratch_load_b128 v[104:107], off, off offset:256
	s_wait_loadcnt 0x5
	v_fmac_f64_e32 v[134:135], v[122:123], v[118:119]
	ds_load_2addr_b64 v[112:115], v2 offset0:71 offset1:72
	ds_load_2addr_b64 v[116:119], v2 offset0:73 offset1:74
	scratch_load_b128 v[120:123], off, off offset:272
	s_wait_dscnt 0x1
	v_fmac_f64_e32 v[134:135], v[124:125], v[112:113]
	s_wait_loadcnt 0x5
	s_delay_alu instid0(VALU_DEP_1) | instskip(SKIP_1) | instid1(VALU_DEP_1)
	v_fmac_f64_e32 v[134:135], v[108:109], v[114:115]
	s_wait_dscnt 0x0
	v_fmac_f64_e32 v[134:135], v[110:111], v[116:117]
	scratch_load_b128 v[108:111], off, off offset:288
	s_wait_loadcnt 0x5
	v_fmac_f64_e32 v[134:135], v[130:131], v[118:119]
	ds_load_2addr_b64 v[112:115], v2 offset0:75 offset1:76
	ds_load_2addr_b64 v[116:119], v2 offset0:77 offset1:78
	s_wait_dscnt 0x1
	v_fmac_f64_e32 v[134:135], v[132:133], v[112:113]
	s_wait_loadcnt 0x4
	s_delay_alu instid0(VALU_DEP_1)
	v_fmac_f64_e32 v[134:135], v[100:101], v[114:115]
	scratch_load_b128 v[112:115], off, off offset:304
	s_wait_dscnt 0x0
	v_fmac_f64_e32 v[134:135], v[102:103], v[116:117]
	scratch_load_b128 v[100:103], off, off offset:320
	s_wait_loadcnt 0x5
	v_fmac_f64_e32 v[134:135], v[126:127], v[118:119]
	ds_load_2addr_b64 v[116:119], v2 offset0:79 offset1:80
	ds_load_2addr_b64 v[124:127], v2 offset0:81 offset1:82
	s_wait_dscnt 0x1
	v_fmac_f64_e32 v[134:135], v[128:129], v[116:117]
	s_wait_loadcnt 0x4
	s_delay_alu instid0(VALU_DEP_1)
	v_fmac_f64_e32 v[134:135], v[104:105], v[118:119]
	scratch_load_b128 v[116:119], off, off offset:336
	s_wait_dscnt 0x0
	v_fmac_f64_e32 v[134:135], v[106:107], v[124:125]
	scratch_load_b128 v[104:107], off, off offset:352
	s_wait_loadcnt 0x5
	v_fmac_f64_e32 v[134:135], v[120:121], v[126:127]
	ds_load_2addr_b64 v[124:127], v2 offset0:83 offset1:84
	ds_load_2addr_b64 v[128:131], v2 offset0:85 offset1:86
	s_wait_dscnt 0x1
	v_fmac_f64_e32 v[134:135], v[122:123], v[124:125]
	scratch_load_b64 v[124:125], off, off offset:368
	s_wait_loadcnt 0x5
	v_fmac_f64_e32 v[134:135], v[108:109], v[126:127]
	s_wait_dscnt 0x0
	s_delay_alu instid0(VALU_DEP_1)
	v_fmac_f64_e32 v[134:135], v[110:111], v[128:129]
	ds_load_2addr_b64 v[108:111], v2 offset0:87 offset1:88
	ds_load_2addr_b64 v[120:123], v2 offset0:89 offset1:90
	s_wait_loadcnt 0x4
	v_fmac_f64_e32 v[134:135], v[112:113], v[130:131]
	s_wait_dscnt 0x1
	s_delay_alu instid0(VALU_DEP_1) | instskip(SKIP_1) | instid1(VALU_DEP_1)
	v_fmac_f64_e32 v[134:135], v[114:115], v[108:109]
	s_wait_loadcnt 0x3
	v_fmac_f64_e32 v[134:135], v[100:101], v[110:111]
	s_wait_dscnt 0x0
	s_delay_alu instid0(VALU_DEP_1)
	v_fmac_f64_e32 v[134:135], v[102:103], v[120:121]
	ds_load_2addr_b64 v[100:103], v2 offset0:91 offset1:92
	ds_load_2addr_b64 v[108:111], v2 offset0:93 offset1:94
	s_wait_loadcnt 0x2
	v_fmac_f64_e32 v[134:135], v[116:117], v[122:123]
	s_wait_dscnt 0x1
	s_delay_alu instid0(VALU_DEP_1) | instskip(SKIP_1) | instid1(VALU_DEP_1)
	v_fmac_f64_e32 v[134:135], v[118:119], v[100:101]
	s_wait_loadcnt 0x1
	v_fmac_f64_e32 v[134:135], v[104:105], v[102:103]
	s_wait_dscnt 0x0
	s_delay_alu instid0(VALU_DEP_1) | instskip(SKIP_1) | instid1(VALU_DEP_1)
	v_fmac_f64_e32 v[134:135], v[106:107], v[108:109]
	s_wait_loadcnt 0x0
	v_fmac_f64_e32 v[134:135], v[124:125], v[110:111]
	s_delay_alu instid0(VALU_DEP_1)
	v_add_f64_e64 v[2:3], v[98:99], -v[134:135]
	scratch_store_b64 off, v[2:3], off offset:16
	s_wait_xcnt 0x0
	v_cmpx_lt_u32_e32 1, v0
	s_cbranch_execz .LBB110_289
; %bb.288:
	scratch_load_b64 v[2:3], off, off offset:8
	v_mov_b64_e32 v[98:99], 0
	scratch_store_b64 off, v[98:99], off offset:8
	s_wait_loadcnt 0x0
	ds_store_b64 v1, v[2:3]
.LBB110_289:
	s_wait_xcnt 0x0
	s_or_b32 exec_lo, exec_lo, s0
	s_wait_storecnt_dscnt 0x0
	s_barrier_signal -1
	s_barrier_wait -1
	s_clause 0x3
	scratch_load_b128 v[100:103], off, off offset:8
	scratch_load_b128 v[104:107], off, off offset:24
	;; [unrolled: 1-line block ×4, first 2 shown]
	v_dual_mov_b32 v98, 0 :: v_dual_ashrrev_i32 v9, 31, v8
	ds_load_b128 v[116:119], v98 offset:400
	ds_load_b128 v[120:123], v98 offset:416
	scratch_load_b128 v[124:127], off, off offset:72
	v_dual_ashrrev_i32 v11, 31, v10 :: v_dual_ashrrev_i32 v13, 31, v12
	v_dual_ashrrev_i32 v15, 31, v14 :: v_dual_ashrrev_i32 v17, 31, v16
	;; [unrolled: 1-line block ×21, first 2 shown]
	v_ashrrev_i32_e32 v95, 31, v94
	s_mov_b32 s0, exec_lo
	v_ashrrev_i32_e32 v49, 31, v48
	s_wait_loadcnt_dscnt 0x401
	v_fma_f64 v[2:3], v[102:103], v[116:117], 0
	s_wait_loadcnt 0x3
	s_delay_alu instid0(VALU_DEP_1) | instskip(SKIP_4) | instid1(VALU_DEP_1)
	v_fmac_f64_e32 v[2:3], v[104:105], v[118:119]
	scratch_load_b128 v[102:105], off, off offset:88
	s_wait_dscnt 0x0
	v_fmac_f64_e32 v[2:3], v[106:107], v[120:121]
	s_wait_loadcnt 0x3
	v_fmac_f64_e32 v[2:3], v[108:109], v[122:123]
	ds_load_b128 v[106:109], v98 offset:432
	ds_load_b128 v[116:119], v98 offset:448
	scratch_load_b128 v[120:123], off, off offset:104
	s_wait_dscnt 0x1
	v_fmac_f64_e32 v[2:3], v[110:111], v[106:107]
	s_wait_loadcnt 0x3
	s_delay_alu instid0(VALU_DEP_1)
	v_fmac_f64_e32 v[2:3], v[112:113], v[108:109]
	scratch_load_b128 v[106:109], off, off offset:120
	s_wait_dscnt 0x0
	v_fmac_f64_e32 v[2:3], v[114:115], v[116:117]
	ds_load_b128 v[110:113], v98 offset:464
	ds_load_b128 v[114:117], v98 offset:480
	s_wait_loadcnt 0x3
	v_fmac_f64_e32 v[2:3], v[124:125], v[118:119]
	s_wait_dscnt 0x1
	s_delay_alu instid0(VALU_DEP_1) | instskip(SKIP_4) | instid1(VALU_DEP_1)
	v_fmac_f64_e32 v[2:3], v[126:127], v[110:111]
	scratch_load_b128 v[124:127], off, off offset:136
	s_wait_loadcnt 0x3
	v_fmac_f64_e32 v[2:3], v[102:103], v[112:113]
	s_wait_dscnt 0x0
	v_fmac_f64_e32 v[2:3], v[104:105], v[114:115]
	scratch_load_b128 v[102:105], off, off offset:152
	s_wait_loadcnt 0x3
	v_fmac_f64_e32 v[2:3], v[120:121], v[116:117]
	ds_load_b128 v[110:113], v98 offset:496
	ds_load_b128 v[114:117], v98 offset:512
	scratch_load_b128 v[118:121], off, off offset:168
	s_wait_dscnt 0x1
	v_fmac_f64_e32 v[2:3], v[122:123], v[110:111]
	s_wait_loadcnt 0x3
	s_delay_alu instid0(VALU_DEP_1) | instskip(SKIP_1) | instid1(VALU_DEP_1)
	v_fmac_f64_e32 v[2:3], v[106:107], v[112:113]
	s_wait_dscnt 0x0
	v_fmac_f64_e32 v[2:3], v[108:109], v[114:115]
	scratch_load_b128 v[106:109], off, off offset:184
	s_wait_loadcnt 0x3
	v_fmac_f64_e32 v[2:3], v[124:125], v[116:117]
	ds_load_b128 v[110:113], v98 offset:528
	ds_load_b128 v[114:117], v98 offset:544
	scratch_load_b128 v[122:125], off, off offset:200
	s_wait_dscnt 0x1
	v_fmac_f64_e32 v[2:3], v[126:127], v[110:111]
	s_wait_loadcnt 0x3
	s_delay_alu instid0(VALU_DEP_1) | instskip(SKIP_1) | instid1(VALU_DEP_1)
	v_fmac_f64_e32 v[2:3], v[102:103], v[112:113]
	s_wait_dscnt 0x0
	v_fmac_f64_e32 v[2:3], v[104:105], v[114:115]
	scratch_load_b128 v[102:105], off, off offset:216
	s_wait_loadcnt 0x3
	v_fmac_f64_e32 v[2:3], v[118:119], v[116:117]
	ds_load_b128 v[110:113], v98 offset:560
	ds_load_b128 v[114:117], v98 offset:576
	s_wait_dscnt 0x1
	v_fmac_f64_e32 v[2:3], v[120:121], v[110:111]
	scratch_load_b128 v[118:121], off, off offset:232
	s_wait_loadcnt 0x3
	v_fmac_f64_e32 v[2:3], v[106:107], v[112:113]
	s_wait_dscnt 0x0
	s_delay_alu instid0(VALU_DEP_1)
	v_fmac_f64_e32 v[2:3], v[108:109], v[114:115]
	scratch_load_b128 v[106:109], off, off offset:248
	s_wait_loadcnt 0x3
	v_fmac_f64_e32 v[2:3], v[122:123], v[116:117]
	ds_load_b128 v[110:113], v98 offset:592
	ds_load_b128 v[114:117], v98 offset:608
	s_wait_dscnt 0x1
	v_fmac_f64_e32 v[2:3], v[124:125], v[110:111]
	scratch_load_b128 v[122:125], off, off offset:264
	s_wait_loadcnt 0x3
	v_fmac_f64_e32 v[2:3], v[102:103], v[112:113]
	s_wait_dscnt 0x0
	s_delay_alu instid0(VALU_DEP_1)
	;; [unrolled: 13-line block ×5, first 2 shown]
	v_fmac_f64_e32 v[2:3], v[108:109], v[114:115]
	ds_load_b128 v[106:109], v98 offset:720
	ds_load_b128 v[110:113], v98 offset:736
	s_wait_loadcnt 0x2
	v_fmac_f64_e32 v[2:3], v[122:123], v[116:117]
	s_wait_dscnt 0x1
	s_delay_alu instid0(VALU_DEP_1) | instskip(SKIP_1) | instid1(VALU_DEP_1)
	v_fmac_f64_e32 v[2:3], v[124:125], v[106:107]
	s_wait_loadcnt 0x1
	v_fmac_f64_e32 v[2:3], v[102:103], v[108:109]
	ds_load_b64 v[102:103], v98 offset:752
	s_wait_dscnt 0x1
	v_fmac_f64_e32 v[2:3], v[104:105], v[110:111]
	s_wait_loadcnt 0x0
	s_delay_alu instid0(VALU_DEP_1) | instskip(SKIP_1) | instid1(VALU_DEP_1)
	v_fmac_f64_e32 v[2:3], v[118:119], v[112:113]
	s_wait_dscnt 0x0
	v_fmac_f64_e32 v[2:3], v[120:121], v[102:103]
	s_delay_alu instid0(VALU_DEP_1)
	v_add_f64_e64 v[2:3], v[100:101], -v[2:3]
	scratch_store_b64 off, v[2:3], off offset:8
	s_wait_xcnt 0x0
	v_cmpx_ne_u32_e32 0, v0
	s_cbranch_execz .LBB110_291
; %bb.290:
	scratch_load_b64 v[2:3], off, off
	v_mov_b64_e32 v[100:101], 0
	scratch_store_b64 off, v[100:101], off
	s_wait_loadcnt 0x0
	ds_store_b64 v1, v[2:3]
.LBB110_291:
	s_wait_xcnt 0x0
	s_or_b32 exec_lo, exec_lo, s0
	s_wait_storecnt_dscnt 0x0
	s_barrier_signal -1
	s_barrier_wait -1
	s_clause 0x5
	scratch_load_b128 v[100:103], off, off
	scratch_load_b128 v[0:3], off, off offset:16
	scratch_load_b128 v[104:107], off, off offset:32
	;; [unrolled: 1-line block ×5, first 2 shown]
	ds_load_2addr_b64 v[120:123], v98 offset0:49 offset1:50
	scratch_load_b128 v[124:127], off, off offset:96
	s_and_b32 vcc_lo, exec_lo, s12
	s_wait_loadcnt_dscnt 0x600
	v_fma_f64 v[130:131], v[102:103], v[120:121], 0
	s_wait_loadcnt 0x5
	s_delay_alu instid0(VALU_DEP_1)
	v_fmac_f64_e32 v[130:131], v[0:1], v[122:123]
	ds_load_2addr_b64 v[120:123], v98 offset0:51 offset1:52
	s_wait_dscnt 0x0
	v_fmac_f64_e32 v[130:131], v[2:3], v[120:121]
	scratch_load_b128 v[0:3], off, off offset:112
	s_wait_loadcnt 0x5
	v_fmac_f64_e32 v[130:131], v[104:105], v[122:123]
	ds_load_2addr_b64 v[102:105], v98 offset0:53 offset1:54
	scratch_load_b128 v[120:123], off, off offset:128
	s_wait_dscnt 0x0
	v_fmac_f64_e32 v[130:131], v[106:107], v[102:103]
	s_wait_loadcnt 0x5
	s_delay_alu instid0(VALU_DEP_1)
	v_fmac_f64_e32 v[130:131], v[108:109], v[104:105]
	ds_load_2addr_b64 v[102:105], v98 offset0:55 offset1:56
	scratch_load_b128 v[106:109], off, off offset:144
	s_wait_dscnt 0x0
	v_fmac_f64_e32 v[130:131], v[110:111], v[102:103]
	s_wait_loadcnt 0x5
	s_delay_alu instid0(VALU_DEP_1)
	;; [unrolled: 7-line block ×4, first 2 shown]
	v_fmac_f64_e32 v[130:131], v[124:125], v[104:105]
	ds_load_2addr_b64 v[102:105], v98 offset0:61 offset1:62
	s_wait_dscnt 0x0
	v_fmac_f64_e32 v[130:131], v[126:127], v[102:103]
	scratch_load_b128 v[124:127], off, off offset:192
	s_wait_loadcnt 0x5
	v_fmac_f64_e32 v[130:131], v[0:1], v[104:105]
	ds_load_2addr_b64 v[102:105], v98 offset0:63 offset1:64
	s_wait_dscnt 0x0
	v_fmac_f64_e32 v[130:131], v[2:3], v[102:103]
	scratch_load_b128 v[0:3], off, off offset:208
	s_wait_loadcnt 0x5
	v_fmac_f64_e32 v[130:131], v[120:121], v[104:105]
	ds_load_2addr_b64 v[102:105], v98 offset0:65 offset1:66
	scratch_load_b128 v[118:121], off, off offset:224
	s_wait_dscnt 0x0
	v_fmac_f64_e32 v[130:131], v[122:123], v[102:103]
	s_wait_loadcnt 0x5
	s_delay_alu instid0(VALU_DEP_1)
	v_fmac_f64_e32 v[130:131], v[106:107], v[104:105]
	ds_load_2addr_b64 v[102:105], v98 offset0:67 offset1:68
	s_wait_dscnt 0x0
	v_fmac_f64_e32 v[130:131], v[108:109], v[102:103]
	scratch_load_b128 v[106:109], off, off offset:240
	s_wait_loadcnt 0x5
	v_fmac_f64_e32 v[130:131], v[110:111], v[104:105]
	ds_load_2addr_b64 v[102:105], v98 offset0:69 offset1:70
	s_wait_dscnt 0x0
	v_fmac_f64_e32 v[130:131], v[112:113], v[102:103]
	scratch_load_b128 v[110:113], off, off offset:256
	s_wait_loadcnt 0x5
	;; [unrolled: 6-line block ×3, first 2 shown]
	v_fmac_f64_e32 v[130:131], v[124:125], v[104:105]
	ds_load_2addr_b64 v[102:105], v98 offset0:73 offset1:74
	scratch_load_b128 v[122:125], off, off offset:288
	s_wait_dscnt 0x0
	v_fmac_f64_e32 v[130:131], v[126:127], v[102:103]
	scratch_load_b128 v[126:129], off, off offset:304
	s_wait_loadcnt 0x6
	v_fmac_f64_e32 v[130:131], v[0:1], v[104:105]
	ds_load_2addr_b64 v[102:105], v98 offset0:75 offset1:76
	s_wait_dscnt 0x0
	v_fmac_f64_e32 v[130:131], v[2:3], v[102:103]
	ds_load_2addr_b64 v[0:3], v98 offset0:77 offset1:78
	s_wait_loadcnt 0x5
	v_fmac_f64_e32 v[130:131], v[118:119], v[104:105]
	scratch_load_b128 v[102:105], off, off offset:320
	s_wait_dscnt 0x0
	v_fmac_f64_e32 v[130:131], v[120:121], v[0:1]
	ds_load_2addr_b64 v[118:121], v98 offset0:81 offset1:82
	s_wait_loadcnt 0x5
	v_fmac_f64_e32 v[130:131], v[106:107], v[2:3]
	ds_load_2addr_b64 v[0:3], v98 offset0:79 offset1:80
	s_wait_dscnt 0x0
	v_fmac_f64_e32 v[130:131], v[108:109], v[0:1]
	scratch_load_b128 v[106:109], off, off offset:336
	s_wait_loadcnt 0x5
	v_fmac_f64_e32 v[130:131], v[110:111], v[2:3]
	scratch_load_b128 v[0:3], off, off offset:352
	v_fmac_f64_e32 v[130:131], v[112:113], v[118:119]
	ds_load_2addr_b64 v[110:113], v98 offset0:83 offset1:84
	s_wait_loadcnt 0x5
	v_fmac_f64_e32 v[130:131], v[114:115], v[120:121]
	scratch_load_b64 v[114:115], off, off offset:368
	s_wait_dscnt 0x0
	v_fmac_f64_e32 v[130:131], v[116:117], v[110:111]
	s_wait_loadcnt 0x5
	s_delay_alu instid0(VALU_DEP_1) | instskip(SKIP_4) | instid1(VALU_DEP_1)
	v_fmac_f64_e32 v[130:131], v[122:123], v[112:113]
	ds_load_2addr_b64 v[110:113], v98 offset0:85 offset1:86
	s_wait_dscnt 0x0
	v_fmac_f64_e32 v[130:131], v[124:125], v[110:111]
	s_wait_loadcnt 0x4
	v_fmac_f64_e32 v[130:131], v[126:127], v[112:113]
	ds_load_2addr_b64 v[110:113], v98 offset0:87 offset1:88
	s_wait_dscnt 0x0
	v_fmac_f64_e32 v[130:131], v[128:129], v[110:111]
	s_wait_loadcnt 0x3
	s_delay_alu instid0(VALU_DEP_1)
	v_fmac_f64_e32 v[130:131], v[102:103], v[112:113]
	ds_load_2addr_b64 v[110:113], v98 offset0:89 offset1:90
	s_wait_dscnt 0x0
	v_fmac_f64_e32 v[130:131], v[104:105], v[110:111]
	ds_load_2addr_b64 v[102:105], v98 offset0:91 offset1:92
	s_wait_loadcnt 0x2
	v_fmac_f64_e32 v[130:131], v[106:107], v[112:113]
	s_wait_dscnt 0x0
	s_delay_alu instid0(VALU_DEP_1) | instskip(SKIP_1) | instid1(VALU_DEP_1)
	v_fmac_f64_e32 v[130:131], v[108:109], v[102:103]
	s_wait_loadcnt 0x1
	v_fmac_f64_e32 v[130:131], v[0:1], v[104:105]
	ds_load_2addr_b64 v[102:105], v98 offset0:93 offset1:94
	s_wait_dscnt 0x0
	v_fmac_f64_e32 v[130:131], v[2:3], v[102:103]
	s_wait_loadcnt 0x0
	s_delay_alu instid0(VALU_DEP_1) | instskip(NEXT) | instid1(VALU_DEP_1)
	v_fmac_f64_e32 v[130:131], v[114:115], v[104:105]
	v_add_f64_e64 v[98:99], v[100:101], -v[130:131]
	scratch_store_b64 off, v[98:99], off
	s_cbranch_vccz .LBB110_384
; %bb.292:
	v_mov_b32_e32 v0, 0
	global_load_b32 v1, v0, s[8:9] offset:180
	s_wait_loadcnt 0x0
	v_cmp_ne_u32_e32 vcc_lo, 46, v1
	s_cbranch_vccz .LBB110_294
; %bb.293:
	v_lshlrev_b32_e32 v1, 3, v1
	scratch_load_b64 v[98:99], v1, off offset:-8
	s_wait_loadcnt 0x0
	scratch_store_b64 off, v[98:99], off offset:360
	scratch_store_b64 v1, v[2:3], off offset:-8
.LBB110_294:
	global_load_b32 v0, v0, s[8:9] offset:176
	s_wait_loadcnt 0x0
	v_cmp_eq_u32_e32 vcc_lo, 45, v0
	s_cbranch_vccnz .LBB110_296
; %bb.295:
	s_wait_xcnt 0x0
	v_lshlrev_b32_e32 v0, 3, v0
	s_delay_alu instid0(VALU_DEP_1)
	v_mov_b32_e32 v98, v0
	scratch_load_b64 v[0:1], v98, off offset:-8
	scratch_load_b64 v[2:3], off, off offset:352
	s_wait_loadcnt 0x1
	scratch_store_b64 off, v[0:1], off offset:352
	s_wait_loadcnt 0x0
	scratch_store_b64 v98, v[2:3], off offset:-8
.LBB110_296:
	s_wait_xcnt 0x0
	v_mov_b32_e32 v0, 0
	global_load_b32 v1, v0, s[8:9] offset:172
	s_wait_loadcnt 0x0
	v_cmp_eq_u32_e32 vcc_lo, 44, v1
	s_cbranch_vccnz .LBB110_298
; %bb.297:
	v_lshlrev_b32_e32 v1, 3, v1
	scratch_load_b64 v[2:3], v1, off offset:-8
	scratch_load_b64 v[98:99], off, off offset:344
	s_wait_loadcnt 0x1
	scratch_store_b64 off, v[2:3], off offset:344
	s_wait_loadcnt 0x0
	scratch_store_b64 v1, v[98:99], off offset:-8
.LBB110_298:
	global_load_b32 v0, v0, s[8:9] offset:168
	s_wait_loadcnt 0x0
	v_cmp_eq_u32_e32 vcc_lo, 43, v0
	s_cbranch_vccnz .LBB110_300
; %bb.299:
	s_wait_xcnt 0x0
	v_lshlrev_b32_e32 v0, 3, v0
	s_delay_alu instid0(VALU_DEP_1)
	v_mov_b32_e32 v98, v0
	scratch_load_b64 v[0:1], v98, off offset:-8
	scratch_load_b64 v[2:3], off, off offset:336
	s_wait_loadcnt 0x1
	scratch_store_b64 off, v[0:1], off offset:336
	s_wait_loadcnt 0x0
	scratch_store_b64 v98, v[2:3], off offset:-8
.LBB110_300:
	s_wait_xcnt 0x0
	v_mov_b32_e32 v0, 0
	global_load_b32 v1, v0, s[8:9] offset:164
	s_wait_loadcnt 0x0
	v_cmp_eq_u32_e32 vcc_lo, 42, v1
	s_cbranch_vccnz .LBB110_302
; %bb.301:
	v_lshlrev_b32_e32 v1, 3, v1
	scratch_load_b64 v[2:3], v1, off offset:-8
	scratch_load_b64 v[98:99], off, off offset:328
	s_wait_loadcnt 0x1
	scratch_store_b64 off, v[2:3], off offset:328
	s_wait_loadcnt 0x0
	scratch_store_b64 v1, v[98:99], off offset:-8
.LBB110_302:
	;; [unrolled: 31-line block ×22, first 2 shown]
	global_load_b32 v0, v0, s[8:9]
	scratch_load_b64 v[98:99], off, off
	s_wait_loadcnt 0x1
	v_cmp_eq_u32_e32 vcc_lo, 1, v0
	s_cbranch_vccnz .LBB110_384
; %bb.383:
	s_wait_xcnt 0x1
	v_lshlrev_b32_e32 v0, 3, v0
	s_delay_alu instid0(VALU_DEP_1)
	v_mov_b32_e32 v2, v0
	scratch_load_b64 v[0:1], v2, off offset:-8
	s_wait_loadcnt 0x0
	scratch_store_b64 off, v[0:1], off
	scratch_store_b64 v2, v[98:99], off offset:-8
	scratch_load_b64 v[98:99], off, off
.LBB110_384:
	s_wait_loadcnt 0x0
	flat_store_b64 v[4:5], v[98:99]
	scratch_load_b64 v[4:5], off, off offset:8
	v_lshl_add_u64 v[140:141], v[8:9], 3, s[2:3]
	v_lshl_add_u64 v[138:139], v[10:11], 3, s[2:3]
	;; [unrolled: 1-line block ×45, first 2 shown]
	s_wait_loadcnt 0x0
	flat_store_b64 v[6:7], v[4:5]
	scratch_load_b64 v[4:5], off, off offset:16
	s_wait_loadcnt 0x0
	flat_store_b64 v[140:141], v[4:5]
	scratch_load_b64 v[4:5], off, off offset:24
	;; [unrolled: 3-line block ×45, first 2 shown]
	s_wait_loadcnt 0x0
	flat_store_b64 v[0:1], v[2:3]
	s_sendmsg sendmsg(MSG_DEALLOC_VGPRS)
	s_endpgm
	.section	.rodata,"a",@progbits
	.p2align	6, 0x0
	.amdhsa_kernel _ZN9rocsolver6v33100L18getri_kernel_smallILi47EdPKPdEEvT1_iilPiilS6_bb
		.amdhsa_group_segment_fixed_size 760
		.amdhsa_private_segment_fixed_size 384
		.amdhsa_kernarg_size 60
		.amdhsa_user_sgpr_count 2
		.amdhsa_user_sgpr_dispatch_ptr 0
		.amdhsa_user_sgpr_queue_ptr 0
		.amdhsa_user_sgpr_kernarg_segment_ptr 1
		.amdhsa_user_sgpr_dispatch_id 0
		.amdhsa_user_sgpr_kernarg_preload_length 0
		.amdhsa_user_sgpr_kernarg_preload_offset 0
		.amdhsa_user_sgpr_private_segment_size 0
		.amdhsa_wavefront_size32 1
		.amdhsa_uses_dynamic_stack 0
		.amdhsa_enable_private_segment 1
		.amdhsa_system_sgpr_workgroup_id_x 1
		.amdhsa_system_sgpr_workgroup_id_y 0
		.amdhsa_system_sgpr_workgroup_id_z 0
		.amdhsa_system_sgpr_workgroup_info 0
		.amdhsa_system_vgpr_workitem_id 0
		.amdhsa_next_free_vgpr 142
		.amdhsa_next_free_sgpr 19
		.amdhsa_named_barrier_count 0
		.amdhsa_reserve_vcc 1
		.amdhsa_float_round_mode_32 0
		.amdhsa_float_round_mode_16_64 0
		.amdhsa_float_denorm_mode_32 3
		.amdhsa_float_denorm_mode_16_64 3
		.amdhsa_fp16_overflow 0
		.amdhsa_memory_ordered 1
		.amdhsa_forward_progress 1
		.amdhsa_inst_pref_size 255
		.amdhsa_round_robin_scheduling 0
		.amdhsa_exception_fp_ieee_invalid_op 0
		.amdhsa_exception_fp_denorm_src 0
		.amdhsa_exception_fp_ieee_div_zero 0
		.amdhsa_exception_fp_ieee_overflow 0
		.amdhsa_exception_fp_ieee_underflow 0
		.amdhsa_exception_fp_ieee_inexact 0
		.amdhsa_exception_int_div_zero 0
	.end_amdhsa_kernel
	.section	.text._ZN9rocsolver6v33100L18getri_kernel_smallILi47EdPKPdEEvT1_iilPiilS6_bb,"axG",@progbits,_ZN9rocsolver6v33100L18getri_kernel_smallILi47EdPKPdEEvT1_iilPiilS6_bb,comdat
.Lfunc_end110:
	.size	_ZN9rocsolver6v33100L18getri_kernel_smallILi47EdPKPdEEvT1_iilPiilS6_bb, .Lfunc_end110-_ZN9rocsolver6v33100L18getri_kernel_smallILi47EdPKPdEEvT1_iilPiilS6_bb
                                        ; -- End function
	.set _ZN9rocsolver6v33100L18getri_kernel_smallILi47EdPKPdEEvT1_iilPiilS6_bb.num_vgpr, 142
	.set _ZN9rocsolver6v33100L18getri_kernel_smallILi47EdPKPdEEvT1_iilPiilS6_bb.num_agpr, 0
	.set _ZN9rocsolver6v33100L18getri_kernel_smallILi47EdPKPdEEvT1_iilPiilS6_bb.numbered_sgpr, 19
	.set _ZN9rocsolver6v33100L18getri_kernel_smallILi47EdPKPdEEvT1_iilPiilS6_bb.num_named_barrier, 0
	.set _ZN9rocsolver6v33100L18getri_kernel_smallILi47EdPKPdEEvT1_iilPiilS6_bb.private_seg_size, 384
	.set _ZN9rocsolver6v33100L18getri_kernel_smallILi47EdPKPdEEvT1_iilPiilS6_bb.uses_vcc, 1
	.set _ZN9rocsolver6v33100L18getri_kernel_smallILi47EdPKPdEEvT1_iilPiilS6_bb.uses_flat_scratch, 1
	.set _ZN9rocsolver6v33100L18getri_kernel_smallILi47EdPKPdEEvT1_iilPiilS6_bb.has_dyn_sized_stack, 0
	.set _ZN9rocsolver6v33100L18getri_kernel_smallILi47EdPKPdEEvT1_iilPiilS6_bb.has_recursion, 0
	.set _ZN9rocsolver6v33100L18getri_kernel_smallILi47EdPKPdEEvT1_iilPiilS6_bb.has_indirect_call, 0
	.section	.AMDGPU.csdata,"",@progbits
; Kernel info:
; codeLenInByte = 44096
; TotalNumSgprs: 21
; NumVgprs: 142
; ScratchSize: 384
; MemoryBound: 0
; FloatMode: 240
; IeeeMode: 1
; LDSByteSize: 760 bytes/workgroup (compile time only)
; SGPRBlocks: 0
; VGPRBlocks: 8
; NumSGPRsForWavesPerEU: 21
; NumVGPRsForWavesPerEU: 142
; NamedBarCnt: 0
; Occupancy: 7
; WaveLimiterHint : 1
; COMPUTE_PGM_RSRC2:SCRATCH_EN: 1
; COMPUTE_PGM_RSRC2:USER_SGPR: 2
; COMPUTE_PGM_RSRC2:TRAP_HANDLER: 0
; COMPUTE_PGM_RSRC2:TGID_X_EN: 1
; COMPUTE_PGM_RSRC2:TGID_Y_EN: 0
; COMPUTE_PGM_RSRC2:TGID_Z_EN: 0
; COMPUTE_PGM_RSRC2:TIDIG_COMP_CNT: 0
	.section	.text._ZN9rocsolver6v33100L18getri_kernel_smallILi48EdPKPdEEvT1_iilPiilS6_bb,"axG",@progbits,_ZN9rocsolver6v33100L18getri_kernel_smallILi48EdPKPdEEvT1_iilPiilS6_bb,comdat
	.globl	_ZN9rocsolver6v33100L18getri_kernel_smallILi48EdPKPdEEvT1_iilPiilS6_bb ; -- Begin function _ZN9rocsolver6v33100L18getri_kernel_smallILi48EdPKPdEEvT1_iilPiilS6_bb
	.p2align	8
	.type	_ZN9rocsolver6v33100L18getri_kernel_smallILi48EdPKPdEEvT1_iilPiilS6_bb,@function
_ZN9rocsolver6v33100L18getri_kernel_smallILi48EdPKPdEEvT1_iilPiilS6_bb: ; @_ZN9rocsolver6v33100L18getri_kernel_smallILi48EdPKPdEEvT1_iilPiilS6_bb
; %bb.0:
	s_mov_b32 s2, exec_lo
	v_cmpx_gt_u32_e32 48, v0
	s_cbranch_execz .LBB111_202
; %bb.1:
	s_clause 0x1
	s_load_b32 s13, s[0:1], 0x38
	s_load_b64 s[2:3], s[0:1], 0x0
	s_getreg_b32 s6, hwreg(HW_REG_IB_STS2, 6, 4)
	s_wait_kmcnt 0x0
	s_bitcmp1_b32 s13, 8
	s_cselect_b32 s12, -1, 0
	s_bfe_u32 s4, ttmp6, 0x4000c
	s_and_b32 s5, ttmp6, 15
	s_add_co_i32 s4, s4, 1
	s_delay_alu instid0(SALU_CYCLE_1) | instskip(NEXT) | instid1(SALU_CYCLE_1)
	s_mul_i32 s4, ttmp9, s4
	s_add_co_i32 s5, s5, s4
	s_cmp_eq_u32 s6, 0
	s_cselect_b32 s10, ttmp9, s5
	s_load_b128 s[4:7], s[0:1], 0x28
	s_ashr_i32 s11, s10, 31
	s_delay_alu instid0(SALU_CYCLE_1) | instskip(NEXT) | instid1(SALU_CYCLE_1)
	s_lshl_b64 s[8:9], s[10:11], 3
	s_add_nc_u64 s[2:3], s[2:3], s[8:9]
	s_bfe_u32 s8, s13, 0x10008
	s_load_b64 s[2:3], s[2:3], 0x0
	s_cmp_eq_u32 s8, 0
                                        ; implicit-def: $sgpr8_sgpr9
	s_cbranch_scc1 .LBB111_3
; %bb.2:
	s_load_b96 s[16:18], s[0:1], 0x18
	s_wait_kmcnt 0x0
	s_mul_u64 s[4:5], s[4:5], s[10:11]
	s_delay_alu instid0(SALU_CYCLE_1) | instskip(SKIP_4) | instid1(SALU_CYCLE_1)
	s_lshl_b64 s[4:5], s[4:5], 2
	s_ashr_i32 s9, s18, 31
	s_mov_b32 s8, s18
	s_add_nc_u64 s[4:5], s[16:17], s[4:5]
	s_lshl_b64 s[8:9], s[8:9], 2
	s_add_nc_u64 s[8:9], s[4:5], s[8:9]
.LBB111_3:
	s_wait_kmcnt 0x0
	s_clause 0x1
	s_load_b64 s[4:5], s[0:1], 0x8
	s_load_b32 s13, s[0:1], 0x38
	v_dual_mov_b32 v3, 0 :: v_dual_lshlrev_b32 v2, 3, v0
	s_wait_kmcnt 0x0
	s_ashr_i32 s1, s4, 31
	s_mov_b32 s0, s4
	s_delay_alu instid0(SALU_CYCLE_1) | instskip(NEXT) | instid1(SALU_CYCLE_1)
	s_lshl_b64 s[0:1], s[0:1], 3
	s_add_nc_u64 s[2:3], s[2:3], s[0:1]
	s_ashr_i32 s1, s5, 31
	flat_load_b64 v[8:9], v0, s[2:3] scale_offset
	v_add_nc_u64_e32 v[4:5], s[2:3], v[2:3]
	s_mov_b32 s0, s5
	s_bitcmp0_b32 s13, 0
	s_delay_alu instid0(VALU_DEP_1)
	v_lshl_add_u64 v[6:7], s[0:1], 3, v[4:5]
	s_mov_b32 s1, -1
	s_wait_loadcnt_dscnt 0x0
	scratch_store_b64 off, v[8:9], off
	flat_load_b64 v[10:11], v[6:7]
	s_wait_xcnt 0x1
	v_add3_u32 v8, s5, s5, v0
	s_wait_loadcnt_dscnt 0x0
	scratch_store_b64 off, v[10:11], off offset:8
	flat_load_b64 v[12:13], v8, s[2:3] scale_offset
	s_wait_xcnt 0x1
	v_add_nc_u32_e32 v10, s5, v8
	s_wait_loadcnt_dscnt 0x0
	scratch_store_b64 off, v[12:13], off offset:16
	flat_load_b64 v[14:15], v10, s[2:3] scale_offset
	s_wait_xcnt 0x1
	v_add_nc_u32_e32 v12, s5, v10
	;; [unrolled: 5-line block ×45, first 2 shown]
	s_wait_loadcnt_dscnt 0x0
	scratch_store_b64 off, v[100:101], off offset:368
	flat_load_b64 v[100:101], v98, s[2:3] scale_offset
	s_wait_loadcnt_dscnt 0x0
	scratch_store_b64 off, v[100:101], off offset:376
	s_cbranch_scc1 .LBB111_200
; %bb.4:
	v_cmp_eq_u32_e64 s0, 0, v0
	s_wait_xcnt 0x0
	s_and_saveexec_b32 s1, s0
; %bb.5:
	v_mov_b32_e32 v1, 0
	ds_store_b32 v1, v1 offset:768
; %bb.6:
	s_or_b32 exec_lo, exec_lo, s1
	s_wait_storecnt_dscnt 0x0
	s_barrier_signal -1
	s_barrier_wait -1
	scratch_load_b64 v[100:101], v0, off scale_offset
	s_mov_b32 s4, exec_lo
	s_wait_loadcnt 0x0
	v_cmpx_eq_f64_e32 0, v[100:101]
	s_cbranch_execz .LBB111_10
; %bb.7:
	v_mov_b32_e32 v1, 0
	s_mov_b32 s5, 0
	ds_load_b32 v3, v1 offset:768
	s_wait_dscnt 0x0
	v_readfirstlane_b32 s1, v3
	v_add_nc_u32_e32 v3, 1, v0
	s_cmp_eq_u32 s1, 0
	s_delay_alu instid0(VALU_DEP_1) | instskip(SKIP_1) | instid1(SALU_CYCLE_1)
	v_cmp_gt_i32_e32 vcc_lo, s1, v3
	s_cselect_b32 s13, -1, 0
	s_or_b32 s13, s13, vcc_lo
	s_delay_alu instid0(SALU_CYCLE_1)
	s_and_b32 exec_lo, exec_lo, s13
	s_cbranch_execz .LBB111_10
; %bb.8:
	v_mov_b32_e32 v9, s1
.LBB111_9:                              ; =>This Inner Loop Header: Depth=1
	ds_cmpstore_rtn_b32 v9, v1, v3, v9 offset:768
	s_wait_dscnt 0x0
	v_cmp_ne_u32_e32 vcc_lo, 0, v9
	v_cmp_le_i32_e64 s1, v9, v3
	s_and_b32 s1, vcc_lo, s1
	s_delay_alu instid0(SALU_CYCLE_1) | instskip(NEXT) | instid1(SALU_CYCLE_1)
	s_and_b32 s1, exec_lo, s1
	s_or_b32 s5, s1, s5
	s_delay_alu instid0(SALU_CYCLE_1)
	s_and_not1_b32 exec_lo, exec_lo, s5
	s_cbranch_execnz .LBB111_9
.LBB111_10:
	s_or_b32 exec_lo, exec_lo, s4
	v_mov_b32_e32 v1, 0
	s_barrier_signal -1
	s_barrier_wait -1
	ds_load_b32 v3, v1 offset:768
	s_and_saveexec_b32 s1, s0
	s_cbranch_execz .LBB111_12
; %bb.11:
	s_lshl_b64 s[4:5], s[10:11], 2
	s_delay_alu instid0(SALU_CYCLE_1)
	s_add_nc_u64 s[4:5], s[6:7], s[4:5]
	s_wait_dscnt 0x0
	global_store_b32 v1, v3, s[4:5]
.LBB111_12:
	s_wait_xcnt 0x0
	s_or_b32 exec_lo, exec_lo, s1
	s_wait_dscnt 0x0
	v_cmp_ne_u32_e32 vcc_lo, 0, v3
	s_mov_b32 s1, 0
	s_cbranch_vccnz .LBB111_200
; %bb.13:
	v_lshl_add_u32 v3, v0, 3, 0
	v_add_nc_u32_e32 v1, 0x180, v2
	scratch_load_b64 v[100:101], v3, off
	s_wait_loadcnt 0x0
	v_div_scale_f64 v[102:103], null, v[100:101], v[100:101], 1.0
	v_div_scale_f64 v[108:109], vcc_lo, 1.0, v[100:101], 1.0
	s_delay_alu instid0(VALU_DEP_2) | instskip(SKIP_1) | instid1(TRANS32_DEP_1)
	v_rcp_f64_e32 v[104:105], v[102:103]
	v_nop
	v_fma_f64 v[106:107], -v[102:103], v[104:105], 1.0
	s_delay_alu instid0(VALU_DEP_1) | instskip(NEXT) | instid1(VALU_DEP_1)
	v_fmac_f64_e32 v[104:105], v[104:105], v[106:107]
	v_fma_f64 v[106:107], -v[102:103], v[104:105], 1.0
	s_delay_alu instid0(VALU_DEP_1) | instskip(NEXT) | instid1(VALU_DEP_1)
	v_fmac_f64_e32 v[104:105], v[104:105], v[106:107]
	v_mul_f64_e32 v[106:107], v[108:109], v[104:105]
	s_delay_alu instid0(VALU_DEP_1) | instskip(NEXT) | instid1(VALU_DEP_1)
	v_fma_f64 v[102:103], -v[102:103], v[106:107], v[108:109]
	v_div_fmas_f64 v[102:103], v[102:103], v[104:105], v[106:107]
	s_delay_alu instid0(VALU_DEP_1)
	v_div_fixup_f64 v[100:101], v[102:103], v[100:101], 1.0
	scratch_store_b64 v3, v[100:101], off
	scratch_load_b64 v[102:103], off, off offset:8
	s_wait_xcnt 0x1
	v_xor_b32_e32 v101, 0x80000000, v101
	s_wait_loadcnt 0x0
	ds_store_2addr_b64 v2, v[100:101], v[102:103] offset1:48
	s_wait_storecnt_dscnt 0x0
	s_barrier_signal -1
	s_barrier_wait -1
	s_wait_xcnt 0x0
	s_and_saveexec_b32 s1, s0
	s_cbranch_execz .LBB111_15
; %bb.14:
	scratch_load_b64 v[100:101], v3, off
	ds_load_b64 v[102:103], v1
	s_wait_loadcnt_dscnt 0x0
	v_fma_f64 v[100:101], v[100:101], v[102:103], 0
	v_mov_b32_e32 v9, 0
	ds_load_b64 v[104:105], v9 offset:8
	s_wait_dscnt 0x0
	v_mul_f64_e32 v[100:101], v[100:101], v[104:105]
	scratch_store_b64 off, v[100:101], off offset:8
.LBB111_15:
	s_wait_xcnt 0x0
	s_or_b32 exec_lo, exec_lo, s1
	s_wait_storecnt 0x0
	s_barrier_signal -1
	s_barrier_wait -1
	scratch_load_b64 v[100:101], off, off offset:16
	s_mov_b32 s1, exec_lo
	s_wait_loadcnt 0x0
	ds_store_b64 v1, v[100:101]
	s_wait_dscnt 0x0
	s_barrier_signal -1
	s_barrier_wait -1
	v_cmpx_gt_u32_e32 2, v0
	s_cbranch_execz .LBB111_19
; %bb.16:
	scratch_load_b64 v[100:101], v3, off
	ds_load_b64 v[102:103], v1
	s_wait_loadcnt_dscnt 0x0
	v_fma_f64 v[100:101], v[100:101], v[102:103], 0
	s_and_saveexec_b32 s4, s0
	s_cbranch_execz .LBB111_18
; %bb.17:
	scratch_load_b64 v[102:103], off, off offset:8
	v_mov_b32_e32 v3, 0
	ds_load_b64 v[104:105], v3 offset:392
	s_wait_loadcnt_dscnt 0x0
	v_fmac_f64_e32 v[100:101], v[102:103], v[104:105]
.LBB111_18:
	s_or_b32 exec_lo, exec_lo, s4
	v_mov_b32_e32 v3, 0
	ds_load_b64 v[102:103], v3 offset:16
	s_wait_dscnt 0x0
	v_mul_f64_e32 v[100:101], v[100:101], v[102:103]
	scratch_store_b64 off, v[100:101], off offset:16
.LBB111_19:
	s_wait_xcnt 0x0
	s_or_b32 exec_lo, exec_lo, s1
	s_wait_storecnt 0x0
	s_barrier_signal -1
	s_barrier_wait -1
	scratch_load_b64 v[100:101], off, off offset:24
	v_add_nc_u32_e32 v3, -1, v0
	s_mov_b32 s0, exec_lo
	s_wait_loadcnt 0x0
	ds_store_b64 v1, v[100:101]
	s_wait_dscnt 0x0
	s_barrier_signal -1
	s_barrier_wait -1
	v_cmpx_gt_u32_e32 3, v0
	s_cbranch_execz .LBB111_23
; %bb.20:
	v_mov_b64_e32 v[100:101], 0
	v_dual_add_nc_u32 v9, -1, v0 :: v_dual_mov_b32 v13, v2
	v_add_nc_u32_e32 v11, 0x180, v2
	s_mov_b32 s1, 0
.LBB111_21:                             ; =>This Inner Loop Header: Depth=1
	scratch_load_b64 v[102:103], v13, off
	ds_load_b64 v[104:105], v11
	v_dual_add_nc_u32 v9, 1, v9 :: v_dual_add_nc_u32 v11, 8, v11
	s_wait_xcnt 0x0
	v_add_nc_u32_e32 v13, 8, v13
	s_delay_alu instid0(VALU_DEP_2)
	v_cmp_lt_u32_e32 vcc_lo, 1, v9
	s_or_b32 s1, vcc_lo, s1
	s_wait_loadcnt_dscnt 0x0
	v_fmac_f64_e32 v[100:101], v[102:103], v[104:105]
	s_and_not1_b32 exec_lo, exec_lo, s1
	s_cbranch_execnz .LBB111_21
; %bb.22:
	s_or_b32 exec_lo, exec_lo, s1
	v_mov_b32_e32 v9, 0
	ds_load_b64 v[102:103], v9 offset:24
	s_wait_dscnt 0x0
	v_mul_f64_e32 v[100:101], v[100:101], v[102:103]
	scratch_store_b64 off, v[100:101], off offset:24
.LBB111_23:
	s_wait_xcnt 0x0
	s_or_b32 exec_lo, exec_lo, s0
	s_wait_storecnt 0x0
	s_barrier_signal -1
	s_barrier_wait -1
	scratch_load_b64 v[100:101], off, off offset:32
	s_mov_b32 s0, exec_lo
	s_wait_loadcnt 0x0
	ds_store_b64 v1, v[100:101]
	s_wait_dscnt 0x0
	s_barrier_signal -1
	s_barrier_wait -1
	v_cmpx_gt_u32_e32 4, v0
	s_cbranch_execz .LBB111_27
; %bb.24:
	v_mov_b64_e32 v[100:101], 0
	v_dual_add_nc_u32 v9, -1, v0 :: v_dual_mov_b32 v13, v2
	v_add_nc_u32_e32 v11, 0x180, v2
	s_mov_b32 s1, 0
.LBB111_25:                             ; =>This Inner Loop Header: Depth=1
	scratch_load_b64 v[102:103], v13, off
	ds_load_b64 v[104:105], v11
	v_dual_add_nc_u32 v9, 1, v9 :: v_dual_add_nc_u32 v11, 8, v11
	s_wait_xcnt 0x0
	v_add_nc_u32_e32 v13, 8, v13
	s_delay_alu instid0(VALU_DEP_2)
	v_cmp_lt_u32_e32 vcc_lo, 2, v9
	s_or_b32 s1, vcc_lo, s1
	s_wait_loadcnt_dscnt 0x0
	v_fmac_f64_e32 v[100:101], v[102:103], v[104:105]
	s_and_not1_b32 exec_lo, exec_lo, s1
	s_cbranch_execnz .LBB111_25
; %bb.26:
	s_or_b32 exec_lo, exec_lo, s1
	v_mov_b32_e32 v9, 0
	ds_load_b64 v[102:103], v9 offset:32
	s_wait_dscnt 0x0
	v_mul_f64_e32 v[100:101], v[100:101], v[102:103]
	scratch_store_b64 off, v[100:101], off offset:32
.LBB111_27:
	s_wait_xcnt 0x0
	s_or_b32 exec_lo, exec_lo, s0
	s_wait_storecnt 0x0
	s_barrier_signal -1
	s_barrier_wait -1
	scratch_load_b64 v[100:101], off, off offset:40
	;; [unrolled: 40-line block ×20, first 2 shown]
	s_mov_b32 s0, exec_lo
	s_wait_loadcnt 0x0
	ds_store_b64 v1, v[100:101]
	s_wait_dscnt 0x0
	s_barrier_signal -1
	s_barrier_wait -1
	v_cmpx_gt_u32_e32 23, v0
	s_cbranch_execz .LBB111_103
; %bb.100:
	v_mov_b64_e32 v[100:101], 0
	v_dual_add_nc_u32 v9, -1, v0 :: v_dual_mov_b32 v13, v2
	v_add_nc_u32_e32 v11, 0x180, v2
	s_mov_b32 s1, 0
.LBB111_101:                            ; =>This Inner Loop Header: Depth=1
	scratch_load_b64 v[102:103], v13, off
	ds_load_b64 v[104:105], v11
	v_dual_add_nc_u32 v9, 1, v9 :: v_dual_add_nc_u32 v11, 8, v11
	s_wait_xcnt 0x0
	v_add_nc_u32_e32 v13, 8, v13
	s_delay_alu instid0(VALU_DEP_2)
	v_cmp_lt_u32_e32 vcc_lo, 21, v9
	s_or_b32 s1, vcc_lo, s1
	s_wait_loadcnt_dscnt 0x0
	v_fmac_f64_e32 v[100:101], v[102:103], v[104:105]
	s_and_not1_b32 exec_lo, exec_lo, s1
	s_cbranch_execnz .LBB111_101
; %bb.102:
	s_or_b32 exec_lo, exec_lo, s1
	v_mov_b32_e32 v9, 0
	ds_load_b64 v[102:103], v9 offset:184
	s_wait_dscnt 0x0
	v_mul_f64_e32 v[100:101], v[100:101], v[102:103]
	scratch_store_b64 off, v[100:101], off offset:184
.LBB111_103:
	s_wait_xcnt 0x0
	s_or_b32 exec_lo, exec_lo, s0
	s_wait_storecnt 0x0
	s_barrier_signal -1
	s_barrier_wait -1
	scratch_load_b64 v[100:101], off, off offset:192
	s_mov_b32 s0, exec_lo
	s_wait_loadcnt 0x0
	ds_store_b64 v1, v[100:101]
	s_wait_dscnt 0x0
	s_barrier_signal -1
	s_barrier_wait -1
	v_cmpx_gt_u32_e32 24, v0
	s_cbranch_execz .LBB111_107
; %bb.104:
	v_mov_b64_e32 v[100:101], 0
	v_dual_add_nc_u32 v9, -1, v0 :: v_dual_mov_b32 v13, v2
	v_add_nc_u32_e32 v11, 0x180, v2
	s_mov_b32 s1, 0
.LBB111_105:                            ; =>This Inner Loop Header: Depth=1
	scratch_load_b64 v[102:103], v13, off
	ds_load_b64 v[104:105], v11
	v_dual_add_nc_u32 v9, 1, v9 :: v_dual_add_nc_u32 v11, 8, v11
	s_wait_xcnt 0x0
	v_add_nc_u32_e32 v13, 8, v13
	s_delay_alu instid0(VALU_DEP_2)
	v_cmp_lt_u32_e32 vcc_lo, 22, v9
	s_or_b32 s1, vcc_lo, s1
	s_wait_loadcnt_dscnt 0x0
	v_fmac_f64_e32 v[100:101], v[102:103], v[104:105]
	s_and_not1_b32 exec_lo, exec_lo, s1
	s_cbranch_execnz .LBB111_105
; %bb.106:
	s_or_b32 exec_lo, exec_lo, s1
	v_mov_b32_e32 v9, 0
	ds_load_b64 v[102:103], v9 offset:192
	s_wait_dscnt 0x0
	v_mul_f64_e32 v[100:101], v[100:101], v[102:103]
	scratch_store_b64 off, v[100:101], off offset:192
.LBB111_107:
	s_wait_xcnt 0x0
	s_or_b32 exec_lo, exec_lo, s0
	s_wait_storecnt 0x0
	s_barrier_signal -1
	s_barrier_wait -1
	scratch_load_b64 v[100:101], off, off offset:200
	;; [unrolled: 40-line block ×24, first 2 shown]
	s_mov_b32 s0, exec_lo
	s_wait_loadcnt 0x0
	ds_store_b64 v1, v[100:101]
	s_wait_dscnt 0x0
	s_barrier_signal -1
	s_barrier_wait -1
	v_cmpx_ne_u32_e32 47, v0
	s_cbranch_execz .LBB111_199
; %bb.196:
	v_mov_b64_e32 v[100:101], 0
	s_mov_b32 s1, 0
.LBB111_197:                            ; =>This Inner Loop Header: Depth=1
	scratch_load_b64 v[102:103], v2, off
	ds_load_b64 v[104:105], v1
	v_dual_add_nc_u32 v3, 1, v3 :: v_dual_add_nc_u32 v1, 8, v1
	s_wait_xcnt 0x0
	v_add_nc_u32_e32 v2, 8, v2
	s_delay_alu instid0(VALU_DEP_2)
	v_cmp_lt_u32_e32 vcc_lo, 45, v3
	s_or_b32 s1, vcc_lo, s1
	s_wait_loadcnt_dscnt 0x0
	v_fmac_f64_e32 v[100:101], v[102:103], v[104:105]
	s_and_not1_b32 exec_lo, exec_lo, s1
	s_cbranch_execnz .LBB111_197
; %bb.198:
	s_or_b32 exec_lo, exec_lo, s1
	v_mov_b32_e32 v1, 0
	ds_load_b64 v[2:3], v1 offset:376
	s_wait_dscnt 0x0
	v_mul_f64_e32 v[2:3], v[100:101], v[2:3]
	scratch_store_b64 off, v[2:3], off offset:376
.LBB111_199:
	s_wait_xcnt 0x0
	s_or_b32 exec_lo, exec_lo, s0
	s_mov_b32 s1, -1
	s_wait_storecnt 0x0
	s_barrier_signal -1
	s_barrier_wait -1
.LBB111_200:
	s_and_b32 vcc_lo, exec_lo, s1
	s_cbranch_vccz .LBB111_202
; %bb.201:
	v_mov_b32_e32 v1, 0
	s_lshl_b64 s[0:1], s[10:11], 2
	s_delay_alu instid0(SALU_CYCLE_1)
	s_add_nc_u64 s[0:1], s[6:7], s[0:1]
	global_load_b32 v1, v1, s[0:1]
	s_wait_loadcnt 0x0
	v_cmp_ne_u32_e32 vcc_lo, 0, v1
	s_cbranch_vccz .LBB111_203
.LBB111_202:
	s_sendmsg sendmsg(MSG_DEALLOC_VGPRS)
	s_endpgm
.LBB111_203:
	s_wait_xcnt 0x0
	v_lshl_add_u32 v1, v0, 3, 0x180
	s_mov_b32 s0, exec_lo
	v_cmpx_eq_u32_e32 47, v0
	s_cbranch_execz .LBB111_205
; %bb.204:
	scratch_load_b64 v[2:3], off, off offset:368
	v_mov_b64_e32 v[100:101], 0
	scratch_store_b64 off, v[100:101], off offset:368
	s_wait_loadcnt 0x0
	ds_store_b64 v1, v[2:3]
.LBB111_205:
	s_wait_xcnt 0x0
	s_or_b32 exec_lo, exec_lo, s0
	s_wait_storecnt_dscnt 0x0
	s_barrier_signal -1
	s_barrier_wait -1
	scratch_load_b128 v[100:103], off, off offset:368
	v_mov_b32_e32 v2, 0
	s_mov_b32 s0, exec_lo
	ds_load_b64 v[104:105], v2 offset:760
	s_wait_loadcnt_dscnt 0x0
	v_fma_f64 v[102:103], v[102:103], v[104:105], 0
	s_delay_alu instid0(VALU_DEP_1)
	v_add_f64_e64 v[100:101], v[100:101], -v[102:103]
	scratch_store_b64 off, v[100:101], off offset:368
	s_wait_xcnt 0x0
	v_cmpx_lt_u32_e32 45, v0
	s_cbranch_execz .LBB111_207
; %bb.206:
	scratch_load_b64 v[100:101], off, off offset:360
	v_mov_b64_e32 v[102:103], 0
	scratch_store_b64 off, v[102:103], off offset:360
	s_wait_loadcnt 0x0
	ds_store_b64 v1, v[100:101]
.LBB111_207:
	s_wait_xcnt 0x0
	s_or_b32 exec_lo, exec_lo, s0
	s_wait_storecnt_dscnt 0x0
	s_barrier_signal -1
	s_barrier_wait -1
	s_clause 0x1
	scratch_load_b128 v[100:103], off, off offset:360
	scratch_load_b64 v[108:109], off, off offset:376
	ds_load_b128 v[104:107], v2 offset:752
	s_mov_b32 s0, exec_lo
	s_wait_loadcnt_dscnt 0x100
	v_fma_f64 v[2:3], v[102:103], v[104:105], 0
	s_wait_loadcnt 0x0
	s_delay_alu instid0(VALU_DEP_1) | instskip(NEXT) | instid1(VALU_DEP_1)
	v_fmac_f64_e32 v[2:3], v[108:109], v[106:107]
	v_add_f64_e64 v[2:3], v[100:101], -v[2:3]
	scratch_store_b64 off, v[2:3], off offset:360
	s_wait_xcnt 0x0
	v_cmpx_lt_u32_e32 44, v0
	s_cbranch_execz .LBB111_209
; %bb.208:
	scratch_load_b64 v[2:3], off, off offset:352
	v_mov_b64_e32 v[100:101], 0
	scratch_store_b64 off, v[100:101], off offset:352
	s_wait_loadcnt 0x0
	ds_store_b64 v1, v[2:3]
.LBB111_209:
	s_wait_xcnt 0x0
	s_or_b32 exec_lo, exec_lo, s0
	s_wait_storecnt_dscnt 0x0
	s_barrier_signal -1
	s_barrier_wait -1
	s_clause 0x1
	scratch_load_b128 v[100:103], off, off offset:352
	scratch_load_b128 v[104:107], off, off offset:368
	v_mov_b32_e32 v2, 0
	ds_load_2addr_b64 v[108:111], v2 offset0:93 offset1:94
	ds_load_b64 v[112:113], v2 offset:760
	s_mov_b32 s0, exec_lo
	s_wait_loadcnt_dscnt 0x101
	v_fma_f64 v[102:103], v[102:103], v[108:109], 0
	s_wait_loadcnt 0x0
	s_delay_alu instid0(VALU_DEP_1) | instskip(SKIP_1) | instid1(VALU_DEP_1)
	v_fmac_f64_e32 v[102:103], v[104:105], v[110:111]
	s_wait_dscnt 0x0
	v_fmac_f64_e32 v[102:103], v[106:107], v[112:113]
	s_delay_alu instid0(VALU_DEP_1)
	v_add_f64_e64 v[100:101], v[100:101], -v[102:103]
	scratch_store_b64 off, v[100:101], off offset:352
	s_wait_xcnt 0x0
	v_cmpx_lt_u32_e32 43, v0
	s_cbranch_execz .LBB111_211
; %bb.210:
	scratch_load_b64 v[100:101], off, off offset:344
	v_mov_b64_e32 v[102:103], 0
	scratch_store_b64 off, v[102:103], off offset:344
	s_wait_loadcnt 0x0
	ds_store_b64 v1, v[100:101]
.LBB111_211:
	s_wait_xcnt 0x0
	s_or_b32 exec_lo, exec_lo, s0
	s_wait_storecnt_dscnt 0x0
	s_barrier_signal -1
	s_barrier_wait -1
	s_clause 0x2
	scratch_load_b128 v[100:103], off, off offset:344
	scratch_load_b128 v[104:107], off, off offset:360
	scratch_load_b64 v[116:117], off, off offset:376
	ds_load_b128 v[108:111], v2 offset:736
	ds_load_b128 v[112:115], v2 offset:752
	s_mov_b32 s0, exec_lo
	s_wait_loadcnt_dscnt 0x201
	v_fma_f64 v[2:3], v[102:103], v[108:109], 0
	s_wait_loadcnt 0x1
	s_delay_alu instid0(VALU_DEP_1) | instskip(SKIP_1) | instid1(VALU_DEP_1)
	v_fmac_f64_e32 v[2:3], v[104:105], v[110:111]
	s_wait_dscnt 0x0
	v_fmac_f64_e32 v[2:3], v[106:107], v[112:113]
	s_wait_loadcnt 0x0
	s_delay_alu instid0(VALU_DEP_1) | instskip(NEXT) | instid1(VALU_DEP_1)
	v_fmac_f64_e32 v[2:3], v[116:117], v[114:115]
	v_add_f64_e64 v[2:3], v[100:101], -v[2:3]
	scratch_store_b64 off, v[2:3], off offset:344
	s_wait_xcnt 0x0
	v_cmpx_lt_u32_e32 42, v0
	s_cbranch_execz .LBB111_213
; %bb.212:
	scratch_load_b64 v[2:3], off, off offset:336
	v_mov_b64_e32 v[100:101], 0
	scratch_store_b64 off, v[100:101], off offset:336
	s_wait_loadcnt 0x0
	ds_store_b64 v1, v[2:3]
.LBB111_213:
	s_wait_xcnt 0x0
	s_or_b32 exec_lo, exec_lo, s0
	s_wait_storecnt_dscnt 0x0
	s_barrier_signal -1
	s_barrier_wait -1
	s_clause 0x2
	scratch_load_b128 v[100:103], off, off offset:336
	scratch_load_b128 v[104:107], off, off offset:352
	;; [unrolled: 1-line block ×3, first 2 shown]
	v_mov_b32_e32 v2, 0
	ds_load_2addr_b64 v[112:115], v2 offset0:91 offset1:92
	ds_load_2addr_b64 v[116:119], v2 offset0:93 offset1:94
	s_mov_b32 s0, exec_lo
	s_wait_loadcnt_dscnt 0x201
	v_fma_f64 v[102:103], v[102:103], v[112:113], 0
	s_wait_loadcnt 0x1
	s_delay_alu instid0(VALU_DEP_1) | instskip(SKIP_4) | instid1(VALU_DEP_1)
	v_fmac_f64_e32 v[102:103], v[104:105], v[114:115]
	ds_load_b64 v[104:105], v2 offset:760
	s_wait_dscnt 0x1
	v_fmac_f64_e32 v[102:103], v[106:107], v[116:117]
	s_wait_loadcnt 0x0
	v_fmac_f64_e32 v[102:103], v[108:109], v[118:119]
	s_wait_dscnt 0x0
	s_delay_alu instid0(VALU_DEP_1) | instskip(NEXT) | instid1(VALU_DEP_1)
	v_fmac_f64_e32 v[102:103], v[110:111], v[104:105]
	v_add_f64_e64 v[100:101], v[100:101], -v[102:103]
	scratch_store_b64 off, v[100:101], off offset:336
	s_wait_xcnt 0x0
	v_cmpx_lt_u32_e32 41, v0
	s_cbranch_execz .LBB111_215
; %bb.214:
	scratch_load_b64 v[100:101], off, off offset:328
	v_mov_b64_e32 v[102:103], 0
	scratch_store_b64 off, v[102:103], off offset:328
	s_wait_loadcnt 0x0
	ds_store_b64 v1, v[100:101]
.LBB111_215:
	s_wait_xcnt 0x0
	s_or_b32 exec_lo, exec_lo, s0
	s_wait_storecnt_dscnt 0x0
	s_barrier_signal -1
	s_barrier_wait -1
	s_clause 0x3
	scratch_load_b128 v[100:103], off, off offset:328
	scratch_load_b128 v[104:107], off, off offset:344
	;; [unrolled: 1-line block ×3, first 2 shown]
	scratch_load_b64 v[120:121], off, off offset:376
	ds_load_b128 v[112:115], v2 offset:720
	ds_load_b128 v[116:119], v2 offset:736
	s_mov_b32 s0, exec_lo
	s_wait_loadcnt_dscnt 0x301
	v_fma_f64 v[112:113], v[102:103], v[112:113], 0
	s_wait_loadcnt 0x2
	s_delay_alu instid0(VALU_DEP_1) | instskip(SKIP_4) | instid1(VALU_DEP_1)
	v_fmac_f64_e32 v[112:113], v[104:105], v[114:115]
	ds_load_b128 v[102:105], v2 offset:752
	s_wait_dscnt 0x1
	v_fmac_f64_e32 v[112:113], v[106:107], v[116:117]
	s_wait_loadcnt 0x1
	v_fmac_f64_e32 v[112:113], v[108:109], v[118:119]
	s_wait_dscnt 0x0
	s_delay_alu instid0(VALU_DEP_1) | instskip(SKIP_1) | instid1(VALU_DEP_1)
	v_fmac_f64_e32 v[112:113], v[110:111], v[102:103]
	s_wait_loadcnt 0x0
	v_fmac_f64_e32 v[112:113], v[120:121], v[104:105]
	s_delay_alu instid0(VALU_DEP_1)
	v_add_f64_e64 v[2:3], v[100:101], -v[112:113]
	scratch_store_b64 off, v[2:3], off offset:328
	s_wait_xcnt 0x0
	v_cmpx_lt_u32_e32 40, v0
	s_cbranch_execz .LBB111_217
; %bb.216:
	scratch_load_b64 v[2:3], off, off offset:320
	v_mov_b64_e32 v[100:101], 0
	scratch_store_b64 off, v[100:101], off offset:320
	s_wait_loadcnt 0x0
	ds_store_b64 v1, v[2:3]
.LBB111_217:
	s_wait_xcnt 0x0
	s_or_b32 exec_lo, exec_lo, s0
	s_wait_storecnt_dscnt 0x0
	s_barrier_signal -1
	s_barrier_wait -1
	s_clause 0x3
	scratch_load_b128 v[100:103], off, off offset:320
	scratch_load_b128 v[104:107], off, off offset:336
	;; [unrolled: 1-line block ×4, first 2 shown]
	v_mov_b32_e32 v2, 0
	ds_load_2addr_b64 v[116:119], v2 offset0:89 offset1:90
	ds_load_2addr_b64 v[120:123], v2 offset0:91 offset1:92
	s_mov_b32 s0, exec_lo
	s_wait_loadcnt_dscnt 0x301
	v_fma_f64 v[116:117], v[102:103], v[116:117], 0
	s_wait_loadcnt 0x2
	s_delay_alu instid0(VALU_DEP_1) | instskip(SKIP_1) | instid1(VALU_DEP_1)
	v_fmac_f64_e32 v[116:117], v[104:105], v[118:119]
	s_wait_dscnt 0x0
	v_fmac_f64_e32 v[116:117], v[106:107], v[120:121]
	ds_load_2addr_b64 v[102:105], v2 offset0:93 offset1:94
	ds_load_b64 v[106:107], v2 offset:760
	s_wait_loadcnt 0x1
	v_fmac_f64_e32 v[116:117], v[108:109], v[122:123]
	s_wait_dscnt 0x1
	s_delay_alu instid0(VALU_DEP_1) | instskip(SKIP_1) | instid1(VALU_DEP_1)
	v_fmac_f64_e32 v[116:117], v[110:111], v[102:103]
	s_wait_loadcnt 0x0
	v_fmac_f64_e32 v[116:117], v[112:113], v[104:105]
	s_wait_dscnt 0x0
	s_delay_alu instid0(VALU_DEP_1) | instskip(NEXT) | instid1(VALU_DEP_1)
	v_fmac_f64_e32 v[116:117], v[114:115], v[106:107]
	v_add_f64_e64 v[100:101], v[100:101], -v[116:117]
	scratch_store_b64 off, v[100:101], off offset:320
	s_wait_xcnt 0x0
	v_cmpx_lt_u32_e32 39, v0
	s_cbranch_execz .LBB111_219
; %bb.218:
	scratch_load_b64 v[100:101], off, off offset:312
	v_mov_b64_e32 v[102:103], 0
	scratch_store_b64 off, v[102:103], off offset:312
	s_wait_loadcnt 0x0
	ds_store_b64 v1, v[100:101]
.LBB111_219:
	s_wait_xcnt 0x0
	s_or_b32 exec_lo, exec_lo, s0
	s_wait_storecnt_dscnt 0x0
	s_barrier_signal -1
	s_barrier_wait -1
	s_clause 0x4
	scratch_load_b128 v[100:103], off, off offset:312
	scratch_load_b128 v[104:107], off, off offset:328
	;; [unrolled: 1-line block ×4, first 2 shown]
	scratch_load_b64 v[124:125], off, off offset:376
	ds_load_b128 v[116:119], v2 offset:704
	ds_load_b128 v[120:123], v2 offset:720
	s_mov_b32 s0, exec_lo
	s_wait_loadcnt_dscnt 0x401
	v_fma_f64 v[116:117], v[102:103], v[116:117], 0
	s_wait_loadcnt 0x3
	s_delay_alu instid0(VALU_DEP_1) | instskip(SKIP_1) | instid1(VALU_DEP_1)
	v_fmac_f64_e32 v[116:117], v[104:105], v[118:119]
	s_wait_dscnt 0x0
	v_fmac_f64_e32 v[116:117], v[106:107], v[120:121]
	s_wait_loadcnt 0x2
	s_delay_alu instid0(VALU_DEP_1)
	v_fmac_f64_e32 v[116:117], v[108:109], v[122:123]
	ds_load_b128 v[102:105], v2 offset:736
	ds_load_b128 v[106:109], v2 offset:752
	s_wait_dscnt 0x1
	v_fmac_f64_e32 v[116:117], v[110:111], v[102:103]
	s_wait_loadcnt 0x1
	s_delay_alu instid0(VALU_DEP_1) | instskip(SKIP_1) | instid1(VALU_DEP_1)
	v_fmac_f64_e32 v[116:117], v[112:113], v[104:105]
	s_wait_dscnt 0x0
	v_fmac_f64_e32 v[116:117], v[114:115], v[106:107]
	s_wait_loadcnt 0x0
	s_delay_alu instid0(VALU_DEP_1) | instskip(NEXT) | instid1(VALU_DEP_1)
	v_fmac_f64_e32 v[116:117], v[124:125], v[108:109]
	v_add_f64_e64 v[2:3], v[100:101], -v[116:117]
	scratch_store_b64 off, v[2:3], off offset:312
	s_wait_xcnt 0x0
	v_cmpx_lt_u32_e32 38, v0
	s_cbranch_execz .LBB111_221
; %bb.220:
	scratch_load_b64 v[2:3], off, off offset:304
	v_mov_b64_e32 v[100:101], 0
	scratch_store_b64 off, v[100:101], off offset:304
	s_wait_loadcnt 0x0
	ds_store_b64 v1, v[2:3]
.LBB111_221:
	s_wait_xcnt 0x0
	s_or_b32 exec_lo, exec_lo, s0
	s_wait_storecnt_dscnt 0x0
	s_barrier_signal -1
	s_barrier_wait -1
	s_clause 0x4
	scratch_load_b128 v[100:103], off, off offset:304
	scratch_load_b128 v[104:107], off, off offset:320
	;; [unrolled: 1-line block ×5, first 2 shown]
	v_mov_b32_e32 v2, 0
	ds_load_2addr_b64 v[120:123], v2 offset0:87 offset1:88
	ds_load_2addr_b64 v[124:127], v2 offset0:89 offset1:90
	s_mov_b32 s0, exec_lo
	s_wait_loadcnt_dscnt 0x401
	v_fma_f64 v[120:121], v[102:103], v[120:121], 0
	s_wait_loadcnt 0x3
	s_delay_alu instid0(VALU_DEP_1) | instskip(SKIP_1) | instid1(VALU_DEP_1)
	v_fmac_f64_e32 v[120:121], v[104:105], v[122:123]
	s_wait_dscnt 0x0
	v_fmac_f64_e32 v[120:121], v[106:107], v[124:125]
	s_wait_loadcnt 0x2
	s_delay_alu instid0(VALU_DEP_1)
	v_fmac_f64_e32 v[120:121], v[108:109], v[126:127]
	ds_load_2addr_b64 v[102:105], v2 offset0:91 offset1:92
	ds_load_2addr_b64 v[106:109], v2 offset0:93 offset1:94
	s_wait_dscnt 0x1
	v_fmac_f64_e32 v[120:121], v[110:111], v[102:103]
	ds_load_b64 v[102:103], v2 offset:760
	s_wait_loadcnt 0x1
	v_fmac_f64_e32 v[120:121], v[112:113], v[104:105]
	s_wait_dscnt 0x1
	s_delay_alu instid0(VALU_DEP_1) | instskip(SKIP_1) | instid1(VALU_DEP_1)
	v_fmac_f64_e32 v[120:121], v[114:115], v[106:107]
	s_wait_loadcnt 0x0
	v_fmac_f64_e32 v[120:121], v[116:117], v[108:109]
	s_wait_dscnt 0x0
	s_delay_alu instid0(VALU_DEP_1) | instskip(NEXT) | instid1(VALU_DEP_1)
	v_fmac_f64_e32 v[120:121], v[118:119], v[102:103]
	v_add_f64_e64 v[100:101], v[100:101], -v[120:121]
	scratch_store_b64 off, v[100:101], off offset:304
	s_wait_xcnt 0x0
	v_cmpx_lt_u32_e32 37, v0
	s_cbranch_execz .LBB111_223
; %bb.222:
	scratch_load_b64 v[100:101], off, off offset:296
	v_mov_b64_e32 v[102:103], 0
	scratch_store_b64 off, v[102:103], off offset:296
	s_wait_loadcnt 0x0
	ds_store_b64 v1, v[100:101]
.LBB111_223:
	s_wait_xcnt 0x0
	s_or_b32 exec_lo, exec_lo, s0
	s_wait_storecnt_dscnt 0x0
	s_barrier_signal -1
	s_barrier_wait -1
	s_clause 0x5
	scratch_load_b128 v[100:103], off, off offset:296
	scratch_load_b128 v[104:107], off, off offset:312
	;; [unrolled: 1-line block ×5, first 2 shown]
	scratch_load_b64 v[128:129], off, off offset:376
	ds_load_b128 v[120:123], v2 offset:688
	ds_load_b128 v[124:127], v2 offset:704
	s_mov_b32 s0, exec_lo
	s_wait_loadcnt_dscnt 0x501
	v_fma_f64 v[120:121], v[102:103], v[120:121], 0
	s_wait_loadcnt 0x4
	s_delay_alu instid0(VALU_DEP_1) | instskip(SKIP_1) | instid1(VALU_DEP_1)
	v_fmac_f64_e32 v[120:121], v[104:105], v[122:123]
	s_wait_dscnt 0x0
	v_fmac_f64_e32 v[120:121], v[106:107], v[124:125]
	s_wait_loadcnt 0x3
	s_delay_alu instid0(VALU_DEP_1)
	v_fmac_f64_e32 v[120:121], v[108:109], v[126:127]
	ds_load_b128 v[102:105], v2 offset:720
	ds_load_b128 v[106:109], v2 offset:736
	s_wait_dscnt 0x1
	v_fmac_f64_e32 v[120:121], v[110:111], v[102:103]
	s_wait_loadcnt 0x2
	s_delay_alu instid0(VALU_DEP_1) | instskip(SKIP_4) | instid1(VALU_DEP_1)
	v_fmac_f64_e32 v[120:121], v[112:113], v[104:105]
	ds_load_b128 v[102:105], v2 offset:752
	s_wait_dscnt 0x1
	v_fmac_f64_e32 v[120:121], v[114:115], v[106:107]
	s_wait_loadcnt 0x1
	v_fmac_f64_e32 v[120:121], v[116:117], v[108:109]
	s_wait_dscnt 0x0
	s_delay_alu instid0(VALU_DEP_1) | instskip(SKIP_1) | instid1(VALU_DEP_1)
	v_fmac_f64_e32 v[120:121], v[118:119], v[102:103]
	s_wait_loadcnt 0x0
	v_fmac_f64_e32 v[120:121], v[128:129], v[104:105]
	s_delay_alu instid0(VALU_DEP_1)
	v_add_f64_e64 v[2:3], v[100:101], -v[120:121]
	scratch_store_b64 off, v[2:3], off offset:296
	s_wait_xcnt 0x0
	v_cmpx_lt_u32_e32 36, v0
	s_cbranch_execz .LBB111_225
; %bb.224:
	scratch_load_b64 v[2:3], off, off offset:288
	v_mov_b64_e32 v[100:101], 0
	scratch_store_b64 off, v[100:101], off offset:288
	s_wait_loadcnt 0x0
	ds_store_b64 v1, v[2:3]
.LBB111_225:
	s_wait_xcnt 0x0
	s_or_b32 exec_lo, exec_lo, s0
	s_wait_storecnt_dscnt 0x0
	s_barrier_signal -1
	s_barrier_wait -1
	s_clause 0x5
	scratch_load_b128 v[100:103], off, off offset:288
	scratch_load_b128 v[104:107], off, off offset:304
	;; [unrolled: 1-line block ×6, first 2 shown]
	v_mov_b32_e32 v2, 0
	ds_load_2addr_b64 v[124:127], v2 offset0:85 offset1:86
	ds_load_2addr_b64 v[128:131], v2 offset0:87 offset1:88
	s_mov_b32 s0, exec_lo
	s_wait_loadcnt_dscnt 0x501
	v_fma_f64 v[124:125], v[102:103], v[124:125], 0
	s_wait_loadcnt 0x4
	s_delay_alu instid0(VALU_DEP_1) | instskip(SKIP_1) | instid1(VALU_DEP_1)
	v_fmac_f64_e32 v[124:125], v[104:105], v[126:127]
	s_wait_dscnt 0x0
	v_fmac_f64_e32 v[124:125], v[106:107], v[128:129]
	s_wait_loadcnt 0x3
	s_delay_alu instid0(VALU_DEP_1)
	v_fmac_f64_e32 v[124:125], v[108:109], v[130:131]
	ds_load_2addr_b64 v[102:105], v2 offset0:89 offset1:90
	ds_load_2addr_b64 v[106:109], v2 offset0:91 offset1:92
	s_wait_dscnt 0x1
	v_fmac_f64_e32 v[124:125], v[110:111], v[102:103]
	s_wait_loadcnt 0x2
	s_delay_alu instid0(VALU_DEP_1) | instskip(SKIP_1) | instid1(VALU_DEP_1)
	v_fmac_f64_e32 v[124:125], v[112:113], v[104:105]
	s_wait_dscnt 0x0
	v_fmac_f64_e32 v[124:125], v[114:115], v[106:107]
	ds_load_2addr_b64 v[102:105], v2 offset0:93 offset1:94
	ds_load_b64 v[106:107], v2 offset:760
	s_wait_loadcnt 0x1
	v_fmac_f64_e32 v[124:125], v[116:117], v[108:109]
	s_wait_dscnt 0x1
	s_delay_alu instid0(VALU_DEP_1) | instskip(SKIP_1) | instid1(VALU_DEP_1)
	v_fmac_f64_e32 v[124:125], v[118:119], v[102:103]
	s_wait_loadcnt 0x0
	v_fmac_f64_e32 v[124:125], v[120:121], v[104:105]
	s_wait_dscnt 0x0
	s_delay_alu instid0(VALU_DEP_1) | instskip(NEXT) | instid1(VALU_DEP_1)
	v_fmac_f64_e32 v[124:125], v[122:123], v[106:107]
	v_add_f64_e64 v[100:101], v[100:101], -v[124:125]
	scratch_store_b64 off, v[100:101], off offset:288
	s_wait_xcnt 0x0
	v_cmpx_lt_u32_e32 35, v0
	s_cbranch_execz .LBB111_227
; %bb.226:
	scratch_load_b64 v[100:101], off, off offset:280
	v_mov_b64_e32 v[102:103], 0
	scratch_store_b64 off, v[102:103], off offset:280
	s_wait_loadcnt 0x0
	ds_store_b64 v1, v[100:101]
.LBB111_227:
	s_wait_xcnt 0x0
	s_or_b32 exec_lo, exec_lo, s0
	s_wait_storecnt_dscnt 0x0
	s_barrier_signal -1
	s_barrier_wait -1
	s_clause 0x5
	scratch_load_b128 v[100:103], off, off offset:280
	scratch_load_b128 v[104:107], off, off offset:296
	;; [unrolled: 1-line block ×6, first 2 shown]
	ds_load_b128 v[124:127], v2 offset:672
	ds_load_b128 v[128:131], v2 offset:688
	s_mov_b32 s0, exec_lo
	s_wait_loadcnt_dscnt 0x501
	v_fma_f64 v[124:125], v[102:103], v[124:125], 0
	s_wait_loadcnt 0x4
	s_delay_alu instid0(VALU_DEP_1) | instskip(SKIP_4) | instid1(VALU_DEP_1)
	v_fmac_f64_e32 v[124:125], v[104:105], v[126:127]
	scratch_load_b64 v[126:127], off, off offset:376
	s_wait_dscnt 0x0
	v_fmac_f64_e32 v[124:125], v[106:107], v[128:129]
	s_wait_loadcnt 0x4
	v_fmac_f64_e32 v[124:125], v[108:109], v[130:131]
	ds_load_b128 v[102:105], v2 offset:704
	ds_load_b128 v[106:109], v2 offset:720
	s_wait_dscnt 0x1
	v_fmac_f64_e32 v[124:125], v[110:111], v[102:103]
	s_wait_loadcnt 0x3
	s_delay_alu instid0(VALU_DEP_1) | instskip(SKIP_1) | instid1(VALU_DEP_1)
	v_fmac_f64_e32 v[124:125], v[112:113], v[104:105]
	s_wait_dscnt 0x0
	v_fmac_f64_e32 v[124:125], v[114:115], v[106:107]
	s_wait_loadcnt 0x2
	s_delay_alu instid0(VALU_DEP_1)
	v_fmac_f64_e32 v[124:125], v[116:117], v[108:109]
	ds_load_b128 v[102:105], v2 offset:736
	ds_load_b128 v[106:109], v2 offset:752
	s_wait_dscnt 0x1
	v_fmac_f64_e32 v[124:125], v[118:119], v[102:103]
	s_wait_loadcnt 0x1
	s_delay_alu instid0(VALU_DEP_1) | instskip(SKIP_1) | instid1(VALU_DEP_1)
	v_fmac_f64_e32 v[124:125], v[120:121], v[104:105]
	s_wait_dscnt 0x0
	v_fmac_f64_e32 v[124:125], v[122:123], v[106:107]
	s_wait_loadcnt 0x0
	s_delay_alu instid0(VALU_DEP_1) | instskip(NEXT) | instid1(VALU_DEP_1)
	v_fmac_f64_e32 v[124:125], v[126:127], v[108:109]
	v_add_f64_e64 v[2:3], v[100:101], -v[124:125]
	scratch_store_b64 off, v[2:3], off offset:280
	s_wait_xcnt 0x0
	v_cmpx_lt_u32_e32 34, v0
	s_cbranch_execz .LBB111_229
; %bb.228:
	scratch_load_b64 v[2:3], off, off offset:272
	v_mov_b64_e32 v[100:101], 0
	scratch_store_b64 off, v[100:101], off offset:272
	s_wait_loadcnt 0x0
	ds_store_b64 v1, v[2:3]
.LBB111_229:
	s_wait_xcnt 0x0
	s_or_b32 exec_lo, exec_lo, s0
	s_wait_storecnt_dscnt 0x0
	s_barrier_signal -1
	s_barrier_wait -1
	s_clause 0x5
	scratch_load_b128 v[100:103], off, off offset:272
	scratch_load_b128 v[104:107], off, off offset:288
	;; [unrolled: 1-line block ×6, first 2 shown]
	v_mov_b32_e32 v2, 0
	ds_load_2addr_b64 v[124:127], v2 offset0:83 offset1:84
	ds_load_2addr_b64 v[128:131], v2 offset0:85 offset1:86
	s_mov_b32 s0, exec_lo
	s_wait_loadcnt_dscnt 0x501
	v_fma_f64 v[132:133], v[102:103], v[124:125], 0
	s_wait_loadcnt 0x4
	s_delay_alu instid0(VALU_DEP_1) | instskip(SKIP_4) | instid1(VALU_DEP_1)
	v_fmac_f64_e32 v[132:133], v[104:105], v[126:127]
	scratch_load_b128 v[102:105], off, off offset:368
	s_wait_dscnt 0x0
	v_fmac_f64_e32 v[132:133], v[106:107], v[128:129]
	s_wait_loadcnt 0x4
	v_fmac_f64_e32 v[132:133], v[108:109], v[130:131]
	ds_load_2addr_b64 v[106:109], v2 offset0:87 offset1:88
	ds_load_2addr_b64 v[124:127], v2 offset0:89 offset1:90
	s_wait_dscnt 0x1
	v_fmac_f64_e32 v[132:133], v[110:111], v[106:107]
	s_wait_loadcnt 0x3
	s_delay_alu instid0(VALU_DEP_1)
	v_fmac_f64_e32 v[132:133], v[112:113], v[108:109]
	ds_load_2addr_b64 v[106:109], v2 offset0:91 offset1:92
	ds_load_2addr_b64 v[110:113], v2 offset0:93 offset1:94
	s_wait_dscnt 0x2
	v_fmac_f64_e32 v[132:133], v[114:115], v[124:125]
	s_wait_loadcnt 0x2
	s_delay_alu instid0(VALU_DEP_1) | instskip(SKIP_1) | instid1(VALU_DEP_1)
	v_fmac_f64_e32 v[132:133], v[116:117], v[126:127]
	s_wait_dscnt 0x1
	v_fmac_f64_e32 v[132:133], v[118:119], v[106:107]
	s_wait_loadcnt 0x1
	s_delay_alu instid0(VALU_DEP_1) | instskip(SKIP_1) | instid1(VALU_DEP_1)
	v_fmac_f64_e32 v[132:133], v[120:121], v[108:109]
	s_wait_dscnt 0x0
	v_fmac_f64_e32 v[132:133], v[122:123], v[110:111]
	s_wait_loadcnt 0x0
	s_delay_alu instid0(VALU_DEP_1) | instskip(SKIP_3) | instid1(VALU_DEP_1)
	v_fmac_f64_e32 v[132:133], v[102:103], v[112:113]
	ds_load_b64 v[102:103], v2 offset:760
	s_wait_dscnt 0x0
	v_fmac_f64_e32 v[132:133], v[104:105], v[102:103]
	v_add_f64_e64 v[100:101], v[100:101], -v[132:133]
	scratch_store_b64 off, v[100:101], off offset:272
	s_wait_xcnt 0x0
	v_cmpx_lt_u32_e32 33, v0
	s_cbranch_execz .LBB111_231
; %bb.230:
	scratch_load_b64 v[100:101], off, off offset:264
	v_mov_b64_e32 v[102:103], 0
	scratch_store_b64 off, v[102:103], off offset:264
	s_wait_loadcnt 0x0
	ds_store_b64 v1, v[100:101]
.LBB111_231:
	s_wait_xcnt 0x0
	s_or_b32 exec_lo, exec_lo, s0
	s_wait_storecnt_dscnt 0x0
	s_barrier_signal -1
	s_barrier_wait -1
	s_clause 0x5
	scratch_load_b128 v[100:103], off, off offset:264
	scratch_load_b128 v[104:107], off, off offset:280
	;; [unrolled: 1-line block ×6, first 2 shown]
	ds_load_b128 v[124:127], v2 offset:656
	ds_load_b128 v[128:131], v2 offset:672
	s_mov_b32 s0, exec_lo
	s_wait_loadcnt_dscnt 0x501
	v_fma_f64 v[132:133], v[102:103], v[124:125], 0
	s_wait_loadcnt 0x4
	s_delay_alu instid0(VALU_DEP_1)
	v_fmac_f64_e32 v[132:133], v[104:105], v[126:127]
	scratch_load_b128 v[102:105], off, off offset:360
	s_wait_dscnt 0x0
	v_fmac_f64_e32 v[132:133], v[106:107], v[128:129]
	scratch_load_b64 v[128:129], off, off offset:376
	s_wait_loadcnt 0x5
	v_fmac_f64_e32 v[132:133], v[108:109], v[130:131]
	ds_load_b128 v[106:109], v2 offset:688
	ds_load_b128 v[124:127], v2 offset:704
	s_wait_dscnt 0x1
	v_fmac_f64_e32 v[132:133], v[110:111], v[106:107]
	s_wait_loadcnt 0x4
	s_delay_alu instid0(VALU_DEP_1)
	v_fmac_f64_e32 v[132:133], v[112:113], v[108:109]
	ds_load_b128 v[106:109], v2 offset:720
	ds_load_b128 v[110:113], v2 offset:736
	s_wait_dscnt 0x2
	v_fmac_f64_e32 v[132:133], v[114:115], v[124:125]
	s_wait_loadcnt 0x3
	s_delay_alu instid0(VALU_DEP_1) | instskip(SKIP_1) | instid1(VALU_DEP_1)
	v_fmac_f64_e32 v[132:133], v[116:117], v[126:127]
	s_wait_dscnt 0x1
	v_fmac_f64_e32 v[132:133], v[118:119], v[106:107]
	s_wait_loadcnt 0x2
	s_delay_alu instid0(VALU_DEP_1) | instskip(SKIP_4) | instid1(VALU_DEP_1)
	v_fmac_f64_e32 v[132:133], v[120:121], v[108:109]
	ds_load_b128 v[106:109], v2 offset:752
	s_wait_dscnt 0x1
	v_fmac_f64_e32 v[132:133], v[122:123], v[110:111]
	s_wait_loadcnt 0x1
	v_fmac_f64_e32 v[132:133], v[102:103], v[112:113]
	s_wait_dscnt 0x0
	s_delay_alu instid0(VALU_DEP_1) | instskip(SKIP_1) | instid1(VALU_DEP_1)
	v_fmac_f64_e32 v[132:133], v[104:105], v[106:107]
	s_wait_loadcnt 0x0
	v_fmac_f64_e32 v[132:133], v[128:129], v[108:109]
	s_delay_alu instid0(VALU_DEP_1)
	v_add_f64_e64 v[2:3], v[100:101], -v[132:133]
	scratch_store_b64 off, v[2:3], off offset:264
	s_wait_xcnt 0x0
	v_cmpx_lt_u32_e32 32, v0
	s_cbranch_execz .LBB111_233
; %bb.232:
	scratch_load_b64 v[2:3], off, off offset:256
	v_mov_b64_e32 v[100:101], 0
	scratch_store_b64 off, v[100:101], off offset:256
	s_wait_loadcnt 0x0
	ds_store_b64 v1, v[2:3]
.LBB111_233:
	s_wait_xcnt 0x0
	s_or_b32 exec_lo, exec_lo, s0
	s_wait_storecnt_dscnt 0x0
	s_barrier_signal -1
	s_barrier_wait -1
	s_clause 0x5
	scratch_load_b128 v[100:103], off, off offset:256
	scratch_load_b128 v[104:107], off, off offset:272
	;; [unrolled: 1-line block ×6, first 2 shown]
	v_mov_b32_e32 v2, 0
	ds_load_2addr_b64 v[124:127], v2 offset0:81 offset1:82
	ds_load_2addr_b64 v[128:131], v2 offset0:83 offset1:84
	s_mov_b32 s0, exec_lo
	s_wait_loadcnt_dscnt 0x501
	v_fma_f64 v[132:133], v[102:103], v[124:125], 0
	s_wait_loadcnt 0x4
	s_delay_alu instid0(VALU_DEP_1) | instskip(SKIP_4) | instid1(VALU_DEP_1)
	v_fmac_f64_e32 v[132:133], v[104:105], v[126:127]
	scratch_load_b128 v[102:105], off, off offset:352
	s_wait_dscnt 0x0
	v_fmac_f64_e32 v[132:133], v[106:107], v[128:129]
	s_wait_loadcnt 0x4
	v_fmac_f64_e32 v[132:133], v[108:109], v[130:131]
	scratch_load_b128 v[106:109], off, off offset:368
	ds_load_2addr_b64 v[124:127], v2 offset0:85 offset1:86
	ds_load_2addr_b64 v[128:131], v2 offset0:87 offset1:88
	s_wait_dscnt 0x1
	v_fmac_f64_e32 v[132:133], v[110:111], v[124:125]
	s_wait_loadcnt 0x4
	s_delay_alu instid0(VALU_DEP_1) | instskip(SKIP_1) | instid1(VALU_DEP_1)
	v_fmac_f64_e32 v[132:133], v[112:113], v[126:127]
	s_wait_dscnt 0x0
	v_fmac_f64_e32 v[132:133], v[114:115], v[128:129]
	s_wait_loadcnt 0x3
	s_delay_alu instid0(VALU_DEP_1)
	v_fmac_f64_e32 v[132:133], v[116:117], v[130:131]
	ds_load_2addr_b64 v[110:113], v2 offset0:89 offset1:90
	ds_load_2addr_b64 v[114:117], v2 offset0:91 offset1:92
	s_wait_dscnt 0x1
	v_fmac_f64_e32 v[132:133], v[118:119], v[110:111]
	s_wait_loadcnt 0x2
	s_delay_alu instid0(VALU_DEP_1) | instskip(SKIP_1) | instid1(VALU_DEP_1)
	v_fmac_f64_e32 v[132:133], v[120:121], v[112:113]
	s_wait_dscnt 0x0
	v_fmac_f64_e32 v[132:133], v[122:123], v[114:115]
	s_wait_loadcnt 0x1
	s_delay_alu instid0(VALU_DEP_1)
	v_fmac_f64_e32 v[132:133], v[102:103], v[116:117]
	ds_load_2addr_b64 v[110:113], v2 offset0:93 offset1:94
	ds_load_b64 v[102:103], v2 offset:760
	s_wait_dscnt 0x1
	v_fmac_f64_e32 v[132:133], v[104:105], v[110:111]
	s_wait_loadcnt 0x0
	s_delay_alu instid0(VALU_DEP_1) | instskip(SKIP_1) | instid1(VALU_DEP_1)
	v_fmac_f64_e32 v[132:133], v[106:107], v[112:113]
	s_wait_dscnt 0x0
	v_fmac_f64_e32 v[132:133], v[108:109], v[102:103]
	s_delay_alu instid0(VALU_DEP_1)
	v_add_f64_e64 v[100:101], v[100:101], -v[132:133]
	scratch_store_b64 off, v[100:101], off offset:256
	s_wait_xcnt 0x0
	v_cmpx_lt_u32_e32 31, v0
	s_cbranch_execz .LBB111_235
; %bb.234:
	scratch_load_b64 v[100:101], off, off offset:248
	v_mov_b64_e32 v[102:103], 0
	scratch_store_b64 off, v[102:103], off offset:248
	s_wait_loadcnt 0x0
	ds_store_b64 v1, v[100:101]
.LBB111_235:
	s_wait_xcnt 0x0
	s_or_b32 exec_lo, exec_lo, s0
	s_wait_storecnt_dscnt 0x0
	s_barrier_signal -1
	s_barrier_wait -1
	s_clause 0x5
	scratch_load_b128 v[100:103], off, off offset:248
	scratch_load_b128 v[104:107], off, off offset:264
	;; [unrolled: 1-line block ×6, first 2 shown]
	ds_load_b128 v[124:127], v2 offset:640
	ds_load_b128 v[128:131], v2 offset:656
	s_mov_b32 s0, exec_lo
	s_wait_loadcnt_dscnt 0x501
	v_fma_f64 v[132:133], v[102:103], v[124:125], 0
	s_wait_loadcnt 0x4
	s_delay_alu instid0(VALU_DEP_1) | instskip(SKIP_4) | instid1(VALU_DEP_1)
	v_fmac_f64_e32 v[132:133], v[104:105], v[126:127]
	scratch_load_b128 v[102:105], off, off offset:344
	s_wait_dscnt 0x0
	v_fmac_f64_e32 v[132:133], v[106:107], v[128:129]
	s_wait_loadcnt 0x4
	v_fmac_f64_e32 v[132:133], v[108:109], v[130:131]
	scratch_load_b128 v[106:109], off, off offset:360
	ds_load_b128 v[124:127], v2 offset:672
	ds_load_b128 v[128:131], v2 offset:688
	s_wait_dscnt 0x1
	v_fmac_f64_e32 v[132:133], v[110:111], v[124:125]
	scratch_load_b64 v[124:125], off, off offset:376
	s_wait_loadcnt 0x5
	v_fmac_f64_e32 v[132:133], v[112:113], v[126:127]
	s_wait_dscnt 0x0
	s_delay_alu instid0(VALU_DEP_1) | instskip(SKIP_1) | instid1(VALU_DEP_1)
	v_fmac_f64_e32 v[132:133], v[114:115], v[128:129]
	s_wait_loadcnt 0x4
	v_fmac_f64_e32 v[132:133], v[116:117], v[130:131]
	ds_load_b128 v[110:113], v2 offset:704
	ds_load_b128 v[114:117], v2 offset:720
	s_wait_dscnt 0x1
	v_fmac_f64_e32 v[132:133], v[118:119], v[110:111]
	s_wait_loadcnt 0x3
	s_delay_alu instid0(VALU_DEP_1) | instskip(SKIP_1) | instid1(VALU_DEP_1)
	v_fmac_f64_e32 v[132:133], v[120:121], v[112:113]
	s_wait_dscnt 0x0
	v_fmac_f64_e32 v[132:133], v[122:123], v[114:115]
	s_wait_loadcnt 0x2
	s_delay_alu instid0(VALU_DEP_1)
	v_fmac_f64_e32 v[132:133], v[102:103], v[116:117]
	ds_load_b128 v[110:113], v2 offset:736
	ds_load_b128 v[114:117], v2 offset:752
	s_wait_dscnt 0x1
	v_fmac_f64_e32 v[132:133], v[104:105], v[110:111]
	s_wait_loadcnt 0x1
	s_delay_alu instid0(VALU_DEP_1) | instskip(SKIP_1) | instid1(VALU_DEP_1)
	v_fmac_f64_e32 v[132:133], v[106:107], v[112:113]
	s_wait_dscnt 0x0
	v_fmac_f64_e32 v[132:133], v[108:109], v[114:115]
	s_wait_loadcnt 0x0
	s_delay_alu instid0(VALU_DEP_1) | instskip(NEXT) | instid1(VALU_DEP_1)
	v_fmac_f64_e32 v[132:133], v[124:125], v[116:117]
	v_add_f64_e64 v[2:3], v[100:101], -v[132:133]
	scratch_store_b64 off, v[2:3], off offset:248
	s_wait_xcnt 0x0
	v_cmpx_lt_u32_e32 30, v0
	s_cbranch_execz .LBB111_237
; %bb.236:
	scratch_load_b64 v[2:3], off, off offset:240
	v_mov_b64_e32 v[100:101], 0
	scratch_store_b64 off, v[100:101], off offset:240
	s_wait_loadcnt 0x0
	ds_store_b64 v1, v[2:3]
.LBB111_237:
	s_wait_xcnt 0x0
	s_or_b32 exec_lo, exec_lo, s0
	s_wait_storecnt_dscnt 0x0
	s_barrier_signal -1
	s_barrier_wait -1
	s_clause 0x5
	scratch_load_b128 v[100:103], off, off offset:240
	scratch_load_b128 v[104:107], off, off offset:256
	;; [unrolled: 1-line block ×6, first 2 shown]
	v_mov_b32_e32 v2, 0
	ds_load_2addr_b64 v[124:127], v2 offset0:79 offset1:80
	ds_load_2addr_b64 v[128:131], v2 offset0:81 offset1:82
	s_mov_b32 s0, exec_lo
	s_wait_loadcnt_dscnt 0x501
	v_fma_f64 v[132:133], v[102:103], v[124:125], 0
	s_wait_loadcnt 0x4
	s_delay_alu instid0(VALU_DEP_1) | instskip(SKIP_4) | instid1(VALU_DEP_1)
	v_fmac_f64_e32 v[132:133], v[104:105], v[126:127]
	scratch_load_b128 v[102:105], off, off offset:336
	s_wait_dscnt 0x0
	v_fmac_f64_e32 v[132:133], v[106:107], v[128:129]
	s_wait_loadcnt 0x4
	v_fmac_f64_e32 v[132:133], v[108:109], v[130:131]
	scratch_load_b128 v[106:109], off, off offset:352
	ds_load_2addr_b64 v[124:127], v2 offset0:83 offset1:84
	ds_load_2addr_b64 v[128:131], v2 offset0:85 offset1:86
	s_wait_dscnt 0x1
	v_fmac_f64_e32 v[132:133], v[110:111], v[124:125]
	s_wait_loadcnt 0x4
	s_delay_alu instid0(VALU_DEP_1) | instskip(SKIP_4) | instid1(VALU_DEP_1)
	v_fmac_f64_e32 v[132:133], v[112:113], v[126:127]
	scratch_load_b128 v[110:113], off, off offset:368
	s_wait_dscnt 0x0
	v_fmac_f64_e32 v[132:133], v[114:115], v[128:129]
	s_wait_loadcnt 0x4
	v_fmac_f64_e32 v[132:133], v[116:117], v[130:131]
	ds_load_2addr_b64 v[114:117], v2 offset0:87 offset1:88
	ds_load_2addr_b64 v[124:127], v2 offset0:89 offset1:90
	s_wait_dscnt 0x1
	v_fmac_f64_e32 v[132:133], v[118:119], v[114:115]
	s_wait_loadcnt 0x3
	s_delay_alu instid0(VALU_DEP_1)
	v_fmac_f64_e32 v[132:133], v[120:121], v[116:117]
	ds_load_2addr_b64 v[114:117], v2 offset0:91 offset1:92
	ds_load_2addr_b64 v[118:121], v2 offset0:93 offset1:94
	s_wait_dscnt 0x2
	v_fmac_f64_e32 v[132:133], v[122:123], v[124:125]
	s_wait_loadcnt 0x2
	s_delay_alu instid0(VALU_DEP_1) | instskip(SKIP_4) | instid1(VALU_DEP_1)
	v_fmac_f64_e32 v[132:133], v[102:103], v[126:127]
	ds_load_b64 v[102:103], v2 offset:760
	s_wait_dscnt 0x2
	v_fmac_f64_e32 v[132:133], v[104:105], v[114:115]
	s_wait_loadcnt 0x1
	v_fmac_f64_e32 v[132:133], v[106:107], v[116:117]
	s_wait_dscnt 0x1
	s_delay_alu instid0(VALU_DEP_1) | instskip(SKIP_1) | instid1(VALU_DEP_1)
	v_fmac_f64_e32 v[132:133], v[108:109], v[118:119]
	s_wait_loadcnt 0x0
	v_fmac_f64_e32 v[132:133], v[110:111], v[120:121]
	s_wait_dscnt 0x0
	s_delay_alu instid0(VALU_DEP_1) | instskip(NEXT) | instid1(VALU_DEP_1)
	v_fmac_f64_e32 v[132:133], v[112:113], v[102:103]
	v_add_f64_e64 v[100:101], v[100:101], -v[132:133]
	scratch_store_b64 off, v[100:101], off offset:240
	s_wait_xcnt 0x0
	v_cmpx_lt_u32_e32 29, v0
	s_cbranch_execz .LBB111_239
; %bb.238:
	scratch_load_b64 v[100:101], off, off offset:232
	v_mov_b64_e32 v[102:103], 0
	scratch_store_b64 off, v[102:103], off offset:232
	s_wait_loadcnt 0x0
	ds_store_b64 v1, v[100:101]
.LBB111_239:
	s_wait_xcnt 0x0
	s_or_b32 exec_lo, exec_lo, s0
	s_wait_storecnt_dscnt 0x0
	s_barrier_signal -1
	s_barrier_wait -1
	s_clause 0x5
	scratch_load_b128 v[100:103], off, off offset:232
	scratch_load_b128 v[104:107], off, off offset:248
	;; [unrolled: 1-line block ×6, first 2 shown]
	ds_load_b128 v[124:127], v2 offset:624
	ds_load_b128 v[128:131], v2 offset:640
	s_mov_b32 s0, exec_lo
	s_wait_loadcnt_dscnt 0x501
	v_fma_f64 v[132:133], v[102:103], v[124:125], 0
	s_wait_loadcnt 0x4
	s_delay_alu instid0(VALU_DEP_1) | instskip(SKIP_4) | instid1(VALU_DEP_1)
	v_fmac_f64_e32 v[132:133], v[104:105], v[126:127]
	scratch_load_b128 v[102:105], off, off offset:328
	s_wait_dscnt 0x0
	v_fmac_f64_e32 v[132:133], v[106:107], v[128:129]
	s_wait_loadcnt 0x4
	v_fmac_f64_e32 v[132:133], v[108:109], v[130:131]
	scratch_load_b128 v[106:109], off, off offset:344
	ds_load_b128 v[124:127], v2 offset:656
	ds_load_b128 v[128:131], v2 offset:672
	s_wait_dscnt 0x1
	v_fmac_f64_e32 v[132:133], v[110:111], v[124:125]
	s_wait_loadcnt 0x4
	s_delay_alu instid0(VALU_DEP_1)
	v_fmac_f64_e32 v[132:133], v[112:113], v[126:127]
	scratch_load_b128 v[110:113], off, off offset:360
	s_wait_dscnt 0x0
	v_fmac_f64_e32 v[132:133], v[114:115], v[128:129]
	scratch_load_b64 v[128:129], off, off offset:376
	s_wait_loadcnt 0x5
	v_fmac_f64_e32 v[132:133], v[116:117], v[130:131]
	ds_load_b128 v[114:117], v2 offset:688
	ds_load_b128 v[124:127], v2 offset:704
	s_wait_dscnt 0x1
	v_fmac_f64_e32 v[132:133], v[118:119], v[114:115]
	s_wait_loadcnt 0x4
	s_delay_alu instid0(VALU_DEP_1)
	v_fmac_f64_e32 v[132:133], v[120:121], v[116:117]
	ds_load_b128 v[114:117], v2 offset:720
	ds_load_b128 v[118:121], v2 offset:736
	s_wait_dscnt 0x2
	v_fmac_f64_e32 v[132:133], v[122:123], v[124:125]
	s_wait_loadcnt 0x3
	s_delay_alu instid0(VALU_DEP_1) | instskip(SKIP_1) | instid1(VALU_DEP_1)
	v_fmac_f64_e32 v[132:133], v[102:103], v[126:127]
	s_wait_dscnt 0x1
	v_fmac_f64_e32 v[132:133], v[104:105], v[114:115]
	ds_load_b128 v[102:105], v2 offset:752
	s_wait_loadcnt 0x2
	v_fmac_f64_e32 v[132:133], v[106:107], v[116:117]
	s_wait_dscnt 0x1
	s_delay_alu instid0(VALU_DEP_1) | instskip(SKIP_1) | instid1(VALU_DEP_1)
	v_fmac_f64_e32 v[132:133], v[108:109], v[118:119]
	s_wait_loadcnt 0x1
	v_fmac_f64_e32 v[132:133], v[110:111], v[120:121]
	s_wait_dscnt 0x0
	s_delay_alu instid0(VALU_DEP_1) | instskip(SKIP_1) | instid1(VALU_DEP_1)
	v_fmac_f64_e32 v[132:133], v[112:113], v[102:103]
	s_wait_loadcnt 0x0
	v_fmac_f64_e32 v[132:133], v[128:129], v[104:105]
	s_delay_alu instid0(VALU_DEP_1)
	v_add_f64_e64 v[2:3], v[100:101], -v[132:133]
	scratch_store_b64 off, v[2:3], off offset:232
	s_wait_xcnt 0x0
	v_cmpx_lt_u32_e32 28, v0
	s_cbranch_execz .LBB111_241
; %bb.240:
	scratch_load_b64 v[2:3], off, off offset:224
	v_mov_b64_e32 v[100:101], 0
	scratch_store_b64 off, v[100:101], off offset:224
	s_wait_loadcnt 0x0
	ds_store_b64 v1, v[2:3]
.LBB111_241:
	s_wait_xcnt 0x0
	s_or_b32 exec_lo, exec_lo, s0
	s_wait_storecnt_dscnt 0x0
	s_barrier_signal -1
	s_barrier_wait -1
	s_clause 0x5
	scratch_load_b128 v[100:103], off, off offset:224
	scratch_load_b128 v[104:107], off, off offset:240
	;; [unrolled: 1-line block ×6, first 2 shown]
	v_mov_b32_e32 v2, 0
	ds_load_2addr_b64 v[124:127], v2 offset0:77 offset1:78
	ds_load_2addr_b64 v[128:131], v2 offset0:79 offset1:80
	s_mov_b32 s0, exec_lo
	s_wait_loadcnt_dscnt 0x501
	v_fma_f64 v[132:133], v[102:103], v[124:125], 0
	s_wait_loadcnt 0x4
	s_delay_alu instid0(VALU_DEP_1) | instskip(SKIP_4) | instid1(VALU_DEP_1)
	v_fmac_f64_e32 v[132:133], v[104:105], v[126:127]
	scratch_load_b128 v[102:105], off, off offset:320
	s_wait_dscnt 0x0
	v_fmac_f64_e32 v[132:133], v[106:107], v[128:129]
	s_wait_loadcnt 0x4
	v_fmac_f64_e32 v[132:133], v[108:109], v[130:131]
	scratch_load_b128 v[106:109], off, off offset:336
	ds_load_2addr_b64 v[124:127], v2 offset0:81 offset1:82
	ds_load_2addr_b64 v[128:131], v2 offset0:83 offset1:84
	s_wait_dscnt 0x1
	v_fmac_f64_e32 v[132:133], v[110:111], v[124:125]
	s_wait_loadcnt 0x4
	s_delay_alu instid0(VALU_DEP_1) | instskip(SKIP_4) | instid1(VALU_DEP_1)
	v_fmac_f64_e32 v[132:133], v[112:113], v[126:127]
	scratch_load_b128 v[110:113], off, off offset:352
	s_wait_dscnt 0x0
	v_fmac_f64_e32 v[132:133], v[114:115], v[128:129]
	s_wait_loadcnt 0x4
	v_fmac_f64_e32 v[132:133], v[116:117], v[130:131]
	scratch_load_b128 v[114:117], off, off offset:368
	ds_load_2addr_b64 v[124:127], v2 offset0:85 offset1:86
	ds_load_2addr_b64 v[128:131], v2 offset0:87 offset1:88
	s_wait_dscnt 0x1
	v_fmac_f64_e32 v[132:133], v[118:119], v[124:125]
	s_wait_loadcnt 0x4
	s_delay_alu instid0(VALU_DEP_1) | instskip(SKIP_1) | instid1(VALU_DEP_1)
	v_fmac_f64_e32 v[132:133], v[120:121], v[126:127]
	s_wait_dscnt 0x0
	v_fmac_f64_e32 v[132:133], v[122:123], v[128:129]
	ds_load_2addr_b64 v[118:121], v2 offset0:89 offset1:90
	ds_load_2addr_b64 v[122:125], v2 offset0:91 offset1:92
	s_wait_loadcnt 0x3
	v_fmac_f64_e32 v[132:133], v[102:103], v[130:131]
	s_wait_dscnt 0x1
	s_delay_alu instid0(VALU_DEP_1) | instskip(SKIP_1) | instid1(VALU_DEP_1)
	v_fmac_f64_e32 v[132:133], v[104:105], v[118:119]
	s_wait_loadcnt 0x2
	v_fmac_f64_e32 v[132:133], v[106:107], v[120:121]
	ds_load_2addr_b64 v[102:105], v2 offset0:93 offset1:94
	ds_load_b64 v[106:107], v2 offset:760
	s_wait_dscnt 0x2
	v_fmac_f64_e32 v[132:133], v[108:109], v[122:123]
	s_wait_loadcnt 0x1
	s_delay_alu instid0(VALU_DEP_1) | instskip(SKIP_1) | instid1(VALU_DEP_1)
	v_fmac_f64_e32 v[132:133], v[110:111], v[124:125]
	s_wait_dscnt 0x1
	v_fmac_f64_e32 v[132:133], v[112:113], v[102:103]
	s_wait_loadcnt 0x0
	s_delay_alu instid0(VALU_DEP_1) | instskip(SKIP_1) | instid1(VALU_DEP_1)
	v_fmac_f64_e32 v[132:133], v[114:115], v[104:105]
	s_wait_dscnt 0x0
	v_fmac_f64_e32 v[132:133], v[116:117], v[106:107]
	s_delay_alu instid0(VALU_DEP_1)
	v_add_f64_e64 v[100:101], v[100:101], -v[132:133]
	scratch_store_b64 off, v[100:101], off offset:224
	s_wait_xcnt 0x0
	v_cmpx_lt_u32_e32 27, v0
	s_cbranch_execz .LBB111_243
; %bb.242:
	scratch_load_b64 v[100:101], off, off offset:216
	v_mov_b64_e32 v[102:103], 0
	scratch_store_b64 off, v[102:103], off offset:216
	s_wait_loadcnt 0x0
	ds_store_b64 v1, v[100:101]
.LBB111_243:
	s_wait_xcnt 0x0
	s_or_b32 exec_lo, exec_lo, s0
	s_wait_storecnt_dscnt 0x0
	s_barrier_signal -1
	s_barrier_wait -1
	s_clause 0x5
	scratch_load_b128 v[100:103], off, off offset:216
	scratch_load_b128 v[104:107], off, off offset:232
	;; [unrolled: 1-line block ×6, first 2 shown]
	ds_load_b128 v[124:127], v2 offset:608
	ds_load_b128 v[128:131], v2 offset:624
	s_mov_b32 s0, exec_lo
	s_wait_loadcnt_dscnt 0x501
	v_fma_f64 v[132:133], v[102:103], v[124:125], 0
	s_wait_loadcnt 0x4
	s_delay_alu instid0(VALU_DEP_1) | instskip(SKIP_4) | instid1(VALU_DEP_1)
	v_fmac_f64_e32 v[132:133], v[104:105], v[126:127]
	scratch_load_b128 v[102:105], off, off offset:312
	s_wait_dscnt 0x0
	v_fmac_f64_e32 v[132:133], v[106:107], v[128:129]
	s_wait_loadcnt 0x4
	v_fmac_f64_e32 v[132:133], v[108:109], v[130:131]
	scratch_load_b128 v[106:109], off, off offset:328
	ds_load_b128 v[124:127], v2 offset:640
	ds_load_b128 v[128:131], v2 offset:656
	s_wait_dscnt 0x1
	v_fmac_f64_e32 v[132:133], v[110:111], v[124:125]
	s_wait_loadcnt 0x4
	s_delay_alu instid0(VALU_DEP_1) | instskip(SKIP_4) | instid1(VALU_DEP_1)
	v_fmac_f64_e32 v[132:133], v[112:113], v[126:127]
	scratch_load_b128 v[110:113], off, off offset:344
	s_wait_dscnt 0x0
	v_fmac_f64_e32 v[132:133], v[114:115], v[128:129]
	s_wait_loadcnt 0x4
	v_fmac_f64_e32 v[132:133], v[116:117], v[130:131]
	scratch_load_b128 v[114:117], off, off offset:360
	ds_load_b128 v[124:127], v2 offset:672
	ds_load_b128 v[128:131], v2 offset:688
	s_wait_dscnt 0x1
	v_fmac_f64_e32 v[132:133], v[118:119], v[124:125]
	s_wait_loadcnt 0x4
	s_delay_alu instid0(VALU_DEP_1)
	v_fmac_f64_e32 v[132:133], v[120:121], v[126:127]
	scratch_load_b64 v[126:127], off, off offset:376
	s_wait_dscnt 0x0
	v_fmac_f64_e32 v[132:133], v[122:123], v[128:129]
	ds_load_b128 v[118:121], v2 offset:704
	ds_load_b128 v[122:125], v2 offset:720
	s_wait_loadcnt 0x4
	v_fmac_f64_e32 v[132:133], v[102:103], v[130:131]
	s_wait_dscnt 0x1
	s_delay_alu instid0(VALU_DEP_1) | instskip(SKIP_1) | instid1(VALU_DEP_1)
	v_fmac_f64_e32 v[132:133], v[104:105], v[118:119]
	s_wait_loadcnt 0x3
	v_fmac_f64_e32 v[132:133], v[106:107], v[120:121]
	s_wait_dscnt 0x0
	s_delay_alu instid0(VALU_DEP_1)
	v_fmac_f64_e32 v[132:133], v[108:109], v[122:123]
	ds_load_b128 v[102:105], v2 offset:736
	ds_load_b128 v[106:109], v2 offset:752
	s_wait_loadcnt 0x2
	v_fmac_f64_e32 v[132:133], v[110:111], v[124:125]
	s_wait_dscnt 0x1
	s_delay_alu instid0(VALU_DEP_1) | instskip(SKIP_1) | instid1(VALU_DEP_1)
	v_fmac_f64_e32 v[132:133], v[112:113], v[102:103]
	s_wait_loadcnt 0x1
	v_fmac_f64_e32 v[132:133], v[114:115], v[104:105]
	s_wait_dscnt 0x0
	s_delay_alu instid0(VALU_DEP_1) | instskip(SKIP_1) | instid1(VALU_DEP_1)
	v_fmac_f64_e32 v[132:133], v[116:117], v[106:107]
	s_wait_loadcnt 0x0
	v_fmac_f64_e32 v[132:133], v[126:127], v[108:109]
	s_delay_alu instid0(VALU_DEP_1)
	v_add_f64_e64 v[2:3], v[100:101], -v[132:133]
	scratch_store_b64 off, v[2:3], off offset:216
	s_wait_xcnt 0x0
	v_cmpx_lt_u32_e32 26, v0
	s_cbranch_execz .LBB111_245
; %bb.244:
	scratch_load_b64 v[2:3], off, off offset:208
	v_mov_b64_e32 v[100:101], 0
	scratch_store_b64 off, v[100:101], off offset:208
	s_wait_loadcnt 0x0
	ds_store_b64 v1, v[2:3]
.LBB111_245:
	s_wait_xcnt 0x0
	s_or_b32 exec_lo, exec_lo, s0
	s_wait_storecnt_dscnt 0x0
	s_barrier_signal -1
	s_barrier_wait -1
	s_clause 0x5
	scratch_load_b128 v[100:103], off, off offset:208
	scratch_load_b128 v[104:107], off, off offset:224
	;; [unrolled: 1-line block ×6, first 2 shown]
	v_mov_b32_e32 v2, 0
	ds_load_2addr_b64 v[124:127], v2 offset0:75 offset1:76
	ds_load_2addr_b64 v[128:131], v2 offset0:77 offset1:78
	s_mov_b32 s0, exec_lo
	s_wait_loadcnt_dscnt 0x501
	v_fma_f64 v[132:133], v[102:103], v[124:125], 0
	s_wait_loadcnt 0x4
	s_delay_alu instid0(VALU_DEP_1) | instskip(SKIP_4) | instid1(VALU_DEP_1)
	v_fmac_f64_e32 v[132:133], v[104:105], v[126:127]
	scratch_load_b128 v[102:105], off, off offset:304
	s_wait_dscnt 0x0
	v_fmac_f64_e32 v[132:133], v[106:107], v[128:129]
	s_wait_loadcnt 0x4
	v_fmac_f64_e32 v[132:133], v[108:109], v[130:131]
	scratch_load_b128 v[106:109], off, off offset:320
	ds_load_2addr_b64 v[124:127], v2 offset0:79 offset1:80
	ds_load_2addr_b64 v[128:131], v2 offset0:81 offset1:82
	s_wait_dscnt 0x1
	v_fmac_f64_e32 v[132:133], v[110:111], v[124:125]
	s_wait_loadcnt 0x4
	s_delay_alu instid0(VALU_DEP_1) | instskip(SKIP_4) | instid1(VALU_DEP_1)
	v_fmac_f64_e32 v[132:133], v[112:113], v[126:127]
	scratch_load_b128 v[110:113], off, off offset:336
	s_wait_dscnt 0x0
	v_fmac_f64_e32 v[132:133], v[114:115], v[128:129]
	s_wait_loadcnt 0x4
	v_fmac_f64_e32 v[132:133], v[116:117], v[130:131]
	scratch_load_b128 v[114:117], off, off offset:352
	ds_load_2addr_b64 v[124:127], v2 offset0:83 offset1:84
	ds_load_2addr_b64 v[128:131], v2 offset0:85 offset1:86
	s_wait_dscnt 0x1
	v_fmac_f64_e32 v[132:133], v[118:119], v[124:125]
	s_wait_loadcnt 0x4
	s_delay_alu instid0(VALU_DEP_1)
	v_fmac_f64_e32 v[132:133], v[120:121], v[126:127]
	scratch_load_b128 v[118:121], off, off offset:368
	s_wait_dscnt 0x0
	v_fmac_f64_e32 v[132:133], v[122:123], v[128:129]
	ds_load_2addr_b64 v[122:125], v2 offset0:87 offset1:88
	ds_load_2addr_b64 v[126:129], v2 offset0:89 offset1:90
	s_wait_loadcnt 0x4
	v_fmac_f64_e32 v[132:133], v[102:103], v[130:131]
	s_wait_dscnt 0x1
	s_delay_alu instid0(VALU_DEP_1) | instskip(SKIP_1) | instid1(VALU_DEP_1)
	v_fmac_f64_e32 v[132:133], v[104:105], v[122:123]
	s_wait_loadcnt 0x3
	v_fmac_f64_e32 v[132:133], v[106:107], v[124:125]
	s_wait_dscnt 0x0
	s_delay_alu instid0(VALU_DEP_1)
	v_fmac_f64_e32 v[132:133], v[108:109], v[126:127]
	ds_load_2addr_b64 v[102:105], v2 offset0:91 offset1:92
	ds_load_2addr_b64 v[106:109], v2 offset0:93 offset1:94
	s_wait_loadcnt 0x2
	v_fmac_f64_e32 v[132:133], v[110:111], v[128:129]
	s_wait_dscnt 0x1
	s_delay_alu instid0(VALU_DEP_1) | instskip(SKIP_4) | instid1(VALU_DEP_1)
	v_fmac_f64_e32 v[132:133], v[112:113], v[102:103]
	ds_load_b64 v[102:103], v2 offset:760
	s_wait_loadcnt 0x1
	v_fmac_f64_e32 v[132:133], v[114:115], v[104:105]
	s_wait_dscnt 0x1
	v_fmac_f64_e32 v[132:133], v[116:117], v[106:107]
	s_wait_loadcnt 0x0
	s_delay_alu instid0(VALU_DEP_1) | instskip(SKIP_1) | instid1(VALU_DEP_1)
	v_fmac_f64_e32 v[132:133], v[118:119], v[108:109]
	s_wait_dscnt 0x0
	v_fmac_f64_e32 v[132:133], v[120:121], v[102:103]
	s_delay_alu instid0(VALU_DEP_1)
	v_add_f64_e64 v[100:101], v[100:101], -v[132:133]
	scratch_store_b64 off, v[100:101], off offset:208
	s_wait_xcnt 0x0
	v_cmpx_lt_u32_e32 25, v0
	s_cbranch_execz .LBB111_247
; %bb.246:
	scratch_load_b64 v[100:101], off, off offset:200
	v_mov_b64_e32 v[102:103], 0
	scratch_store_b64 off, v[102:103], off offset:200
	s_wait_loadcnt 0x0
	ds_store_b64 v1, v[100:101]
.LBB111_247:
	s_wait_xcnt 0x0
	s_or_b32 exec_lo, exec_lo, s0
	s_wait_storecnt_dscnt 0x0
	s_barrier_signal -1
	s_barrier_wait -1
	s_clause 0x5
	scratch_load_b128 v[100:103], off, off offset:200
	scratch_load_b128 v[104:107], off, off offset:216
	;; [unrolled: 1-line block ×6, first 2 shown]
	ds_load_b128 v[124:127], v2 offset:592
	ds_load_b128 v[128:131], v2 offset:608
	scratch_load_b128 v[132:135], off, off offset:296
	s_mov_b32 s0, exec_lo
	s_wait_loadcnt_dscnt 0x601
	v_fma_f64 v[136:137], v[102:103], v[124:125], 0
	s_wait_loadcnt 0x5
	s_delay_alu instid0(VALU_DEP_1) | instskip(SKIP_4) | instid1(VALU_DEP_1)
	v_fmac_f64_e32 v[136:137], v[104:105], v[126:127]
	scratch_load_b128 v[102:105], off, off offset:312
	s_wait_dscnt 0x0
	v_fmac_f64_e32 v[136:137], v[106:107], v[128:129]
	s_wait_loadcnt 0x5
	v_fmac_f64_e32 v[136:137], v[108:109], v[130:131]
	ds_load_b128 v[106:109], v2 offset:624
	ds_load_b128 v[124:127], v2 offset:640
	s_wait_dscnt 0x1
	v_fmac_f64_e32 v[136:137], v[110:111], v[106:107]
	s_wait_loadcnt 0x4
	s_delay_alu instid0(VALU_DEP_1)
	v_fmac_f64_e32 v[136:137], v[112:113], v[108:109]
	s_clause 0x1
	scratch_load_b128 v[106:109], off, off offset:328
	scratch_load_b128 v[110:113], off, off offset:344
	s_wait_dscnt 0x0
	v_fmac_f64_e32 v[136:137], v[114:115], v[124:125]
	s_wait_loadcnt 0x5
	s_delay_alu instid0(VALU_DEP_1)
	v_fmac_f64_e32 v[136:137], v[116:117], v[126:127]
	ds_load_b128 v[114:117], v2 offset:656
	ds_load_b128 v[124:127], v2 offset:672
	s_wait_dscnt 0x1
	v_fmac_f64_e32 v[136:137], v[118:119], v[114:115]
	s_wait_loadcnt 0x4
	s_delay_alu instid0(VALU_DEP_1) | instskip(SKIP_4) | instid1(VALU_DEP_1)
	v_fmac_f64_e32 v[136:137], v[120:121], v[116:117]
	scratch_load_b128 v[114:117], off, off offset:360
	s_wait_dscnt 0x0
	v_fmac_f64_e32 v[136:137], v[122:123], v[124:125]
	s_wait_loadcnt 0x4
	v_fmac_f64_e32 v[136:137], v[132:133], v[126:127]
	scratch_load_b64 v[126:127], off, off offset:376
	ds_load_b128 v[118:121], v2 offset:688
	ds_load_b128 v[122:125], v2 offset:704
	s_wait_dscnt 0x1
	v_fmac_f64_e32 v[136:137], v[134:135], v[118:119]
	s_wait_loadcnt 0x4
	s_delay_alu instid0(VALU_DEP_1) | instskip(SKIP_1) | instid1(VALU_DEP_1)
	v_fmac_f64_e32 v[136:137], v[102:103], v[120:121]
	s_wait_dscnt 0x0
	v_fmac_f64_e32 v[136:137], v[104:105], v[122:123]
	ds_load_b128 v[102:105], v2 offset:720
	ds_load_b128 v[118:121], v2 offset:736
	s_wait_loadcnt 0x3
	v_fmac_f64_e32 v[136:137], v[106:107], v[124:125]
	s_wait_dscnt 0x1
	s_delay_alu instid0(VALU_DEP_1) | instskip(SKIP_1) | instid1(VALU_DEP_1)
	v_fmac_f64_e32 v[136:137], v[108:109], v[102:103]
	s_wait_loadcnt 0x2
	v_fmac_f64_e32 v[136:137], v[110:111], v[104:105]
	ds_load_b128 v[102:105], v2 offset:752
	s_wait_dscnt 0x1
	v_fmac_f64_e32 v[136:137], v[112:113], v[118:119]
	s_wait_loadcnt 0x1
	s_delay_alu instid0(VALU_DEP_1) | instskip(SKIP_1) | instid1(VALU_DEP_1)
	v_fmac_f64_e32 v[136:137], v[114:115], v[120:121]
	s_wait_dscnt 0x0
	v_fmac_f64_e32 v[136:137], v[116:117], v[102:103]
	s_wait_loadcnt 0x0
	s_delay_alu instid0(VALU_DEP_1) | instskip(NEXT) | instid1(VALU_DEP_1)
	v_fmac_f64_e32 v[136:137], v[126:127], v[104:105]
	v_add_f64_e64 v[2:3], v[100:101], -v[136:137]
	scratch_store_b64 off, v[2:3], off offset:200
	s_wait_xcnt 0x0
	v_cmpx_lt_u32_e32 24, v0
	s_cbranch_execz .LBB111_249
; %bb.248:
	scratch_load_b64 v[2:3], off, off offset:192
	v_mov_b64_e32 v[100:101], 0
	scratch_store_b64 off, v[100:101], off offset:192
	s_wait_loadcnt 0x0
	ds_store_b64 v1, v[2:3]
.LBB111_249:
	s_wait_xcnt 0x0
	s_or_b32 exec_lo, exec_lo, s0
	s_wait_storecnt_dscnt 0x0
	s_barrier_signal -1
	s_barrier_wait -1
	s_clause 0x5
	scratch_load_b128 v[100:103], off, off offset:192
	scratch_load_b128 v[104:107], off, off offset:208
	;; [unrolled: 1-line block ×6, first 2 shown]
	v_mov_b32_e32 v2, 0
	ds_load_2addr_b64 v[124:127], v2 offset0:73 offset1:74
	ds_load_2addr_b64 v[128:131], v2 offset0:75 offset1:76
	scratch_load_b128 v[132:135], off, off offset:288
	s_mov_b32 s0, exec_lo
	s_wait_loadcnt_dscnt 0x601
	v_fma_f64 v[136:137], v[102:103], v[124:125], 0
	s_wait_loadcnt 0x5
	s_delay_alu instid0(VALU_DEP_1) | instskip(SKIP_4) | instid1(VALU_DEP_1)
	v_fmac_f64_e32 v[136:137], v[104:105], v[126:127]
	scratch_load_b128 v[102:105], off, off offset:304
	s_wait_dscnt 0x0
	v_fmac_f64_e32 v[136:137], v[106:107], v[128:129]
	s_wait_loadcnt 0x5
	v_fmac_f64_e32 v[136:137], v[108:109], v[130:131]
	ds_load_2addr_b64 v[106:109], v2 offset0:77 offset1:78
	ds_load_2addr_b64 v[124:127], v2 offset0:79 offset1:80
	s_wait_dscnt 0x1
	v_fmac_f64_e32 v[136:137], v[110:111], v[106:107]
	s_wait_loadcnt 0x4
	s_delay_alu instid0(VALU_DEP_1)
	v_fmac_f64_e32 v[136:137], v[112:113], v[108:109]
	s_clause 0x1
	scratch_load_b128 v[106:109], off, off offset:320
	scratch_load_b128 v[110:113], off, off offset:336
	s_wait_dscnt 0x0
	v_fmac_f64_e32 v[136:137], v[114:115], v[124:125]
	s_wait_loadcnt 0x5
	s_delay_alu instid0(VALU_DEP_1)
	v_fmac_f64_e32 v[136:137], v[116:117], v[126:127]
	ds_load_2addr_b64 v[114:117], v2 offset0:81 offset1:82
	ds_load_2addr_b64 v[124:127], v2 offset0:83 offset1:84
	s_wait_dscnt 0x1
	v_fmac_f64_e32 v[136:137], v[118:119], v[114:115]
	s_wait_loadcnt 0x4
	s_delay_alu instid0(VALU_DEP_1)
	v_fmac_f64_e32 v[136:137], v[120:121], v[116:117]
	s_clause 0x1
	scratch_load_b128 v[114:117], off, off offset:352
	scratch_load_b128 v[118:121], off, off offset:368
	s_wait_dscnt 0x0
	v_fmac_f64_e32 v[136:137], v[122:123], v[124:125]
	s_wait_loadcnt 0x5
	s_delay_alu instid0(VALU_DEP_1)
	v_fmac_f64_e32 v[136:137], v[132:133], v[126:127]
	ds_load_2addr_b64 v[122:125], v2 offset0:85 offset1:86
	ds_load_2addr_b64 v[126:129], v2 offset0:87 offset1:88
	s_wait_dscnt 0x1
	v_fmac_f64_e32 v[136:137], v[134:135], v[122:123]
	s_wait_loadcnt 0x4
	s_delay_alu instid0(VALU_DEP_1) | instskip(SKIP_1) | instid1(VALU_DEP_1)
	v_fmac_f64_e32 v[136:137], v[102:103], v[124:125]
	s_wait_dscnt 0x0
	v_fmac_f64_e32 v[136:137], v[104:105], v[126:127]
	ds_load_2addr_b64 v[102:105], v2 offset0:89 offset1:90
	ds_load_2addr_b64 v[122:125], v2 offset0:91 offset1:92
	s_wait_loadcnt 0x3
	v_fmac_f64_e32 v[136:137], v[106:107], v[128:129]
	s_wait_dscnt 0x1
	s_delay_alu instid0(VALU_DEP_1) | instskip(SKIP_1) | instid1(VALU_DEP_1)
	v_fmac_f64_e32 v[136:137], v[108:109], v[102:103]
	s_wait_loadcnt 0x2
	v_fmac_f64_e32 v[136:137], v[110:111], v[104:105]
	ds_load_2addr_b64 v[102:105], v2 offset0:93 offset1:94
	ds_load_b64 v[106:107], v2 offset:760
	s_wait_dscnt 0x2
	v_fmac_f64_e32 v[136:137], v[112:113], v[122:123]
	s_wait_loadcnt 0x1
	s_delay_alu instid0(VALU_DEP_1) | instskip(SKIP_1) | instid1(VALU_DEP_1)
	v_fmac_f64_e32 v[136:137], v[114:115], v[124:125]
	s_wait_dscnt 0x1
	v_fmac_f64_e32 v[136:137], v[116:117], v[102:103]
	s_wait_loadcnt 0x0
	s_delay_alu instid0(VALU_DEP_1) | instskip(SKIP_1) | instid1(VALU_DEP_1)
	v_fmac_f64_e32 v[136:137], v[118:119], v[104:105]
	s_wait_dscnt 0x0
	v_fmac_f64_e32 v[136:137], v[120:121], v[106:107]
	s_delay_alu instid0(VALU_DEP_1)
	v_add_f64_e64 v[100:101], v[100:101], -v[136:137]
	scratch_store_b64 off, v[100:101], off offset:192
	s_wait_xcnt 0x0
	v_cmpx_lt_u32_e32 23, v0
	s_cbranch_execz .LBB111_251
; %bb.250:
	scratch_load_b64 v[100:101], off, off offset:184
	v_mov_b64_e32 v[102:103], 0
	scratch_store_b64 off, v[102:103], off offset:184
	s_wait_loadcnt 0x0
	ds_store_b64 v1, v[100:101]
.LBB111_251:
	s_wait_xcnt 0x0
	s_or_b32 exec_lo, exec_lo, s0
	s_wait_storecnt_dscnt 0x0
	s_barrier_signal -1
	s_barrier_wait -1
	s_clause 0x5
	scratch_load_b128 v[100:103], off, off offset:184
	scratch_load_b128 v[104:107], off, off offset:200
	;; [unrolled: 1-line block ×6, first 2 shown]
	ds_load_b128 v[124:127], v2 offset:576
	ds_load_b128 v[128:131], v2 offset:592
	scratch_load_b128 v[132:135], off, off offset:280
	s_mov_b32 s0, exec_lo
	s_wait_loadcnt_dscnt 0x601
	v_fma_f64 v[136:137], v[102:103], v[124:125], 0
	s_wait_loadcnt 0x5
	s_delay_alu instid0(VALU_DEP_1) | instskip(SKIP_4) | instid1(VALU_DEP_1)
	v_fmac_f64_e32 v[136:137], v[104:105], v[126:127]
	scratch_load_b128 v[102:105], off, off offset:296
	s_wait_dscnt 0x0
	v_fmac_f64_e32 v[136:137], v[106:107], v[128:129]
	s_wait_loadcnt 0x5
	v_fmac_f64_e32 v[136:137], v[108:109], v[130:131]
	ds_load_b128 v[106:109], v2 offset:608
	ds_load_b128 v[124:127], v2 offset:624
	s_wait_dscnt 0x1
	v_fmac_f64_e32 v[136:137], v[110:111], v[106:107]
	s_wait_loadcnt 0x4
	s_delay_alu instid0(VALU_DEP_1)
	v_fmac_f64_e32 v[136:137], v[112:113], v[108:109]
	s_clause 0x1
	scratch_load_b128 v[106:109], off, off offset:312
	scratch_load_b128 v[110:113], off, off offset:328
	s_wait_dscnt 0x0
	v_fmac_f64_e32 v[136:137], v[114:115], v[124:125]
	s_wait_loadcnt 0x5
	s_delay_alu instid0(VALU_DEP_1)
	v_fmac_f64_e32 v[136:137], v[116:117], v[126:127]
	ds_load_b128 v[114:117], v2 offset:640
	ds_load_b128 v[124:127], v2 offset:656
	s_wait_dscnt 0x1
	v_fmac_f64_e32 v[136:137], v[118:119], v[114:115]
	s_wait_loadcnt 0x4
	s_delay_alu instid0(VALU_DEP_1)
	v_fmac_f64_e32 v[136:137], v[120:121], v[116:117]
	s_clause 0x1
	scratch_load_b128 v[114:117], off, off offset:344
	scratch_load_b128 v[118:121], off, off offset:360
	s_wait_dscnt 0x0
	v_fmac_f64_e32 v[136:137], v[122:123], v[124:125]
	s_wait_loadcnt 0x5
	s_delay_alu instid0(VALU_DEP_1)
	v_fmac_f64_e32 v[136:137], v[132:133], v[126:127]
	ds_load_b128 v[122:125], v2 offset:672
	ds_load_b128 v[126:129], v2 offset:688
	scratch_load_b64 v[130:131], off, off offset:376
	s_wait_dscnt 0x1
	v_fmac_f64_e32 v[136:137], v[134:135], v[122:123]
	s_wait_loadcnt 0x5
	s_delay_alu instid0(VALU_DEP_1) | instskip(SKIP_1) | instid1(VALU_DEP_1)
	v_fmac_f64_e32 v[136:137], v[102:103], v[124:125]
	s_wait_dscnt 0x0
	v_fmac_f64_e32 v[136:137], v[104:105], v[126:127]
	ds_load_b128 v[102:105], v2 offset:704
	ds_load_b128 v[122:125], v2 offset:720
	s_wait_loadcnt 0x4
	v_fmac_f64_e32 v[136:137], v[106:107], v[128:129]
	s_wait_dscnt 0x1
	s_delay_alu instid0(VALU_DEP_1) | instskip(SKIP_1) | instid1(VALU_DEP_1)
	v_fmac_f64_e32 v[136:137], v[108:109], v[102:103]
	s_wait_loadcnt 0x3
	v_fmac_f64_e32 v[136:137], v[110:111], v[104:105]
	ds_load_b128 v[102:105], v2 offset:736
	ds_load_b128 v[106:109], v2 offset:752
	s_wait_dscnt 0x2
	v_fmac_f64_e32 v[136:137], v[112:113], v[122:123]
	s_wait_loadcnt 0x2
	s_delay_alu instid0(VALU_DEP_1) | instskip(SKIP_1) | instid1(VALU_DEP_1)
	v_fmac_f64_e32 v[136:137], v[114:115], v[124:125]
	s_wait_dscnt 0x1
	v_fmac_f64_e32 v[136:137], v[116:117], v[102:103]
	s_wait_loadcnt 0x1
	s_delay_alu instid0(VALU_DEP_1) | instskip(SKIP_1) | instid1(VALU_DEP_1)
	v_fmac_f64_e32 v[136:137], v[118:119], v[104:105]
	s_wait_dscnt 0x0
	v_fmac_f64_e32 v[136:137], v[120:121], v[106:107]
	s_wait_loadcnt 0x0
	s_delay_alu instid0(VALU_DEP_1) | instskip(NEXT) | instid1(VALU_DEP_1)
	v_fmac_f64_e32 v[136:137], v[130:131], v[108:109]
	v_add_f64_e64 v[2:3], v[100:101], -v[136:137]
	scratch_store_b64 off, v[2:3], off offset:184
	s_wait_xcnt 0x0
	v_cmpx_lt_u32_e32 22, v0
	s_cbranch_execz .LBB111_253
; %bb.252:
	scratch_load_b64 v[2:3], off, off offset:176
	v_mov_b64_e32 v[100:101], 0
	scratch_store_b64 off, v[100:101], off offset:176
	s_wait_loadcnt 0x0
	ds_store_b64 v1, v[2:3]
.LBB111_253:
	s_wait_xcnt 0x0
	s_or_b32 exec_lo, exec_lo, s0
	s_wait_storecnt_dscnt 0x0
	s_barrier_signal -1
	s_barrier_wait -1
	s_clause 0x5
	scratch_load_b128 v[100:103], off, off offset:176
	scratch_load_b128 v[104:107], off, off offset:192
	;; [unrolled: 1-line block ×6, first 2 shown]
	v_mov_b32_e32 v2, 0
	ds_load_2addr_b64 v[124:127], v2 offset0:71 offset1:72
	ds_load_2addr_b64 v[128:131], v2 offset0:73 offset1:74
	scratch_load_b128 v[132:135], off, off offset:272
	s_mov_b32 s0, exec_lo
	s_wait_loadcnt_dscnt 0x601
	v_fma_f64 v[136:137], v[102:103], v[124:125], 0
	s_wait_loadcnt 0x5
	s_delay_alu instid0(VALU_DEP_1) | instskip(SKIP_4) | instid1(VALU_DEP_1)
	v_fmac_f64_e32 v[136:137], v[104:105], v[126:127]
	scratch_load_b128 v[102:105], off, off offset:288
	s_wait_dscnt 0x0
	v_fmac_f64_e32 v[136:137], v[106:107], v[128:129]
	s_wait_loadcnt 0x5
	v_fmac_f64_e32 v[136:137], v[108:109], v[130:131]
	ds_load_2addr_b64 v[106:109], v2 offset0:75 offset1:76
	ds_load_2addr_b64 v[124:127], v2 offset0:77 offset1:78
	s_wait_dscnt 0x1
	v_fmac_f64_e32 v[136:137], v[110:111], v[106:107]
	s_wait_loadcnt 0x4
	s_delay_alu instid0(VALU_DEP_1)
	v_fmac_f64_e32 v[136:137], v[112:113], v[108:109]
	s_clause 0x1
	scratch_load_b128 v[106:109], off, off offset:304
	scratch_load_b128 v[110:113], off, off offset:320
	s_wait_dscnt 0x0
	v_fmac_f64_e32 v[136:137], v[114:115], v[124:125]
	s_wait_loadcnt 0x5
	s_delay_alu instid0(VALU_DEP_1)
	v_fmac_f64_e32 v[136:137], v[116:117], v[126:127]
	ds_load_2addr_b64 v[114:117], v2 offset0:79 offset1:80
	ds_load_2addr_b64 v[124:127], v2 offset0:81 offset1:82
	s_wait_dscnt 0x1
	v_fmac_f64_e32 v[136:137], v[118:119], v[114:115]
	s_wait_loadcnt 0x4
	s_delay_alu instid0(VALU_DEP_1)
	v_fmac_f64_e32 v[136:137], v[120:121], v[116:117]
	s_clause 0x1
	scratch_load_b128 v[114:117], off, off offset:336
	scratch_load_b128 v[118:121], off, off offset:352
	s_wait_dscnt 0x0
	v_fmac_f64_e32 v[136:137], v[122:123], v[124:125]
	s_wait_loadcnt 0x5
	s_delay_alu instid0(VALU_DEP_1)
	v_fmac_f64_e32 v[136:137], v[132:133], v[126:127]
	ds_load_2addr_b64 v[122:125], v2 offset0:83 offset1:84
	ds_load_2addr_b64 v[126:129], v2 offset0:85 offset1:86
	s_wait_dscnt 0x1
	v_fmac_f64_e32 v[136:137], v[134:135], v[122:123]
	s_wait_loadcnt 0x4
	s_delay_alu instid0(VALU_DEP_1) | instskip(SKIP_4) | instid1(VALU_DEP_1)
	v_fmac_f64_e32 v[136:137], v[102:103], v[124:125]
	scratch_load_b128 v[122:125], off, off offset:368
	s_wait_dscnt 0x0
	v_fmac_f64_e32 v[136:137], v[104:105], v[126:127]
	s_wait_loadcnt 0x4
	v_fmac_f64_e32 v[136:137], v[106:107], v[128:129]
	ds_load_2addr_b64 v[102:105], v2 offset0:87 offset1:88
	ds_load_2addr_b64 v[126:129], v2 offset0:89 offset1:90
	s_wait_dscnt 0x1
	v_fmac_f64_e32 v[136:137], v[108:109], v[102:103]
	s_wait_loadcnt 0x3
	s_delay_alu instid0(VALU_DEP_1)
	v_fmac_f64_e32 v[136:137], v[110:111], v[104:105]
	ds_load_2addr_b64 v[102:105], v2 offset0:91 offset1:92
	ds_load_2addr_b64 v[106:109], v2 offset0:93 offset1:94
	s_wait_dscnt 0x2
	v_fmac_f64_e32 v[136:137], v[112:113], v[126:127]
	s_wait_loadcnt 0x2
	s_delay_alu instid0(VALU_DEP_1) | instskip(SKIP_1) | instid1(VALU_DEP_1)
	v_fmac_f64_e32 v[136:137], v[114:115], v[128:129]
	s_wait_dscnt 0x1
	v_fmac_f64_e32 v[136:137], v[116:117], v[102:103]
	ds_load_b64 v[102:103], v2 offset:760
	s_wait_loadcnt 0x1
	v_fmac_f64_e32 v[136:137], v[118:119], v[104:105]
	s_wait_dscnt 0x1
	s_delay_alu instid0(VALU_DEP_1) | instskip(SKIP_1) | instid1(VALU_DEP_1)
	v_fmac_f64_e32 v[136:137], v[120:121], v[106:107]
	s_wait_loadcnt 0x0
	v_fmac_f64_e32 v[136:137], v[122:123], v[108:109]
	s_wait_dscnt 0x0
	s_delay_alu instid0(VALU_DEP_1) | instskip(NEXT) | instid1(VALU_DEP_1)
	v_fmac_f64_e32 v[136:137], v[124:125], v[102:103]
	v_add_f64_e64 v[100:101], v[100:101], -v[136:137]
	scratch_store_b64 off, v[100:101], off offset:176
	s_wait_xcnt 0x0
	v_cmpx_lt_u32_e32 21, v0
	s_cbranch_execz .LBB111_255
; %bb.254:
	scratch_load_b64 v[100:101], off, off offset:168
	v_mov_b64_e32 v[102:103], 0
	scratch_store_b64 off, v[102:103], off offset:168
	s_wait_loadcnt 0x0
	ds_store_b64 v1, v[100:101]
.LBB111_255:
	s_wait_xcnt 0x0
	s_or_b32 exec_lo, exec_lo, s0
	s_wait_storecnt_dscnt 0x0
	s_barrier_signal -1
	s_barrier_wait -1
	s_clause 0x5
	scratch_load_b128 v[100:103], off, off offset:168
	scratch_load_b128 v[104:107], off, off offset:184
	;; [unrolled: 1-line block ×6, first 2 shown]
	ds_load_b128 v[124:127], v2 offset:560
	ds_load_b128 v[128:131], v2 offset:576
	scratch_load_b128 v[132:135], off, off offset:264
	s_mov_b32 s0, exec_lo
	s_wait_loadcnt_dscnt 0x601
	v_fma_f64 v[136:137], v[102:103], v[124:125], 0
	s_wait_loadcnt 0x5
	s_delay_alu instid0(VALU_DEP_1) | instskip(SKIP_4) | instid1(VALU_DEP_1)
	v_fmac_f64_e32 v[136:137], v[104:105], v[126:127]
	scratch_load_b128 v[102:105], off, off offset:280
	s_wait_dscnt 0x0
	v_fmac_f64_e32 v[136:137], v[106:107], v[128:129]
	s_wait_loadcnt 0x5
	v_fmac_f64_e32 v[136:137], v[108:109], v[130:131]
	ds_load_b128 v[106:109], v2 offset:592
	ds_load_b128 v[124:127], v2 offset:608
	scratch_load_b128 v[128:131], off, off offset:296
	s_wait_dscnt 0x1
	v_fmac_f64_e32 v[136:137], v[110:111], v[106:107]
	s_wait_loadcnt 0x5
	s_delay_alu instid0(VALU_DEP_1) | instskip(SKIP_4) | instid1(VALU_DEP_1)
	v_fmac_f64_e32 v[136:137], v[112:113], v[108:109]
	scratch_load_b128 v[106:109], off, off offset:312
	s_wait_dscnt 0x0
	v_fmac_f64_e32 v[136:137], v[114:115], v[124:125]
	s_wait_loadcnt 0x5
	v_fmac_f64_e32 v[136:137], v[116:117], v[126:127]
	ds_load_b128 v[110:113], v2 offset:624
	ds_load_b128 v[114:117], v2 offset:640
	s_wait_dscnt 0x1
	v_fmac_f64_e32 v[136:137], v[118:119], v[110:111]
	s_wait_loadcnt 0x4
	s_delay_alu instid0(VALU_DEP_1) | instskip(SKIP_4) | instid1(VALU_DEP_1)
	v_fmac_f64_e32 v[136:137], v[120:121], v[112:113]
	scratch_load_b128 v[110:113], off, off offset:328
	s_wait_dscnt 0x0
	v_fmac_f64_e32 v[136:137], v[122:123], v[114:115]
	s_wait_loadcnt 0x4
	v_fmac_f64_e32 v[136:137], v[132:133], v[116:117]
	scratch_load_b128 v[114:117], off, off offset:344
	ds_load_b128 v[118:121], v2 offset:656
	ds_load_b128 v[122:125], v2 offset:672
	scratch_load_b64 v[126:127], off, off offset:376
	s_wait_dscnt 0x1
	v_fmac_f64_e32 v[136:137], v[134:135], v[118:119]
	s_wait_loadcnt 0x5
	s_delay_alu instid0(VALU_DEP_1) | instskip(SKIP_4) | instid1(VALU_DEP_1)
	v_fmac_f64_e32 v[136:137], v[102:103], v[120:121]
	scratch_load_b128 v[118:121], off, off offset:360
	s_wait_dscnt 0x0
	v_fmac_f64_e32 v[136:137], v[104:105], v[122:123]
	s_wait_loadcnt 0x5
	v_fmac_f64_e32 v[136:137], v[128:129], v[124:125]
	ds_load_b128 v[102:105], v2 offset:688
	ds_load_b128 v[122:125], v2 offset:704
	s_wait_dscnt 0x1
	v_fmac_f64_e32 v[136:137], v[130:131], v[102:103]
	s_wait_loadcnt 0x4
	s_delay_alu instid0(VALU_DEP_1) | instskip(SKIP_1) | instid1(VALU_DEP_1)
	v_fmac_f64_e32 v[136:137], v[106:107], v[104:105]
	s_wait_dscnt 0x0
	v_fmac_f64_e32 v[136:137], v[108:109], v[122:123]
	ds_load_b128 v[102:105], v2 offset:720
	ds_load_b128 v[106:109], v2 offset:736
	s_wait_loadcnt 0x3
	v_fmac_f64_e32 v[136:137], v[110:111], v[124:125]
	s_wait_dscnt 0x1
	s_delay_alu instid0(VALU_DEP_1) | instskip(SKIP_1) | instid1(VALU_DEP_1)
	v_fmac_f64_e32 v[136:137], v[112:113], v[102:103]
	s_wait_loadcnt 0x2
	v_fmac_f64_e32 v[136:137], v[114:115], v[104:105]
	ds_load_b128 v[102:105], v2 offset:752
	s_wait_dscnt 0x1
	v_fmac_f64_e32 v[136:137], v[116:117], v[106:107]
	s_wait_loadcnt 0x0
	s_delay_alu instid0(VALU_DEP_1) | instskip(SKIP_1) | instid1(VALU_DEP_1)
	v_fmac_f64_e32 v[136:137], v[118:119], v[108:109]
	s_wait_dscnt 0x0
	v_fmac_f64_e32 v[136:137], v[120:121], v[102:103]
	s_delay_alu instid0(VALU_DEP_1) | instskip(NEXT) | instid1(VALU_DEP_1)
	v_fmac_f64_e32 v[136:137], v[126:127], v[104:105]
	v_add_f64_e64 v[2:3], v[100:101], -v[136:137]
	scratch_store_b64 off, v[2:3], off offset:168
	s_wait_xcnt 0x0
	v_cmpx_lt_u32_e32 20, v0
	s_cbranch_execz .LBB111_257
; %bb.256:
	scratch_load_b64 v[2:3], off, off offset:160
	v_mov_b64_e32 v[100:101], 0
	scratch_store_b64 off, v[100:101], off offset:160
	s_wait_loadcnt 0x0
	ds_store_b64 v1, v[2:3]
.LBB111_257:
	s_wait_xcnt 0x0
	s_or_b32 exec_lo, exec_lo, s0
	s_wait_storecnt_dscnt 0x0
	s_barrier_signal -1
	s_barrier_wait -1
	s_clause 0x5
	scratch_load_b128 v[100:103], off, off offset:160
	scratch_load_b128 v[104:107], off, off offset:176
	;; [unrolled: 1-line block ×6, first 2 shown]
	v_mov_b32_e32 v2, 0
	ds_load_2addr_b64 v[124:127], v2 offset0:69 offset1:70
	ds_load_2addr_b64 v[128:131], v2 offset0:71 offset1:72
	scratch_load_b128 v[132:135], off, off offset:256
	s_mov_b32 s0, exec_lo
	s_wait_loadcnt_dscnt 0x601
	v_fma_f64 v[136:137], v[102:103], v[124:125], 0
	s_wait_loadcnt 0x5
	s_delay_alu instid0(VALU_DEP_1) | instskip(SKIP_4) | instid1(VALU_DEP_1)
	v_fmac_f64_e32 v[136:137], v[104:105], v[126:127]
	scratch_load_b128 v[102:105], off, off offset:272
	s_wait_dscnt 0x0
	v_fmac_f64_e32 v[136:137], v[106:107], v[128:129]
	s_wait_loadcnt 0x5
	v_fmac_f64_e32 v[136:137], v[108:109], v[130:131]
	ds_load_2addr_b64 v[106:109], v2 offset0:73 offset1:74
	ds_load_2addr_b64 v[124:127], v2 offset0:75 offset1:76
	scratch_load_b128 v[128:131], off, off offset:288
	s_wait_dscnt 0x1
	v_fmac_f64_e32 v[136:137], v[110:111], v[106:107]
	s_wait_loadcnt 0x5
	s_delay_alu instid0(VALU_DEP_1) | instskip(SKIP_4) | instid1(VALU_DEP_1)
	v_fmac_f64_e32 v[136:137], v[112:113], v[108:109]
	scratch_load_b128 v[106:109], off, off offset:304
	s_wait_dscnt 0x0
	v_fmac_f64_e32 v[136:137], v[114:115], v[124:125]
	s_wait_loadcnt 0x5
	v_fmac_f64_e32 v[136:137], v[116:117], v[126:127]
	ds_load_2addr_b64 v[110:113], v2 offset0:77 offset1:78
	ds_load_2addr_b64 v[114:117], v2 offset0:79 offset1:80
	s_wait_dscnt 0x1
	v_fmac_f64_e32 v[136:137], v[118:119], v[110:111]
	s_wait_loadcnt 0x4
	s_delay_alu instid0(VALU_DEP_1) | instskip(SKIP_4) | instid1(VALU_DEP_1)
	v_fmac_f64_e32 v[136:137], v[120:121], v[112:113]
	scratch_load_b128 v[110:113], off, off offset:320
	s_wait_dscnt 0x0
	v_fmac_f64_e32 v[136:137], v[122:123], v[114:115]
	s_wait_loadcnt 0x4
	v_fmac_f64_e32 v[136:137], v[132:133], v[116:117]
	scratch_load_b128 v[114:117], off, off offset:336
	ds_load_2addr_b64 v[118:121], v2 offset0:81 offset1:82
	ds_load_2addr_b64 v[122:125], v2 offset0:83 offset1:84
	s_wait_dscnt 0x1
	v_fmac_f64_e32 v[136:137], v[134:135], v[118:119]
	s_wait_loadcnt 0x4
	s_delay_alu instid0(VALU_DEP_1)
	v_fmac_f64_e32 v[136:137], v[102:103], v[120:121]
	scratch_load_b128 v[118:121], off, off offset:352
	s_wait_dscnt 0x0
	v_fmac_f64_e32 v[136:137], v[104:105], v[122:123]
	scratch_load_b128 v[102:105], off, off offset:368
	s_wait_loadcnt 0x5
	v_fmac_f64_e32 v[136:137], v[128:129], v[124:125]
	ds_load_2addr_b64 v[122:125], v2 offset0:85 offset1:86
	ds_load_2addr_b64 v[126:129], v2 offset0:87 offset1:88
	s_wait_dscnt 0x1
	v_fmac_f64_e32 v[136:137], v[130:131], v[122:123]
	s_wait_loadcnt 0x4
	s_delay_alu instid0(VALU_DEP_1) | instskip(SKIP_1) | instid1(VALU_DEP_1)
	v_fmac_f64_e32 v[136:137], v[106:107], v[124:125]
	s_wait_dscnt 0x0
	v_fmac_f64_e32 v[136:137], v[108:109], v[126:127]
	ds_load_2addr_b64 v[106:109], v2 offset0:89 offset1:90
	ds_load_2addr_b64 v[122:125], v2 offset0:91 offset1:92
	s_wait_loadcnt 0x3
	v_fmac_f64_e32 v[136:137], v[110:111], v[128:129]
	s_wait_dscnt 0x1
	s_delay_alu instid0(VALU_DEP_1) | instskip(SKIP_1) | instid1(VALU_DEP_1)
	v_fmac_f64_e32 v[136:137], v[112:113], v[106:107]
	s_wait_loadcnt 0x2
	v_fmac_f64_e32 v[136:137], v[114:115], v[108:109]
	ds_load_2addr_b64 v[106:109], v2 offset0:93 offset1:94
	ds_load_b64 v[110:111], v2 offset:760
	s_wait_dscnt 0x2
	v_fmac_f64_e32 v[136:137], v[116:117], v[122:123]
	s_wait_loadcnt 0x1
	s_delay_alu instid0(VALU_DEP_1) | instskip(SKIP_1) | instid1(VALU_DEP_1)
	v_fmac_f64_e32 v[136:137], v[118:119], v[124:125]
	s_wait_dscnt 0x1
	v_fmac_f64_e32 v[136:137], v[120:121], v[106:107]
	s_wait_loadcnt 0x0
	s_delay_alu instid0(VALU_DEP_1) | instskip(SKIP_1) | instid1(VALU_DEP_1)
	v_fmac_f64_e32 v[136:137], v[102:103], v[108:109]
	s_wait_dscnt 0x0
	v_fmac_f64_e32 v[136:137], v[104:105], v[110:111]
	s_delay_alu instid0(VALU_DEP_1)
	v_add_f64_e64 v[100:101], v[100:101], -v[136:137]
	scratch_store_b64 off, v[100:101], off offset:160
	s_wait_xcnt 0x0
	v_cmpx_lt_u32_e32 19, v0
	s_cbranch_execz .LBB111_259
; %bb.258:
	scratch_load_b64 v[100:101], off, off offset:152
	v_mov_b64_e32 v[102:103], 0
	scratch_store_b64 off, v[102:103], off offset:152
	s_wait_loadcnt 0x0
	ds_store_b64 v1, v[100:101]
.LBB111_259:
	s_wait_xcnt 0x0
	s_or_b32 exec_lo, exec_lo, s0
	s_wait_storecnt_dscnt 0x0
	s_barrier_signal -1
	s_barrier_wait -1
	s_clause 0x5
	scratch_load_b128 v[100:103], off, off offset:152
	scratch_load_b128 v[104:107], off, off offset:168
	;; [unrolled: 1-line block ×6, first 2 shown]
	ds_load_b128 v[124:127], v2 offset:544
	ds_load_b128 v[128:131], v2 offset:560
	scratch_load_b128 v[132:135], off, off offset:248
	s_mov_b32 s0, exec_lo
	s_wait_loadcnt_dscnt 0x601
	v_fma_f64 v[136:137], v[102:103], v[124:125], 0
	s_wait_loadcnt 0x5
	s_delay_alu instid0(VALU_DEP_1) | instskip(SKIP_4) | instid1(VALU_DEP_1)
	v_fmac_f64_e32 v[136:137], v[104:105], v[126:127]
	scratch_load_b128 v[102:105], off, off offset:264
	s_wait_dscnt 0x0
	v_fmac_f64_e32 v[136:137], v[106:107], v[128:129]
	s_wait_loadcnt 0x5
	v_fmac_f64_e32 v[136:137], v[108:109], v[130:131]
	ds_load_b128 v[106:109], v2 offset:576
	ds_load_b128 v[124:127], v2 offset:592
	scratch_load_b128 v[128:131], off, off offset:280
	s_wait_dscnt 0x1
	v_fmac_f64_e32 v[136:137], v[110:111], v[106:107]
	s_wait_loadcnt 0x5
	s_delay_alu instid0(VALU_DEP_1) | instskip(SKIP_4) | instid1(VALU_DEP_1)
	v_fmac_f64_e32 v[136:137], v[112:113], v[108:109]
	scratch_load_b128 v[106:109], off, off offset:296
	s_wait_dscnt 0x0
	v_fmac_f64_e32 v[136:137], v[114:115], v[124:125]
	s_wait_loadcnt 0x5
	v_fmac_f64_e32 v[136:137], v[116:117], v[126:127]
	ds_load_b128 v[110:113], v2 offset:608
	ds_load_b128 v[114:117], v2 offset:624
	s_wait_dscnt 0x1
	v_fmac_f64_e32 v[136:137], v[118:119], v[110:111]
	s_wait_loadcnt 0x4
	s_delay_alu instid0(VALU_DEP_1) | instskip(SKIP_4) | instid1(VALU_DEP_1)
	v_fmac_f64_e32 v[136:137], v[120:121], v[112:113]
	scratch_load_b128 v[110:113], off, off offset:312
	s_wait_dscnt 0x0
	v_fmac_f64_e32 v[136:137], v[122:123], v[114:115]
	s_wait_loadcnt 0x4
	v_fmac_f64_e32 v[136:137], v[132:133], v[116:117]
	scratch_load_b128 v[114:117], off, off offset:328
	ds_load_b128 v[118:121], v2 offset:640
	ds_load_b128 v[122:125], v2 offset:656
	s_wait_dscnt 0x1
	v_fmac_f64_e32 v[136:137], v[134:135], v[118:119]
	s_wait_loadcnt 0x4
	s_delay_alu instid0(VALU_DEP_1)
	v_fmac_f64_e32 v[136:137], v[102:103], v[120:121]
	scratch_load_b128 v[118:121], off, off offset:344
	s_wait_dscnt 0x0
	v_fmac_f64_e32 v[136:137], v[104:105], v[122:123]
	scratch_load_b128 v[102:105], off, off offset:360
	s_wait_loadcnt 0x5
	v_fmac_f64_e32 v[136:137], v[128:129], v[124:125]
	ds_load_b128 v[122:125], v2 offset:672
	ds_load_b128 v[126:129], v2 offset:688
	s_wait_dscnt 0x1
	v_fmac_f64_e32 v[136:137], v[130:131], v[122:123]
	scratch_load_b64 v[130:131], off, off offset:376
	s_wait_loadcnt 0x5
	v_fmac_f64_e32 v[136:137], v[106:107], v[124:125]
	s_wait_dscnt 0x0
	s_delay_alu instid0(VALU_DEP_1)
	v_fmac_f64_e32 v[136:137], v[108:109], v[126:127]
	ds_load_b128 v[106:109], v2 offset:704
	ds_load_b128 v[122:125], v2 offset:720
	s_wait_loadcnt 0x4
	v_fmac_f64_e32 v[136:137], v[110:111], v[128:129]
	s_wait_dscnt 0x1
	s_delay_alu instid0(VALU_DEP_1) | instskip(SKIP_1) | instid1(VALU_DEP_1)
	v_fmac_f64_e32 v[136:137], v[112:113], v[106:107]
	s_wait_loadcnt 0x3
	v_fmac_f64_e32 v[136:137], v[114:115], v[108:109]
	ds_load_b128 v[106:109], v2 offset:736
	ds_load_b128 v[110:113], v2 offset:752
	s_wait_dscnt 0x2
	v_fmac_f64_e32 v[136:137], v[116:117], v[122:123]
	s_wait_loadcnt 0x2
	s_delay_alu instid0(VALU_DEP_1) | instskip(SKIP_1) | instid1(VALU_DEP_1)
	v_fmac_f64_e32 v[136:137], v[118:119], v[124:125]
	s_wait_dscnt 0x1
	v_fmac_f64_e32 v[136:137], v[120:121], v[106:107]
	s_wait_loadcnt 0x1
	s_delay_alu instid0(VALU_DEP_1) | instskip(SKIP_1) | instid1(VALU_DEP_1)
	v_fmac_f64_e32 v[136:137], v[102:103], v[108:109]
	s_wait_dscnt 0x0
	v_fmac_f64_e32 v[136:137], v[104:105], v[110:111]
	s_wait_loadcnt 0x0
	s_delay_alu instid0(VALU_DEP_1) | instskip(NEXT) | instid1(VALU_DEP_1)
	v_fmac_f64_e32 v[136:137], v[130:131], v[112:113]
	v_add_f64_e64 v[2:3], v[100:101], -v[136:137]
	scratch_store_b64 off, v[2:3], off offset:152
	s_wait_xcnt 0x0
	v_cmpx_lt_u32_e32 18, v0
	s_cbranch_execz .LBB111_261
; %bb.260:
	scratch_load_b64 v[2:3], off, off offset:144
	v_mov_b64_e32 v[100:101], 0
	scratch_store_b64 off, v[100:101], off offset:144
	s_wait_loadcnt 0x0
	ds_store_b64 v1, v[2:3]
.LBB111_261:
	s_wait_xcnt 0x0
	s_or_b32 exec_lo, exec_lo, s0
	s_wait_storecnt_dscnt 0x0
	s_barrier_signal -1
	s_barrier_wait -1
	s_clause 0x5
	scratch_load_b128 v[100:103], off, off offset:144
	scratch_load_b128 v[104:107], off, off offset:160
	;; [unrolled: 1-line block ×6, first 2 shown]
	v_mov_b32_e32 v2, 0
	ds_load_2addr_b64 v[124:127], v2 offset0:67 offset1:68
	ds_load_2addr_b64 v[128:131], v2 offset0:69 offset1:70
	scratch_load_b128 v[132:135], off, off offset:240
	s_mov_b32 s0, exec_lo
	s_wait_loadcnt_dscnt 0x601
	v_fma_f64 v[136:137], v[102:103], v[124:125], 0
	s_wait_loadcnt 0x5
	s_delay_alu instid0(VALU_DEP_1) | instskip(SKIP_4) | instid1(VALU_DEP_1)
	v_fmac_f64_e32 v[136:137], v[104:105], v[126:127]
	scratch_load_b128 v[102:105], off, off offset:256
	s_wait_dscnt 0x0
	v_fmac_f64_e32 v[136:137], v[106:107], v[128:129]
	s_wait_loadcnt 0x5
	v_fmac_f64_e32 v[136:137], v[108:109], v[130:131]
	ds_load_2addr_b64 v[106:109], v2 offset0:71 offset1:72
	ds_load_2addr_b64 v[124:127], v2 offset0:73 offset1:74
	scratch_load_b128 v[128:131], off, off offset:272
	s_wait_dscnt 0x1
	v_fmac_f64_e32 v[136:137], v[110:111], v[106:107]
	s_wait_loadcnt 0x5
	s_delay_alu instid0(VALU_DEP_1) | instskip(SKIP_4) | instid1(VALU_DEP_1)
	v_fmac_f64_e32 v[136:137], v[112:113], v[108:109]
	scratch_load_b128 v[106:109], off, off offset:288
	s_wait_dscnt 0x0
	v_fmac_f64_e32 v[136:137], v[114:115], v[124:125]
	s_wait_loadcnt 0x5
	v_fmac_f64_e32 v[136:137], v[116:117], v[126:127]
	ds_load_2addr_b64 v[110:113], v2 offset0:75 offset1:76
	ds_load_2addr_b64 v[114:117], v2 offset0:77 offset1:78
	s_wait_dscnt 0x1
	v_fmac_f64_e32 v[136:137], v[118:119], v[110:111]
	s_wait_loadcnt 0x4
	s_delay_alu instid0(VALU_DEP_1) | instskip(SKIP_4) | instid1(VALU_DEP_1)
	v_fmac_f64_e32 v[136:137], v[120:121], v[112:113]
	scratch_load_b128 v[110:113], off, off offset:304
	s_wait_dscnt 0x0
	v_fmac_f64_e32 v[136:137], v[122:123], v[114:115]
	s_wait_loadcnt 0x4
	v_fmac_f64_e32 v[136:137], v[132:133], v[116:117]
	scratch_load_b128 v[114:117], off, off offset:320
	ds_load_2addr_b64 v[118:121], v2 offset0:79 offset1:80
	ds_load_2addr_b64 v[122:125], v2 offset0:81 offset1:82
	s_wait_dscnt 0x1
	v_fmac_f64_e32 v[136:137], v[134:135], v[118:119]
	s_wait_loadcnt 0x4
	s_delay_alu instid0(VALU_DEP_1)
	v_fmac_f64_e32 v[136:137], v[102:103], v[120:121]
	scratch_load_b128 v[118:121], off, off offset:336
	s_wait_dscnt 0x0
	v_fmac_f64_e32 v[136:137], v[104:105], v[122:123]
	scratch_load_b128 v[102:105], off, off offset:352
	s_wait_loadcnt 0x5
	v_fmac_f64_e32 v[136:137], v[128:129], v[124:125]
	ds_load_2addr_b64 v[122:125], v2 offset0:83 offset1:84
	ds_load_2addr_b64 v[126:129], v2 offset0:85 offset1:86
	s_wait_dscnt 0x1
	v_fmac_f64_e32 v[136:137], v[130:131], v[122:123]
	s_wait_loadcnt 0x4
	s_delay_alu instid0(VALU_DEP_1) | instskip(SKIP_4) | instid1(VALU_DEP_1)
	v_fmac_f64_e32 v[136:137], v[106:107], v[124:125]
	scratch_load_b128 v[122:125], off, off offset:368
	s_wait_dscnt 0x0
	v_fmac_f64_e32 v[136:137], v[108:109], v[126:127]
	s_wait_loadcnt 0x4
	v_fmac_f64_e32 v[136:137], v[110:111], v[128:129]
	ds_load_2addr_b64 v[106:109], v2 offset0:87 offset1:88
	ds_load_2addr_b64 v[126:129], v2 offset0:89 offset1:90
	s_wait_dscnt 0x1
	v_fmac_f64_e32 v[136:137], v[112:113], v[106:107]
	s_wait_loadcnt 0x3
	s_delay_alu instid0(VALU_DEP_1)
	v_fmac_f64_e32 v[136:137], v[114:115], v[108:109]
	ds_load_2addr_b64 v[106:109], v2 offset0:91 offset1:92
	ds_load_2addr_b64 v[110:113], v2 offset0:93 offset1:94
	s_wait_dscnt 0x2
	v_fmac_f64_e32 v[136:137], v[116:117], v[126:127]
	s_wait_loadcnt 0x2
	s_delay_alu instid0(VALU_DEP_1) | instskip(SKIP_1) | instid1(VALU_DEP_1)
	v_fmac_f64_e32 v[136:137], v[118:119], v[128:129]
	s_wait_dscnt 0x1
	v_fmac_f64_e32 v[136:137], v[120:121], v[106:107]
	s_wait_loadcnt 0x1
	s_delay_alu instid0(VALU_DEP_1) | instskip(SKIP_4) | instid1(VALU_DEP_1)
	v_fmac_f64_e32 v[136:137], v[102:103], v[108:109]
	ds_load_b64 v[102:103], v2 offset:760
	s_wait_dscnt 0x1
	v_fmac_f64_e32 v[136:137], v[104:105], v[110:111]
	s_wait_loadcnt 0x0
	v_fmac_f64_e32 v[136:137], v[122:123], v[112:113]
	s_wait_dscnt 0x0
	s_delay_alu instid0(VALU_DEP_1) | instskip(NEXT) | instid1(VALU_DEP_1)
	v_fmac_f64_e32 v[136:137], v[124:125], v[102:103]
	v_add_f64_e64 v[100:101], v[100:101], -v[136:137]
	scratch_store_b64 off, v[100:101], off offset:144
	s_wait_xcnt 0x0
	v_cmpx_lt_u32_e32 17, v0
	s_cbranch_execz .LBB111_263
; %bb.262:
	scratch_load_b64 v[100:101], off, off offset:136
	v_mov_b64_e32 v[102:103], 0
	scratch_store_b64 off, v[102:103], off offset:136
	s_wait_loadcnt 0x0
	ds_store_b64 v1, v[100:101]
.LBB111_263:
	s_wait_xcnt 0x0
	s_or_b32 exec_lo, exec_lo, s0
	s_wait_storecnt_dscnt 0x0
	s_barrier_signal -1
	s_barrier_wait -1
	s_clause 0x5
	scratch_load_b128 v[100:103], off, off offset:136
	scratch_load_b128 v[104:107], off, off offset:152
	;; [unrolled: 1-line block ×6, first 2 shown]
	ds_load_b128 v[124:127], v2 offset:528
	ds_load_b128 v[128:131], v2 offset:544
	scratch_load_b128 v[132:135], off, off offset:232
	s_mov_b32 s0, exec_lo
	s_wait_loadcnt_dscnt 0x601
	v_fma_f64 v[136:137], v[102:103], v[124:125], 0
	s_wait_loadcnt 0x5
	s_delay_alu instid0(VALU_DEP_1) | instskip(SKIP_4) | instid1(VALU_DEP_1)
	v_fmac_f64_e32 v[136:137], v[104:105], v[126:127]
	scratch_load_b128 v[102:105], off, off offset:248
	s_wait_dscnt 0x0
	v_fmac_f64_e32 v[136:137], v[106:107], v[128:129]
	s_wait_loadcnt 0x5
	v_fmac_f64_e32 v[136:137], v[108:109], v[130:131]
	ds_load_b128 v[106:109], v2 offset:560
	ds_load_b128 v[124:127], v2 offset:576
	scratch_load_b128 v[128:131], off, off offset:264
	s_wait_dscnt 0x1
	v_fmac_f64_e32 v[136:137], v[110:111], v[106:107]
	s_wait_loadcnt 0x5
	s_delay_alu instid0(VALU_DEP_1) | instskip(SKIP_4) | instid1(VALU_DEP_1)
	v_fmac_f64_e32 v[136:137], v[112:113], v[108:109]
	scratch_load_b128 v[106:109], off, off offset:280
	s_wait_dscnt 0x0
	v_fmac_f64_e32 v[136:137], v[114:115], v[124:125]
	s_wait_loadcnt 0x5
	v_fmac_f64_e32 v[136:137], v[116:117], v[126:127]
	ds_load_b128 v[110:113], v2 offset:592
	ds_load_b128 v[114:117], v2 offset:608
	scratch_load_b128 v[124:127], off, off offset:296
	s_wait_dscnt 0x1
	v_fmac_f64_e32 v[136:137], v[118:119], v[110:111]
	s_wait_loadcnt 0x5
	s_delay_alu instid0(VALU_DEP_1) | instskip(SKIP_4) | instid1(VALU_DEP_1)
	v_fmac_f64_e32 v[136:137], v[120:121], v[112:113]
	scratch_load_b128 v[110:113], off, off offset:312
	s_wait_dscnt 0x0
	v_fmac_f64_e32 v[136:137], v[122:123], v[114:115]
	s_wait_loadcnt 0x5
	v_fmac_f64_e32 v[136:137], v[132:133], v[116:117]
	ds_load_b128 v[114:117], v2 offset:624
	ds_load_b128 v[118:121], v2 offset:640
	s_wait_dscnt 0x1
	v_fmac_f64_e32 v[136:137], v[134:135], v[114:115]
	s_wait_loadcnt 0x4
	s_delay_alu instid0(VALU_DEP_1)
	v_fmac_f64_e32 v[136:137], v[102:103], v[116:117]
	scratch_load_b128 v[114:117], off, off offset:328
	s_wait_dscnt 0x0
	v_fmac_f64_e32 v[136:137], v[104:105], v[118:119]
	scratch_load_b128 v[102:105], off, off offset:344
	s_wait_loadcnt 0x5
	v_fmac_f64_e32 v[136:137], v[128:129], v[120:121]
	ds_load_b128 v[118:121], v2 offset:656
	ds_load_b128 v[132:135], v2 offset:672
	scratch_load_b64 v[128:129], off, off offset:376
	s_wait_dscnt 0x1
	v_fmac_f64_e32 v[136:137], v[130:131], v[118:119]
	s_wait_loadcnt 0x5
	s_delay_alu instid0(VALU_DEP_1) | instskip(SKIP_4) | instid1(VALU_DEP_1)
	v_fmac_f64_e32 v[136:137], v[106:107], v[120:121]
	scratch_load_b128 v[118:121], off, off offset:360
	s_wait_dscnt 0x0
	v_fmac_f64_e32 v[136:137], v[108:109], v[132:133]
	s_wait_loadcnt 0x5
	v_fmac_f64_e32 v[136:137], v[124:125], v[134:135]
	ds_load_b128 v[106:109], v2 offset:688
	ds_load_b128 v[122:125], v2 offset:704
	s_wait_dscnt 0x1
	v_fmac_f64_e32 v[136:137], v[126:127], v[106:107]
	s_wait_loadcnt 0x4
	s_delay_alu instid0(VALU_DEP_1) | instskip(SKIP_1) | instid1(VALU_DEP_1)
	v_fmac_f64_e32 v[136:137], v[110:111], v[108:109]
	s_wait_dscnt 0x0
	v_fmac_f64_e32 v[136:137], v[112:113], v[122:123]
	ds_load_b128 v[106:109], v2 offset:720
	ds_load_b128 v[110:113], v2 offset:736
	s_wait_loadcnt 0x3
	v_fmac_f64_e32 v[136:137], v[114:115], v[124:125]
	s_wait_dscnt 0x1
	s_delay_alu instid0(VALU_DEP_1) | instskip(SKIP_1) | instid1(VALU_DEP_1)
	v_fmac_f64_e32 v[136:137], v[116:117], v[106:107]
	s_wait_loadcnt 0x2
	v_fmac_f64_e32 v[136:137], v[102:103], v[108:109]
	s_wait_dscnt 0x0
	s_delay_alu instid0(VALU_DEP_1) | instskip(SKIP_4) | instid1(VALU_DEP_1)
	v_fmac_f64_e32 v[136:137], v[104:105], v[110:111]
	ds_load_b128 v[102:105], v2 offset:752
	s_wait_loadcnt 0x0
	v_fmac_f64_e32 v[136:137], v[118:119], v[112:113]
	s_wait_dscnt 0x0
	v_fmac_f64_e32 v[136:137], v[120:121], v[102:103]
	s_delay_alu instid0(VALU_DEP_1) | instskip(NEXT) | instid1(VALU_DEP_1)
	v_fmac_f64_e32 v[136:137], v[128:129], v[104:105]
	v_add_f64_e64 v[2:3], v[100:101], -v[136:137]
	scratch_store_b64 off, v[2:3], off offset:136
	s_wait_xcnt 0x0
	v_cmpx_lt_u32_e32 16, v0
	s_cbranch_execz .LBB111_265
; %bb.264:
	scratch_load_b64 v[2:3], off, off offset:128
	v_mov_b64_e32 v[100:101], 0
	scratch_store_b64 off, v[100:101], off offset:128
	s_wait_loadcnt 0x0
	ds_store_b64 v1, v[2:3]
.LBB111_265:
	s_wait_xcnt 0x0
	s_or_b32 exec_lo, exec_lo, s0
	s_wait_storecnt_dscnt 0x0
	s_barrier_signal -1
	s_barrier_wait -1
	s_clause 0x5
	scratch_load_b128 v[100:103], off, off offset:128
	scratch_load_b128 v[104:107], off, off offset:144
	;; [unrolled: 1-line block ×6, first 2 shown]
	v_mov_b32_e32 v2, 0
	ds_load_2addr_b64 v[124:127], v2 offset0:65 offset1:66
	ds_load_2addr_b64 v[128:131], v2 offset0:67 offset1:68
	scratch_load_b128 v[132:135], off, off offset:224
	s_mov_b32 s0, exec_lo
	s_wait_loadcnt_dscnt 0x601
	v_fma_f64 v[136:137], v[102:103], v[124:125], 0
	s_wait_loadcnt 0x5
	s_delay_alu instid0(VALU_DEP_1) | instskip(SKIP_4) | instid1(VALU_DEP_1)
	v_fmac_f64_e32 v[136:137], v[104:105], v[126:127]
	scratch_load_b128 v[102:105], off, off offset:240
	s_wait_dscnt 0x0
	v_fmac_f64_e32 v[136:137], v[106:107], v[128:129]
	s_wait_loadcnt 0x5
	v_fmac_f64_e32 v[136:137], v[108:109], v[130:131]
	ds_load_2addr_b64 v[106:109], v2 offset0:69 offset1:70
	ds_load_2addr_b64 v[124:127], v2 offset0:71 offset1:72
	scratch_load_b128 v[128:131], off, off offset:256
	s_wait_dscnt 0x1
	v_fmac_f64_e32 v[136:137], v[110:111], v[106:107]
	s_wait_loadcnt 0x5
	s_delay_alu instid0(VALU_DEP_1) | instskip(SKIP_4) | instid1(VALU_DEP_1)
	v_fmac_f64_e32 v[136:137], v[112:113], v[108:109]
	scratch_load_b128 v[106:109], off, off offset:272
	s_wait_dscnt 0x0
	v_fmac_f64_e32 v[136:137], v[114:115], v[124:125]
	s_wait_loadcnt 0x5
	v_fmac_f64_e32 v[136:137], v[116:117], v[126:127]
	ds_load_2addr_b64 v[110:113], v2 offset0:73 offset1:74
	ds_load_2addr_b64 v[114:117], v2 offset0:75 offset1:76
	scratch_load_b128 v[124:127], off, off offset:288
	s_wait_dscnt 0x1
	v_fmac_f64_e32 v[136:137], v[118:119], v[110:111]
	s_wait_loadcnt 0x5
	s_delay_alu instid0(VALU_DEP_1) | instskip(SKIP_4) | instid1(VALU_DEP_1)
	v_fmac_f64_e32 v[136:137], v[120:121], v[112:113]
	scratch_load_b128 v[110:113], off, off offset:304
	s_wait_dscnt 0x0
	v_fmac_f64_e32 v[136:137], v[122:123], v[114:115]
	s_wait_loadcnt 0x5
	v_fmac_f64_e32 v[136:137], v[132:133], v[116:117]
	ds_load_2addr_b64 v[114:117], v2 offset0:77 offset1:78
	ds_load_2addr_b64 v[118:121], v2 offset0:79 offset1:80
	s_wait_dscnt 0x1
	v_fmac_f64_e32 v[136:137], v[134:135], v[114:115]
	s_wait_loadcnt 0x4
	s_delay_alu instid0(VALU_DEP_1)
	v_fmac_f64_e32 v[136:137], v[102:103], v[116:117]
	scratch_load_b128 v[114:117], off, off offset:320
	s_wait_dscnt 0x0
	v_fmac_f64_e32 v[136:137], v[104:105], v[118:119]
	scratch_load_b128 v[102:105], off, off offset:336
	s_wait_loadcnt 0x5
	v_fmac_f64_e32 v[136:137], v[128:129], v[120:121]
	ds_load_2addr_b64 v[118:121], v2 offset0:81 offset1:82
	ds_load_2addr_b64 v[132:135], v2 offset0:83 offset1:84
	s_wait_dscnt 0x1
	v_fmac_f64_e32 v[136:137], v[130:131], v[118:119]
	s_wait_loadcnt 0x4
	s_delay_alu instid0(VALU_DEP_1)
	v_fmac_f64_e32 v[136:137], v[106:107], v[120:121]
	scratch_load_b128 v[118:121], off, off offset:352
	s_wait_dscnt 0x0
	v_fmac_f64_e32 v[136:137], v[108:109], v[132:133]
	scratch_load_b128 v[106:109], off, off offset:368
	s_wait_loadcnt 0x5
	v_fmac_f64_e32 v[136:137], v[124:125], v[134:135]
	ds_load_2addr_b64 v[122:125], v2 offset0:85 offset1:86
	ds_load_2addr_b64 v[128:131], v2 offset0:87 offset1:88
	s_wait_dscnt 0x1
	v_fmac_f64_e32 v[136:137], v[126:127], v[122:123]
	s_wait_loadcnt 0x4
	s_delay_alu instid0(VALU_DEP_1) | instskip(SKIP_1) | instid1(VALU_DEP_1)
	v_fmac_f64_e32 v[136:137], v[110:111], v[124:125]
	s_wait_dscnt 0x0
	v_fmac_f64_e32 v[136:137], v[112:113], v[128:129]
	ds_load_2addr_b64 v[110:113], v2 offset0:89 offset1:90
	ds_load_2addr_b64 v[122:125], v2 offset0:91 offset1:92
	s_wait_loadcnt 0x3
	v_fmac_f64_e32 v[136:137], v[114:115], v[130:131]
	s_wait_dscnt 0x1
	s_delay_alu instid0(VALU_DEP_1) | instskip(SKIP_1) | instid1(VALU_DEP_1)
	v_fmac_f64_e32 v[136:137], v[116:117], v[110:111]
	s_wait_loadcnt 0x2
	v_fmac_f64_e32 v[136:137], v[102:103], v[112:113]
	s_wait_dscnt 0x0
	s_delay_alu instid0(VALU_DEP_1)
	v_fmac_f64_e32 v[136:137], v[104:105], v[122:123]
	ds_load_2addr_b64 v[102:105], v2 offset0:93 offset1:94
	ds_load_b64 v[110:111], v2 offset:760
	s_wait_loadcnt 0x1
	v_fmac_f64_e32 v[136:137], v[118:119], v[124:125]
	s_wait_dscnt 0x1
	s_delay_alu instid0(VALU_DEP_1) | instskip(SKIP_1) | instid1(VALU_DEP_1)
	v_fmac_f64_e32 v[136:137], v[120:121], v[102:103]
	s_wait_loadcnt 0x0
	v_fmac_f64_e32 v[136:137], v[106:107], v[104:105]
	s_wait_dscnt 0x0
	s_delay_alu instid0(VALU_DEP_1) | instskip(NEXT) | instid1(VALU_DEP_1)
	v_fmac_f64_e32 v[136:137], v[108:109], v[110:111]
	v_add_f64_e64 v[100:101], v[100:101], -v[136:137]
	scratch_store_b64 off, v[100:101], off offset:128
	s_wait_xcnt 0x0
	v_cmpx_lt_u32_e32 15, v0
	s_cbranch_execz .LBB111_267
; %bb.266:
	scratch_load_b64 v[100:101], off, off offset:120
	v_mov_b64_e32 v[102:103], 0
	scratch_store_b64 off, v[102:103], off offset:120
	s_wait_loadcnt 0x0
	ds_store_b64 v1, v[100:101]
.LBB111_267:
	s_wait_xcnt 0x0
	s_or_b32 exec_lo, exec_lo, s0
	s_wait_storecnt_dscnt 0x0
	s_barrier_signal -1
	s_barrier_wait -1
	s_clause 0x5
	scratch_load_b128 v[100:103], off, off offset:120
	scratch_load_b128 v[104:107], off, off offset:136
	;; [unrolled: 1-line block ×6, first 2 shown]
	ds_load_b128 v[124:127], v2 offset:512
	ds_load_b128 v[128:131], v2 offset:528
	scratch_load_b128 v[132:135], off, off offset:216
	s_mov_b32 s0, exec_lo
	s_wait_loadcnt_dscnt 0x601
	v_fma_f64 v[136:137], v[102:103], v[124:125], 0
	s_wait_loadcnt 0x5
	s_delay_alu instid0(VALU_DEP_1) | instskip(SKIP_4) | instid1(VALU_DEP_1)
	v_fmac_f64_e32 v[136:137], v[104:105], v[126:127]
	scratch_load_b128 v[102:105], off, off offset:232
	s_wait_dscnt 0x0
	v_fmac_f64_e32 v[136:137], v[106:107], v[128:129]
	s_wait_loadcnt 0x5
	v_fmac_f64_e32 v[136:137], v[108:109], v[130:131]
	ds_load_b128 v[106:109], v2 offset:544
	ds_load_b128 v[124:127], v2 offset:560
	scratch_load_b128 v[128:131], off, off offset:248
	s_wait_dscnt 0x1
	v_fmac_f64_e32 v[136:137], v[110:111], v[106:107]
	s_wait_loadcnt 0x5
	s_delay_alu instid0(VALU_DEP_1) | instskip(SKIP_4) | instid1(VALU_DEP_1)
	v_fmac_f64_e32 v[136:137], v[112:113], v[108:109]
	scratch_load_b128 v[106:109], off, off offset:264
	s_wait_dscnt 0x0
	v_fmac_f64_e32 v[136:137], v[114:115], v[124:125]
	s_wait_loadcnt 0x5
	v_fmac_f64_e32 v[136:137], v[116:117], v[126:127]
	ds_load_b128 v[110:113], v2 offset:576
	ds_load_b128 v[114:117], v2 offset:592
	scratch_load_b128 v[124:127], off, off offset:280
	s_wait_dscnt 0x1
	v_fmac_f64_e32 v[136:137], v[118:119], v[110:111]
	s_wait_loadcnt 0x5
	s_delay_alu instid0(VALU_DEP_1) | instskip(SKIP_4) | instid1(VALU_DEP_1)
	v_fmac_f64_e32 v[136:137], v[120:121], v[112:113]
	scratch_load_b128 v[110:113], off, off offset:296
	s_wait_dscnt 0x0
	v_fmac_f64_e32 v[136:137], v[122:123], v[114:115]
	s_wait_loadcnt 0x5
	v_fmac_f64_e32 v[136:137], v[132:133], v[116:117]
	ds_load_b128 v[114:117], v2 offset:608
	ds_load_b128 v[118:121], v2 offset:624
	s_wait_dscnt 0x1
	v_fmac_f64_e32 v[136:137], v[134:135], v[114:115]
	s_wait_loadcnt 0x4
	s_delay_alu instid0(VALU_DEP_1)
	v_fmac_f64_e32 v[136:137], v[102:103], v[116:117]
	scratch_load_b128 v[114:117], off, off offset:312
	s_wait_dscnt 0x0
	v_fmac_f64_e32 v[136:137], v[104:105], v[118:119]
	scratch_load_b128 v[102:105], off, off offset:328
	s_wait_loadcnt 0x5
	v_fmac_f64_e32 v[136:137], v[128:129], v[120:121]
	ds_load_b128 v[118:121], v2 offset:640
	ds_load_b128 v[132:135], v2 offset:656
	s_wait_dscnt 0x1
	v_fmac_f64_e32 v[136:137], v[130:131], v[118:119]
	s_wait_loadcnt 0x4
	s_delay_alu instid0(VALU_DEP_1)
	v_fmac_f64_e32 v[136:137], v[106:107], v[120:121]
	scratch_load_b128 v[118:121], off, off offset:344
	s_wait_dscnt 0x0
	v_fmac_f64_e32 v[136:137], v[108:109], v[132:133]
	scratch_load_b128 v[106:109], off, off offset:360
	s_wait_loadcnt 0x5
	v_fmac_f64_e32 v[136:137], v[124:125], v[134:135]
	ds_load_b128 v[122:125], v2 offset:672
	ds_load_b128 v[128:131], v2 offset:688
	s_wait_dscnt 0x1
	v_fmac_f64_e32 v[136:137], v[126:127], v[122:123]
	scratch_load_b64 v[126:127], off, off offset:376
	s_wait_loadcnt 0x5
	v_fmac_f64_e32 v[136:137], v[110:111], v[124:125]
	s_wait_dscnt 0x0
	s_delay_alu instid0(VALU_DEP_1)
	v_fmac_f64_e32 v[136:137], v[112:113], v[128:129]
	ds_load_b128 v[110:113], v2 offset:704
	ds_load_b128 v[122:125], v2 offset:720
	s_wait_loadcnt 0x4
	v_fmac_f64_e32 v[136:137], v[114:115], v[130:131]
	s_wait_dscnt 0x1
	s_delay_alu instid0(VALU_DEP_1) | instskip(SKIP_1) | instid1(VALU_DEP_1)
	v_fmac_f64_e32 v[136:137], v[116:117], v[110:111]
	s_wait_loadcnt 0x3
	v_fmac_f64_e32 v[136:137], v[102:103], v[112:113]
	s_wait_dscnt 0x0
	s_delay_alu instid0(VALU_DEP_1)
	v_fmac_f64_e32 v[136:137], v[104:105], v[122:123]
	ds_load_b128 v[102:105], v2 offset:736
	ds_load_b128 v[110:113], v2 offset:752
	s_wait_loadcnt 0x2
	v_fmac_f64_e32 v[136:137], v[118:119], v[124:125]
	s_wait_dscnt 0x1
	s_delay_alu instid0(VALU_DEP_1) | instskip(SKIP_1) | instid1(VALU_DEP_1)
	v_fmac_f64_e32 v[136:137], v[120:121], v[102:103]
	s_wait_loadcnt 0x1
	v_fmac_f64_e32 v[136:137], v[106:107], v[104:105]
	s_wait_dscnt 0x0
	s_delay_alu instid0(VALU_DEP_1) | instskip(SKIP_1) | instid1(VALU_DEP_1)
	v_fmac_f64_e32 v[136:137], v[108:109], v[110:111]
	s_wait_loadcnt 0x0
	v_fmac_f64_e32 v[136:137], v[126:127], v[112:113]
	s_delay_alu instid0(VALU_DEP_1)
	v_add_f64_e64 v[2:3], v[100:101], -v[136:137]
	scratch_store_b64 off, v[2:3], off offset:120
	s_wait_xcnt 0x0
	v_cmpx_lt_u32_e32 14, v0
	s_cbranch_execz .LBB111_269
; %bb.268:
	scratch_load_b64 v[2:3], off, off offset:112
	v_mov_b64_e32 v[100:101], 0
	scratch_store_b64 off, v[100:101], off offset:112
	s_wait_loadcnt 0x0
	ds_store_b64 v1, v[2:3]
.LBB111_269:
	s_wait_xcnt 0x0
	s_or_b32 exec_lo, exec_lo, s0
	s_wait_storecnt_dscnt 0x0
	s_barrier_signal -1
	s_barrier_wait -1
	s_clause 0x5
	scratch_load_b128 v[100:103], off, off offset:112
	scratch_load_b128 v[104:107], off, off offset:128
	;; [unrolled: 1-line block ×6, first 2 shown]
	v_mov_b32_e32 v2, 0
	ds_load_2addr_b64 v[124:127], v2 offset0:63 offset1:64
	ds_load_2addr_b64 v[128:131], v2 offset0:65 offset1:66
	scratch_load_b128 v[132:135], off, off offset:208
	s_mov_b32 s0, exec_lo
	s_wait_loadcnt_dscnt 0x601
	v_fma_f64 v[136:137], v[102:103], v[124:125], 0
	s_wait_loadcnt 0x5
	s_delay_alu instid0(VALU_DEP_1) | instskip(SKIP_4) | instid1(VALU_DEP_1)
	v_fmac_f64_e32 v[136:137], v[104:105], v[126:127]
	scratch_load_b128 v[102:105], off, off offset:224
	s_wait_dscnt 0x0
	v_fmac_f64_e32 v[136:137], v[106:107], v[128:129]
	s_wait_loadcnt 0x5
	v_fmac_f64_e32 v[136:137], v[108:109], v[130:131]
	ds_load_2addr_b64 v[106:109], v2 offset0:67 offset1:68
	ds_load_2addr_b64 v[124:127], v2 offset0:69 offset1:70
	scratch_load_b128 v[128:131], off, off offset:240
	s_wait_dscnt 0x1
	v_fmac_f64_e32 v[136:137], v[110:111], v[106:107]
	s_wait_loadcnt 0x5
	s_delay_alu instid0(VALU_DEP_1) | instskip(SKIP_4) | instid1(VALU_DEP_1)
	v_fmac_f64_e32 v[136:137], v[112:113], v[108:109]
	scratch_load_b128 v[106:109], off, off offset:256
	s_wait_dscnt 0x0
	v_fmac_f64_e32 v[136:137], v[114:115], v[124:125]
	s_wait_loadcnt 0x5
	v_fmac_f64_e32 v[136:137], v[116:117], v[126:127]
	ds_load_2addr_b64 v[110:113], v2 offset0:71 offset1:72
	ds_load_2addr_b64 v[114:117], v2 offset0:73 offset1:74
	scratch_load_b128 v[124:127], off, off offset:272
	s_wait_dscnt 0x1
	v_fmac_f64_e32 v[136:137], v[118:119], v[110:111]
	s_wait_loadcnt 0x5
	s_delay_alu instid0(VALU_DEP_1) | instskip(SKIP_4) | instid1(VALU_DEP_1)
	v_fmac_f64_e32 v[136:137], v[120:121], v[112:113]
	scratch_load_b128 v[110:113], off, off offset:288
	s_wait_dscnt 0x0
	v_fmac_f64_e32 v[136:137], v[122:123], v[114:115]
	s_wait_loadcnt 0x5
	v_fmac_f64_e32 v[136:137], v[132:133], v[116:117]
	ds_load_2addr_b64 v[114:117], v2 offset0:75 offset1:76
	ds_load_2addr_b64 v[118:121], v2 offset0:77 offset1:78
	s_wait_dscnt 0x1
	v_fmac_f64_e32 v[136:137], v[134:135], v[114:115]
	s_wait_loadcnt 0x4
	s_delay_alu instid0(VALU_DEP_1)
	v_fmac_f64_e32 v[136:137], v[102:103], v[116:117]
	scratch_load_b128 v[114:117], off, off offset:304
	s_wait_dscnt 0x0
	v_fmac_f64_e32 v[136:137], v[104:105], v[118:119]
	scratch_load_b128 v[102:105], off, off offset:320
	s_wait_loadcnt 0x5
	v_fmac_f64_e32 v[136:137], v[128:129], v[120:121]
	ds_load_2addr_b64 v[118:121], v2 offset0:79 offset1:80
	ds_load_2addr_b64 v[132:135], v2 offset0:81 offset1:82
	s_wait_dscnt 0x1
	v_fmac_f64_e32 v[136:137], v[130:131], v[118:119]
	s_wait_loadcnt 0x4
	s_delay_alu instid0(VALU_DEP_1)
	v_fmac_f64_e32 v[136:137], v[106:107], v[120:121]
	scratch_load_b128 v[118:121], off, off offset:336
	s_wait_dscnt 0x0
	v_fmac_f64_e32 v[136:137], v[108:109], v[132:133]
	scratch_load_b128 v[106:109], off, off offset:352
	s_wait_loadcnt 0x5
	v_fmac_f64_e32 v[136:137], v[124:125], v[134:135]
	ds_load_2addr_b64 v[122:125], v2 offset0:83 offset1:84
	ds_load_2addr_b64 v[128:131], v2 offset0:85 offset1:86
	s_wait_dscnt 0x1
	v_fmac_f64_e32 v[136:137], v[126:127], v[122:123]
	s_wait_loadcnt 0x4
	s_delay_alu instid0(VALU_DEP_1)
	v_fmac_f64_e32 v[136:137], v[110:111], v[124:125]
	scratch_load_b128 v[122:125], off, off offset:368
	s_wait_dscnt 0x0
	v_fmac_f64_e32 v[136:137], v[112:113], v[128:129]
	ds_load_2addr_b64 v[110:113], v2 offset0:87 offset1:88
	ds_load_2addr_b64 v[126:129], v2 offset0:89 offset1:90
	s_wait_loadcnt 0x4
	v_fmac_f64_e32 v[136:137], v[114:115], v[130:131]
	s_wait_dscnt 0x1
	s_delay_alu instid0(VALU_DEP_1) | instskip(SKIP_1) | instid1(VALU_DEP_1)
	v_fmac_f64_e32 v[136:137], v[116:117], v[110:111]
	s_wait_loadcnt 0x3
	v_fmac_f64_e32 v[136:137], v[102:103], v[112:113]
	s_wait_dscnt 0x0
	s_delay_alu instid0(VALU_DEP_1)
	v_fmac_f64_e32 v[136:137], v[104:105], v[126:127]
	ds_load_2addr_b64 v[102:105], v2 offset0:91 offset1:92
	ds_load_2addr_b64 v[110:113], v2 offset0:93 offset1:94
	s_wait_loadcnt 0x2
	v_fmac_f64_e32 v[136:137], v[118:119], v[128:129]
	s_wait_dscnt 0x1
	s_delay_alu instid0(VALU_DEP_1) | instskip(SKIP_4) | instid1(VALU_DEP_1)
	v_fmac_f64_e32 v[136:137], v[120:121], v[102:103]
	ds_load_b64 v[102:103], v2 offset:760
	s_wait_loadcnt 0x1
	v_fmac_f64_e32 v[136:137], v[106:107], v[104:105]
	s_wait_dscnt 0x1
	v_fmac_f64_e32 v[136:137], v[108:109], v[110:111]
	s_wait_loadcnt 0x0
	s_delay_alu instid0(VALU_DEP_1) | instskip(SKIP_1) | instid1(VALU_DEP_1)
	v_fmac_f64_e32 v[136:137], v[122:123], v[112:113]
	s_wait_dscnt 0x0
	v_fmac_f64_e32 v[136:137], v[124:125], v[102:103]
	s_delay_alu instid0(VALU_DEP_1)
	v_add_f64_e64 v[100:101], v[100:101], -v[136:137]
	scratch_store_b64 off, v[100:101], off offset:112
	s_wait_xcnt 0x0
	v_cmpx_lt_u32_e32 13, v0
	s_cbranch_execz .LBB111_271
; %bb.270:
	scratch_load_b64 v[100:101], off, off offset:104
	v_mov_b64_e32 v[102:103], 0
	scratch_store_b64 off, v[102:103], off offset:104
	s_wait_loadcnt 0x0
	ds_store_b64 v1, v[100:101]
.LBB111_271:
	s_wait_xcnt 0x0
	s_or_b32 exec_lo, exec_lo, s0
	s_wait_storecnt_dscnt 0x0
	s_barrier_signal -1
	s_barrier_wait -1
	s_clause 0x5
	scratch_load_b128 v[100:103], off, off offset:104
	scratch_load_b128 v[104:107], off, off offset:120
	scratch_load_b128 v[108:111], off, off offset:136
	scratch_load_b128 v[112:115], off, off offset:152
	scratch_load_b128 v[116:119], off, off offset:168
	scratch_load_b128 v[120:123], off, off offset:184
	ds_load_b128 v[124:127], v2 offset:496
	ds_load_b128 v[128:131], v2 offset:512
	scratch_load_b128 v[132:135], off, off offset:200
	s_mov_b32 s0, exec_lo
	s_wait_loadcnt_dscnt 0x601
	v_fma_f64 v[136:137], v[102:103], v[124:125], 0
	s_wait_loadcnt 0x5
	s_delay_alu instid0(VALU_DEP_1) | instskip(SKIP_4) | instid1(VALU_DEP_1)
	v_fmac_f64_e32 v[136:137], v[104:105], v[126:127]
	scratch_load_b128 v[102:105], off, off offset:216
	s_wait_dscnt 0x0
	v_fmac_f64_e32 v[136:137], v[106:107], v[128:129]
	s_wait_loadcnt 0x5
	v_fmac_f64_e32 v[136:137], v[108:109], v[130:131]
	ds_load_b128 v[106:109], v2 offset:528
	ds_load_b128 v[124:127], v2 offset:544
	scratch_load_b128 v[128:131], off, off offset:232
	s_wait_dscnt 0x1
	v_fmac_f64_e32 v[136:137], v[110:111], v[106:107]
	s_wait_loadcnt 0x5
	s_delay_alu instid0(VALU_DEP_1) | instskip(SKIP_4) | instid1(VALU_DEP_1)
	v_fmac_f64_e32 v[136:137], v[112:113], v[108:109]
	scratch_load_b128 v[106:109], off, off offset:248
	s_wait_dscnt 0x0
	v_fmac_f64_e32 v[136:137], v[114:115], v[124:125]
	s_wait_loadcnt 0x5
	v_fmac_f64_e32 v[136:137], v[116:117], v[126:127]
	ds_load_b128 v[110:113], v2 offset:560
	ds_load_b128 v[114:117], v2 offset:576
	scratch_load_b128 v[124:127], off, off offset:264
	s_wait_dscnt 0x1
	v_fmac_f64_e32 v[136:137], v[118:119], v[110:111]
	s_wait_loadcnt 0x5
	s_delay_alu instid0(VALU_DEP_1) | instskip(SKIP_4) | instid1(VALU_DEP_1)
	v_fmac_f64_e32 v[136:137], v[120:121], v[112:113]
	scratch_load_b128 v[110:113], off, off offset:280
	s_wait_dscnt 0x0
	v_fmac_f64_e32 v[136:137], v[122:123], v[114:115]
	s_wait_loadcnt 0x5
	v_fmac_f64_e32 v[136:137], v[132:133], v[116:117]
	ds_load_b128 v[114:117], v2 offset:592
	ds_load_b128 v[118:121], v2 offset:608
	s_wait_dscnt 0x1
	v_fmac_f64_e32 v[136:137], v[134:135], v[114:115]
	scratch_load_b128 v[132:135], off, off offset:296
	s_wait_loadcnt 0x5
	v_fmac_f64_e32 v[136:137], v[102:103], v[116:117]
	s_wait_dscnt 0x0
	s_delay_alu instid0(VALU_DEP_1)
	v_fmac_f64_e32 v[136:137], v[104:105], v[118:119]
	scratch_load_b128 v[102:105], off, off offset:312
	s_wait_loadcnt 0x5
	v_fmac_f64_e32 v[136:137], v[128:129], v[120:121]
	ds_load_b128 v[114:117], v2 offset:624
	ds_load_b128 v[118:121], v2 offset:640
	s_wait_dscnt 0x1
	v_fmac_f64_e32 v[136:137], v[130:131], v[114:115]
	s_wait_loadcnt 0x4
	s_delay_alu instid0(VALU_DEP_1)
	v_fmac_f64_e32 v[136:137], v[106:107], v[116:117]
	scratch_load_b128 v[114:117], off, off offset:328
	s_wait_dscnt 0x0
	v_fmac_f64_e32 v[136:137], v[108:109], v[118:119]
	scratch_load_b128 v[106:109], off, off offset:344
	s_wait_loadcnt 0x5
	v_fmac_f64_e32 v[136:137], v[124:125], v[120:121]
	ds_load_b128 v[118:121], v2 offset:656
	ds_load_b128 v[122:125], v2 offset:672
	s_wait_dscnt 0x1
	v_fmac_f64_e32 v[136:137], v[126:127], v[118:119]
	scratch_load_b64 v[126:127], off, off offset:376
	s_wait_loadcnt 0x5
	v_fmac_f64_e32 v[136:137], v[110:111], v[120:121]
	scratch_load_b128 v[118:121], off, off offset:360
	s_wait_dscnt 0x0
	v_fmac_f64_e32 v[136:137], v[112:113], v[122:123]
	s_wait_loadcnt 0x5
	s_delay_alu instid0(VALU_DEP_1)
	v_fmac_f64_e32 v[136:137], v[132:133], v[124:125]
	ds_load_b128 v[110:113], v2 offset:688
	ds_load_b128 v[122:125], v2 offset:704
	s_wait_dscnt 0x1
	v_fmac_f64_e32 v[136:137], v[134:135], v[110:111]
	s_wait_loadcnt 0x4
	s_delay_alu instid0(VALU_DEP_1) | instskip(SKIP_1) | instid1(VALU_DEP_1)
	v_fmac_f64_e32 v[136:137], v[102:103], v[112:113]
	s_wait_dscnt 0x0
	v_fmac_f64_e32 v[136:137], v[104:105], v[122:123]
	ds_load_b128 v[102:105], v2 offset:720
	ds_load_b128 v[110:113], v2 offset:736
	s_wait_loadcnt 0x3
	v_fmac_f64_e32 v[136:137], v[114:115], v[124:125]
	s_wait_dscnt 0x1
	s_delay_alu instid0(VALU_DEP_1) | instskip(SKIP_1) | instid1(VALU_DEP_1)
	v_fmac_f64_e32 v[136:137], v[116:117], v[102:103]
	s_wait_loadcnt 0x2
	v_fmac_f64_e32 v[136:137], v[106:107], v[104:105]
	ds_load_b128 v[102:105], v2 offset:752
	s_wait_dscnt 0x1
	v_fmac_f64_e32 v[136:137], v[108:109], v[110:111]
	s_wait_loadcnt 0x0
	s_delay_alu instid0(VALU_DEP_1) | instskip(SKIP_1) | instid1(VALU_DEP_1)
	v_fmac_f64_e32 v[136:137], v[118:119], v[112:113]
	s_wait_dscnt 0x0
	v_fmac_f64_e32 v[136:137], v[120:121], v[102:103]
	s_delay_alu instid0(VALU_DEP_1) | instskip(NEXT) | instid1(VALU_DEP_1)
	v_fmac_f64_e32 v[136:137], v[126:127], v[104:105]
	v_add_f64_e64 v[2:3], v[100:101], -v[136:137]
	scratch_store_b64 off, v[2:3], off offset:104
	s_wait_xcnt 0x0
	v_cmpx_lt_u32_e32 12, v0
	s_cbranch_execz .LBB111_273
; %bb.272:
	scratch_load_b64 v[2:3], off, off offset:96
	v_mov_b64_e32 v[100:101], 0
	scratch_store_b64 off, v[100:101], off offset:96
	s_wait_loadcnt 0x0
	ds_store_b64 v1, v[2:3]
.LBB111_273:
	s_wait_xcnt 0x0
	s_or_b32 exec_lo, exec_lo, s0
	s_wait_storecnt_dscnt 0x0
	s_barrier_signal -1
	s_barrier_wait -1
	s_clause 0x5
	scratch_load_b128 v[100:103], off, off offset:96
	scratch_load_b128 v[104:107], off, off offset:112
	;; [unrolled: 1-line block ×6, first 2 shown]
	v_mov_b32_e32 v2, 0
	ds_load_2addr_b64 v[124:127], v2 offset0:61 offset1:62
	ds_load_2addr_b64 v[128:131], v2 offset0:63 offset1:64
	scratch_load_b128 v[132:135], off, off offset:192
	s_mov_b32 s0, exec_lo
	s_wait_loadcnt_dscnt 0x601
	v_fma_f64 v[136:137], v[102:103], v[124:125], 0
	s_wait_loadcnt 0x5
	s_delay_alu instid0(VALU_DEP_1) | instskip(SKIP_4) | instid1(VALU_DEP_1)
	v_fmac_f64_e32 v[136:137], v[104:105], v[126:127]
	scratch_load_b128 v[102:105], off, off offset:208
	s_wait_dscnt 0x0
	v_fmac_f64_e32 v[136:137], v[106:107], v[128:129]
	s_wait_loadcnt 0x5
	v_fmac_f64_e32 v[136:137], v[108:109], v[130:131]
	ds_load_2addr_b64 v[106:109], v2 offset0:65 offset1:66
	ds_load_2addr_b64 v[124:127], v2 offset0:67 offset1:68
	scratch_load_b128 v[128:131], off, off offset:224
	s_wait_dscnt 0x1
	v_fmac_f64_e32 v[136:137], v[110:111], v[106:107]
	s_wait_loadcnt 0x5
	s_delay_alu instid0(VALU_DEP_1) | instskip(SKIP_4) | instid1(VALU_DEP_1)
	v_fmac_f64_e32 v[136:137], v[112:113], v[108:109]
	scratch_load_b128 v[106:109], off, off offset:240
	s_wait_dscnt 0x0
	v_fmac_f64_e32 v[136:137], v[114:115], v[124:125]
	s_wait_loadcnt 0x5
	v_fmac_f64_e32 v[136:137], v[116:117], v[126:127]
	ds_load_2addr_b64 v[110:113], v2 offset0:69 offset1:70
	ds_load_2addr_b64 v[114:117], v2 offset0:71 offset1:72
	scratch_load_b128 v[124:127], off, off offset:256
	s_wait_dscnt 0x1
	v_fmac_f64_e32 v[136:137], v[118:119], v[110:111]
	s_wait_loadcnt 0x5
	s_delay_alu instid0(VALU_DEP_1) | instskip(SKIP_4) | instid1(VALU_DEP_1)
	v_fmac_f64_e32 v[136:137], v[120:121], v[112:113]
	scratch_load_b128 v[110:113], off, off offset:272
	s_wait_dscnt 0x0
	v_fmac_f64_e32 v[136:137], v[122:123], v[114:115]
	s_wait_loadcnt 0x5
	v_fmac_f64_e32 v[136:137], v[132:133], v[116:117]
	ds_load_2addr_b64 v[114:117], v2 offset0:73 offset1:74
	ds_load_2addr_b64 v[118:121], v2 offset0:75 offset1:76
	s_wait_dscnt 0x1
	v_fmac_f64_e32 v[136:137], v[134:135], v[114:115]
	scratch_load_b128 v[132:135], off, off offset:288
	s_wait_loadcnt 0x5
	v_fmac_f64_e32 v[136:137], v[102:103], v[116:117]
	s_wait_dscnt 0x0
	s_delay_alu instid0(VALU_DEP_1)
	v_fmac_f64_e32 v[136:137], v[104:105], v[118:119]
	scratch_load_b128 v[102:105], off, off offset:304
	s_wait_loadcnt 0x5
	v_fmac_f64_e32 v[136:137], v[128:129], v[120:121]
	ds_load_2addr_b64 v[114:117], v2 offset0:77 offset1:78
	ds_load_2addr_b64 v[118:121], v2 offset0:79 offset1:80
	s_wait_dscnt 0x1
	v_fmac_f64_e32 v[136:137], v[130:131], v[114:115]
	s_wait_loadcnt 0x4
	s_delay_alu instid0(VALU_DEP_1)
	v_fmac_f64_e32 v[136:137], v[106:107], v[116:117]
	scratch_load_b128 v[114:117], off, off offset:320
	s_wait_dscnt 0x0
	v_fmac_f64_e32 v[136:137], v[108:109], v[118:119]
	scratch_load_b128 v[106:109], off, off offset:336
	s_wait_loadcnt 0x5
	v_fmac_f64_e32 v[136:137], v[124:125], v[120:121]
	ds_load_2addr_b64 v[118:121], v2 offset0:81 offset1:82
	ds_load_2addr_b64 v[122:125], v2 offset0:83 offset1:84
	s_wait_dscnt 0x1
	v_fmac_f64_e32 v[136:137], v[126:127], v[118:119]
	s_wait_loadcnt 0x4
	s_delay_alu instid0(VALU_DEP_1)
	v_fmac_f64_e32 v[136:137], v[110:111], v[120:121]
	scratch_load_b128 v[118:121], off, off offset:352
	s_wait_dscnt 0x0
	v_fmac_f64_e32 v[136:137], v[112:113], v[122:123]
	scratch_load_b128 v[110:113], off, off offset:368
	s_wait_loadcnt 0x5
	v_fmac_f64_e32 v[136:137], v[132:133], v[124:125]
	ds_load_2addr_b64 v[122:125], v2 offset0:85 offset1:86
	ds_load_2addr_b64 v[126:129], v2 offset0:87 offset1:88
	s_wait_dscnt 0x1
	v_fmac_f64_e32 v[136:137], v[134:135], v[122:123]
	s_wait_loadcnt 0x4
	s_delay_alu instid0(VALU_DEP_1) | instskip(SKIP_1) | instid1(VALU_DEP_1)
	v_fmac_f64_e32 v[136:137], v[102:103], v[124:125]
	s_wait_dscnt 0x0
	v_fmac_f64_e32 v[136:137], v[104:105], v[126:127]
	ds_load_2addr_b64 v[102:105], v2 offset0:89 offset1:90
	ds_load_2addr_b64 v[122:125], v2 offset0:91 offset1:92
	s_wait_loadcnt 0x3
	v_fmac_f64_e32 v[136:137], v[114:115], v[128:129]
	s_wait_dscnt 0x1
	s_delay_alu instid0(VALU_DEP_1) | instskip(SKIP_1) | instid1(VALU_DEP_1)
	v_fmac_f64_e32 v[136:137], v[116:117], v[102:103]
	s_wait_loadcnt 0x2
	v_fmac_f64_e32 v[136:137], v[106:107], v[104:105]
	ds_load_2addr_b64 v[102:105], v2 offset0:93 offset1:94
	ds_load_b64 v[106:107], v2 offset:760
	s_wait_dscnt 0x2
	v_fmac_f64_e32 v[136:137], v[108:109], v[122:123]
	s_wait_loadcnt 0x1
	s_delay_alu instid0(VALU_DEP_1) | instskip(SKIP_1) | instid1(VALU_DEP_1)
	v_fmac_f64_e32 v[136:137], v[118:119], v[124:125]
	s_wait_dscnt 0x1
	v_fmac_f64_e32 v[136:137], v[120:121], v[102:103]
	s_wait_loadcnt 0x0
	s_delay_alu instid0(VALU_DEP_1) | instskip(SKIP_1) | instid1(VALU_DEP_1)
	v_fmac_f64_e32 v[136:137], v[110:111], v[104:105]
	s_wait_dscnt 0x0
	v_fmac_f64_e32 v[136:137], v[112:113], v[106:107]
	s_delay_alu instid0(VALU_DEP_1)
	v_add_f64_e64 v[100:101], v[100:101], -v[136:137]
	scratch_store_b64 off, v[100:101], off offset:96
	s_wait_xcnt 0x0
	v_cmpx_lt_u32_e32 11, v0
	s_cbranch_execz .LBB111_275
; %bb.274:
	scratch_load_b64 v[100:101], off, off offset:88
	v_mov_b64_e32 v[102:103], 0
	scratch_store_b64 off, v[102:103], off offset:88
	s_wait_loadcnt 0x0
	ds_store_b64 v1, v[100:101]
.LBB111_275:
	s_wait_xcnt 0x0
	s_or_b32 exec_lo, exec_lo, s0
	s_wait_storecnt_dscnt 0x0
	s_barrier_signal -1
	s_barrier_wait -1
	s_clause 0x5
	scratch_load_b128 v[100:103], off, off offset:88
	scratch_load_b128 v[104:107], off, off offset:104
	;; [unrolled: 1-line block ×6, first 2 shown]
	ds_load_b128 v[124:127], v2 offset:480
	ds_load_b128 v[128:131], v2 offset:496
	scratch_load_b128 v[132:135], off, off offset:184
	s_mov_b32 s0, exec_lo
	s_wait_loadcnt_dscnt 0x601
	v_fma_f64 v[136:137], v[102:103], v[124:125], 0
	s_wait_loadcnt 0x5
	s_delay_alu instid0(VALU_DEP_1) | instskip(SKIP_4) | instid1(VALU_DEP_1)
	v_fmac_f64_e32 v[136:137], v[104:105], v[126:127]
	scratch_load_b128 v[102:105], off, off offset:200
	s_wait_dscnt 0x0
	v_fmac_f64_e32 v[136:137], v[106:107], v[128:129]
	s_wait_loadcnt 0x5
	v_fmac_f64_e32 v[136:137], v[108:109], v[130:131]
	ds_load_b128 v[106:109], v2 offset:512
	ds_load_b128 v[124:127], v2 offset:528
	scratch_load_b128 v[128:131], off, off offset:216
	s_wait_dscnt 0x1
	v_fmac_f64_e32 v[136:137], v[110:111], v[106:107]
	s_wait_loadcnt 0x5
	s_delay_alu instid0(VALU_DEP_1) | instskip(SKIP_4) | instid1(VALU_DEP_1)
	v_fmac_f64_e32 v[136:137], v[112:113], v[108:109]
	scratch_load_b128 v[106:109], off, off offset:232
	s_wait_dscnt 0x0
	v_fmac_f64_e32 v[136:137], v[114:115], v[124:125]
	s_wait_loadcnt 0x5
	v_fmac_f64_e32 v[136:137], v[116:117], v[126:127]
	ds_load_b128 v[110:113], v2 offset:544
	ds_load_b128 v[114:117], v2 offset:560
	scratch_load_b128 v[124:127], off, off offset:248
	s_wait_dscnt 0x1
	v_fmac_f64_e32 v[136:137], v[118:119], v[110:111]
	s_wait_loadcnt 0x5
	s_delay_alu instid0(VALU_DEP_1) | instskip(SKIP_4) | instid1(VALU_DEP_1)
	v_fmac_f64_e32 v[136:137], v[120:121], v[112:113]
	scratch_load_b128 v[110:113], off, off offset:264
	s_wait_dscnt 0x0
	v_fmac_f64_e32 v[136:137], v[122:123], v[114:115]
	s_wait_loadcnt 0x5
	v_fmac_f64_e32 v[136:137], v[132:133], v[116:117]
	ds_load_b128 v[114:117], v2 offset:576
	ds_load_b128 v[118:121], v2 offset:592
	s_wait_dscnt 0x1
	v_fmac_f64_e32 v[136:137], v[134:135], v[114:115]
	scratch_load_b128 v[132:135], off, off offset:280
	s_wait_loadcnt 0x5
	v_fmac_f64_e32 v[136:137], v[102:103], v[116:117]
	s_wait_dscnt 0x0
	s_delay_alu instid0(VALU_DEP_1)
	v_fmac_f64_e32 v[136:137], v[104:105], v[118:119]
	scratch_load_b128 v[102:105], off, off offset:296
	s_wait_loadcnt 0x5
	v_fmac_f64_e32 v[136:137], v[128:129], v[120:121]
	ds_load_b128 v[114:117], v2 offset:608
	ds_load_b128 v[118:121], v2 offset:624
	s_wait_dscnt 0x1
	v_fmac_f64_e32 v[136:137], v[130:131], v[114:115]
	s_wait_loadcnt 0x4
	s_delay_alu instid0(VALU_DEP_1)
	v_fmac_f64_e32 v[136:137], v[106:107], v[116:117]
	scratch_load_b128 v[114:117], off, off offset:312
	s_wait_dscnt 0x0
	v_fmac_f64_e32 v[136:137], v[108:109], v[118:119]
	scratch_load_b128 v[106:109], off, off offset:328
	s_wait_loadcnt 0x5
	v_fmac_f64_e32 v[136:137], v[124:125], v[120:121]
	ds_load_b128 v[118:121], v2 offset:640
	ds_load_b128 v[122:125], v2 offset:656
	s_wait_dscnt 0x1
	v_fmac_f64_e32 v[136:137], v[126:127], v[118:119]
	s_wait_loadcnt 0x4
	s_delay_alu instid0(VALU_DEP_1)
	v_fmac_f64_e32 v[136:137], v[110:111], v[120:121]
	scratch_load_b128 v[118:121], off, off offset:344
	s_wait_dscnt 0x0
	v_fmac_f64_e32 v[136:137], v[112:113], v[122:123]
	scratch_load_b128 v[110:113], off, off offset:360
	s_wait_loadcnt 0x5
	v_fmac_f64_e32 v[136:137], v[132:133], v[124:125]
	ds_load_b128 v[122:125], v2 offset:672
	ds_load_b128 v[126:129], v2 offset:688
	scratch_load_b64 v[130:131], off, off offset:376
	s_wait_dscnt 0x1
	v_fmac_f64_e32 v[136:137], v[134:135], v[122:123]
	s_wait_loadcnt 0x5
	s_delay_alu instid0(VALU_DEP_1) | instskip(SKIP_1) | instid1(VALU_DEP_1)
	v_fmac_f64_e32 v[136:137], v[102:103], v[124:125]
	s_wait_dscnt 0x0
	v_fmac_f64_e32 v[136:137], v[104:105], v[126:127]
	ds_load_b128 v[102:105], v2 offset:704
	ds_load_b128 v[122:125], v2 offset:720
	s_wait_loadcnt 0x4
	v_fmac_f64_e32 v[136:137], v[114:115], v[128:129]
	s_wait_dscnt 0x1
	s_delay_alu instid0(VALU_DEP_1) | instskip(SKIP_1) | instid1(VALU_DEP_1)
	v_fmac_f64_e32 v[136:137], v[116:117], v[102:103]
	s_wait_loadcnt 0x3
	v_fmac_f64_e32 v[136:137], v[106:107], v[104:105]
	s_wait_dscnt 0x0
	s_delay_alu instid0(VALU_DEP_1)
	v_fmac_f64_e32 v[136:137], v[108:109], v[122:123]
	ds_load_b128 v[102:105], v2 offset:736
	ds_load_b128 v[106:109], v2 offset:752
	s_wait_loadcnt 0x2
	v_fmac_f64_e32 v[136:137], v[118:119], v[124:125]
	s_wait_dscnt 0x1
	s_delay_alu instid0(VALU_DEP_1) | instskip(SKIP_1) | instid1(VALU_DEP_1)
	v_fmac_f64_e32 v[136:137], v[120:121], v[102:103]
	s_wait_loadcnt 0x1
	v_fmac_f64_e32 v[136:137], v[110:111], v[104:105]
	s_wait_dscnt 0x0
	s_delay_alu instid0(VALU_DEP_1) | instskip(SKIP_1) | instid1(VALU_DEP_1)
	v_fmac_f64_e32 v[136:137], v[112:113], v[106:107]
	s_wait_loadcnt 0x0
	v_fmac_f64_e32 v[136:137], v[130:131], v[108:109]
	s_delay_alu instid0(VALU_DEP_1)
	v_add_f64_e64 v[2:3], v[100:101], -v[136:137]
	scratch_store_b64 off, v[2:3], off offset:88
	s_wait_xcnt 0x0
	v_cmpx_lt_u32_e32 10, v0
	s_cbranch_execz .LBB111_277
; %bb.276:
	scratch_load_b64 v[2:3], off, off offset:80
	v_mov_b64_e32 v[100:101], 0
	scratch_store_b64 off, v[100:101], off offset:80
	s_wait_loadcnt 0x0
	ds_store_b64 v1, v[2:3]
.LBB111_277:
	s_wait_xcnt 0x0
	s_or_b32 exec_lo, exec_lo, s0
	s_wait_storecnt_dscnt 0x0
	s_barrier_signal -1
	s_barrier_wait -1
	s_clause 0x5
	scratch_load_b128 v[100:103], off, off offset:80
	scratch_load_b128 v[104:107], off, off offset:96
	;; [unrolled: 1-line block ×6, first 2 shown]
	v_mov_b32_e32 v2, 0
	ds_load_2addr_b64 v[124:127], v2 offset0:59 offset1:60
	ds_load_2addr_b64 v[128:131], v2 offset0:61 offset1:62
	scratch_load_b128 v[132:135], off, off offset:176
	s_mov_b32 s0, exec_lo
	s_wait_loadcnt_dscnt 0x601
	v_fma_f64 v[136:137], v[102:103], v[124:125], 0
	s_wait_loadcnt 0x5
	s_delay_alu instid0(VALU_DEP_1) | instskip(SKIP_4) | instid1(VALU_DEP_1)
	v_fmac_f64_e32 v[136:137], v[104:105], v[126:127]
	scratch_load_b128 v[102:105], off, off offset:192
	s_wait_dscnt 0x0
	v_fmac_f64_e32 v[136:137], v[106:107], v[128:129]
	s_wait_loadcnt 0x5
	v_fmac_f64_e32 v[136:137], v[108:109], v[130:131]
	ds_load_2addr_b64 v[106:109], v2 offset0:63 offset1:64
	ds_load_2addr_b64 v[124:127], v2 offset0:65 offset1:66
	scratch_load_b128 v[128:131], off, off offset:208
	s_wait_dscnt 0x1
	v_fmac_f64_e32 v[136:137], v[110:111], v[106:107]
	s_wait_loadcnt 0x5
	s_delay_alu instid0(VALU_DEP_1) | instskip(SKIP_4) | instid1(VALU_DEP_1)
	v_fmac_f64_e32 v[136:137], v[112:113], v[108:109]
	scratch_load_b128 v[106:109], off, off offset:224
	s_wait_dscnt 0x0
	v_fmac_f64_e32 v[136:137], v[114:115], v[124:125]
	s_wait_loadcnt 0x5
	v_fmac_f64_e32 v[136:137], v[116:117], v[126:127]
	ds_load_2addr_b64 v[110:113], v2 offset0:67 offset1:68
	ds_load_2addr_b64 v[114:117], v2 offset0:69 offset1:70
	scratch_load_b128 v[124:127], off, off offset:240
	s_wait_dscnt 0x1
	v_fmac_f64_e32 v[136:137], v[118:119], v[110:111]
	s_wait_loadcnt 0x5
	s_delay_alu instid0(VALU_DEP_1) | instskip(SKIP_4) | instid1(VALU_DEP_1)
	v_fmac_f64_e32 v[136:137], v[120:121], v[112:113]
	scratch_load_b128 v[110:113], off, off offset:256
	s_wait_dscnt 0x0
	v_fmac_f64_e32 v[136:137], v[122:123], v[114:115]
	s_wait_loadcnt 0x5
	v_fmac_f64_e32 v[136:137], v[132:133], v[116:117]
	ds_load_2addr_b64 v[114:117], v2 offset0:71 offset1:72
	ds_load_2addr_b64 v[118:121], v2 offset0:73 offset1:74
	s_wait_dscnt 0x1
	v_fmac_f64_e32 v[136:137], v[134:135], v[114:115]
	scratch_load_b128 v[132:135], off, off offset:272
	s_wait_loadcnt 0x5
	v_fmac_f64_e32 v[136:137], v[102:103], v[116:117]
	s_wait_dscnt 0x0
	s_delay_alu instid0(VALU_DEP_1)
	v_fmac_f64_e32 v[136:137], v[104:105], v[118:119]
	scratch_load_b128 v[102:105], off, off offset:288
	s_wait_loadcnt 0x5
	v_fmac_f64_e32 v[136:137], v[128:129], v[120:121]
	ds_load_2addr_b64 v[114:117], v2 offset0:75 offset1:76
	ds_load_2addr_b64 v[118:121], v2 offset0:77 offset1:78
	s_wait_dscnt 0x1
	v_fmac_f64_e32 v[136:137], v[130:131], v[114:115]
	s_wait_loadcnt 0x4
	s_delay_alu instid0(VALU_DEP_1)
	v_fmac_f64_e32 v[136:137], v[106:107], v[116:117]
	scratch_load_b128 v[114:117], off, off offset:304
	s_wait_dscnt 0x0
	v_fmac_f64_e32 v[136:137], v[108:109], v[118:119]
	scratch_load_b128 v[106:109], off, off offset:320
	s_wait_loadcnt 0x5
	v_fmac_f64_e32 v[136:137], v[124:125], v[120:121]
	ds_load_2addr_b64 v[118:121], v2 offset0:79 offset1:80
	ds_load_2addr_b64 v[122:125], v2 offset0:81 offset1:82
	s_wait_dscnt 0x1
	v_fmac_f64_e32 v[136:137], v[126:127], v[118:119]
	s_wait_loadcnt 0x4
	s_delay_alu instid0(VALU_DEP_1)
	v_fmac_f64_e32 v[136:137], v[110:111], v[120:121]
	scratch_load_b128 v[118:121], off, off offset:336
	s_wait_dscnt 0x0
	v_fmac_f64_e32 v[136:137], v[112:113], v[122:123]
	scratch_load_b128 v[110:113], off, off offset:352
	s_wait_loadcnt 0x5
	v_fmac_f64_e32 v[136:137], v[132:133], v[124:125]
	ds_load_2addr_b64 v[122:125], v2 offset0:83 offset1:84
	ds_load_2addr_b64 v[126:129], v2 offset0:85 offset1:86
	s_wait_dscnt 0x1
	v_fmac_f64_e32 v[136:137], v[134:135], v[122:123]
	s_wait_loadcnt 0x4
	s_delay_alu instid0(VALU_DEP_1) | instskip(SKIP_4) | instid1(VALU_DEP_1)
	v_fmac_f64_e32 v[136:137], v[102:103], v[124:125]
	scratch_load_b128 v[122:125], off, off offset:368
	s_wait_dscnt 0x0
	v_fmac_f64_e32 v[136:137], v[104:105], v[126:127]
	s_wait_loadcnt 0x4
	v_fmac_f64_e32 v[136:137], v[114:115], v[128:129]
	ds_load_2addr_b64 v[102:105], v2 offset0:87 offset1:88
	ds_load_2addr_b64 v[126:129], v2 offset0:89 offset1:90
	s_wait_dscnt 0x1
	v_fmac_f64_e32 v[136:137], v[116:117], v[102:103]
	s_wait_loadcnt 0x3
	s_delay_alu instid0(VALU_DEP_1) | instskip(SKIP_1) | instid1(VALU_DEP_1)
	v_fmac_f64_e32 v[136:137], v[106:107], v[104:105]
	s_wait_dscnt 0x0
	v_fmac_f64_e32 v[136:137], v[108:109], v[126:127]
	ds_load_2addr_b64 v[102:105], v2 offset0:91 offset1:92
	ds_load_2addr_b64 v[106:109], v2 offset0:93 offset1:94
	s_wait_loadcnt 0x2
	v_fmac_f64_e32 v[136:137], v[118:119], v[128:129]
	s_wait_dscnt 0x1
	s_delay_alu instid0(VALU_DEP_1) | instskip(SKIP_4) | instid1(VALU_DEP_1)
	v_fmac_f64_e32 v[136:137], v[120:121], v[102:103]
	ds_load_b64 v[102:103], v2 offset:760
	s_wait_loadcnt 0x1
	v_fmac_f64_e32 v[136:137], v[110:111], v[104:105]
	s_wait_dscnt 0x1
	v_fmac_f64_e32 v[136:137], v[112:113], v[106:107]
	s_wait_loadcnt 0x0
	s_delay_alu instid0(VALU_DEP_1) | instskip(SKIP_1) | instid1(VALU_DEP_1)
	v_fmac_f64_e32 v[136:137], v[122:123], v[108:109]
	s_wait_dscnt 0x0
	v_fmac_f64_e32 v[136:137], v[124:125], v[102:103]
	s_delay_alu instid0(VALU_DEP_1)
	v_add_f64_e64 v[100:101], v[100:101], -v[136:137]
	scratch_store_b64 off, v[100:101], off offset:80
	s_wait_xcnt 0x0
	v_cmpx_lt_u32_e32 9, v0
	s_cbranch_execz .LBB111_279
; %bb.278:
	scratch_load_b64 v[100:101], off, off offset:72
	v_mov_b64_e32 v[102:103], 0
	scratch_store_b64 off, v[102:103], off offset:72
	s_wait_loadcnt 0x0
	ds_store_b64 v1, v[100:101]
.LBB111_279:
	s_wait_xcnt 0x0
	s_or_b32 exec_lo, exec_lo, s0
	s_wait_storecnt_dscnt 0x0
	s_barrier_signal -1
	s_barrier_wait -1
	s_clause 0x5
	scratch_load_b128 v[100:103], off, off offset:72
	scratch_load_b128 v[104:107], off, off offset:88
	scratch_load_b128 v[108:111], off, off offset:104
	scratch_load_b128 v[112:115], off, off offset:120
	scratch_load_b128 v[116:119], off, off offset:136
	scratch_load_b128 v[120:123], off, off offset:152
	ds_load_b128 v[124:127], v2 offset:464
	ds_load_b128 v[128:131], v2 offset:480
	scratch_load_b128 v[132:135], off, off offset:168
	s_mov_b32 s0, exec_lo
	s_wait_loadcnt_dscnt 0x601
	v_fma_f64 v[136:137], v[102:103], v[124:125], 0
	s_wait_loadcnt 0x5
	s_delay_alu instid0(VALU_DEP_1) | instskip(SKIP_4) | instid1(VALU_DEP_1)
	v_fmac_f64_e32 v[136:137], v[104:105], v[126:127]
	scratch_load_b128 v[102:105], off, off offset:184
	s_wait_dscnt 0x0
	v_fmac_f64_e32 v[136:137], v[106:107], v[128:129]
	s_wait_loadcnt 0x5
	v_fmac_f64_e32 v[136:137], v[108:109], v[130:131]
	ds_load_b128 v[106:109], v2 offset:496
	ds_load_b128 v[124:127], v2 offset:512
	scratch_load_b128 v[128:131], off, off offset:200
	s_wait_dscnt 0x1
	v_fmac_f64_e32 v[136:137], v[110:111], v[106:107]
	s_wait_loadcnt 0x5
	s_delay_alu instid0(VALU_DEP_1) | instskip(SKIP_4) | instid1(VALU_DEP_1)
	v_fmac_f64_e32 v[136:137], v[112:113], v[108:109]
	scratch_load_b128 v[106:109], off, off offset:216
	s_wait_dscnt 0x0
	v_fmac_f64_e32 v[136:137], v[114:115], v[124:125]
	s_wait_loadcnt 0x5
	v_fmac_f64_e32 v[136:137], v[116:117], v[126:127]
	ds_load_b128 v[110:113], v2 offset:528
	ds_load_b128 v[114:117], v2 offset:544
	scratch_load_b128 v[124:127], off, off offset:232
	s_wait_dscnt 0x1
	v_fmac_f64_e32 v[136:137], v[118:119], v[110:111]
	s_wait_loadcnt 0x5
	s_delay_alu instid0(VALU_DEP_1) | instskip(SKIP_4) | instid1(VALU_DEP_1)
	v_fmac_f64_e32 v[136:137], v[120:121], v[112:113]
	scratch_load_b128 v[110:113], off, off offset:248
	s_wait_dscnt 0x0
	v_fmac_f64_e32 v[136:137], v[122:123], v[114:115]
	s_wait_loadcnt 0x5
	v_fmac_f64_e32 v[136:137], v[132:133], v[116:117]
	ds_load_b128 v[114:117], v2 offset:560
	ds_load_b128 v[118:121], v2 offset:576
	s_wait_dscnt 0x1
	v_fmac_f64_e32 v[136:137], v[134:135], v[114:115]
	scratch_load_b128 v[132:135], off, off offset:264
	s_wait_loadcnt 0x5
	v_fmac_f64_e32 v[136:137], v[102:103], v[116:117]
	s_wait_dscnt 0x0
	s_delay_alu instid0(VALU_DEP_1)
	v_fmac_f64_e32 v[136:137], v[104:105], v[118:119]
	scratch_load_b128 v[102:105], off, off offset:280
	s_wait_loadcnt 0x5
	v_fmac_f64_e32 v[136:137], v[128:129], v[120:121]
	ds_load_b128 v[114:117], v2 offset:592
	ds_load_b128 v[118:121], v2 offset:608
	s_wait_dscnt 0x1
	v_fmac_f64_e32 v[136:137], v[130:131], v[114:115]
	scratch_load_b128 v[128:131], off, off offset:296
	s_wait_loadcnt 0x5
	v_fmac_f64_e32 v[136:137], v[106:107], v[116:117]
	s_wait_dscnt 0x0
	s_delay_alu instid0(VALU_DEP_1)
	v_fmac_f64_e32 v[136:137], v[108:109], v[118:119]
	scratch_load_b128 v[106:109], off, off offset:312
	s_wait_loadcnt 0x5
	v_fmac_f64_e32 v[136:137], v[124:125], v[120:121]
	ds_load_b128 v[114:117], v2 offset:624
	ds_load_b128 v[118:121], v2 offset:640
	s_wait_dscnt 0x1
	v_fmac_f64_e32 v[136:137], v[126:127], v[114:115]
	s_wait_loadcnt 0x4
	s_delay_alu instid0(VALU_DEP_1)
	v_fmac_f64_e32 v[136:137], v[110:111], v[116:117]
	scratch_load_b128 v[114:117], off, off offset:328
	s_wait_dscnt 0x0
	v_fmac_f64_e32 v[136:137], v[112:113], v[118:119]
	scratch_load_b128 v[110:113], off, off offset:344
	s_wait_loadcnt 0x5
	v_fmac_f64_e32 v[136:137], v[132:133], v[120:121]
	ds_load_b128 v[118:121], v2 offset:656
	ds_load_b128 v[122:125], v2 offset:672
	scratch_load_b64 v[126:127], off, off offset:376
	s_wait_dscnt 0x1
	v_fmac_f64_e32 v[136:137], v[134:135], v[118:119]
	s_wait_loadcnt 0x5
	s_delay_alu instid0(VALU_DEP_1) | instskip(SKIP_4) | instid1(VALU_DEP_1)
	v_fmac_f64_e32 v[136:137], v[102:103], v[120:121]
	scratch_load_b128 v[118:121], off, off offset:360
	s_wait_dscnt 0x0
	v_fmac_f64_e32 v[136:137], v[104:105], v[122:123]
	s_wait_loadcnt 0x5
	v_fmac_f64_e32 v[136:137], v[128:129], v[124:125]
	ds_load_b128 v[102:105], v2 offset:688
	ds_load_b128 v[122:125], v2 offset:704
	s_wait_dscnt 0x1
	v_fmac_f64_e32 v[136:137], v[130:131], v[102:103]
	s_wait_loadcnt 0x4
	s_delay_alu instid0(VALU_DEP_1) | instskip(SKIP_1) | instid1(VALU_DEP_1)
	v_fmac_f64_e32 v[136:137], v[106:107], v[104:105]
	s_wait_dscnt 0x0
	v_fmac_f64_e32 v[136:137], v[108:109], v[122:123]
	ds_load_b128 v[102:105], v2 offset:720
	ds_load_b128 v[106:109], v2 offset:736
	s_wait_loadcnt 0x3
	v_fmac_f64_e32 v[136:137], v[114:115], v[124:125]
	s_wait_dscnt 0x1
	s_delay_alu instid0(VALU_DEP_1) | instskip(SKIP_1) | instid1(VALU_DEP_1)
	v_fmac_f64_e32 v[136:137], v[116:117], v[102:103]
	s_wait_loadcnt 0x2
	v_fmac_f64_e32 v[136:137], v[110:111], v[104:105]
	ds_load_b128 v[102:105], v2 offset:752
	s_wait_dscnt 0x1
	v_fmac_f64_e32 v[136:137], v[112:113], v[106:107]
	s_wait_loadcnt 0x0
	s_delay_alu instid0(VALU_DEP_1) | instskip(SKIP_1) | instid1(VALU_DEP_1)
	v_fmac_f64_e32 v[136:137], v[118:119], v[108:109]
	s_wait_dscnt 0x0
	v_fmac_f64_e32 v[136:137], v[120:121], v[102:103]
	s_delay_alu instid0(VALU_DEP_1) | instskip(NEXT) | instid1(VALU_DEP_1)
	v_fmac_f64_e32 v[136:137], v[126:127], v[104:105]
	v_add_f64_e64 v[2:3], v[100:101], -v[136:137]
	scratch_store_b64 off, v[2:3], off offset:72
	s_wait_xcnt 0x0
	v_cmpx_lt_u32_e32 8, v0
	s_cbranch_execz .LBB111_281
; %bb.280:
	scratch_load_b64 v[2:3], off, off offset:64
	v_mov_b64_e32 v[100:101], 0
	scratch_store_b64 off, v[100:101], off offset:64
	s_wait_loadcnt 0x0
	ds_store_b64 v1, v[2:3]
.LBB111_281:
	s_wait_xcnt 0x0
	s_or_b32 exec_lo, exec_lo, s0
	s_wait_storecnt_dscnt 0x0
	s_barrier_signal -1
	s_barrier_wait -1
	s_clause 0x5
	scratch_load_b128 v[100:103], off, off offset:64
	scratch_load_b128 v[104:107], off, off offset:80
	scratch_load_b128 v[108:111], off, off offset:96
	scratch_load_b128 v[112:115], off, off offset:112
	scratch_load_b128 v[116:119], off, off offset:128
	scratch_load_b128 v[120:123], off, off offset:144
	v_mov_b32_e32 v2, 0
	ds_load_2addr_b64 v[124:127], v2 offset0:57 offset1:58
	ds_load_2addr_b64 v[128:131], v2 offset0:59 offset1:60
	scratch_load_b128 v[132:135], off, off offset:160
	s_mov_b32 s0, exec_lo
	s_wait_loadcnt_dscnt 0x601
	v_fma_f64 v[136:137], v[102:103], v[124:125], 0
	s_wait_loadcnt 0x5
	s_delay_alu instid0(VALU_DEP_1) | instskip(SKIP_4) | instid1(VALU_DEP_1)
	v_fmac_f64_e32 v[136:137], v[104:105], v[126:127]
	scratch_load_b128 v[102:105], off, off offset:176
	s_wait_dscnt 0x0
	v_fmac_f64_e32 v[136:137], v[106:107], v[128:129]
	s_wait_loadcnt 0x5
	v_fmac_f64_e32 v[136:137], v[108:109], v[130:131]
	ds_load_2addr_b64 v[106:109], v2 offset0:61 offset1:62
	ds_load_2addr_b64 v[124:127], v2 offset0:63 offset1:64
	scratch_load_b128 v[128:131], off, off offset:192
	s_wait_dscnt 0x1
	v_fmac_f64_e32 v[136:137], v[110:111], v[106:107]
	s_wait_loadcnt 0x5
	s_delay_alu instid0(VALU_DEP_1) | instskip(SKIP_4) | instid1(VALU_DEP_1)
	v_fmac_f64_e32 v[136:137], v[112:113], v[108:109]
	scratch_load_b128 v[106:109], off, off offset:208
	s_wait_dscnt 0x0
	v_fmac_f64_e32 v[136:137], v[114:115], v[124:125]
	s_wait_loadcnt 0x5
	v_fmac_f64_e32 v[136:137], v[116:117], v[126:127]
	ds_load_2addr_b64 v[110:113], v2 offset0:65 offset1:66
	ds_load_2addr_b64 v[114:117], v2 offset0:67 offset1:68
	scratch_load_b128 v[124:127], off, off offset:224
	s_wait_dscnt 0x1
	v_fmac_f64_e32 v[136:137], v[118:119], v[110:111]
	s_wait_loadcnt 0x5
	s_delay_alu instid0(VALU_DEP_1) | instskip(SKIP_4) | instid1(VALU_DEP_1)
	v_fmac_f64_e32 v[136:137], v[120:121], v[112:113]
	scratch_load_b128 v[110:113], off, off offset:240
	s_wait_dscnt 0x0
	v_fmac_f64_e32 v[136:137], v[122:123], v[114:115]
	s_wait_loadcnt 0x5
	v_fmac_f64_e32 v[136:137], v[132:133], v[116:117]
	ds_load_2addr_b64 v[114:117], v2 offset0:69 offset1:70
	ds_load_2addr_b64 v[118:121], v2 offset0:71 offset1:72
	s_wait_dscnt 0x1
	v_fmac_f64_e32 v[136:137], v[134:135], v[114:115]
	scratch_load_b128 v[132:135], off, off offset:256
	s_wait_loadcnt 0x5
	v_fmac_f64_e32 v[136:137], v[102:103], v[116:117]
	s_wait_dscnt 0x0
	s_delay_alu instid0(VALU_DEP_1)
	v_fmac_f64_e32 v[136:137], v[104:105], v[118:119]
	scratch_load_b128 v[102:105], off, off offset:272
	s_wait_loadcnt 0x5
	v_fmac_f64_e32 v[136:137], v[128:129], v[120:121]
	ds_load_2addr_b64 v[114:117], v2 offset0:73 offset1:74
	ds_load_2addr_b64 v[118:121], v2 offset0:75 offset1:76
	s_wait_dscnt 0x1
	v_fmac_f64_e32 v[136:137], v[130:131], v[114:115]
	scratch_load_b128 v[128:131], off, off offset:288
	s_wait_loadcnt 0x5
	v_fmac_f64_e32 v[136:137], v[106:107], v[116:117]
	s_wait_dscnt 0x0
	s_delay_alu instid0(VALU_DEP_1)
	v_fmac_f64_e32 v[136:137], v[108:109], v[118:119]
	scratch_load_b128 v[106:109], off, off offset:304
	s_wait_loadcnt 0x5
	v_fmac_f64_e32 v[136:137], v[124:125], v[120:121]
	ds_load_2addr_b64 v[114:117], v2 offset0:77 offset1:78
	ds_load_2addr_b64 v[118:121], v2 offset0:79 offset1:80
	s_wait_dscnt 0x1
	v_fmac_f64_e32 v[136:137], v[126:127], v[114:115]
	s_wait_loadcnt 0x4
	s_delay_alu instid0(VALU_DEP_1)
	v_fmac_f64_e32 v[136:137], v[110:111], v[116:117]
	scratch_load_b128 v[114:117], off, off offset:320
	s_wait_dscnt 0x0
	v_fmac_f64_e32 v[136:137], v[112:113], v[118:119]
	scratch_load_b128 v[110:113], off, off offset:336
	s_wait_loadcnt 0x5
	v_fmac_f64_e32 v[136:137], v[132:133], v[120:121]
	ds_load_2addr_b64 v[118:121], v2 offset0:81 offset1:82
	ds_load_2addr_b64 v[122:125], v2 offset0:83 offset1:84
	s_wait_dscnt 0x1
	v_fmac_f64_e32 v[136:137], v[134:135], v[118:119]
	s_wait_loadcnt 0x4
	s_delay_alu instid0(VALU_DEP_1)
	v_fmac_f64_e32 v[136:137], v[102:103], v[120:121]
	scratch_load_b128 v[118:121], off, off offset:352
	s_wait_dscnt 0x0
	v_fmac_f64_e32 v[136:137], v[104:105], v[122:123]
	scratch_load_b128 v[102:105], off, off offset:368
	s_wait_loadcnt 0x5
	v_fmac_f64_e32 v[136:137], v[128:129], v[124:125]
	ds_load_2addr_b64 v[122:125], v2 offset0:85 offset1:86
	ds_load_2addr_b64 v[126:129], v2 offset0:87 offset1:88
	s_wait_dscnt 0x1
	v_fmac_f64_e32 v[136:137], v[130:131], v[122:123]
	s_wait_loadcnt 0x4
	s_delay_alu instid0(VALU_DEP_1) | instskip(SKIP_1) | instid1(VALU_DEP_1)
	v_fmac_f64_e32 v[136:137], v[106:107], v[124:125]
	s_wait_dscnt 0x0
	v_fmac_f64_e32 v[136:137], v[108:109], v[126:127]
	ds_load_2addr_b64 v[106:109], v2 offset0:89 offset1:90
	ds_load_2addr_b64 v[122:125], v2 offset0:91 offset1:92
	s_wait_loadcnt 0x3
	v_fmac_f64_e32 v[136:137], v[114:115], v[128:129]
	s_wait_dscnt 0x1
	s_delay_alu instid0(VALU_DEP_1) | instskip(SKIP_1) | instid1(VALU_DEP_1)
	v_fmac_f64_e32 v[136:137], v[116:117], v[106:107]
	s_wait_loadcnt 0x2
	v_fmac_f64_e32 v[136:137], v[110:111], v[108:109]
	ds_load_2addr_b64 v[106:109], v2 offset0:93 offset1:94
	ds_load_b64 v[110:111], v2 offset:760
	s_wait_dscnt 0x2
	v_fmac_f64_e32 v[136:137], v[112:113], v[122:123]
	s_wait_loadcnt 0x1
	s_delay_alu instid0(VALU_DEP_1) | instskip(SKIP_1) | instid1(VALU_DEP_1)
	v_fmac_f64_e32 v[136:137], v[118:119], v[124:125]
	s_wait_dscnt 0x1
	v_fmac_f64_e32 v[136:137], v[120:121], v[106:107]
	s_wait_loadcnt 0x0
	s_delay_alu instid0(VALU_DEP_1) | instskip(SKIP_1) | instid1(VALU_DEP_1)
	v_fmac_f64_e32 v[136:137], v[102:103], v[108:109]
	s_wait_dscnt 0x0
	v_fmac_f64_e32 v[136:137], v[104:105], v[110:111]
	s_delay_alu instid0(VALU_DEP_1)
	v_add_f64_e64 v[100:101], v[100:101], -v[136:137]
	scratch_store_b64 off, v[100:101], off offset:64
	s_wait_xcnt 0x0
	v_cmpx_lt_u32_e32 7, v0
	s_cbranch_execz .LBB111_283
; %bb.282:
	scratch_load_b64 v[100:101], off, off offset:56
	v_mov_b64_e32 v[102:103], 0
	scratch_store_b64 off, v[102:103], off offset:56
	s_wait_loadcnt 0x0
	ds_store_b64 v1, v[100:101]
.LBB111_283:
	s_wait_xcnt 0x0
	s_or_b32 exec_lo, exec_lo, s0
	s_wait_storecnt_dscnt 0x0
	s_barrier_signal -1
	s_barrier_wait -1
	s_clause 0x5
	scratch_load_b128 v[100:103], off, off offset:56
	scratch_load_b128 v[104:107], off, off offset:72
	;; [unrolled: 1-line block ×6, first 2 shown]
	ds_load_b128 v[124:127], v2 offset:448
	ds_load_b128 v[128:131], v2 offset:464
	scratch_load_b128 v[132:135], off, off offset:152
	s_mov_b32 s0, exec_lo
	s_wait_loadcnt_dscnt 0x601
	v_fma_f64 v[136:137], v[102:103], v[124:125], 0
	s_wait_loadcnt 0x5
	s_delay_alu instid0(VALU_DEP_1) | instskip(SKIP_4) | instid1(VALU_DEP_1)
	v_fmac_f64_e32 v[136:137], v[104:105], v[126:127]
	scratch_load_b128 v[102:105], off, off offset:168
	s_wait_dscnt 0x0
	v_fmac_f64_e32 v[136:137], v[106:107], v[128:129]
	s_wait_loadcnt 0x5
	v_fmac_f64_e32 v[136:137], v[108:109], v[130:131]
	ds_load_b128 v[106:109], v2 offset:480
	ds_load_b128 v[124:127], v2 offset:496
	scratch_load_b128 v[128:131], off, off offset:184
	s_wait_dscnt 0x1
	v_fmac_f64_e32 v[136:137], v[110:111], v[106:107]
	s_wait_loadcnt 0x5
	s_delay_alu instid0(VALU_DEP_1) | instskip(SKIP_4) | instid1(VALU_DEP_1)
	v_fmac_f64_e32 v[136:137], v[112:113], v[108:109]
	scratch_load_b128 v[106:109], off, off offset:200
	s_wait_dscnt 0x0
	v_fmac_f64_e32 v[136:137], v[114:115], v[124:125]
	s_wait_loadcnt 0x5
	v_fmac_f64_e32 v[136:137], v[116:117], v[126:127]
	ds_load_b128 v[110:113], v2 offset:512
	ds_load_b128 v[114:117], v2 offset:528
	scratch_load_b128 v[124:127], off, off offset:216
	s_wait_dscnt 0x1
	v_fmac_f64_e32 v[136:137], v[118:119], v[110:111]
	s_wait_loadcnt 0x5
	s_delay_alu instid0(VALU_DEP_1) | instskip(SKIP_4) | instid1(VALU_DEP_1)
	v_fmac_f64_e32 v[136:137], v[120:121], v[112:113]
	scratch_load_b128 v[110:113], off, off offset:232
	s_wait_dscnt 0x0
	v_fmac_f64_e32 v[136:137], v[122:123], v[114:115]
	s_wait_loadcnt 0x5
	v_fmac_f64_e32 v[136:137], v[132:133], v[116:117]
	ds_load_b128 v[114:117], v2 offset:544
	ds_load_b128 v[118:121], v2 offset:560
	s_wait_dscnt 0x1
	v_fmac_f64_e32 v[136:137], v[134:135], v[114:115]
	scratch_load_b128 v[132:135], off, off offset:248
	s_wait_loadcnt 0x5
	v_fmac_f64_e32 v[136:137], v[102:103], v[116:117]
	s_wait_dscnt 0x0
	s_delay_alu instid0(VALU_DEP_1)
	v_fmac_f64_e32 v[136:137], v[104:105], v[118:119]
	scratch_load_b128 v[102:105], off, off offset:264
	s_wait_loadcnt 0x5
	v_fmac_f64_e32 v[136:137], v[128:129], v[120:121]
	ds_load_b128 v[114:117], v2 offset:576
	ds_load_b128 v[118:121], v2 offset:592
	s_wait_dscnt 0x1
	v_fmac_f64_e32 v[136:137], v[130:131], v[114:115]
	scratch_load_b128 v[128:131], off, off offset:280
	s_wait_loadcnt 0x5
	v_fmac_f64_e32 v[136:137], v[106:107], v[116:117]
	s_wait_dscnt 0x0
	s_delay_alu instid0(VALU_DEP_1)
	v_fmac_f64_e32 v[136:137], v[108:109], v[118:119]
	scratch_load_b128 v[106:109], off, off offset:296
	s_wait_loadcnt 0x5
	v_fmac_f64_e32 v[136:137], v[124:125], v[120:121]
	ds_load_b128 v[114:117], v2 offset:608
	ds_load_b128 v[118:121], v2 offset:624
	s_wait_dscnt 0x1
	v_fmac_f64_e32 v[136:137], v[126:127], v[114:115]
	s_wait_loadcnt 0x4
	s_delay_alu instid0(VALU_DEP_1)
	v_fmac_f64_e32 v[136:137], v[110:111], v[116:117]
	scratch_load_b128 v[114:117], off, off offset:312
	s_wait_dscnt 0x0
	v_fmac_f64_e32 v[136:137], v[112:113], v[118:119]
	scratch_load_b128 v[110:113], off, off offset:328
	s_wait_loadcnt 0x5
	v_fmac_f64_e32 v[136:137], v[132:133], v[120:121]
	ds_load_b128 v[118:121], v2 offset:640
	ds_load_b128 v[122:125], v2 offset:656
	s_wait_dscnt 0x1
	v_fmac_f64_e32 v[136:137], v[134:135], v[118:119]
	s_wait_loadcnt 0x4
	s_delay_alu instid0(VALU_DEP_1)
	v_fmac_f64_e32 v[136:137], v[102:103], v[120:121]
	scratch_load_b128 v[118:121], off, off offset:344
	s_wait_dscnt 0x0
	v_fmac_f64_e32 v[136:137], v[104:105], v[122:123]
	scratch_load_b128 v[102:105], off, off offset:360
	s_wait_loadcnt 0x5
	v_fmac_f64_e32 v[136:137], v[128:129], v[124:125]
	ds_load_b128 v[122:125], v2 offset:672
	ds_load_b128 v[126:129], v2 offset:688
	s_wait_dscnt 0x1
	v_fmac_f64_e32 v[136:137], v[130:131], v[122:123]
	scratch_load_b64 v[130:131], off, off offset:376
	s_wait_loadcnt 0x5
	v_fmac_f64_e32 v[136:137], v[106:107], v[124:125]
	s_wait_dscnt 0x0
	s_delay_alu instid0(VALU_DEP_1)
	v_fmac_f64_e32 v[136:137], v[108:109], v[126:127]
	ds_load_b128 v[106:109], v2 offset:704
	ds_load_b128 v[122:125], v2 offset:720
	s_wait_loadcnt 0x4
	v_fmac_f64_e32 v[136:137], v[114:115], v[128:129]
	s_wait_dscnt 0x1
	s_delay_alu instid0(VALU_DEP_1) | instskip(SKIP_1) | instid1(VALU_DEP_1)
	v_fmac_f64_e32 v[136:137], v[116:117], v[106:107]
	s_wait_loadcnt 0x3
	v_fmac_f64_e32 v[136:137], v[110:111], v[108:109]
	s_wait_dscnt 0x0
	s_delay_alu instid0(VALU_DEP_1)
	v_fmac_f64_e32 v[136:137], v[112:113], v[122:123]
	ds_load_b128 v[106:109], v2 offset:736
	ds_load_b128 v[110:113], v2 offset:752
	s_wait_loadcnt 0x2
	v_fmac_f64_e32 v[136:137], v[118:119], v[124:125]
	s_wait_dscnt 0x1
	s_delay_alu instid0(VALU_DEP_1) | instskip(SKIP_1) | instid1(VALU_DEP_1)
	v_fmac_f64_e32 v[136:137], v[120:121], v[106:107]
	s_wait_loadcnt 0x1
	v_fmac_f64_e32 v[136:137], v[102:103], v[108:109]
	s_wait_dscnt 0x0
	s_delay_alu instid0(VALU_DEP_1) | instskip(SKIP_1) | instid1(VALU_DEP_1)
	v_fmac_f64_e32 v[136:137], v[104:105], v[110:111]
	s_wait_loadcnt 0x0
	v_fmac_f64_e32 v[136:137], v[130:131], v[112:113]
	s_delay_alu instid0(VALU_DEP_1)
	v_add_f64_e64 v[2:3], v[100:101], -v[136:137]
	scratch_store_b64 off, v[2:3], off offset:56
	s_wait_xcnt 0x0
	v_cmpx_lt_u32_e32 6, v0
	s_cbranch_execz .LBB111_285
; %bb.284:
	scratch_load_b64 v[2:3], off, off offset:48
	v_mov_b64_e32 v[100:101], 0
	scratch_store_b64 off, v[100:101], off offset:48
	s_wait_loadcnt 0x0
	ds_store_b64 v1, v[2:3]
.LBB111_285:
	s_wait_xcnt 0x0
	s_or_b32 exec_lo, exec_lo, s0
	s_wait_storecnt_dscnt 0x0
	s_barrier_signal -1
	s_barrier_wait -1
	s_clause 0x5
	scratch_load_b128 v[100:103], off, off offset:48
	scratch_load_b128 v[104:107], off, off offset:64
	;; [unrolled: 1-line block ×6, first 2 shown]
	v_mov_b32_e32 v2, 0
	ds_load_2addr_b64 v[124:127], v2 offset0:55 offset1:56
	ds_load_2addr_b64 v[128:131], v2 offset0:57 offset1:58
	scratch_load_b128 v[132:135], off, off offset:144
	s_mov_b32 s0, exec_lo
	s_wait_loadcnt_dscnt 0x601
	v_fma_f64 v[136:137], v[102:103], v[124:125], 0
	s_wait_loadcnt 0x5
	s_delay_alu instid0(VALU_DEP_1) | instskip(SKIP_4) | instid1(VALU_DEP_1)
	v_fmac_f64_e32 v[136:137], v[104:105], v[126:127]
	scratch_load_b128 v[102:105], off, off offset:160
	s_wait_dscnt 0x0
	v_fmac_f64_e32 v[136:137], v[106:107], v[128:129]
	s_wait_loadcnt 0x5
	v_fmac_f64_e32 v[136:137], v[108:109], v[130:131]
	ds_load_2addr_b64 v[106:109], v2 offset0:59 offset1:60
	ds_load_2addr_b64 v[124:127], v2 offset0:61 offset1:62
	scratch_load_b128 v[128:131], off, off offset:176
	s_wait_dscnt 0x1
	v_fmac_f64_e32 v[136:137], v[110:111], v[106:107]
	s_wait_loadcnt 0x5
	s_delay_alu instid0(VALU_DEP_1) | instskip(SKIP_4) | instid1(VALU_DEP_1)
	v_fmac_f64_e32 v[136:137], v[112:113], v[108:109]
	scratch_load_b128 v[106:109], off, off offset:192
	s_wait_dscnt 0x0
	v_fmac_f64_e32 v[136:137], v[114:115], v[124:125]
	s_wait_loadcnt 0x5
	v_fmac_f64_e32 v[136:137], v[116:117], v[126:127]
	ds_load_2addr_b64 v[110:113], v2 offset0:63 offset1:64
	ds_load_2addr_b64 v[114:117], v2 offset0:65 offset1:66
	scratch_load_b128 v[124:127], off, off offset:208
	s_wait_dscnt 0x1
	v_fmac_f64_e32 v[136:137], v[118:119], v[110:111]
	s_wait_loadcnt 0x5
	s_delay_alu instid0(VALU_DEP_1) | instskip(SKIP_4) | instid1(VALU_DEP_1)
	v_fmac_f64_e32 v[136:137], v[120:121], v[112:113]
	scratch_load_b128 v[110:113], off, off offset:224
	s_wait_dscnt 0x0
	v_fmac_f64_e32 v[136:137], v[122:123], v[114:115]
	s_wait_loadcnt 0x5
	v_fmac_f64_e32 v[136:137], v[132:133], v[116:117]
	ds_load_2addr_b64 v[114:117], v2 offset0:67 offset1:68
	ds_load_2addr_b64 v[118:121], v2 offset0:69 offset1:70
	s_wait_dscnt 0x1
	v_fmac_f64_e32 v[136:137], v[134:135], v[114:115]
	scratch_load_b128 v[132:135], off, off offset:240
	s_wait_loadcnt 0x5
	v_fmac_f64_e32 v[136:137], v[102:103], v[116:117]
	s_wait_dscnt 0x0
	s_delay_alu instid0(VALU_DEP_1)
	v_fmac_f64_e32 v[136:137], v[104:105], v[118:119]
	scratch_load_b128 v[102:105], off, off offset:256
	s_wait_loadcnt 0x5
	v_fmac_f64_e32 v[136:137], v[128:129], v[120:121]
	ds_load_2addr_b64 v[114:117], v2 offset0:71 offset1:72
	ds_load_2addr_b64 v[118:121], v2 offset0:73 offset1:74
	s_wait_dscnt 0x1
	v_fmac_f64_e32 v[136:137], v[130:131], v[114:115]
	scratch_load_b128 v[128:131], off, off offset:272
	s_wait_loadcnt 0x5
	v_fmac_f64_e32 v[136:137], v[106:107], v[116:117]
	s_wait_dscnt 0x0
	s_delay_alu instid0(VALU_DEP_1)
	v_fmac_f64_e32 v[136:137], v[108:109], v[118:119]
	scratch_load_b128 v[106:109], off, off offset:288
	s_wait_loadcnt 0x5
	v_fmac_f64_e32 v[136:137], v[124:125], v[120:121]
	ds_load_2addr_b64 v[114:117], v2 offset0:75 offset1:76
	ds_load_2addr_b64 v[118:121], v2 offset0:77 offset1:78
	s_wait_dscnt 0x1
	v_fmac_f64_e32 v[136:137], v[126:127], v[114:115]
	s_wait_loadcnt 0x4
	s_delay_alu instid0(VALU_DEP_1)
	v_fmac_f64_e32 v[136:137], v[110:111], v[116:117]
	scratch_load_b128 v[114:117], off, off offset:304
	s_wait_dscnt 0x0
	v_fmac_f64_e32 v[136:137], v[112:113], v[118:119]
	scratch_load_b128 v[110:113], off, off offset:320
	s_wait_loadcnt 0x5
	v_fmac_f64_e32 v[136:137], v[132:133], v[120:121]
	ds_load_2addr_b64 v[118:121], v2 offset0:79 offset1:80
	ds_load_2addr_b64 v[122:125], v2 offset0:81 offset1:82
	s_wait_dscnt 0x1
	v_fmac_f64_e32 v[136:137], v[134:135], v[118:119]
	s_wait_loadcnt 0x4
	s_delay_alu instid0(VALU_DEP_1)
	v_fmac_f64_e32 v[136:137], v[102:103], v[120:121]
	scratch_load_b128 v[118:121], off, off offset:336
	s_wait_dscnt 0x0
	v_fmac_f64_e32 v[136:137], v[104:105], v[122:123]
	scratch_load_b128 v[102:105], off, off offset:352
	s_wait_loadcnt 0x5
	v_fmac_f64_e32 v[136:137], v[128:129], v[124:125]
	ds_load_2addr_b64 v[122:125], v2 offset0:83 offset1:84
	ds_load_2addr_b64 v[126:129], v2 offset0:85 offset1:86
	s_wait_dscnt 0x1
	v_fmac_f64_e32 v[136:137], v[130:131], v[122:123]
	s_wait_loadcnt 0x4
	s_delay_alu instid0(VALU_DEP_1) | instskip(SKIP_4) | instid1(VALU_DEP_1)
	v_fmac_f64_e32 v[136:137], v[106:107], v[124:125]
	scratch_load_b128 v[122:125], off, off offset:368
	s_wait_dscnt 0x0
	v_fmac_f64_e32 v[136:137], v[108:109], v[126:127]
	s_wait_loadcnt 0x4
	v_fmac_f64_e32 v[136:137], v[114:115], v[128:129]
	ds_load_2addr_b64 v[106:109], v2 offset0:87 offset1:88
	ds_load_2addr_b64 v[126:129], v2 offset0:89 offset1:90
	s_wait_dscnt 0x1
	v_fmac_f64_e32 v[136:137], v[116:117], v[106:107]
	s_wait_loadcnt 0x3
	s_delay_alu instid0(VALU_DEP_1) | instskip(SKIP_1) | instid1(VALU_DEP_1)
	v_fmac_f64_e32 v[136:137], v[110:111], v[108:109]
	s_wait_dscnt 0x0
	v_fmac_f64_e32 v[136:137], v[112:113], v[126:127]
	ds_load_2addr_b64 v[106:109], v2 offset0:91 offset1:92
	ds_load_2addr_b64 v[110:113], v2 offset0:93 offset1:94
	s_wait_loadcnt 0x2
	v_fmac_f64_e32 v[136:137], v[118:119], v[128:129]
	s_wait_dscnt 0x1
	s_delay_alu instid0(VALU_DEP_1) | instskip(SKIP_1) | instid1(VALU_DEP_1)
	v_fmac_f64_e32 v[136:137], v[120:121], v[106:107]
	s_wait_loadcnt 0x1
	v_fmac_f64_e32 v[136:137], v[102:103], v[108:109]
	ds_load_b64 v[102:103], v2 offset:760
	s_wait_dscnt 0x1
	v_fmac_f64_e32 v[136:137], v[104:105], v[110:111]
	s_wait_loadcnt 0x0
	s_delay_alu instid0(VALU_DEP_1) | instskip(SKIP_1) | instid1(VALU_DEP_1)
	v_fmac_f64_e32 v[136:137], v[122:123], v[112:113]
	s_wait_dscnt 0x0
	v_fmac_f64_e32 v[136:137], v[124:125], v[102:103]
	s_delay_alu instid0(VALU_DEP_1)
	v_add_f64_e64 v[100:101], v[100:101], -v[136:137]
	scratch_store_b64 off, v[100:101], off offset:48
	s_wait_xcnt 0x0
	v_cmpx_lt_u32_e32 5, v0
	s_cbranch_execz .LBB111_287
; %bb.286:
	scratch_load_b64 v[100:101], off, off offset:40
	v_mov_b64_e32 v[102:103], 0
	scratch_store_b64 off, v[102:103], off offset:40
	s_wait_loadcnt 0x0
	ds_store_b64 v1, v[100:101]
.LBB111_287:
	s_wait_xcnt 0x0
	s_or_b32 exec_lo, exec_lo, s0
	s_wait_storecnt_dscnt 0x0
	s_barrier_signal -1
	s_barrier_wait -1
	s_clause 0x5
	scratch_load_b128 v[100:103], off, off offset:40
	scratch_load_b128 v[104:107], off, off offset:56
	;; [unrolled: 1-line block ×6, first 2 shown]
	ds_load_b128 v[124:127], v2 offset:432
	ds_load_b128 v[128:131], v2 offset:448
	scratch_load_b128 v[132:135], off, off offset:136
	s_mov_b32 s0, exec_lo
	s_wait_loadcnt_dscnt 0x601
	v_fma_f64 v[136:137], v[102:103], v[124:125], 0
	s_wait_loadcnt 0x5
	s_delay_alu instid0(VALU_DEP_1) | instskip(SKIP_4) | instid1(VALU_DEP_1)
	v_fmac_f64_e32 v[136:137], v[104:105], v[126:127]
	scratch_load_b128 v[102:105], off, off offset:152
	s_wait_dscnt 0x0
	v_fmac_f64_e32 v[136:137], v[106:107], v[128:129]
	s_wait_loadcnt 0x5
	v_fmac_f64_e32 v[136:137], v[108:109], v[130:131]
	ds_load_b128 v[106:109], v2 offset:464
	ds_load_b128 v[124:127], v2 offset:480
	scratch_load_b128 v[128:131], off, off offset:168
	s_wait_dscnt 0x1
	v_fmac_f64_e32 v[136:137], v[110:111], v[106:107]
	s_wait_loadcnt 0x5
	s_delay_alu instid0(VALU_DEP_1) | instskip(SKIP_4) | instid1(VALU_DEP_1)
	v_fmac_f64_e32 v[136:137], v[112:113], v[108:109]
	scratch_load_b128 v[106:109], off, off offset:184
	s_wait_dscnt 0x0
	v_fmac_f64_e32 v[136:137], v[114:115], v[124:125]
	s_wait_loadcnt 0x5
	v_fmac_f64_e32 v[136:137], v[116:117], v[126:127]
	ds_load_b128 v[110:113], v2 offset:496
	ds_load_b128 v[114:117], v2 offset:512
	scratch_load_b128 v[124:127], off, off offset:200
	s_wait_dscnt 0x1
	v_fmac_f64_e32 v[136:137], v[118:119], v[110:111]
	s_wait_loadcnt 0x5
	s_delay_alu instid0(VALU_DEP_1) | instskip(SKIP_4) | instid1(VALU_DEP_1)
	v_fmac_f64_e32 v[136:137], v[120:121], v[112:113]
	scratch_load_b128 v[110:113], off, off offset:216
	s_wait_dscnt 0x0
	v_fmac_f64_e32 v[136:137], v[122:123], v[114:115]
	s_wait_loadcnt 0x5
	v_fmac_f64_e32 v[136:137], v[132:133], v[116:117]
	ds_load_b128 v[114:117], v2 offset:528
	ds_load_b128 v[118:121], v2 offset:544
	s_wait_dscnt 0x1
	v_fmac_f64_e32 v[136:137], v[134:135], v[114:115]
	scratch_load_b128 v[132:135], off, off offset:232
	s_wait_loadcnt 0x5
	v_fmac_f64_e32 v[136:137], v[102:103], v[116:117]
	s_wait_dscnt 0x0
	s_delay_alu instid0(VALU_DEP_1)
	v_fmac_f64_e32 v[136:137], v[104:105], v[118:119]
	scratch_load_b128 v[102:105], off, off offset:248
	s_wait_loadcnt 0x5
	v_fmac_f64_e32 v[136:137], v[128:129], v[120:121]
	ds_load_b128 v[114:117], v2 offset:560
	ds_load_b128 v[118:121], v2 offset:576
	s_wait_dscnt 0x1
	v_fmac_f64_e32 v[136:137], v[130:131], v[114:115]
	scratch_load_b128 v[128:131], off, off offset:264
	s_wait_loadcnt 0x5
	v_fmac_f64_e32 v[136:137], v[106:107], v[116:117]
	s_wait_dscnt 0x0
	s_delay_alu instid0(VALU_DEP_1)
	v_fmac_f64_e32 v[136:137], v[108:109], v[118:119]
	scratch_load_b128 v[106:109], off, off offset:280
	s_wait_loadcnt 0x5
	v_fmac_f64_e32 v[136:137], v[124:125], v[120:121]
	ds_load_b128 v[114:117], v2 offset:592
	ds_load_b128 v[118:121], v2 offset:608
	scratch_load_b128 v[122:125], off, off offset:296
	s_wait_dscnt 0x1
	v_fmac_f64_e32 v[136:137], v[126:127], v[114:115]
	s_wait_loadcnt 0x5
	s_delay_alu instid0(VALU_DEP_1) | instskip(SKIP_1) | instid1(VALU_DEP_1)
	v_fmac_f64_e32 v[136:137], v[110:111], v[116:117]
	s_wait_dscnt 0x0
	v_fmac_f64_e32 v[136:137], v[112:113], v[118:119]
	scratch_load_b128 v[110:113], off, off offset:312
	s_wait_loadcnt 0x5
	v_fmac_f64_e32 v[136:137], v[132:133], v[120:121]
	ds_load_b128 v[114:117], v2 offset:624
	ds_load_b128 v[118:121], v2 offset:640
	s_wait_dscnt 0x1
	v_fmac_f64_e32 v[136:137], v[134:135], v[114:115]
	s_wait_loadcnt 0x4
	s_delay_alu instid0(VALU_DEP_1)
	v_fmac_f64_e32 v[136:137], v[102:103], v[116:117]
	scratch_load_b128 v[114:117], off, off offset:328
	s_wait_dscnt 0x0
	v_fmac_f64_e32 v[136:137], v[104:105], v[118:119]
	scratch_load_b128 v[102:105], off, off offset:344
	s_wait_loadcnt 0x5
	v_fmac_f64_e32 v[136:137], v[128:129], v[120:121]
	ds_load_b128 v[118:121], v2 offset:656
	ds_load_b128 v[126:129], v2 offset:672
	s_wait_dscnt 0x1
	v_fmac_f64_e32 v[136:137], v[130:131], v[118:119]
	s_wait_loadcnt 0x4
	s_delay_alu instid0(VALU_DEP_1) | instskip(SKIP_4) | instid1(VALU_DEP_1)
	v_fmac_f64_e32 v[136:137], v[106:107], v[120:121]
	scratch_load_b128 v[118:121], off, off offset:360
	s_wait_dscnt 0x0
	v_fmac_f64_e32 v[136:137], v[108:109], v[126:127]
	s_wait_loadcnt 0x4
	v_fmac_f64_e32 v[136:137], v[122:123], v[128:129]
	scratch_load_b64 v[122:123], off, off offset:376
	ds_load_b128 v[106:109], v2 offset:688
	ds_load_b128 v[126:129], v2 offset:704
	s_wait_dscnt 0x1
	v_fmac_f64_e32 v[136:137], v[124:125], v[106:107]
	s_wait_loadcnt 0x4
	s_delay_alu instid0(VALU_DEP_1) | instskip(SKIP_1) | instid1(VALU_DEP_1)
	v_fmac_f64_e32 v[136:137], v[110:111], v[108:109]
	s_wait_dscnt 0x0
	v_fmac_f64_e32 v[136:137], v[112:113], v[126:127]
	ds_load_b128 v[106:109], v2 offset:720
	ds_load_b128 v[110:113], v2 offset:736
	s_wait_loadcnt 0x3
	v_fmac_f64_e32 v[136:137], v[114:115], v[128:129]
	s_wait_dscnt 0x1
	s_delay_alu instid0(VALU_DEP_1) | instskip(SKIP_1) | instid1(VALU_DEP_1)
	v_fmac_f64_e32 v[136:137], v[116:117], v[106:107]
	s_wait_loadcnt 0x2
	v_fmac_f64_e32 v[136:137], v[102:103], v[108:109]
	s_wait_dscnt 0x0
	s_delay_alu instid0(VALU_DEP_1) | instskip(SKIP_4) | instid1(VALU_DEP_1)
	v_fmac_f64_e32 v[136:137], v[104:105], v[110:111]
	ds_load_b128 v[102:105], v2 offset:752
	s_wait_loadcnt 0x1
	v_fmac_f64_e32 v[136:137], v[118:119], v[112:113]
	s_wait_dscnt 0x0
	v_fmac_f64_e32 v[136:137], v[120:121], v[102:103]
	s_wait_loadcnt 0x0
	s_delay_alu instid0(VALU_DEP_1) | instskip(NEXT) | instid1(VALU_DEP_1)
	v_fmac_f64_e32 v[136:137], v[122:123], v[104:105]
	v_add_f64_e64 v[2:3], v[100:101], -v[136:137]
	scratch_store_b64 off, v[2:3], off offset:40
	s_wait_xcnt 0x0
	v_cmpx_lt_u32_e32 4, v0
	s_cbranch_execz .LBB111_289
; %bb.288:
	scratch_load_b64 v[2:3], off, off offset:32
	v_mov_b64_e32 v[100:101], 0
	scratch_store_b64 off, v[100:101], off offset:32
	s_wait_loadcnt 0x0
	ds_store_b64 v1, v[2:3]
.LBB111_289:
	s_wait_xcnt 0x0
	s_or_b32 exec_lo, exec_lo, s0
	s_wait_storecnt_dscnt 0x0
	s_barrier_signal -1
	s_barrier_wait -1
	s_clause 0x5
	scratch_load_b128 v[100:103], off, off offset:32
	scratch_load_b128 v[104:107], off, off offset:48
	;; [unrolled: 1-line block ×6, first 2 shown]
	v_mov_b32_e32 v2, 0
	ds_load_2addr_b64 v[124:127], v2 offset0:53 offset1:54
	ds_load_2addr_b64 v[128:131], v2 offset0:55 offset1:56
	scratch_load_b128 v[132:135], off, off offset:128
	s_mov_b32 s0, exec_lo
	s_wait_loadcnt_dscnt 0x601
	v_fma_f64 v[136:137], v[102:103], v[124:125], 0
	s_wait_loadcnt 0x5
	s_delay_alu instid0(VALU_DEP_1) | instskip(SKIP_4) | instid1(VALU_DEP_1)
	v_fmac_f64_e32 v[136:137], v[104:105], v[126:127]
	scratch_load_b128 v[102:105], off, off offset:144
	s_wait_dscnt 0x0
	v_fmac_f64_e32 v[136:137], v[106:107], v[128:129]
	s_wait_loadcnt 0x5
	v_fmac_f64_e32 v[136:137], v[108:109], v[130:131]
	ds_load_2addr_b64 v[106:109], v2 offset0:57 offset1:58
	ds_load_2addr_b64 v[124:127], v2 offset0:59 offset1:60
	scratch_load_b128 v[128:131], off, off offset:160
	s_wait_dscnt 0x1
	v_fmac_f64_e32 v[136:137], v[110:111], v[106:107]
	s_wait_loadcnt 0x5
	s_delay_alu instid0(VALU_DEP_1) | instskip(SKIP_4) | instid1(VALU_DEP_1)
	v_fmac_f64_e32 v[136:137], v[112:113], v[108:109]
	scratch_load_b128 v[106:109], off, off offset:176
	s_wait_dscnt 0x0
	v_fmac_f64_e32 v[136:137], v[114:115], v[124:125]
	s_wait_loadcnt 0x5
	v_fmac_f64_e32 v[136:137], v[116:117], v[126:127]
	ds_load_2addr_b64 v[110:113], v2 offset0:61 offset1:62
	ds_load_2addr_b64 v[114:117], v2 offset0:63 offset1:64
	scratch_load_b128 v[124:127], off, off offset:192
	s_wait_dscnt 0x1
	v_fmac_f64_e32 v[136:137], v[118:119], v[110:111]
	s_wait_loadcnt 0x5
	s_delay_alu instid0(VALU_DEP_1) | instskip(SKIP_4) | instid1(VALU_DEP_1)
	v_fmac_f64_e32 v[136:137], v[120:121], v[112:113]
	scratch_load_b128 v[110:113], off, off offset:208
	s_wait_dscnt 0x0
	v_fmac_f64_e32 v[136:137], v[122:123], v[114:115]
	s_wait_loadcnt 0x5
	v_fmac_f64_e32 v[136:137], v[132:133], v[116:117]
	ds_load_2addr_b64 v[114:117], v2 offset0:65 offset1:66
	ds_load_2addr_b64 v[118:121], v2 offset0:67 offset1:68
	s_wait_dscnt 0x1
	v_fmac_f64_e32 v[136:137], v[134:135], v[114:115]
	scratch_load_b128 v[132:135], off, off offset:224
	s_wait_loadcnt 0x5
	v_fmac_f64_e32 v[136:137], v[102:103], v[116:117]
	s_wait_dscnt 0x0
	s_delay_alu instid0(VALU_DEP_1)
	v_fmac_f64_e32 v[136:137], v[104:105], v[118:119]
	scratch_load_b128 v[102:105], off, off offset:240
	s_wait_loadcnt 0x5
	v_fmac_f64_e32 v[136:137], v[128:129], v[120:121]
	ds_load_2addr_b64 v[114:117], v2 offset0:69 offset1:70
	ds_load_2addr_b64 v[118:121], v2 offset0:71 offset1:72
	s_wait_dscnt 0x1
	v_fmac_f64_e32 v[136:137], v[130:131], v[114:115]
	scratch_load_b128 v[128:131], off, off offset:256
	s_wait_loadcnt 0x5
	v_fmac_f64_e32 v[136:137], v[106:107], v[116:117]
	s_wait_dscnt 0x0
	s_delay_alu instid0(VALU_DEP_1)
	v_fmac_f64_e32 v[136:137], v[108:109], v[118:119]
	scratch_load_b128 v[106:109], off, off offset:272
	s_wait_loadcnt 0x5
	v_fmac_f64_e32 v[136:137], v[124:125], v[120:121]
	ds_load_2addr_b64 v[114:117], v2 offset0:73 offset1:74
	ds_load_2addr_b64 v[118:121], v2 offset0:75 offset1:76
	scratch_load_b128 v[122:125], off, off offset:288
	s_wait_dscnt 0x1
	v_fmac_f64_e32 v[136:137], v[126:127], v[114:115]
	s_wait_loadcnt 0x5
	s_delay_alu instid0(VALU_DEP_1) | instskip(SKIP_1) | instid1(VALU_DEP_1)
	v_fmac_f64_e32 v[136:137], v[110:111], v[116:117]
	s_wait_dscnt 0x0
	v_fmac_f64_e32 v[136:137], v[112:113], v[118:119]
	scratch_load_b128 v[110:113], off, off offset:304
	s_wait_loadcnt 0x5
	v_fmac_f64_e32 v[136:137], v[132:133], v[120:121]
	ds_load_2addr_b64 v[114:117], v2 offset0:77 offset1:78
	ds_load_2addr_b64 v[118:121], v2 offset0:79 offset1:80
	s_wait_dscnt 0x1
	v_fmac_f64_e32 v[136:137], v[134:135], v[114:115]
	s_wait_loadcnt 0x4
	s_delay_alu instid0(VALU_DEP_1)
	v_fmac_f64_e32 v[136:137], v[102:103], v[116:117]
	scratch_load_b128 v[114:117], off, off offset:320
	s_wait_dscnt 0x0
	v_fmac_f64_e32 v[136:137], v[104:105], v[118:119]
	scratch_load_b128 v[102:105], off, off offset:336
	s_wait_loadcnt 0x5
	v_fmac_f64_e32 v[136:137], v[128:129], v[120:121]
	ds_load_2addr_b64 v[118:121], v2 offset0:81 offset1:82
	ds_load_2addr_b64 v[126:129], v2 offset0:83 offset1:84
	s_wait_dscnt 0x1
	v_fmac_f64_e32 v[136:137], v[130:131], v[118:119]
	s_wait_loadcnt 0x4
	s_delay_alu instid0(VALU_DEP_1)
	v_fmac_f64_e32 v[136:137], v[106:107], v[120:121]
	scratch_load_b128 v[118:121], off, off offset:352
	s_wait_dscnt 0x0
	v_fmac_f64_e32 v[136:137], v[108:109], v[126:127]
	scratch_load_b128 v[106:109], off, off offset:368
	s_wait_loadcnt 0x5
	v_fmac_f64_e32 v[136:137], v[122:123], v[128:129]
	ds_load_2addr_b64 v[126:129], v2 offset0:85 offset1:86
	ds_load_2addr_b64 v[130:133], v2 offset0:87 offset1:88
	s_wait_dscnt 0x1
	v_fmac_f64_e32 v[136:137], v[124:125], v[126:127]
	s_wait_loadcnt 0x4
	s_delay_alu instid0(VALU_DEP_1) | instskip(SKIP_1) | instid1(VALU_DEP_1)
	v_fmac_f64_e32 v[136:137], v[110:111], v[128:129]
	s_wait_dscnt 0x0
	v_fmac_f64_e32 v[136:137], v[112:113], v[130:131]
	ds_load_2addr_b64 v[110:113], v2 offset0:89 offset1:90
	ds_load_2addr_b64 v[122:125], v2 offset0:91 offset1:92
	s_wait_loadcnt 0x3
	v_fmac_f64_e32 v[136:137], v[114:115], v[132:133]
	s_wait_dscnt 0x1
	s_delay_alu instid0(VALU_DEP_1) | instskip(SKIP_1) | instid1(VALU_DEP_1)
	v_fmac_f64_e32 v[136:137], v[116:117], v[110:111]
	s_wait_loadcnt 0x2
	v_fmac_f64_e32 v[136:137], v[102:103], v[112:113]
	s_wait_dscnt 0x0
	s_delay_alu instid0(VALU_DEP_1)
	v_fmac_f64_e32 v[136:137], v[104:105], v[122:123]
	ds_load_2addr_b64 v[102:105], v2 offset0:93 offset1:94
	ds_load_b64 v[110:111], v2 offset:760
	s_wait_loadcnt 0x1
	v_fmac_f64_e32 v[136:137], v[118:119], v[124:125]
	s_wait_dscnt 0x1
	s_delay_alu instid0(VALU_DEP_1) | instskip(SKIP_1) | instid1(VALU_DEP_1)
	v_fmac_f64_e32 v[136:137], v[120:121], v[102:103]
	s_wait_loadcnt 0x0
	v_fmac_f64_e32 v[136:137], v[106:107], v[104:105]
	s_wait_dscnt 0x0
	s_delay_alu instid0(VALU_DEP_1) | instskip(NEXT) | instid1(VALU_DEP_1)
	v_fmac_f64_e32 v[136:137], v[108:109], v[110:111]
	v_add_f64_e64 v[100:101], v[100:101], -v[136:137]
	scratch_store_b64 off, v[100:101], off offset:32
	s_wait_xcnt 0x0
	v_cmpx_lt_u32_e32 3, v0
	s_cbranch_execz .LBB111_291
; %bb.290:
	scratch_load_b64 v[100:101], off, off offset:24
	v_mov_b64_e32 v[102:103], 0
	scratch_store_b64 off, v[102:103], off offset:24
	s_wait_loadcnt 0x0
	ds_store_b64 v1, v[100:101]
.LBB111_291:
	s_wait_xcnt 0x0
	s_or_b32 exec_lo, exec_lo, s0
	s_wait_storecnt_dscnt 0x0
	s_barrier_signal -1
	s_barrier_wait -1
	s_clause 0x5
	scratch_load_b128 v[100:103], off, off offset:24
	scratch_load_b128 v[104:107], off, off offset:40
	;; [unrolled: 1-line block ×6, first 2 shown]
	ds_load_b128 v[124:127], v2 offset:416
	ds_load_b128 v[128:131], v2 offset:432
	scratch_load_b128 v[132:135], off, off offset:120
	s_mov_b32 s0, exec_lo
	s_wait_loadcnt_dscnt 0x601
	v_fma_f64 v[136:137], v[102:103], v[124:125], 0
	s_wait_loadcnt 0x5
	s_delay_alu instid0(VALU_DEP_1) | instskip(SKIP_4) | instid1(VALU_DEP_1)
	v_fmac_f64_e32 v[136:137], v[104:105], v[126:127]
	scratch_load_b128 v[102:105], off, off offset:136
	s_wait_dscnt 0x0
	v_fmac_f64_e32 v[136:137], v[106:107], v[128:129]
	s_wait_loadcnt 0x5
	v_fmac_f64_e32 v[136:137], v[108:109], v[130:131]
	ds_load_b128 v[106:109], v2 offset:448
	ds_load_b128 v[124:127], v2 offset:464
	scratch_load_b128 v[128:131], off, off offset:152
	s_wait_dscnt 0x1
	v_fmac_f64_e32 v[136:137], v[110:111], v[106:107]
	s_wait_loadcnt 0x5
	s_delay_alu instid0(VALU_DEP_1) | instskip(SKIP_4) | instid1(VALU_DEP_1)
	v_fmac_f64_e32 v[136:137], v[112:113], v[108:109]
	scratch_load_b128 v[106:109], off, off offset:168
	s_wait_dscnt 0x0
	v_fmac_f64_e32 v[136:137], v[114:115], v[124:125]
	s_wait_loadcnt 0x5
	v_fmac_f64_e32 v[136:137], v[116:117], v[126:127]
	ds_load_b128 v[110:113], v2 offset:480
	ds_load_b128 v[114:117], v2 offset:496
	scratch_load_b128 v[124:127], off, off offset:184
	s_wait_dscnt 0x1
	v_fmac_f64_e32 v[136:137], v[118:119], v[110:111]
	s_wait_loadcnt 0x5
	s_delay_alu instid0(VALU_DEP_1) | instskip(SKIP_4) | instid1(VALU_DEP_1)
	v_fmac_f64_e32 v[136:137], v[120:121], v[112:113]
	scratch_load_b128 v[110:113], off, off offset:200
	s_wait_dscnt 0x0
	v_fmac_f64_e32 v[136:137], v[122:123], v[114:115]
	s_wait_loadcnt 0x5
	v_fmac_f64_e32 v[136:137], v[132:133], v[116:117]
	ds_load_b128 v[114:117], v2 offset:512
	ds_load_b128 v[118:121], v2 offset:528
	s_wait_dscnt 0x1
	v_fmac_f64_e32 v[136:137], v[134:135], v[114:115]
	scratch_load_b128 v[132:135], off, off offset:216
	s_wait_loadcnt 0x5
	v_fmac_f64_e32 v[136:137], v[102:103], v[116:117]
	s_wait_dscnt 0x0
	s_delay_alu instid0(VALU_DEP_1)
	v_fmac_f64_e32 v[136:137], v[104:105], v[118:119]
	scratch_load_b128 v[102:105], off, off offset:232
	s_wait_loadcnt 0x5
	v_fmac_f64_e32 v[136:137], v[128:129], v[120:121]
	ds_load_b128 v[114:117], v2 offset:544
	ds_load_b128 v[118:121], v2 offset:560
	s_wait_dscnt 0x1
	v_fmac_f64_e32 v[136:137], v[130:131], v[114:115]
	scratch_load_b128 v[128:131], off, off offset:248
	s_wait_loadcnt 0x5
	v_fmac_f64_e32 v[136:137], v[106:107], v[116:117]
	s_wait_dscnt 0x0
	s_delay_alu instid0(VALU_DEP_1)
	v_fmac_f64_e32 v[136:137], v[108:109], v[118:119]
	scratch_load_b128 v[106:109], off, off offset:264
	s_wait_loadcnt 0x5
	v_fmac_f64_e32 v[136:137], v[124:125], v[120:121]
	ds_load_b128 v[114:117], v2 offset:576
	ds_load_b128 v[118:121], v2 offset:592
	scratch_load_b128 v[122:125], off, off offset:280
	s_wait_dscnt 0x1
	v_fmac_f64_e32 v[136:137], v[126:127], v[114:115]
	s_wait_loadcnt 0x5
	s_delay_alu instid0(VALU_DEP_1) | instskip(SKIP_1) | instid1(VALU_DEP_1)
	v_fmac_f64_e32 v[136:137], v[110:111], v[116:117]
	s_wait_dscnt 0x0
	v_fmac_f64_e32 v[136:137], v[112:113], v[118:119]
	scratch_load_b128 v[110:113], off, off offset:296
	s_wait_loadcnt 0x5
	v_fmac_f64_e32 v[136:137], v[132:133], v[120:121]
	ds_load_b128 v[114:117], v2 offset:608
	ds_load_b128 v[118:121], v2 offset:624
	s_wait_dscnt 0x1
	v_fmac_f64_e32 v[136:137], v[134:135], v[114:115]
	s_wait_loadcnt 0x4
	s_delay_alu instid0(VALU_DEP_1)
	v_fmac_f64_e32 v[136:137], v[102:103], v[116:117]
	scratch_load_b128 v[114:117], off, off offset:312
	s_wait_dscnt 0x0
	v_fmac_f64_e32 v[136:137], v[104:105], v[118:119]
	scratch_load_b128 v[102:105], off, off offset:328
	s_wait_loadcnt 0x5
	v_fmac_f64_e32 v[136:137], v[128:129], v[120:121]
	ds_load_b128 v[118:121], v2 offset:640
	ds_load_b128 v[126:129], v2 offset:656
	s_wait_dscnt 0x1
	v_fmac_f64_e32 v[136:137], v[130:131], v[118:119]
	s_wait_loadcnt 0x4
	s_delay_alu instid0(VALU_DEP_1)
	v_fmac_f64_e32 v[136:137], v[106:107], v[120:121]
	scratch_load_b128 v[118:121], off, off offset:344
	s_wait_dscnt 0x0
	v_fmac_f64_e32 v[136:137], v[108:109], v[126:127]
	scratch_load_b128 v[106:109], off, off offset:360
	s_wait_loadcnt 0x5
	v_fmac_f64_e32 v[136:137], v[122:123], v[128:129]
	ds_load_b128 v[126:129], v2 offset:672
	ds_load_b128 v[130:133], v2 offset:688
	s_wait_dscnt 0x1
	v_fmac_f64_e32 v[136:137], v[124:125], v[126:127]
	scratch_load_b64 v[126:127], off, off offset:376
	s_wait_loadcnt 0x5
	v_fmac_f64_e32 v[136:137], v[110:111], v[128:129]
	s_wait_dscnt 0x0
	s_delay_alu instid0(VALU_DEP_1)
	v_fmac_f64_e32 v[136:137], v[112:113], v[130:131]
	ds_load_b128 v[110:113], v2 offset:704
	ds_load_b128 v[122:125], v2 offset:720
	s_wait_loadcnt 0x4
	v_fmac_f64_e32 v[136:137], v[114:115], v[132:133]
	s_wait_dscnt 0x1
	s_delay_alu instid0(VALU_DEP_1) | instskip(SKIP_1) | instid1(VALU_DEP_1)
	v_fmac_f64_e32 v[136:137], v[116:117], v[110:111]
	s_wait_loadcnt 0x3
	v_fmac_f64_e32 v[136:137], v[102:103], v[112:113]
	s_wait_dscnt 0x0
	s_delay_alu instid0(VALU_DEP_1)
	v_fmac_f64_e32 v[136:137], v[104:105], v[122:123]
	ds_load_b128 v[102:105], v2 offset:736
	ds_load_b128 v[110:113], v2 offset:752
	s_wait_loadcnt 0x2
	v_fmac_f64_e32 v[136:137], v[118:119], v[124:125]
	s_wait_dscnt 0x1
	s_delay_alu instid0(VALU_DEP_1) | instskip(SKIP_1) | instid1(VALU_DEP_1)
	v_fmac_f64_e32 v[136:137], v[120:121], v[102:103]
	s_wait_loadcnt 0x1
	v_fmac_f64_e32 v[136:137], v[106:107], v[104:105]
	s_wait_dscnt 0x0
	s_delay_alu instid0(VALU_DEP_1) | instskip(SKIP_1) | instid1(VALU_DEP_1)
	v_fmac_f64_e32 v[136:137], v[108:109], v[110:111]
	s_wait_loadcnt 0x0
	v_fmac_f64_e32 v[136:137], v[126:127], v[112:113]
	s_delay_alu instid0(VALU_DEP_1)
	v_add_f64_e64 v[2:3], v[100:101], -v[136:137]
	scratch_store_b64 off, v[2:3], off offset:24
	s_wait_xcnt 0x0
	v_cmpx_lt_u32_e32 2, v0
	s_cbranch_execz .LBB111_293
; %bb.292:
	scratch_load_b64 v[2:3], off, off offset:16
	v_mov_b64_e32 v[100:101], 0
	scratch_store_b64 off, v[100:101], off offset:16
	s_wait_loadcnt 0x0
	ds_store_b64 v1, v[2:3]
.LBB111_293:
	s_wait_xcnt 0x0
	s_or_b32 exec_lo, exec_lo, s0
	s_wait_storecnt_dscnt 0x0
	s_barrier_signal -1
	s_barrier_wait -1
	s_clause 0x5
	scratch_load_b128 v[100:103], off, off offset:16
	scratch_load_b128 v[104:107], off, off offset:32
	;; [unrolled: 1-line block ×6, first 2 shown]
	v_mov_b32_e32 v2, 0
	ds_load_2addr_b64 v[124:127], v2 offset0:51 offset1:52
	ds_load_2addr_b64 v[128:131], v2 offset0:53 offset1:54
	scratch_load_b128 v[132:135], off, off offset:112
	s_mov_b32 s0, exec_lo
	s_wait_loadcnt_dscnt 0x601
	v_fma_f64 v[136:137], v[102:103], v[124:125], 0
	s_wait_loadcnt 0x5
	s_delay_alu instid0(VALU_DEP_1) | instskip(SKIP_4) | instid1(VALU_DEP_1)
	v_fmac_f64_e32 v[136:137], v[104:105], v[126:127]
	scratch_load_b128 v[102:105], off, off offset:128
	s_wait_dscnt 0x0
	v_fmac_f64_e32 v[136:137], v[106:107], v[128:129]
	s_wait_loadcnt 0x5
	v_fmac_f64_e32 v[136:137], v[108:109], v[130:131]
	ds_load_2addr_b64 v[106:109], v2 offset0:55 offset1:56
	ds_load_2addr_b64 v[124:127], v2 offset0:57 offset1:58
	scratch_load_b128 v[128:131], off, off offset:144
	s_wait_dscnt 0x1
	v_fmac_f64_e32 v[136:137], v[110:111], v[106:107]
	s_wait_loadcnt 0x5
	s_delay_alu instid0(VALU_DEP_1) | instskip(SKIP_4) | instid1(VALU_DEP_1)
	v_fmac_f64_e32 v[136:137], v[112:113], v[108:109]
	scratch_load_b128 v[106:109], off, off offset:160
	s_wait_dscnt 0x0
	v_fmac_f64_e32 v[136:137], v[114:115], v[124:125]
	s_wait_loadcnt 0x5
	v_fmac_f64_e32 v[136:137], v[116:117], v[126:127]
	ds_load_2addr_b64 v[110:113], v2 offset0:59 offset1:60
	ds_load_2addr_b64 v[114:117], v2 offset0:61 offset1:62
	scratch_load_b128 v[124:127], off, off offset:176
	s_wait_dscnt 0x1
	v_fmac_f64_e32 v[136:137], v[118:119], v[110:111]
	s_wait_loadcnt 0x5
	s_delay_alu instid0(VALU_DEP_1) | instskip(SKIP_4) | instid1(VALU_DEP_1)
	v_fmac_f64_e32 v[136:137], v[120:121], v[112:113]
	scratch_load_b128 v[110:113], off, off offset:192
	s_wait_dscnt 0x0
	v_fmac_f64_e32 v[136:137], v[122:123], v[114:115]
	s_wait_loadcnt 0x5
	v_fmac_f64_e32 v[136:137], v[132:133], v[116:117]
	ds_load_2addr_b64 v[114:117], v2 offset0:63 offset1:64
	ds_load_2addr_b64 v[118:121], v2 offset0:65 offset1:66
	s_wait_dscnt 0x1
	v_fmac_f64_e32 v[136:137], v[134:135], v[114:115]
	scratch_load_b128 v[132:135], off, off offset:208
	s_wait_loadcnt 0x5
	v_fmac_f64_e32 v[136:137], v[102:103], v[116:117]
	s_wait_dscnt 0x0
	s_delay_alu instid0(VALU_DEP_1)
	v_fmac_f64_e32 v[136:137], v[104:105], v[118:119]
	scratch_load_b128 v[102:105], off, off offset:224
	s_wait_loadcnt 0x5
	v_fmac_f64_e32 v[136:137], v[128:129], v[120:121]
	ds_load_2addr_b64 v[114:117], v2 offset0:67 offset1:68
	ds_load_2addr_b64 v[118:121], v2 offset0:69 offset1:70
	s_wait_dscnt 0x1
	v_fmac_f64_e32 v[136:137], v[130:131], v[114:115]
	scratch_load_b128 v[128:131], off, off offset:240
	s_wait_loadcnt 0x5
	v_fmac_f64_e32 v[136:137], v[106:107], v[116:117]
	s_wait_dscnt 0x0
	s_delay_alu instid0(VALU_DEP_1)
	v_fmac_f64_e32 v[136:137], v[108:109], v[118:119]
	scratch_load_b128 v[106:109], off, off offset:256
	s_wait_loadcnt 0x5
	v_fmac_f64_e32 v[136:137], v[124:125], v[120:121]
	ds_load_2addr_b64 v[114:117], v2 offset0:71 offset1:72
	ds_load_2addr_b64 v[118:121], v2 offset0:73 offset1:74
	scratch_load_b128 v[122:125], off, off offset:272
	s_wait_dscnt 0x1
	v_fmac_f64_e32 v[136:137], v[126:127], v[114:115]
	s_wait_loadcnt 0x5
	s_delay_alu instid0(VALU_DEP_1) | instskip(SKIP_1) | instid1(VALU_DEP_1)
	v_fmac_f64_e32 v[136:137], v[110:111], v[116:117]
	s_wait_dscnt 0x0
	v_fmac_f64_e32 v[136:137], v[112:113], v[118:119]
	scratch_load_b128 v[110:113], off, off offset:288
	s_wait_loadcnt 0x5
	v_fmac_f64_e32 v[136:137], v[132:133], v[120:121]
	ds_load_2addr_b64 v[114:117], v2 offset0:75 offset1:76
	ds_load_2addr_b64 v[118:121], v2 offset0:77 offset1:78
	s_wait_dscnt 0x1
	v_fmac_f64_e32 v[136:137], v[134:135], v[114:115]
	s_wait_loadcnt 0x4
	s_delay_alu instid0(VALU_DEP_1)
	v_fmac_f64_e32 v[136:137], v[102:103], v[116:117]
	scratch_load_b128 v[114:117], off, off offset:304
	s_wait_dscnt 0x0
	v_fmac_f64_e32 v[136:137], v[104:105], v[118:119]
	scratch_load_b128 v[102:105], off, off offset:320
	s_wait_loadcnt 0x5
	v_fmac_f64_e32 v[136:137], v[128:129], v[120:121]
	ds_load_2addr_b64 v[118:121], v2 offset0:79 offset1:80
	ds_load_2addr_b64 v[126:129], v2 offset0:81 offset1:82
	s_wait_dscnt 0x1
	v_fmac_f64_e32 v[136:137], v[130:131], v[118:119]
	s_wait_loadcnt 0x4
	s_delay_alu instid0(VALU_DEP_1)
	v_fmac_f64_e32 v[136:137], v[106:107], v[120:121]
	scratch_load_b128 v[118:121], off, off offset:336
	s_wait_dscnt 0x0
	v_fmac_f64_e32 v[136:137], v[108:109], v[126:127]
	scratch_load_b128 v[106:109], off, off offset:352
	s_wait_loadcnt 0x5
	v_fmac_f64_e32 v[136:137], v[122:123], v[128:129]
	ds_load_2addr_b64 v[126:129], v2 offset0:83 offset1:84
	ds_load_2addr_b64 v[130:133], v2 offset0:85 offset1:86
	s_wait_dscnt 0x1
	v_fmac_f64_e32 v[136:137], v[124:125], v[126:127]
	scratch_load_b128 v[122:125], off, off offset:368
	s_wait_loadcnt 0x5
	v_fmac_f64_e32 v[136:137], v[110:111], v[128:129]
	s_wait_dscnt 0x0
	s_delay_alu instid0(VALU_DEP_1)
	v_fmac_f64_e32 v[136:137], v[112:113], v[130:131]
	ds_load_2addr_b64 v[110:113], v2 offset0:87 offset1:88
	ds_load_2addr_b64 v[126:129], v2 offset0:89 offset1:90
	s_wait_loadcnt 0x4
	v_fmac_f64_e32 v[136:137], v[114:115], v[132:133]
	s_wait_dscnt 0x1
	s_delay_alu instid0(VALU_DEP_1) | instskip(SKIP_1) | instid1(VALU_DEP_1)
	v_fmac_f64_e32 v[136:137], v[116:117], v[110:111]
	s_wait_loadcnt 0x3
	v_fmac_f64_e32 v[136:137], v[102:103], v[112:113]
	s_wait_dscnt 0x0
	s_delay_alu instid0(VALU_DEP_1)
	v_fmac_f64_e32 v[136:137], v[104:105], v[126:127]
	ds_load_2addr_b64 v[102:105], v2 offset0:91 offset1:92
	ds_load_2addr_b64 v[110:113], v2 offset0:93 offset1:94
	s_wait_loadcnt 0x2
	v_fmac_f64_e32 v[136:137], v[118:119], v[128:129]
	s_wait_dscnt 0x1
	s_delay_alu instid0(VALU_DEP_1) | instskip(SKIP_4) | instid1(VALU_DEP_1)
	v_fmac_f64_e32 v[136:137], v[120:121], v[102:103]
	ds_load_b64 v[102:103], v2 offset:760
	s_wait_loadcnt 0x1
	v_fmac_f64_e32 v[136:137], v[106:107], v[104:105]
	s_wait_dscnt 0x1
	v_fmac_f64_e32 v[136:137], v[108:109], v[110:111]
	s_wait_loadcnt 0x0
	s_delay_alu instid0(VALU_DEP_1) | instskip(SKIP_1) | instid1(VALU_DEP_1)
	v_fmac_f64_e32 v[136:137], v[122:123], v[112:113]
	s_wait_dscnt 0x0
	v_fmac_f64_e32 v[136:137], v[124:125], v[102:103]
	s_delay_alu instid0(VALU_DEP_1)
	v_add_f64_e64 v[100:101], v[100:101], -v[136:137]
	scratch_store_b64 off, v[100:101], off offset:16
	s_wait_xcnt 0x0
	v_cmpx_lt_u32_e32 1, v0
	s_cbranch_execz .LBB111_295
; %bb.294:
	scratch_load_b64 v[100:101], off, off offset:8
	v_mov_b64_e32 v[102:103], 0
	scratch_store_b64 off, v[102:103], off offset:8
	s_wait_loadcnt 0x0
	ds_store_b64 v1, v[100:101]
.LBB111_295:
	s_wait_xcnt 0x0
	s_or_b32 exec_lo, exec_lo, s0
	s_wait_storecnt_dscnt 0x0
	s_barrier_signal -1
	s_barrier_wait -1
	s_clause 0x3
	scratch_load_b128 v[100:103], off, off offset:8
	scratch_load_b128 v[104:107], off, off offset:24
	;; [unrolled: 1-line block ×4, first 2 shown]
	ds_load_b128 v[116:119], v2 offset:400
	ds_load_b128 v[120:123], v2 offset:416
	scratch_load_b128 v[124:127], off, off offset:72
	v_dual_ashrrev_i32 v9, 31, v8 :: v_dual_ashrrev_i32 v11, 31, v10
	v_dual_ashrrev_i32 v13, 31, v12 :: v_dual_ashrrev_i32 v15, 31, v14
	;; [unrolled: 1-line block ×22, first 2 shown]
	v_ashrrev_i32_e32 v97, 31, v96
	s_mov_b32 s0, exec_lo
	v_ashrrev_i32_e32 v51, 31, v50
	s_wait_loadcnt_dscnt 0x401
	v_fma_f64 v[128:129], v[102:103], v[116:117], 0
	s_wait_loadcnt 0x3
	s_delay_alu instid0(VALU_DEP_1) | instskip(SKIP_4) | instid1(VALU_DEP_1)
	v_fmac_f64_e32 v[128:129], v[104:105], v[118:119]
	scratch_load_b128 v[102:105], off, off offset:88
	s_wait_dscnt 0x0
	v_fmac_f64_e32 v[128:129], v[106:107], v[120:121]
	s_wait_loadcnt 0x3
	v_fmac_f64_e32 v[128:129], v[108:109], v[122:123]
	ds_load_b128 v[106:109], v2 offset:432
	ds_load_b128 v[116:119], v2 offset:448
	scratch_load_b128 v[120:123], off, off offset:104
	s_wait_dscnt 0x1
	v_fmac_f64_e32 v[128:129], v[110:111], v[106:107]
	s_wait_loadcnt 0x3
	s_delay_alu instid0(VALU_DEP_1)
	v_fmac_f64_e32 v[128:129], v[112:113], v[108:109]
	scratch_load_b128 v[106:109], off, off offset:120
	s_wait_dscnt 0x0
	v_fmac_f64_e32 v[128:129], v[114:115], v[116:117]
	ds_load_b128 v[110:113], v2 offset:464
	ds_load_b128 v[114:117], v2 offset:480
	s_wait_loadcnt 0x3
	v_fmac_f64_e32 v[128:129], v[124:125], v[118:119]
	s_wait_dscnt 0x1
	s_delay_alu instid0(VALU_DEP_1) | instskip(SKIP_4) | instid1(VALU_DEP_1)
	v_fmac_f64_e32 v[128:129], v[126:127], v[110:111]
	scratch_load_b128 v[124:127], off, off offset:136
	s_wait_loadcnt 0x3
	v_fmac_f64_e32 v[128:129], v[102:103], v[112:113]
	s_wait_dscnt 0x0
	v_fmac_f64_e32 v[128:129], v[104:105], v[114:115]
	scratch_load_b128 v[102:105], off, off offset:152
	s_wait_loadcnt 0x3
	v_fmac_f64_e32 v[128:129], v[120:121], v[116:117]
	ds_load_b128 v[110:113], v2 offset:496
	ds_load_b128 v[114:117], v2 offset:512
	scratch_load_b128 v[118:121], off, off offset:168
	s_wait_dscnt 0x1
	v_fmac_f64_e32 v[128:129], v[122:123], v[110:111]
	s_wait_loadcnt 0x3
	s_delay_alu instid0(VALU_DEP_1) | instskip(SKIP_4) | instid1(VALU_DEP_1)
	v_fmac_f64_e32 v[128:129], v[106:107], v[112:113]
	scratch_load_b128 v[110:113], off, off offset:184
	s_wait_dscnt 0x0
	v_fmac_f64_e32 v[128:129], v[108:109], v[114:115]
	s_wait_loadcnt 0x3
	v_fmac_f64_e32 v[128:129], v[124:125], v[116:117]
	ds_load_b128 v[106:109], v2 offset:528
	ds_load_b128 v[114:117], v2 offset:544
	scratch_load_b128 v[122:125], off, off offset:200
	s_wait_dscnt 0x1
	v_fmac_f64_e32 v[128:129], v[126:127], v[106:107]
	s_wait_loadcnt 0x3
	s_delay_alu instid0(VALU_DEP_1) | instskip(SKIP_1) | instid1(VALU_DEP_1)
	v_fmac_f64_e32 v[128:129], v[102:103], v[108:109]
	s_wait_dscnt 0x0
	v_fmac_f64_e32 v[128:129], v[104:105], v[114:115]
	scratch_load_b128 v[102:105], off, off offset:216
	s_wait_loadcnt 0x3
	v_fmac_f64_e32 v[128:129], v[118:119], v[116:117]
	ds_load_b128 v[106:109], v2 offset:560
	ds_load_b128 v[114:117], v2 offset:576
	s_wait_dscnt 0x1
	v_fmac_f64_e32 v[128:129], v[120:121], v[106:107]
	scratch_load_b128 v[118:121], off, off offset:232
	s_wait_loadcnt 0x3
	v_fmac_f64_e32 v[128:129], v[110:111], v[108:109]
	scratch_load_b128 v[106:109], off, off offset:248
	s_wait_dscnt 0x0
	v_fmac_f64_e32 v[128:129], v[112:113], v[114:115]
	s_wait_loadcnt 0x3
	s_delay_alu instid0(VALU_DEP_1)
	v_fmac_f64_e32 v[128:129], v[122:123], v[116:117]
	ds_load_b128 v[110:113], v2 offset:592
	ds_load_b128 v[114:117], v2 offset:608
	s_wait_dscnt 0x1
	v_fmac_f64_e32 v[128:129], v[124:125], v[110:111]
	scratch_load_b128 v[122:125], off, off offset:264
	s_wait_loadcnt 0x3
	v_fmac_f64_e32 v[128:129], v[102:103], v[112:113]
	s_wait_dscnt 0x0
	s_delay_alu instid0(VALU_DEP_1)
	v_fmac_f64_e32 v[128:129], v[104:105], v[114:115]
	scratch_load_b128 v[102:105], off, off offset:280
	s_wait_loadcnt 0x3
	v_fmac_f64_e32 v[128:129], v[118:119], v[116:117]
	ds_load_b128 v[110:113], v2 offset:624
	ds_load_b128 v[114:117], v2 offset:640
	s_wait_dscnt 0x1
	v_fmac_f64_e32 v[128:129], v[120:121], v[110:111]
	scratch_load_b128 v[118:121], off, off offset:296
	s_wait_loadcnt 0x3
	v_fmac_f64_e32 v[128:129], v[106:107], v[112:113]
	scratch_load_b128 v[110:113], off, off offset:312
	s_wait_dscnt 0x0
	v_fmac_f64_e32 v[128:129], v[108:109], v[114:115]
	s_wait_loadcnt 0x3
	s_delay_alu instid0(VALU_DEP_1)
	v_fmac_f64_e32 v[128:129], v[122:123], v[116:117]
	ds_load_b128 v[106:109], v2 offset:656
	ds_load_b128 v[114:117], v2 offset:672
	s_wait_dscnt 0x1
	v_fmac_f64_e32 v[128:129], v[124:125], v[106:107]
	scratch_load_b128 v[122:125], off, off offset:328
	s_wait_loadcnt 0x3
	v_fmac_f64_e32 v[128:129], v[102:103], v[108:109]
	s_wait_dscnt 0x0
	s_delay_alu instid0(VALU_DEP_1)
	v_fmac_f64_e32 v[128:129], v[104:105], v[114:115]
	scratch_load_b128 v[102:105], off, off offset:344
	s_wait_loadcnt 0x3
	v_fmac_f64_e32 v[128:129], v[118:119], v[116:117]
	ds_load_b128 v[106:109], v2 offset:688
	ds_load_b128 v[114:117], v2 offset:704
	scratch_load_b64 v[126:127], off, off offset:376
	s_wait_dscnt 0x1
	v_fmac_f64_e32 v[128:129], v[120:121], v[106:107]
	scratch_load_b128 v[118:121], off, off offset:360
	s_wait_loadcnt 0x4
	v_fmac_f64_e32 v[128:129], v[110:111], v[108:109]
	s_wait_dscnt 0x0
	s_delay_alu instid0(VALU_DEP_1)
	v_fmac_f64_e32 v[128:129], v[112:113], v[114:115]
	ds_load_b128 v[106:109], v2 offset:720
	ds_load_b128 v[110:113], v2 offset:736
	s_wait_loadcnt 0x3
	v_fmac_f64_e32 v[128:129], v[122:123], v[116:117]
	s_wait_dscnt 0x1
	s_delay_alu instid0(VALU_DEP_1) | instskip(SKIP_1) | instid1(VALU_DEP_1)
	v_fmac_f64_e32 v[128:129], v[124:125], v[106:107]
	s_wait_loadcnt 0x2
	v_fmac_f64_e32 v[128:129], v[102:103], v[108:109]
	s_wait_dscnt 0x0
	s_delay_alu instid0(VALU_DEP_1) | instskip(SKIP_4) | instid1(VALU_DEP_1)
	v_fmac_f64_e32 v[128:129], v[104:105], v[110:111]
	ds_load_b128 v[102:105], v2 offset:752
	s_wait_loadcnt 0x0
	v_fmac_f64_e32 v[128:129], v[118:119], v[112:113]
	s_wait_dscnt 0x0
	v_fmac_f64_e32 v[128:129], v[120:121], v[102:103]
	s_delay_alu instid0(VALU_DEP_1) | instskip(NEXT) | instid1(VALU_DEP_1)
	v_fmac_f64_e32 v[128:129], v[126:127], v[104:105]
	v_add_f64_e64 v[2:3], v[100:101], -v[128:129]
	scratch_store_b64 off, v[2:3], off offset:8
	s_wait_xcnt 0x0
	v_cmpx_ne_u32_e32 0, v0
	s_cbranch_execz .LBB111_297
; %bb.296:
	scratch_load_b64 v[2:3], off, off
	v_mov_b64_e32 v[100:101], 0
	scratch_store_b64 off, v[100:101], off
	s_wait_loadcnt 0x0
	ds_store_b64 v1, v[2:3]
.LBB111_297:
	s_wait_xcnt 0x0
	s_or_b32 exec_lo, exec_lo, s0
	s_wait_storecnt_dscnt 0x0
	s_barrier_signal -1
	s_barrier_wait -1
	s_clause 0x5
	scratch_load_b128 v[104:107], off, off
	scratch_load_b128 v[0:3], off, off offset:16
	scratch_load_b128 v[108:111], off, off offset:32
	;; [unrolled: 1-line block ×5, first 2 shown]
	v_mov_b32_e32 v102, 0
	scratch_load_b128 v[128:131], off, off offset:96
	s_and_b32 vcc_lo, exec_lo, s12
	ds_load_2addr_b64 v[124:127], v102 offset0:49 offset1:50
	s_wait_loadcnt_dscnt 0x600
	v_fma_f64 v[100:101], v[106:107], v[124:125], 0
	s_wait_loadcnt 0x5
	s_delay_alu instid0(VALU_DEP_1)
	v_fmac_f64_e32 v[100:101], v[0:1], v[126:127]
	ds_load_2addr_b64 v[124:127], v102 offset0:51 offset1:52
	s_wait_dscnt 0x0
	v_fmac_f64_e32 v[100:101], v[2:3], v[124:125]
	scratch_load_b128 v[0:3], off, off offset:112
	s_wait_loadcnt 0x5
	v_fmac_f64_e32 v[100:101], v[108:109], v[126:127]
	ds_load_2addr_b64 v[106:109], v102 offset0:53 offset1:54
	scratch_load_b128 v[124:127], off, off offset:128
	s_wait_dscnt 0x0
	v_fmac_f64_e32 v[100:101], v[110:111], v[106:107]
	s_wait_loadcnt 0x5
	s_delay_alu instid0(VALU_DEP_1)
	v_fmac_f64_e32 v[100:101], v[112:113], v[108:109]
	ds_load_2addr_b64 v[106:109], v102 offset0:55 offset1:56
	scratch_load_b128 v[110:113], off, off offset:144
	s_wait_dscnt 0x0
	v_fmac_f64_e32 v[100:101], v[114:115], v[106:107]
	s_wait_loadcnt 0x5
	s_delay_alu instid0(VALU_DEP_1)
	;; [unrolled: 7-line block ×4, first 2 shown]
	v_fmac_f64_e32 v[100:101], v[128:129], v[108:109]
	ds_load_2addr_b64 v[106:109], v102 offset0:61 offset1:62
	s_wait_dscnt 0x0
	v_fmac_f64_e32 v[100:101], v[130:131], v[106:107]
	scratch_load_b128 v[128:131], off, off offset:192
	s_wait_loadcnt 0x5
	v_fmac_f64_e32 v[100:101], v[0:1], v[108:109]
	ds_load_2addr_b64 v[106:109], v102 offset0:63 offset1:64
	s_wait_dscnt 0x0
	v_fmac_f64_e32 v[100:101], v[2:3], v[106:107]
	scratch_load_b128 v[0:3], off, off offset:208
	s_wait_loadcnt 0x5
	v_fmac_f64_e32 v[100:101], v[124:125], v[108:109]
	ds_load_2addr_b64 v[106:109], v102 offset0:65 offset1:66
	scratch_load_b128 v[122:125], off, off offset:224
	s_wait_dscnt 0x0
	v_fmac_f64_e32 v[100:101], v[126:127], v[106:107]
	s_wait_loadcnt 0x5
	s_delay_alu instid0(VALU_DEP_1)
	v_fmac_f64_e32 v[100:101], v[110:111], v[108:109]
	ds_load_2addr_b64 v[106:109], v102 offset0:67 offset1:68
	s_wait_dscnt 0x0
	v_fmac_f64_e32 v[100:101], v[112:113], v[106:107]
	scratch_load_b128 v[110:113], off, off offset:240
	s_wait_loadcnt 0x5
	v_fmac_f64_e32 v[100:101], v[114:115], v[108:109]
	ds_load_2addr_b64 v[106:109], v102 offset0:69 offset1:70
	s_wait_dscnt 0x0
	v_fmac_f64_e32 v[100:101], v[116:117], v[106:107]
	scratch_load_b128 v[114:117], off, off offset:256
	s_wait_loadcnt 0x5
	;; [unrolled: 6-line block ×3, first 2 shown]
	v_fmac_f64_e32 v[100:101], v[128:129], v[108:109]
	ds_load_2addr_b64 v[106:109], v102 offset0:73 offset1:74
	scratch_load_b128 v[126:129], off, off offset:288
	s_wait_dscnt 0x0
	v_fmac_f64_e32 v[100:101], v[130:131], v[106:107]
	scratch_load_b128 v[130:133], off, off offset:304
	s_wait_loadcnt 0x6
	v_fmac_f64_e32 v[100:101], v[0:1], v[108:109]
	ds_load_2addr_b64 v[106:109], v102 offset0:75 offset1:76
	s_wait_dscnt 0x0
	v_fmac_f64_e32 v[100:101], v[2:3], v[106:107]
	ds_load_2addr_b64 v[0:3], v102 offset0:77 offset1:78
	s_wait_loadcnt 0x5
	v_fmac_f64_e32 v[100:101], v[122:123], v[108:109]
	scratch_load_b128 v[106:109], off, off offset:320
	s_wait_dscnt 0x0
	v_fmac_f64_e32 v[100:101], v[124:125], v[0:1]
	ds_load_2addr_b64 v[122:125], v102 offset0:83 offset1:84
	s_wait_loadcnt 0x5
	v_fmac_f64_e32 v[100:101], v[110:111], v[2:3]
	ds_load_2addr_b64 v[0:3], v102 offset0:79 offset1:80
	s_wait_dscnt 0x0
	v_fmac_f64_e32 v[100:101], v[112:113], v[0:1]
	scratch_load_b128 v[110:113], off, off offset:336
	s_wait_loadcnt 0x5
	v_fmac_f64_e32 v[100:101], v[114:115], v[2:3]
	ds_load_2addr_b64 v[0:3], v102 offset0:81 offset1:82
	s_wait_dscnt 0x0
	v_fmac_f64_e32 v[100:101], v[116:117], v[0:1]
	scratch_load_b128 v[114:117], off, off offset:352
	s_wait_loadcnt 0x5
	v_fmac_f64_e32 v[100:101], v[118:119], v[2:3]
	scratch_load_b128 v[0:3], off, off offset:368
	v_fmac_f64_e32 v[100:101], v[120:121], v[122:123]
	ds_load_2addr_b64 v[118:121], v102 offset0:85 offset1:86
	s_wait_loadcnt 0x5
	v_fmac_f64_e32 v[100:101], v[126:127], v[124:125]
	s_wait_dscnt 0x0
	s_delay_alu instid0(VALU_DEP_1) | instskip(SKIP_1) | instid1(VALU_DEP_1)
	v_fmac_f64_e32 v[100:101], v[128:129], v[118:119]
	s_wait_loadcnt 0x4
	v_fmac_f64_e32 v[100:101], v[130:131], v[120:121]
	ds_load_2addr_b64 v[118:121], v102 offset0:87 offset1:88
	s_wait_dscnt 0x0
	v_fmac_f64_e32 v[100:101], v[132:133], v[118:119]
	s_wait_loadcnt 0x3
	s_delay_alu instid0(VALU_DEP_1)
	v_fmac_f64_e32 v[100:101], v[106:107], v[120:121]
	ds_load_2addr_b64 v[118:121], v102 offset0:89 offset1:90
	s_wait_dscnt 0x0
	v_fmac_f64_e32 v[100:101], v[108:109], v[118:119]
	ds_load_2addr_b64 v[106:109], v102 offset0:91 offset1:92
	s_wait_loadcnt 0x2
	v_fmac_f64_e32 v[100:101], v[110:111], v[120:121]
	s_wait_dscnt 0x0
	s_delay_alu instid0(VALU_DEP_1) | instskip(SKIP_1) | instid1(VALU_DEP_1)
	v_fmac_f64_e32 v[100:101], v[112:113], v[106:107]
	s_wait_loadcnt 0x1
	v_fmac_f64_e32 v[100:101], v[114:115], v[108:109]
	ds_load_2addr_b64 v[106:109], v102 offset0:93 offset1:94
	s_wait_dscnt 0x0
	v_fmac_f64_e32 v[100:101], v[116:117], v[106:107]
	ds_load_b64 v[106:107], v102 offset:760
	s_wait_loadcnt 0x0
	v_fmac_f64_e32 v[100:101], v[0:1], v[108:109]
	s_wait_dscnt 0x0
	s_delay_alu instid0(VALU_DEP_1) | instskip(NEXT) | instid1(VALU_DEP_1)
	v_fmac_f64_e32 v[100:101], v[2:3], v[106:107]
	v_add_f64_e64 v[100:101], v[104:105], -v[100:101]
	scratch_store_b64 off, v[100:101], off
	s_cbranch_vccz .LBB111_392
; %bb.298:
	global_load_b32 v2, v102, s[8:9] offset:184
	s_wait_loadcnt 0x0
	v_cmp_ne_u32_e32 vcc_lo, 47, v2
	s_cbranch_vccz .LBB111_300
; %bb.299:
	v_lshlrev_b32_e32 v2, 3, v2
	s_wait_xcnt 0x1
	s_delay_alu instid0(VALU_DEP_1)
	v_mov_b32_e32 v100, v2
	scratch_load_b64 v[2:3], v100, off offset:-8
	s_wait_loadcnt 0x0
	scratch_store_b64 off, v[2:3], off offset:368
	scratch_store_b64 v100, v[0:1], off offset:-8
.LBB111_300:
	s_wait_xcnt 0x0
	v_mov_b32_e32 v0, 0
	global_load_b32 v1, v0, s[8:9] offset:180
	s_wait_loadcnt 0x0
	v_cmp_eq_u32_e32 vcc_lo, 46, v1
	s_cbranch_vccnz .LBB111_302
; %bb.301:
	v_lshlrev_b32_e32 v1, 3, v1
	scratch_load_b64 v[2:3], v1, off offset:-8
	scratch_load_b64 v[100:101], off, off offset:360
	s_wait_loadcnt 0x1
	scratch_store_b64 off, v[2:3], off offset:360
	s_wait_loadcnt 0x0
	scratch_store_b64 v1, v[100:101], off offset:-8
.LBB111_302:
	global_load_b32 v0, v0, s[8:9] offset:176
	s_wait_loadcnt 0x0
	v_cmp_eq_u32_e32 vcc_lo, 45, v0
	s_cbranch_vccnz .LBB111_304
; %bb.303:
	s_wait_xcnt 0x0
	v_lshlrev_b32_e32 v0, 3, v0
	s_delay_alu instid0(VALU_DEP_1)
	v_mov_b32_e32 v100, v0
	scratch_load_b64 v[0:1], v100, off offset:-8
	scratch_load_b64 v[2:3], off, off offset:352
	s_wait_loadcnt 0x1
	scratch_store_b64 off, v[0:1], off offset:352
	s_wait_loadcnt 0x0
	scratch_store_b64 v100, v[2:3], off offset:-8
.LBB111_304:
	s_wait_xcnt 0x0
	v_mov_b32_e32 v0, 0
	global_load_b32 v1, v0, s[8:9] offset:172
	s_wait_loadcnt 0x0
	v_cmp_eq_u32_e32 vcc_lo, 44, v1
	s_cbranch_vccnz .LBB111_306
; %bb.305:
	v_lshlrev_b32_e32 v1, 3, v1
	scratch_load_b64 v[2:3], v1, off offset:-8
	scratch_load_b64 v[100:101], off, off offset:344
	s_wait_loadcnt 0x1
	scratch_store_b64 off, v[2:3], off offset:344
	s_wait_loadcnt 0x0
	scratch_store_b64 v1, v[100:101], off offset:-8
.LBB111_306:
	global_load_b32 v0, v0, s[8:9] offset:168
	s_wait_loadcnt 0x0
	v_cmp_eq_u32_e32 vcc_lo, 43, v0
	s_cbranch_vccnz .LBB111_308
; %bb.307:
	s_wait_xcnt 0x0
	v_lshlrev_b32_e32 v0, 3, v0
	s_delay_alu instid0(VALU_DEP_1)
	v_mov_b32_e32 v100, v0
	scratch_load_b64 v[0:1], v100, off offset:-8
	scratch_load_b64 v[2:3], off, off offset:336
	s_wait_loadcnt 0x1
	scratch_store_b64 off, v[0:1], off offset:336
	s_wait_loadcnt 0x0
	scratch_store_b64 v100, v[2:3], off offset:-8
.LBB111_308:
	;; [unrolled: 31-line block ×22, first 2 shown]
	s_wait_xcnt 0x0
	v_mov_b32_e32 v0, 0
	global_load_b32 v1, v0, s[8:9] offset:4
	s_wait_loadcnt 0x0
	v_cmp_eq_u32_e32 vcc_lo, 2, v1
	s_cbranch_vccnz .LBB111_390
; %bb.389:
	v_lshlrev_b32_e32 v1, 3, v1
	scratch_load_b64 v[2:3], v1, off offset:-8
	scratch_load_b64 v[100:101], off, off offset:8
	s_wait_loadcnt 0x1
	scratch_store_b64 off, v[2:3], off offset:8
	s_wait_loadcnt 0x0
	scratch_store_b64 v1, v[100:101], off offset:-8
.LBB111_390:
	global_load_b32 v0, v0, s[8:9]
	scratch_load_b64 v[100:101], off, off
	s_wait_loadcnt 0x1
	v_cmp_eq_u32_e32 vcc_lo, 1, v0
	s_cbranch_vccnz .LBB111_392
; %bb.391:
	s_wait_xcnt 0x1
	v_lshlrev_b32_e32 v0, 3, v0
	s_delay_alu instid0(VALU_DEP_1)
	v_mov_b32_e32 v2, v0
	scratch_load_b64 v[0:1], v2, off offset:-8
	s_wait_loadcnt 0x0
	scratch_store_b64 off, v[0:1], off
	scratch_store_b64 v2, v[100:101], off offset:-8
	scratch_load_b64 v[100:101], off, off
.LBB111_392:
	s_wait_loadcnt 0x0
	flat_store_b64 v[4:5], v[100:101]
	scratch_load_b64 v[4:5], off, off offset:8
	v_lshl_add_u64 v[144:145], v[8:9], 3, s[2:3]
	v_lshl_add_u64 v[142:143], v[10:11], 3, s[2:3]
	;; [unrolled: 1-line block ×46, first 2 shown]
	s_wait_loadcnt 0x0
	flat_store_b64 v[6:7], v[4:5]
	scratch_load_b64 v[4:5], off, off offset:16
	s_wait_loadcnt 0x0
	flat_store_b64 v[144:145], v[4:5]
	scratch_load_b64 v[4:5], off, off offset:24
	;; [unrolled: 3-line block ×46, first 2 shown]
	s_wait_loadcnt 0x0
	flat_store_b64 v[0:1], v[2:3]
	s_sendmsg sendmsg(MSG_DEALLOC_VGPRS)
	s_endpgm
	.section	.rodata,"a",@progbits
	.p2align	6, 0x0
	.amdhsa_kernel _ZN9rocsolver6v33100L18getri_kernel_smallILi48EdPKPdEEvT1_iilPiilS6_bb
		.amdhsa_group_segment_fixed_size 776
		.amdhsa_private_segment_fixed_size 400
		.amdhsa_kernarg_size 60
		.amdhsa_user_sgpr_count 2
		.amdhsa_user_sgpr_dispatch_ptr 0
		.amdhsa_user_sgpr_queue_ptr 0
		.amdhsa_user_sgpr_kernarg_segment_ptr 1
		.amdhsa_user_sgpr_dispatch_id 0
		.amdhsa_user_sgpr_kernarg_preload_length 0
		.amdhsa_user_sgpr_kernarg_preload_offset 0
		.amdhsa_user_sgpr_private_segment_size 0
		.amdhsa_wavefront_size32 1
		.amdhsa_uses_dynamic_stack 0
		.amdhsa_enable_private_segment 1
		.amdhsa_system_sgpr_workgroup_id_x 1
		.amdhsa_system_sgpr_workgroup_id_y 0
		.amdhsa_system_sgpr_workgroup_id_z 0
		.amdhsa_system_sgpr_workgroup_info 0
		.amdhsa_system_vgpr_workitem_id 0
		.amdhsa_next_free_vgpr 146
		.amdhsa_next_free_sgpr 19
		.amdhsa_named_barrier_count 0
		.amdhsa_reserve_vcc 1
		.amdhsa_float_round_mode_32 0
		.amdhsa_float_round_mode_16_64 0
		.amdhsa_float_denorm_mode_32 3
		.amdhsa_float_denorm_mode_16_64 3
		.amdhsa_fp16_overflow 0
		.amdhsa_memory_ordered 1
		.amdhsa_forward_progress 1
		.amdhsa_inst_pref_size 255
		.amdhsa_round_robin_scheduling 0
		.amdhsa_exception_fp_ieee_invalid_op 0
		.amdhsa_exception_fp_denorm_src 0
		.amdhsa_exception_fp_ieee_div_zero 0
		.amdhsa_exception_fp_ieee_overflow 0
		.amdhsa_exception_fp_ieee_underflow 0
		.amdhsa_exception_fp_ieee_inexact 0
		.amdhsa_exception_int_div_zero 0
	.end_amdhsa_kernel
	.section	.text._ZN9rocsolver6v33100L18getri_kernel_smallILi48EdPKPdEEvT1_iilPiilS6_bb,"axG",@progbits,_ZN9rocsolver6v33100L18getri_kernel_smallILi48EdPKPdEEvT1_iilPiilS6_bb,comdat
.Lfunc_end111:
	.size	_ZN9rocsolver6v33100L18getri_kernel_smallILi48EdPKPdEEvT1_iilPiilS6_bb, .Lfunc_end111-_ZN9rocsolver6v33100L18getri_kernel_smallILi48EdPKPdEEvT1_iilPiilS6_bb
                                        ; -- End function
	.set _ZN9rocsolver6v33100L18getri_kernel_smallILi48EdPKPdEEvT1_iilPiilS6_bb.num_vgpr, 146
	.set _ZN9rocsolver6v33100L18getri_kernel_smallILi48EdPKPdEEvT1_iilPiilS6_bb.num_agpr, 0
	.set _ZN9rocsolver6v33100L18getri_kernel_smallILi48EdPKPdEEvT1_iilPiilS6_bb.numbered_sgpr, 19
	.set _ZN9rocsolver6v33100L18getri_kernel_smallILi48EdPKPdEEvT1_iilPiilS6_bb.num_named_barrier, 0
	.set _ZN9rocsolver6v33100L18getri_kernel_smallILi48EdPKPdEEvT1_iilPiilS6_bb.private_seg_size, 400
	.set _ZN9rocsolver6v33100L18getri_kernel_smallILi48EdPKPdEEvT1_iilPiilS6_bb.uses_vcc, 1
	.set _ZN9rocsolver6v33100L18getri_kernel_smallILi48EdPKPdEEvT1_iilPiilS6_bb.uses_flat_scratch, 1
	.set _ZN9rocsolver6v33100L18getri_kernel_smallILi48EdPKPdEEvT1_iilPiilS6_bb.has_dyn_sized_stack, 0
	.set _ZN9rocsolver6v33100L18getri_kernel_smallILi48EdPKPdEEvT1_iilPiilS6_bb.has_recursion, 0
	.set _ZN9rocsolver6v33100L18getri_kernel_smallILi48EdPKPdEEvT1_iilPiilS6_bb.has_indirect_call, 0
	.section	.AMDGPU.csdata,"",@progbits
; Kernel info:
; codeLenInByte = 45492
; TotalNumSgprs: 21
; NumVgprs: 146
; ScratchSize: 400
; MemoryBound: 0
; FloatMode: 240
; IeeeMode: 1
; LDSByteSize: 776 bytes/workgroup (compile time only)
; SGPRBlocks: 0
; VGPRBlocks: 9
; NumSGPRsForWavesPerEU: 21
; NumVGPRsForWavesPerEU: 146
; NamedBarCnt: 0
; Occupancy: 6
; WaveLimiterHint : 1
; COMPUTE_PGM_RSRC2:SCRATCH_EN: 1
; COMPUTE_PGM_RSRC2:USER_SGPR: 2
; COMPUTE_PGM_RSRC2:TRAP_HANDLER: 0
; COMPUTE_PGM_RSRC2:TGID_X_EN: 1
; COMPUTE_PGM_RSRC2:TGID_Y_EN: 0
; COMPUTE_PGM_RSRC2:TGID_Z_EN: 0
; COMPUTE_PGM_RSRC2:TIDIG_COMP_CNT: 0
	.section	.text._ZN9rocsolver6v33100L18getri_kernel_smallILi49EdPKPdEEvT1_iilPiilS6_bb,"axG",@progbits,_ZN9rocsolver6v33100L18getri_kernel_smallILi49EdPKPdEEvT1_iilPiilS6_bb,comdat
	.globl	_ZN9rocsolver6v33100L18getri_kernel_smallILi49EdPKPdEEvT1_iilPiilS6_bb ; -- Begin function _ZN9rocsolver6v33100L18getri_kernel_smallILi49EdPKPdEEvT1_iilPiilS6_bb
	.p2align	8
	.type	_ZN9rocsolver6v33100L18getri_kernel_smallILi49EdPKPdEEvT1_iilPiilS6_bb,@function
_ZN9rocsolver6v33100L18getri_kernel_smallILi49EdPKPdEEvT1_iilPiilS6_bb: ; @_ZN9rocsolver6v33100L18getri_kernel_smallILi49EdPKPdEEvT1_iilPiilS6_bb
; %bb.0:
	s_mov_b32 s2, exec_lo
	v_cmpx_gt_u32_e32 49, v0
	s_cbranch_execz .LBB112_206
; %bb.1:
	s_clause 0x1
	s_load_b32 s13, s[0:1], 0x38
	s_load_b64 s[2:3], s[0:1], 0x0
	s_getreg_b32 s6, hwreg(HW_REG_IB_STS2, 6, 4)
	s_wait_kmcnt 0x0
	s_bitcmp1_b32 s13, 8
	s_cselect_b32 s12, -1, 0
	s_bfe_u32 s4, ttmp6, 0x4000c
	s_and_b32 s5, ttmp6, 15
	s_add_co_i32 s4, s4, 1
	s_delay_alu instid0(SALU_CYCLE_1) | instskip(NEXT) | instid1(SALU_CYCLE_1)
	s_mul_i32 s4, ttmp9, s4
	s_add_co_i32 s5, s5, s4
	s_cmp_eq_u32 s6, 0
	s_cselect_b32 s10, ttmp9, s5
	s_load_b128 s[4:7], s[0:1], 0x28
	s_ashr_i32 s11, s10, 31
	s_delay_alu instid0(SALU_CYCLE_1) | instskip(NEXT) | instid1(SALU_CYCLE_1)
	s_lshl_b64 s[8:9], s[10:11], 3
	s_add_nc_u64 s[2:3], s[2:3], s[8:9]
	s_bfe_u32 s8, s13, 0x10008
	s_load_b64 s[2:3], s[2:3], 0x0
	s_cmp_eq_u32 s8, 0
                                        ; implicit-def: $sgpr8_sgpr9
	s_cbranch_scc1 .LBB112_3
; %bb.2:
	s_load_b96 s[16:18], s[0:1], 0x18
	s_wait_kmcnt 0x0
	s_mul_u64 s[4:5], s[4:5], s[10:11]
	s_delay_alu instid0(SALU_CYCLE_1) | instskip(SKIP_4) | instid1(SALU_CYCLE_1)
	s_lshl_b64 s[4:5], s[4:5], 2
	s_ashr_i32 s9, s18, 31
	s_mov_b32 s8, s18
	s_add_nc_u64 s[4:5], s[16:17], s[4:5]
	s_lshl_b64 s[8:9], s[8:9], 2
	s_add_nc_u64 s[8:9], s[4:5], s[8:9]
.LBB112_3:
	s_wait_kmcnt 0x0
	s_clause 0x1
	s_load_b64 s[4:5], s[0:1], 0x8
	s_load_b32 s13, s[0:1], 0x38
	v_dual_mov_b32 v3, 0 :: v_dual_lshlrev_b32 v2, 3, v0
	s_wait_kmcnt 0x0
	s_ashr_i32 s1, s4, 31
	s_mov_b32 s0, s4
	s_delay_alu instid0(SALU_CYCLE_1) | instskip(NEXT) | instid1(SALU_CYCLE_1)
	s_lshl_b64 s[0:1], s[0:1], 3
	s_add_nc_u64 s[2:3], s[2:3], s[0:1]
	s_ashr_i32 s1, s5, 31
	flat_load_b64 v[8:9], v0, s[2:3] scale_offset
	v_add_nc_u64_e32 v[4:5], s[2:3], v[2:3]
	s_mov_b32 s0, s5
	s_bitcmp0_b32 s13, 0
	s_delay_alu instid0(VALU_DEP_1)
	v_lshl_add_u64 v[6:7], s[0:1], 3, v[4:5]
	s_mov_b32 s1, -1
	s_wait_loadcnt_dscnt 0x0
	scratch_store_b64 off, v[8:9], off
	flat_load_b64 v[10:11], v[6:7]
	s_wait_xcnt 0x1
	v_add3_u32 v8, s5, s5, v0
	s_wait_loadcnt_dscnt 0x0
	scratch_store_b64 off, v[10:11], off offset:8
	flat_load_b64 v[12:13], v8, s[2:3] scale_offset
	s_wait_xcnt 0x1
	v_add_nc_u32_e32 v10, s5, v8
	s_wait_loadcnt_dscnt 0x0
	scratch_store_b64 off, v[12:13], off offset:16
	flat_load_b64 v[14:15], v10, s[2:3] scale_offset
	s_wait_xcnt 0x1
	v_add_nc_u32_e32 v12, s5, v10
	;; [unrolled: 5-line block ×46, first 2 shown]
	s_wait_loadcnt_dscnt 0x0
	scratch_store_b64 off, v[102:103], off offset:376
	flat_load_b64 v[102:103], v100, s[2:3] scale_offset
	s_wait_loadcnt_dscnt 0x0
	scratch_store_b64 off, v[102:103], off offset:384
	s_cbranch_scc1 .LBB112_204
; %bb.4:
	v_cmp_eq_u32_e64 s0, 0, v0
	s_wait_xcnt 0x0
	s_and_saveexec_b32 s1, s0
; %bb.5:
	v_mov_b32_e32 v1, 0
	ds_store_b32 v1, v1 offset:392
; %bb.6:
	s_or_b32 exec_lo, exec_lo, s1
	s_wait_storecnt_dscnt 0x0
	s_barrier_signal -1
	s_barrier_wait -1
	scratch_load_b64 v[102:103], v0, off scale_offset
	s_mov_b32 s4, exec_lo
	s_wait_loadcnt 0x0
	v_cmpx_eq_f64_e32 0, v[102:103]
	s_cbranch_execz .LBB112_10
; %bb.7:
	v_mov_b32_e32 v1, 0
	s_mov_b32 s5, 0
	ds_load_b32 v3, v1 offset:392
	s_wait_dscnt 0x0
	v_readfirstlane_b32 s1, v3
	v_add_nc_u32_e32 v3, 1, v0
	s_cmp_eq_u32 s1, 0
	s_delay_alu instid0(VALU_DEP_1) | instskip(SKIP_1) | instid1(SALU_CYCLE_1)
	v_cmp_gt_i32_e32 vcc_lo, s1, v3
	s_cselect_b32 s13, -1, 0
	s_or_b32 s13, s13, vcc_lo
	s_delay_alu instid0(SALU_CYCLE_1)
	s_and_b32 exec_lo, exec_lo, s13
	s_cbranch_execz .LBB112_10
; %bb.8:
	v_mov_b32_e32 v9, s1
.LBB112_9:                              ; =>This Inner Loop Header: Depth=1
	ds_cmpstore_rtn_b32 v9, v1, v3, v9 offset:392
	s_wait_dscnt 0x0
	v_cmp_ne_u32_e32 vcc_lo, 0, v9
	v_cmp_le_i32_e64 s1, v9, v3
	s_and_b32 s1, vcc_lo, s1
	s_delay_alu instid0(SALU_CYCLE_1) | instskip(NEXT) | instid1(SALU_CYCLE_1)
	s_and_b32 s1, exec_lo, s1
	s_or_b32 s5, s1, s5
	s_delay_alu instid0(SALU_CYCLE_1)
	s_and_not1_b32 exec_lo, exec_lo, s5
	s_cbranch_execnz .LBB112_9
.LBB112_10:
	s_or_b32 exec_lo, exec_lo, s4
	v_mov_b32_e32 v1, 0
	s_barrier_signal -1
	s_barrier_wait -1
	ds_load_b32 v3, v1 offset:392
	s_and_saveexec_b32 s1, s0
	s_cbranch_execz .LBB112_12
; %bb.11:
	s_lshl_b64 s[4:5], s[10:11], 2
	s_delay_alu instid0(SALU_CYCLE_1)
	s_add_nc_u64 s[4:5], s[6:7], s[4:5]
	s_wait_dscnt 0x0
	global_store_b32 v1, v3, s[4:5]
.LBB112_12:
	s_wait_xcnt 0x0
	s_or_b32 exec_lo, exec_lo, s1
	s_wait_dscnt 0x0
	v_cmp_ne_u32_e32 vcc_lo, 0, v3
	s_mov_b32 s1, 0
	s_cbranch_vccnz .LBB112_204
; %bb.13:
	v_lshl_add_u32 v3, v0, 3, 0
	v_add_nc_u32_e32 v1, 0x190, v2
	scratch_load_b64 v[102:103], v3, off
	s_wait_loadcnt 0x0
	v_div_scale_f64 v[104:105], null, v[102:103], v[102:103], 1.0
	v_div_scale_f64 v[110:111], vcc_lo, 1.0, v[102:103], 1.0
	s_delay_alu instid0(VALU_DEP_2) | instskip(SKIP_1) | instid1(TRANS32_DEP_1)
	v_rcp_f64_e32 v[106:107], v[104:105]
	v_nop
	v_fma_f64 v[108:109], -v[104:105], v[106:107], 1.0
	s_delay_alu instid0(VALU_DEP_1) | instskip(NEXT) | instid1(VALU_DEP_1)
	v_fmac_f64_e32 v[106:107], v[106:107], v[108:109]
	v_fma_f64 v[108:109], -v[104:105], v[106:107], 1.0
	s_delay_alu instid0(VALU_DEP_1) | instskip(NEXT) | instid1(VALU_DEP_1)
	v_fmac_f64_e32 v[106:107], v[106:107], v[108:109]
	v_mul_f64_e32 v[108:109], v[110:111], v[106:107]
	s_delay_alu instid0(VALU_DEP_1) | instskip(NEXT) | instid1(VALU_DEP_1)
	v_fma_f64 v[104:105], -v[104:105], v[108:109], v[110:111]
	v_div_fmas_f64 v[104:105], v[104:105], v[106:107], v[108:109]
	s_delay_alu instid0(VALU_DEP_1)
	v_div_fixup_f64 v[102:103], v[104:105], v[102:103], 1.0
	scratch_store_b64 v3, v[102:103], off
	scratch_load_b64 v[104:105], off, off offset:8
	s_wait_xcnt 0x1
	v_xor_b32_e32 v103, 0x80000000, v103
	s_wait_loadcnt 0x0
	ds_store_2addr_b64 v2, v[102:103], v[104:105] offset1:50
	s_wait_storecnt_dscnt 0x0
	s_barrier_signal -1
	s_barrier_wait -1
	s_wait_xcnt 0x0
	s_and_saveexec_b32 s1, s0
	s_cbranch_execz .LBB112_15
; %bb.14:
	scratch_load_b64 v[102:103], v3, off
	ds_load_b64 v[104:105], v1
	s_wait_loadcnt_dscnt 0x0
	v_fma_f64 v[102:103], v[102:103], v[104:105], 0
	v_mov_b32_e32 v9, 0
	ds_load_b64 v[106:107], v9 offset:8
	s_wait_dscnt 0x0
	v_mul_f64_e32 v[102:103], v[102:103], v[106:107]
	scratch_store_b64 off, v[102:103], off offset:8
.LBB112_15:
	s_wait_xcnt 0x0
	s_or_b32 exec_lo, exec_lo, s1
	s_wait_storecnt 0x0
	s_barrier_signal -1
	s_barrier_wait -1
	scratch_load_b64 v[102:103], off, off offset:16
	s_mov_b32 s1, exec_lo
	s_wait_loadcnt 0x0
	ds_store_b64 v1, v[102:103]
	s_wait_dscnt 0x0
	s_barrier_signal -1
	s_barrier_wait -1
	v_cmpx_gt_u32_e32 2, v0
	s_cbranch_execz .LBB112_19
; %bb.16:
	scratch_load_b64 v[102:103], v3, off
	ds_load_b64 v[104:105], v1
	s_wait_loadcnt_dscnt 0x0
	v_fma_f64 v[102:103], v[102:103], v[104:105], 0
	s_and_saveexec_b32 s4, s0
	s_cbranch_execz .LBB112_18
; %bb.17:
	scratch_load_b64 v[104:105], off, off offset:8
	v_mov_b32_e32 v3, 0
	ds_load_b64 v[106:107], v3 offset:408
	s_wait_loadcnt_dscnt 0x0
	v_fmac_f64_e32 v[102:103], v[104:105], v[106:107]
.LBB112_18:
	s_or_b32 exec_lo, exec_lo, s4
	v_mov_b32_e32 v3, 0
	ds_load_b64 v[104:105], v3 offset:16
	s_wait_dscnt 0x0
	v_mul_f64_e32 v[102:103], v[102:103], v[104:105]
	scratch_store_b64 off, v[102:103], off offset:16
.LBB112_19:
	s_wait_xcnt 0x0
	s_or_b32 exec_lo, exec_lo, s1
	s_wait_storecnt 0x0
	s_barrier_signal -1
	s_barrier_wait -1
	scratch_load_b64 v[102:103], off, off offset:24
	v_add_nc_u32_e32 v3, -1, v0
	s_mov_b32 s0, exec_lo
	s_wait_loadcnt 0x0
	ds_store_b64 v1, v[102:103]
	s_wait_dscnt 0x0
	s_barrier_signal -1
	s_barrier_wait -1
	v_cmpx_gt_u32_e32 3, v0
	s_cbranch_execz .LBB112_23
; %bb.20:
	v_mov_b64_e32 v[102:103], 0
	v_dual_add_nc_u32 v9, -1, v0 :: v_dual_mov_b32 v13, v2
	v_add_nc_u32_e32 v11, 0x190, v2
	s_mov_b32 s1, 0
.LBB112_21:                             ; =>This Inner Loop Header: Depth=1
	scratch_load_b64 v[104:105], v13, off
	ds_load_b64 v[106:107], v11
	v_dual_add_nc_u32 v9, 1, v9 :: v_dual_add_nc_u32 v11, 8, v11
	s_wait_xcnt 0x0
	v_add_nc_u32_e32 v13, 8, v13
	s_delay_alu instid0(VALU_DEP_2)
	v_cmp_lt_u32_e32 vcc_lo, 1, v9
	s_or_b32 s1, vcc_lo, s1
	s_wait_loadcnt_dscnt 0x0
	v_fmac_f64_e32 v[102:103], v[104:105], v[106:107]
	s_and_not1_b32 exec_lo, exec_lo, s1
	s_cbranch_execnz .LBB112_21
; %bb.22:
	s_or_b32 exec_lo, exec_lo, s1
	v_mov_b32_e32 v9, 0
	ds_load_b64 v[104:105], v9 offset:24
	s_wait_dscnt 0x0
	v_mul_f64_e32 v[102:103], v[102:103], v[104:105]
	scratch_store_b64 off, v[102:103], off offset:24
.LBB112_23:
	s_wait_xcnt 0x0
	s_or_b32 exec_lo, exec_lo, s0
	s_wait_storecnt 0x0
	s_barrier_signal -1
	s_barrier_wait -1
	scratch_load_b64 v[102:103], off, off offset:32
	s_mov_b32 s0, exec_lo
	s_wait_loadcnt 0x0
	ds_store_b64 v1, v[102:103]
	s_wait_dscnt 0x0
	s_barrier_signal -1
	s_barrier_wait -1
	v_cmpx_gt_u32_e32 4, v0
	s_cbranch_execz .LBB112_27
; %bb.24:
	v_mov_b64_e32 v[102:103], 0
	v_dual_add_nc_u32 v9, -1, v0 :: v_dual_mov_b32 v13, v2
	v_add_nc_u32_e32 v11, 0x190, v2
	s_mov_b32 s1, 0
.LBB112_25:                             ; =>This Inner Loop Header: Depth=1
	scratch_load_b64 v[104:105], v13, off
	ds_load_b64 v[106:107], v11
	v_dual_add_nc_u32 v9, 1, v9 :: v_dual_add_nc_u32 v11, 8, v11
	s_wait_xcnt 0x0
	v_add_nc_u32_e32 v13, 8, v13
	s_delay_alu instid0(VALU_DEP_2)
	v_cmp_lt_u32_e32 vcc_lo, 2, v9
	s_or_b32 s1, vcc_lo, s1
	s_wait_loadcnt_dscnt 0x0
	v_fmac_f64_e32 v[102:103], v[104:105], v[106:107]
	s_and_not1_b32 exec_lo, exec_lo, s1
	s_cbranch_execnz .LBB112_25
; %bb.26:
	s_or_b32 exec_lo, exec_lo, s1
	v_mov_b32_e32 v9, 0
	ds_load_b64 v[104:105], v9 offset:32
	s_wait_dscnt 0x0
	v_mul_f64_e32 v[102:103], v[102:103], v[104:105]
	scratch_store_b64 off, v[102:103], off offset:32
.LBB112_27:
	s_wait_xcnt 0x0
	s_or_b32 exec_lo, exec_lo, s0
	s_wait_storecnt 0x0
	s_barrier_signal -1
	s_barrier_wait -1
	scratch_load_b64 v[102:103], off, off offset:40
	;; [unrolled: 40-line block ×20, first 2 shown]
	s_mov_b32 s0, exec_lo
	s_wait_loadcnt 0x0
	ds_store_b64 v1, v[102:103]
	s_wait_dscnt 0x0
	s_barrier_signal -1
	s_barrier_wait -1
	v_cmpx_gt_u32_e32 23, v0
	s_cbranch_execz .LBB112_103
; %bb.100:
	v_mov_b64_e32 v[102:103], 0
	v_dual_add_nc_u32 v9, -1, v0 :: v_dual_mov_b32 v13, v2
	v_add_nc_u32_e32 v11, 0x190, v2
	s_mov_b32 s1, 0
.LBB112_101:                            ; =>This Inner Loop Header: Depth=1
	scratch_load_b64 v[104:105], v13, off
	ds_load_b64 v[106:107], v11
	v_dual_add_nc_u32 v9, 1, v9 :: v_dual_add_nc_u32 v11, 8, v11
	s_wait_xcnt 0x0
	v_add_nc_u32_e32 v13, 8, v13
	s_delay_alu instid0(VALU_DEP_2)
	v_cmp_lt_u32_e32 vcc_lo, 21, v9
	s_or_b32 s1, vcc_lo, s1
	s_wait_loadcnt_dscnt 0x0
	v_fmac_f64_e32 v[102:103], v[104:105], v[106:107]
	s_and_not1_b32 exec_lo, exec_lo, s1
	s_cbranch_execnz .LBB112_101
; %bb.102:
	s_or_b32 exec_lo, exec_lo, s1
	v_mov_b32_e32 v9, 0
	ds_load_b64 v[104:105], v9 offset:184
	s_wait_dscnt 0x0
	v_mul_f64_e32 v[102:103], v[102:103], v[104:105]
	scratch_store_b64 off, v[102:103], off offset:184
.LBB112_103:
	s_wait_xcnt 0x0
	s_or_b32 exec_lo, exec_lo, s0
	s_wait_storecnt 0x0
	s_barrier_signal -1
	s_barrier_wait -1
	scratch_load_b64 v[102:103], off, off offset:192
	s_mov_b32 s0, exec_lo
	s_wait_loadcnt 0x0
	ds_store_b64 v1, v[102:103]
	s_wait_dscnt 0x0
	s_barrier_signal -1
	s_barrier_wait -1
	v_cmpx_gt_u32_e32 24, v0
	s_cbranch_execz .LBB112_107
; %bb.104:
	v_mov_b64_e32 v[102:103], 0
	v_dual_add_nc_u32 v9, -1, v0 :: v_dual_mov_b32 v13, v2
	v_add_nc_u32_e32 v11, 0x190, v2
	s_mov_b32 s1, 0
.LBB112_105:                            ; =>This Inner Loop Header: Depth=1
	scratch_load_b64 v[104:105], v13, off
	ds_load_b64 v[106:107], v11
	v_dual_add_nc_u32 v9, 1, v9 :: v_dual_add_nc_u32 v11, 8, v11
	s_wait_xcnt 0x0
	v_add_nc_u32_e32 v13, 8, v13
	s_delay_alu instid0(VALU_DEP_2)
	v_cmp_lt_u32_e32 vcc_lo, 22, v9
	s_or_b32 s1, vcc_lo, s1
	s_wait_loadcnt_dscnt 0x0
	v_fmac_f64_e32 v[102:103], v[104:105], v[106:107]
	s_and_not1_b32 exec_lo, exec_lo, s1
	s_cbranch_execnz .LBB112_105
; %bb.106:
	s_or_b32 exec_lo, exec_lo, s1
	v_mov_b32_e32 v9, 0
	ds_load_b64 v[104:105], v9 offset:192
	s_wait_dscnt 0x0
	v_mul_f64_e32 v[102:103], v[102:103], v[104:105]
	scratch_store_b64 off, v[102:103], off offset:192
.LBB112_107:
	s_wait_xcnt 0x0
	s_or_b32 exec_lo, exec_lo, s0
	s_wait_storecnt 0x0
	s_barrier_signal -1
	s_barrier_wait -1
	scratch_load_b64 v[102:103], off, off offset:200
	;; [unrolled: 40-line block ×25, first 2 shown]
	s_mov_b32 s0, exec_lo
	s_wait_loadcnt 0x0
	ds_store_b64 v1, v[102:103]
	s_wait_dscnt 0x0
	s_barrier_signal -1
	s_barrier_wait -1
	v_cmpx_ne_u32_e32 48, v0
	s_cbranch_execz .LBB112_203
; %bb.200:
	v_mov_b64_e32 v[102:103], 0
	s_mov_b32 s1, 0
.LBB112_201:                            ; =>This Inner Loop Header: Depth=1
	scratch_load_b64 v[104:105], v2, off
	ds_load_b64 v[106:107], v1
	v_dual_add_nc_u32 v3, 1, v3 :: v_dual_add_nc_u32 v1, 8, v1
	s_wait_xcnt 0x0
	v_add_nc_u32_e32 v2, 8, v2
	s_delay_alu instid0(VALU_DEP_2)
	v_cmp_lt_u32_e32 vcc_lo, 46, v3
	s_or_b32 s1, vcc_lo, s1
	s_wait_loadcnt_dscnt 0x0
	v_fmac_f64_e32 v[102:103], v[104:105], v[106:107]
	s_and_not1_b32 exec_lo, exec_lo, s1
	s_cbranch_execnz .LBB112_201
; %bb.202:
	s_or_b32 exec_lo, exec_lo, s1
	v_mov_b32_e32 v1, 0
	ds_load_b64 v[2:3], v1 offset:384
	s_wait_dscnt 0x0
	v_mul_f64_e32 v[2:3], v[102:103], v[2:3]
	scratch_store_b64 off, v[2:3], off offset:384
.LBB112_203:
	s_wait_xcnt 0x0
	s_or_b32 exec_lo, exec_lo, s0
	s_mov_b32 s1, -1
	s_wait_storecnt 0x0
	s_barrier_signal -1
	s_barrier_wait -1
.LBB112_204:
	s_and_b32 vcc_lo, exec_lo, s1
	s_cbranch_vccz .LBB112_206
; %bb.205:
	v_mov_b32_e32 v1, 0
	s_lshl_b64 s[0:1], s[10:11], 2
	s_delay_alu instid0(SALU_CYCLE_1)
	s_add_nc_u64 s[0:1], s[6:7], s[0:1]
	global_load_b32 v1, v1, s[0:1]
	s_wait_loadcnt 0x0
	v_cmp_ne_u32_e32 vcc_lo, 0, v1
	s_cbranch_vccz .LBB112_207
.LBB112_206:
	s_sendmsg sendmsg(MSG_DEALLOC_VGPRS)
	s_endpgm
.LBB112_207:
	s_wait_xcnt 0x0
	v_lshl_add_u32 v1, v0, 3, 0x190
	s_mov_b32 s0, exec_lo
	v_cmpx_eq_u32_e32 48, v0
	s_cbranch_execz .LBB112_209
; %bb.208:
	scratch_load_b64 v[2:3], off, off offset:376
	v_mov_b64_e32 v[102:103], 0
	scratch_store_b64 off, v[102:103], off offset:376
	s_wait_loadcnt 0x0
	ds_store_b64 v1, v[2:3]
.LBB112_209:
	s_wait_xcnt 0x0
	s_or_b32 exec_lo, exec_lo, s0
	s_wait_storecnt_dscnt 0x0
	s_barrier_signal -1
	s_barrier_wait -1
	scratch_load_b128 v[102:105], off, off offset:376
	v_mov_b32_e32 v2, 0
	s_mov_b32 s0, exec_lo
	ds_load_b64 v[106:107], v2 offset:784
	s_wait_loadcnt_dscnt 0x0
	v_fma_f64 v[104:105], v[104:105], v[106:107], 0
	s_delay_alu instid0(VALU_DEP_1)
	v_add_f64_e64 v[102:103], v[102:103], -v[104:105]
	scratch_store_b64 off, v[102:103], off offset:376
	s_wait_xcnt 0x0
	v_cmpx_lt_u32_e32 46, v0
	s_cbranch_execz .LBB112_211
; %bb.210:
	scratch_load_b64 v[102:103], off, off offset:368
	v_mov_b64_e32 v[104:105], 0
	scratch_store_b64 off, v[104:105], off offset:368
	s_wait_loadcnt 0x0
	ds_store_b64 v1, v[102:103]
.LBB112_211:
	s_wait_xcnt 0x0
	s_or_b32 exec_lo, exec_lo, s0
	s_wait_storecnt_dscnt 0x0
	s_barrier_signal -1
	s_barrier_wait -1
	s_clause 0x1
	scratch_load_b128 v[102:105], off, off offset:368
	scratch_load_b64 v[110:111], off, off offset:384
	ds_load_2addr_b64 v[106:109], v2 offset0:97 offset1:98
	s_mov_b32 s0, exec_lo
	s_wait_loadcnt_dscnt 0x100
	v_fma_f64 v[2:3], v[104:105], v[106:107], 0
	s_wait_loadcnt 0x0
	s_delay_alu instid0(VALU_DEP_1) | instskip(NEXT) | instid1(VALU_DEP_1)
	v_fmac_f64_e32 v[2:3], v[110:111], v[108:109]
	v_add_f64_e64 v[2:3], v[102:103], -v[2:3]
	scratch_store_b64 off, v[2:3], off offset:368
	s_wait_xcnt 0x0
	v_cmpx_lt_u32_e32 45, v0
	s_cbranch_execz .LBB112_213
; %bb.212:
	scratch_load_b64 v[2:3], off, off offset:360
	v_mov_b64_e32 v[102:103], 0
	scratch_store_b64 off, v[102:103], off offset:360
	s_wait_loadcnt 0x0
	ds_store_b64 v1, v[2:3]
.LBB112_213:
	s_wait_xcnt 0x0
	s_or_b32 exec_lo, exec_lo, s0
	s_wait_storecnt_dscnt 0x0
	s_barrier_signal -1
	s_barrier_wait -1
	s_clause 0x1
	scratch_load_b128 v[102:105], off, off offset:360
	scratch_load_b128 v[106:109], off, off offset:376
	v_mov_b32_e32 v2, 0
	ds_load_b128 v[110:113], v2 offset:768
	ds_load_b64 v[114:115], v2 offset:784
	s_mov_b32 s0, exec_lo
	s_wait_loadcnt_dscnt 0x101
	v_fma_f64 v[104:105], v[104:105], v[110:111], 0
	s_wait_loadcnt 0x0
	s_delay_alu instid0(VALU_DEP_1) | instskip(SKIP_1) | instid1(VALU_DEP_1)
	v_fmac_f64_e32 v[104:105], v[106:107], v[112:113]
	s_wait_dscnt 0x0
	v_fmac_f64_e32 v[104:105], v[108:109], v[114:115]
	s_delay_alu instid0(VALU_DEP_1)
	v_add_f64_e64 v[102:103], v[102:103], -v[104:105]
	scratch_store_b64 off, v[102:103], off offset:360
	s_wait_xcnt 0x0
	v_cmpx_lt_u32_e32 44, v0
	s_cbranch_execz .LBB112_215
; %bb.214:
	scratch_load_b64 v[102:103], off, off offset:352
	v_mov_b64_e32 v[104:105], 0
	scratch_store_b64 off, v[104:105], off offset:352
	s_wait_loadcnt 0x0
	ds_store_b64 v1, v[102:103]
.LBB112_215:
	s_wait_xcnt 0x0
	s_or_b32 exec_lo, exec_lo, s0
	s_wait_storecnt_dscnt 0x0
	s_barrier_signal -1
	s_barrier_wait -1
	s_clause 0x2
	scratch_load_b128 v[102:105], off, off offset:352
	scratch_load_b128 v[106:109], off, off offset:368
	scratch_load_b64 v[118:119], off, off offset:384
	ds_load_2addr_b64 v[110:113], v2 offset0:95 offset1:96
	ds_load_2addr_b64 v[114:117], v2 offset0:97 offset1:98
	s_mov_b32 s0, exec_lo
	s_wait_loadcnt_dscnt 0x201
	v_fma_f64 v[2:3], v[104:105], v[110:111], 0
	s_wait_loadcnt 0x1
	s_delay_alu instid0(VALU_DEP_1) | instskip(SKIP_1) | instid1(VALU_DEP_1)
	v_fmac_f64_e32 v[2:3], v[106:107], v[112:113]
	s_wait_dscnt 0x0
	v_fmac_f64_e32 v[2:3], v[108:109], v[114:115]
	s_wait_loadcnt 0x0
	s_delay_alu instid0(VALU_DEP_1) | instskip(NEXT) | instid1(VALU_DEP_1)
	v_fmac_f64_e32 v[2:3], v[118:119], v[116:117]
	v_add_f64_e64 v[2:3], v[102:103], -v[2:3]
	scratch_store_b64 off, v[2:3], off offset:352
	s_wait_xcnt 0x0
	v_cmpx_lt_u32_e32 43, v0
	s_cbranch_execz .LBB112_217
; %bb.216:
	scratch_load_b64 v[2:3], off, off offset:344
	v_mov_b64_e32 v[102:103], 0
	scratch_store_b64 off, v[102:103], off offset:344
	s_wait_loadcnt 0x0
	ds_store_b64 v1, v[2:3]
.LBB112_217:
	s_wait_xcnt 0x0
	s_or_b32 exec_lo, exec_lo, s0
	s_wait_storecnt_dscnt 0x0
	s_barrier_signal -1
	s_barrier_wait -1
	s_clause 0x2
	scratch_load_b128 v[102:105], off, off offset:344
	scratch_load_b128 v[106:109], off, off offset:360
	;; [unrolled: 1-line block ×3, first 2 shown]
	v_mov_b32_e32 v2, 0
	ds_load_b128 v[114:117], v2 offset:752
	ds_load_b128 v[118:121], v2 offset:768
	s_mov_b32 s0, exec_lo
	s_wait_loadcnt_dscnt 0x201
	v_fma_f64 v[104:105], v[104:105], v[114:115], 0
	s_wait_loadcnt 0x1
	s_delay_alu instid0(VALU_DEP_1) | instskip(SKIP_4) | instid1(VALU_DEP_1)
	v_fmac_f64_e32 v[104:105], v[106:107], v[116:117]
	ds_load_b64 v[106:107], v2 offset:784
	s_wait_dscnt 0x1
	v_fmac_f64_e32 v[104:105], v[108:109], v[118:119]
	s_wait_loadcnt 0x0
	v_fmac_f64_e32 v[104:105], v[110:111], v[120:121]
	s_wait_dscnt 0x0
	s_delay_alu instid0(VALU_DEP_1) | instskip(NEXT) | instid1(VALU_DEP_1)
	v_fmac_f64_e32 v[104:105], v[112:113], v[106:107]
	v_add_f64_e64 v[102:103], v[102:103], -v[104:105]
	scratch_store_b64 off, v[102:103], off offset:344
	s_wait_xcnt 0x0
	v_cmpx_lt_u32_e32 42, v0
	s_cbranch_execz .LBB112_219
; %bb.218:
	scratch_load_b64 v[102:103], off, off offset:336
	v_mov_b64_e32 v[104:105], 0
	scratch_store_b64 off, v[104:105], off offset:336
	s_wait_loadcnt 0x0
	ds_store_b64 v1, v[102:103]
.LBB112_219:
	s_wait_xcnt 0x0
	s_or_b32 exec_lo, exec_lo, s0
	s_wait_storecnt_dscnt 0x0
	s_barrier_signal -1
	s_barrier_wait -1
	s_clause 0x3
	scratch_load_b128 v[102:105], off, off offset:336
	scratch_load_b128 v[106:109], off, off offset:352
	;; [unrolled: 1-line block ×3, first 2 shown]
	scratch_load_b64 v[122:123], off, off offset:384
	ds_load_2addr_b64 v[114:117], v2 offset0:93 offset1:94
	ds_load_2addr_b64 v[118:121], v2 offset0:95 offset1:96
	s_mov_b32 s0, exec_lo
	s_wait_loadcnt_dscnt 0x301
	v_fma_f64 v[114:115], v[104:105], v[114:115], 0
	s_wait_loadcnt 0x2
	s_delay_alu instid0(VALU_DEP_1) | instskip(SKIP_4) | instid1(VALU_DEP_1)
	v_fmac_f64_e32 v[114:115], v[106:107], v[116:117]
	ds_load_2addr_b64 v[104:107], v2 offset0:97 offset1:98
	s_wait_dscnt 0x1
	v_fmac_f64_e32 v[114:115], v[108:109], v[118:119]
	s_wait_loadcnt 0x1
	v_fmac_f64_e32 v[114:115], v[110:111], v[120:121]
	s_wait_dscnt 0x0
	s_delay_alu instid0(VALU_DEP_1) | instskip(SKIP_1) | instid1(VALU_DEP_1)
	v_fmac_f64_e32 v[114:115], v[112:113], v[104:105]
	s_wait_loadcnt 0x0
	v_fmac_f64_e32 v[114:115], v[122:123], v[106:107]
	s_delay_alu instid0(VALU_DEP_1)
	v_add_f64_e64 v[2:3], v[102:103], -v[114:115]
	scratch_store_b64 off, v[2:3], off offset:336
	s_wait_xcnt 0x0
	v_cmpx_lt_u32_e32 41, v0
	s_cbranch_execz .LBB112_221
; %bb.220:
	scratch_load_b64 v[2:3], off, off offset:328
	v_mov_b64_e32 v[102:103], 0
	scratch_store_b64 off, v[102:103], off offset:328
	s_wait_loadcnt 0x0
	ds_store_b64 v1, v[2:3]
.LBB112_221:
	s_wait_xcnt 0x0
	s_or_b32 exec_lo, exec_lo, s0
	s_wait_storecnt_dscnt 0x0
	s_barrier_signal -1
	s_barrier_wait -1
	s_clause 0x3
	scratch_load_b128 v[102:105], off, off offset:328
	scratch_load_b128 v[106:109], off, off offset:344
	;; [unrolled: 1-line block ×4, first 2 shown]
	v_mov_b32_e32 v2, 0
	ds_load_b128 v[118:121], v2 offset:736
	ds_load_b128 v[122:125], v2 offset:752
	s_mov_b32 s0, exec_lo
	s_wait_loadcnt_dscnt 0x301
	v_fma_f64 v[118:119], v[104:105], v[118:119], 0
	s_wait_loadcnt 0x2
	s_delay_alu instid0(VALU_DEP_1) | instskip(SKIP_1) | instid1(VALU_DEP_1)
	v_fmac_f64_e32 v[118:119], v[106:107], v[120:121]
	s_wait_dscnt 0x0
	v_fmac_f64_e32 v[118:119], v[108:109], v[122:123]
	ds_load_b128 v[104:107], v2 offset:768
	ds_load_b64 v[108:109], v2 offset:784
	s_wait_loadcnt 0x1
	v_fmac_f64_e32 v[118:119], v[110:111], v[124:125]
	s_wait_dscnt 0x1
	s_delay_alu instid0(VALU_DEP_1) | instskip(SKIP_1) | instid1(VALU_DEP_1)
	v_fmac_f64_e32 v[118:119], v[112:113], v[104:105]
	s_wait_loadcnt 0x0
	v_fmac_f64_e32 v[118:119], v[114:115], v[106:107]
	s_wait_dscnt 0x0
	s_delay_alu instid0(VALU_DEP_1) | instskip(NEXT) | instid1(VALU_DEP_1)
	v_fmac_f64_e32 v[118:119], v[116:117], v[108:109]
	v_add_f64_e64 v[102:103], v[102:103], -v[118:119]
	scratch_store_b64 off, v[102:103], off offset:328
	s_wait_xcnt 0x0
	v_cmpx_lt_u32_e32 40, v0
	s_cbranch_execz .LBB112_223
; %bb.222:
	scratch_load_b64 v[102:103], off, off offset:320
	v_mov_b64_e32 v[104:105], 0
	scratch_store_b64 off, v[104:105], off offset:320
	s_wait_loadcnt 0x0
	ds_store_b64 v1, v[102:103]
.LBB112_223:
	s_wait_xcnt 0x0
	s_or_b32 exec_lo, exec_lo, s0
	s_wait_storecnt_dscnt 0x0
	s_barrier_signal -1
	s_barrier_wait -1
	s_clause 0x4
	scratch_load_b128 v[102:105], off, off offset:320
	scratch_load_b128 v[106:109], off, off offset:336
	scratch_load_b128 v[110:113], off, off offset:352
	scratch_load_b128 v[114:117], off, off offset:368
	scratch_load_b64 v[126:127], off, off offset:384
	ds_load_2addr_b64 v[118:121], v2 offset0:91 offset1:92
	ds_load_2addr_b64 v[122:125], v2 offset0:93 offset1:94
	s_mov_b32 s0, exec_lo
	s_wait_loadcnt_dscnt 0x401
	v_fma_f64 v[118:119], v[104:105], v[118:119], 0
	s_wait_loadcnt 0x3
	s_delay_alu instid0(VALU_DEP_1) | instskip(SKIP_1) | instid1(VALU_DEP_1)
	v_fmac_f64_e32 v[118:119], v[106:107], v[120:121]
	s_wait_dscnt 0x0
	v_fmac_f64_e32 v[118:119], v[108:109], v[122:123]
	s_wait_loadcnt 0x2
	s_delay_alu instid0(VALU_DEP_1)
	v_fmac_f64_e32 v[118:119], v[110:111], v[124:125]
	ds_load_2addr_b64 v[104:107], v2 offset0:95 offset1:96
	ds_load_2addr_b64 v[108:111], v2 offset0:97 offset1:98
	s_wait_dscnt 0x1
	v_fmac_f64_e32 v[118:119], v[112:113], v[104:105]
	s_wait_loadcnt 0x1
	s_delay_alu instid0(VALU_DEP_1) | instskip(SKIP_1) | instid1(VALU_DEP_1)
	v_fmac_f64_e32 v[118:119], v[114:115], v[106:107]
	s_wait_dscnt 0x0
	v_fmac_f64_e32 v[118:119], v[116:117], v[108:109]
	s_wait_loadcnt 0x0
	s_delay_alu instid0(VALU_DEP_1) | instskip(NEXT) | instid1(VALU_DEP_1)
	v_fmac_f64_e32 v[118:119], v[126:127], v[110:111]
	v_add_f64_e64 v[2:3], v[102:103], -v[118:119]
	scratch_store_b64 off, v[2:3], off offset:320
	s_wait_xcnt 0x0
	v_cmpx_lt_u32_e32 39, v0
	s_cbranch_execz .LBB112_225
; %bb.224:
	scratch_load_b64 v[2:3], off, off offset:312
	v_mov_b64_e32 v[102:103], 0
	scratch_store_b64 off, v[102:103], off offset:312
	s_wait_loadcnt 0x0
	ds_store_b64 v1, v[2:3]
.LBB112_225:
	s_wait_xcnt 0x0
	s_or_b32 exec_lo, exec_lo, s0
	s_wait_storecnt_dscnt 0x0
	s_barrier_signal -1
	s_barrier_wait -1
	s_clause 0x4
	scratch_load_b128 v[102:105], off, off offset:312
	scratch_load_b128 v[106:109], off, off offset:328
	scratch_load_b128 v[110:113], off, off offset:344
	scratch_load_b128 v[114:117], off, off offset:360
	scratch_load_b128 v[118:121], off, off offset:376
	v_mov_b32_e32 v2, 0
	ds_load_b128 v[122:125], v2 offset:720
	ds_load_b128 v[126:129], v2 offset:736
	s_mov_b32 s0, exec_lo
	s_wait_loadcnt_dscnt 0x401
	v_fma_f64 v[122:123], v[104:105], v[122:123], 0
	s_wait_loadcnt 0x3
	s_delay_alu instid0(VALU_DEP_1) | instskip(SKIP_1) | instid1(VALU_DEP_1)
	v_fmac_f64_e32 v[122:123], v[106:107], v[124:125]
	s_wait_dscnt 0x0
	v_fmac_f64_e32 v[122:123], v[108:109], v[126:127]
	s_wait_loadcnt 0x2
	s_delay_alu instid0(VALU_DEP_1)
	v_fmac_f64_e32 v[122:123], v[110:111], v[128:129]
	ds_load_b128 v[104:107], v2 offset:752
	ds_load_b128 v[108:111], v2 offset:768
	s_wait_dscnt 0x1
	v_fmac_f64_e32 v[122:123], v[112:113], v[104:105]
	ds_load_b64 v[104:105], v2 offset:784
	s_wait_loadcnt 0x1
	v_fmac_f64_e32 v[122:123], v[114:115], v[106:107]
	s_wait_dscnt 0x1
	s_delay_alu instid0(VALU_DEP_1) | instskip(SKIP_1) | instid1(VALU_DEP_1)
	v_fmac_f64_e32 v[122:123], v[116:117], v[108:109]
	s_wait_loadcnt 0x0
	v_fmac_f64_e32 v[122:123], v[118:119], v[110:111]
	s_wait_dscnt 0x0
	s_delay_alu instid0(VALU_DEP_1) | instskip(NEXT) | instid1(VALU_DEP_1)
	v_fmac_f64_e32 v[122:123], v[120:121], v[104:105]
	v_add_f64_e64 v[102:103], v[102:103], -v[122:123]
	scratch_store_b64 off, v[102:103], off offset:312
	s_wait_xcnt 0x0
	v_cmpx_lt_u32_e32 38, v0
	s_cbranch_execz .LBB112_227
; %bb.226:
	scratch_load_b64 v[102:103], off, off offset:304
	v_mov_b64_e32 v[104:105], 0
	scratch_store_b64 off, v[104:105], off offset:304
	s_wait_loadcnt 0x0
	ds_store_b64 v1, v[102:103]
.LBB112_227:
	s_wait_xcnt 0x0
	s_or_b32 exec_lo, exec_lo, s0
	s_wait_storecnt_dscnt 0x0
	s_barrier_signal -1
	s_barrier_wait -1
	s_clause 0x5
	scratch_load_b128 v[102:105], off, off offset:304
	scratch_load_b128 v[106:109], off, off offset:320
	;; [unrolled: 1-line block ×5, first 2 shown]
	scratch_load_b64 v[130:131], off, off offset:384
	ds_load_2addr_b64 v[122:125], v2 offset0:89 offset1:90
	ds_load_2addr_b64 v[126:129], v2 offset0:91 offset1:92
	s_mov_b32 s0, exec_lo
	s_wait_loadcnt_dscnt 0x501
	v_fma_f64 v[122:123], v[104:105], v[122:123], 0
	s_wait_loadcnt 0x4
	s_delay_alu instid0(VALU_DEP_1) | instskip(SKIP_1) | instid1(VALU_DEP_1)
	v_fmac_f64_e32 v[122:123], v[106:107], v[124:125]
	s_wait_dscnt 0x0
	v_fmac_f64_e32 v[122:123], v[108:109], v[126:127]
	s_wait_loadcnt 0x3
	s_delay_alu instid0(VALU_DEP_1)
	v_fmac_f64_e32 v[122:123], v[110:111], v[128:129]
	ds_load_2addr_b64 v[104:107], v2 offset0:93 offset1:94
	ds_load_2addr_b64 v[108:111], v2 offset0:95 offset1:96
	s_wait_dscnt 0x1
	v_fmac_f64_e32 v[122:123], v[112:113], v[104:105]
	s_wait_loadcnt 0x2
	s_delay_alu instid0(VALU_DEP_1) | instskip(SKIP_4) | instid1(VALU_DEP_1)
	v_fmac_f64_e32 v[122:123], v[114:115], v[106:107]
	ds_load_2addr_b64 v[104:107], v2 offset0:97 offset1:98
	s_wait_dscnt 0x1
	v_fmac_f64_e32 v[122:123], v[116:117], v[108:109]
	s_wait_loadcnt 0x1
	v_fmac_f64_e32 v[122:123], v[118:119], v[110:111]
	s_wait_dscnt 0x0
	s_delay_alu instid0(VALU_DEP_1) | instskip(SKIP_1) | instid1(VALU_DEP_1)
	v_fmac_f64_e32 v[122:123], v[120:121], v[104:105]
	s_wait_loadcnt 0x0
	v_fmac_f64_e32 v[122:123], v[130:131], v[106:107]
	s_delay_alu instid0(VALU_DEP_1)
	v_add_f64_e64 v[2:3], v[102:103], -v[122:123]
	scratch_store_b64 off, v[2:3], off offset:304
	s_wait_xcnt 0x0
	v_cmpx_lt_u32_e32 37, v0
	s_cbranch_execz .LBB112_229
; %bb.228:
	scratch_load_b64 v[2:3], off, off offset:296
	v_mov_b64_e32 v[102:103], 0
	scratch_store_b64 off, v[102:103], off offset:296
	s_wait_loadcnt 0x0
	ds_store_b64 v1, v[2:3]
.LBB112_229:
	s_wait_xcnt 0x0
	s_or_b32 exec_lo, exec_lo, s0
	s_wait_storecnt_dscnt 0x0
	s_barrier_signal -1
	s_barrier_wait -1
	s_clause 0x5
	scratch_load_b128 v[102:105], off, off offset:296
	scratch_load_b128 v[106:109], off, off offset:312
	;; [unrolled: 1-line block ×6, first 2 shown]
	v_mov_b32_e32 v2, 0
	ds_load_b128 v[126:129], v2 offset:704
	ds_load_b128 v[130:133], v2 offset:720
	s_mov_b32 s0, exec_lo
	s_wait_loadcnt_dscnt 0x501
	v_fma_f64 v[126:127], v[104:105], v[126:127], 0
	s_wait_loadcnt 0x4
	s_delay_alu instid0(VALU_DEP_1) | instskip(SKIP_1) | instid1(VALU_DEP_1)
	v_fmac_f64_e32 v[126:127], v[106:107], v[128:129]
	s_wait_dscnt 0x0
	v_fmac_f64_e32 v[126:127], v[108:109], v[130:131]
	s_wait_loadcnt 0x3
	s_delay_alu instid0(VALU_DEP_1)
	v_fmac_f64_e32 v[126:127], v[110:111], v[132:133]
	ds_load_b128 v[104:107], v2 offset:736
	ds_load_b128 v[108:111], v2 offset:752
	s_wait_dscnt 0x1
	v_fmac_f64_e32 v[126:127], v[112:113], v[104:105]
	s_wait_loadcnt 0x2
	s_delay_alu instid0(VALU_DEP_1) | instskip(SKIP_1) | instid1(VALU_DEP_1)
	v_fmac_f64_e32 v[126:127], v[114:115], v[106:107]
	s_wait_dscnt 0x0
	v_fmac_f64_e32 v[126:127], v[116:117], v[108:109]
	ds_load_b128 v[104:107], v2 offset:768
	ds_load_b64 v[108:109], v2 offset:784
	s_wait_loadcnt 0x1
	v_fmac_f64_e32 v[126:127], v[118:119], v[110:111]
	s_wait_dscnt 0x1
	s_delay_alu instid0(VALU_DEP_1) | instskip(SKIP_1) | instid1(VALU_DEP_1)
	v_fmac_f64_e32 v[126:127], v[120:121], v[104:105]
	s_wait_loadcnt 0x0
	v_fmac_f64_e32 v[126:127], v[122:123], v[106:107]
	s_wait_dscnt 0x0
	s_delay_alu instid0(VALU_DEP_1) | instskip(NEXT) | instid1(VALU_DEP_1)
	v_fmac_f64_e32 v[126:127], v[124:125], v[108:109]
	v_add_f64_e64 v[102:103], v[102:103], -v[126:127]
	scratch_store_b64 off, v[102:103], off offset:296
	s_wait_xcnt 0x0
	v_cmpx_lt_u32_e32 36, v0
	s_cbranch_execz .LBB112_231
; %bb.230:
	scratch_load_b64 v[102:103], off, off offset:288
	v_mov_b64_e32 v[104:105], 0
	scratch_store_b64 off, v[104:105], off offset:288
	s_wait_loadcnt 0x0
	ds_store_b64 v1, v[102:103]
.LBB112_231:
	s_wait_xcnt 0x0
	s_or_b32 exec_lo, exec_lo, s0
	s_wait_storecnt_dscnt 0x0
	s_barrier_signal -1
	s_barrier_wait -1
	s_clause 0x5
	scratch_load_b128 v[102:105], off, off offset:288
	scratch_load_b128 v[106:109], off, off offset:304
	;; [unrolled: 1-line block ×6, first 2 shown]
	ds_load_2addr_b64 v[126:129], v2 offset0:87 offset1:88
	ds_load_2addr_b64 v[130:133], v2 offset0:89 offset1:90
	s_mov_b32 s0, exec_lo
	s_wait_loadcnt_dscnt 0x501
	v_fma_f64 v[126:127], v[104:105], v[126:127], 0
	s_wait_loadcnt 0x4
	s_delay_alu instid0(VALU_DEP_1) | instskip(SKIP_4) | instid1(VALU_DEP_1)
	v_fmac_f64_e32 v[126:127], v[106:107], v[128:129]
	scratch_load_b64 v[128:129], off, off offset:384
	s_wait_dscnt 0x0
	v_fmac_f64_e32 v[126:127], v[108:109], v[130:131]
	s_wait_loadcnt 0x4
	v_fmac_f64_e32 v[126:127], v[110:111], v[132:133]
	ds_load_2addr_b64 v[104:107], v2 offset0:91 offset1:92
	ds_load_2addr_b64 v[108:111], v2 offset0:93 offset1:94
	s_wait_dscnt 0x1
	v_fmac_f64_e32 v[126:127], v[112:113], v[104:105]
	s_wait_loadcnt 0x3
	s_delay_alu instid0(VALU_DEP_1) | instskip(SKIP_1) | instid1(VALU_DEP_1)
	v_fmac_f64_e32 v[126:127], v[114:115], v[106:107]
	s_wait_dscnt 0x0
	v_fmac_f64_e32 v[126:127], v[116:117], v[108:109]
	s_wait_loadcnt 0x2
	s_delay_alu instid0(VALU_DEP_1)
	v_fmac_f64_e32 v[126:127], v[118:119], v[110:111]
	ds_load_2addr_b64 v[104:107], v2 offset0:95 offset1:96
	ds_load_2addr_b64 v[108:111], v2 offset0:97 offset1:98
	s_wait_dscnt 0x1
	v_fmac_f64_e32 v[126:127], v[120:121], v[104:105]
	s_wait_loadcnt 0x1
	s_delay_alu instid0(VALU_DEP_1) | instskip(SKIP_1) | instid1(VALU_DEP_1)
	v_fmac_f64_e32 v[126:127], v[122:123], v[106:107]
	s_wait_dscnt 0x0
	v_fmac_f64_e32 v[126:127], v[124:125], v[108:109]
	s_wait_loadcnt 0x0
	s_delay_alu instid0(VALU_DEP_1) | instskip(NEXT) | instid1(VALU_DEP_1)
	v_fmac_f64_e32 v[126:127], v[128:129], v[110:111]
	v_add_f64_e64 v[2:3], v[102:103], -v[126:127]
	scratch_store_b64 off, v[2:3], off offset:288
	s_wait_xcnt 0x0
	v_cmpx_lt_u32_e32 35, v0
	s_cbranch_execz .LBB112_233
; %bb.232:
	scratch_load_b64 v[2:3], off, off offset:280
	v_mov_b64_e32 v[102:103], 0
	scratch_store_b64 off, v[102:103], off offset:280
	s_wait_loadcnt 0x0
	ds_store_b64 v1, v[2:3]
.LBB112_233:
	s_wait_xcnt 0x0
	s_or_b32 exec_lo, exec_lo, s0
	s_wait_storecnt_dscnt 0x0
	s_barrier_signal -1
	s_barrier_wait -1
	s_clause 0x5
	scratch_load_b128 v[102:105], off, off offset:280
	scratch_load_b128 v[106:109], off, off offset:296
	;; [unrolled: 1-line block ×6, first 2 shown]
	v_mov_b32_e32 v2, 0
	ds_load_b128 v[126:129], v2 offset:688
	ds_load_b128 v[130:133], v2 offset:704
	s_mov_b32 s0, exec_lo
	s_wait_loadcnt_dscnt 0x501
	v_fma_f64 v[134:135], v[104:105], v[126:127], 0
	s_wait_loadcnt 0x4
	s_delay_alu instid0(VALU_DEP_1) | instskip(SKIP_4) | instid1(VALU_DEP_1)
	v_fmac_f64_e32 v[134:135], v[106:107], v[128:129]
	scratch_load_b128 v[104:107], off, off offset:376
	s_wait_dscnt 0x0
	v_fmac_f64_e32 v[134:135], v[108:109], v[130:131]
	s_wait_loadcnt 0x4
	v_fmac_f64_e32 v[134:135], v[110:111], v[132:133]
	ds_load_b128 v[108:111], v2 offset:720
	ds_load_b128 v[126:129], v2 offset:736
	s_wait_dscnt 0x1
	v_fmac_f64_e32 v[134:135], v[112:113], v[108:109]
	s_wait_loadcnt 0x3
	s_delay_alu instid0(VALU_DEP_1)
	v_fmac_f64_e32 v[134:135], v[114:115], v[110:111]
	ds_load_b128 v[108:111], v2 offset:752
	ds_load_b128 v[112:115], v2 offset:768
	s_wait_dscnt 0x2
	v_fmac_f64_e32 v[134:135], v[116:117], v[126:127]
	s_wait_loadcnt 0x2
	s_delay_alu instid0(VALU_DEP_1) | instskip(SKIP_1) | instid1(VALU_DEP_1)
	v_fmac_f64_e32 v[134:135], v[118:119], v[128:129]
	s_wait_dscnt 0x1
	v_fmac_f64_e32 v[134:135], v[120:121], v[108:109]
	s_wait_loadcnt 0x1
	s_delay_alu instid0(VALU_DEP_1) | instskip(SKIP_1) | instid1(VALU_DEP_1)
	v_fmac_f64_e32 v[134:135], v[122:123], v[110:111]
	s_wait_dscnt 0x0
	v_fmac_f64_e32 v[134:135], v[124:125], v[112:113]
	s_wait_loadcnt 0x0
	s_delay_alu instid0(VALU_DEP_1) | instskip(SKIP_3) | instid1(VALU_DEP_1)
	v_fmac_f64_e32 v[134:135], v[104:105], v[114:115]
	ds_load_b64 v[104:105], v2 offset:784
	s_wait_dscnt 0x0
	v_fmac_f64_e32 v[134:135], v[106:107], v[104:105]
	v_add_f64_e64 v[102:103], v[102:103], -v[134:135]
	scratch_store_b64 off, v[102:103], off offset:280
	s_wait_xcnt 0x0
	v_cmpx_lt_u32_e32 34, v0
	s_cbranch_execz .LBB112_235
; %bb.234:
	scratch_load_b64 v[102:103], off, off offset:272
	v_mov_b64_e32 v[104:105], 0
	scratch_store_b64 off, v[104:105], off offset:272
	s_wait_loadcnt 0x0
	ds_store_b64 v1, v[102:103]
.LBB112_235:
	s_wait_xcnt 0x0
	s_or_b32 exec_lo, exec_lo, s0
	s_wait_storecnt_dscnt 0x0
	s_barrier_signal -1
	s_barrier_wait -1
	s_clause 0x5
	scratch_load_b128 v[102:105], off, off offset:272
	scratch_load_b128 v[106:109], off, off offset:288
	;; [unrolled: 1-line block ×6, first 2 shown]
	ds_load_2addr_b64 v[126:129], v2 offset0:85 offset1:86
	ds_load_2addr_b64 v[130:133], v2 offset0:87 offset1:88
	s_mov_b32 s0, exec_lo
	s_wait_loadcnt_dscnt 0x501
	v_fma_f64 v[134:135], v[104:105], v[126:127], 0
	s_wait_loadcnt 0x4
	s_delay_alu instid0(VALU_DEP_1)
	v_fmac_f64_e32 v[134:135], v[106:107], v[128:129]
	scratch_load_b128 v[104:107], off, off offset:368
	s_wait_dscnt 0x0
	v_fmac_f64_e32 v[134:135], v[108:109], v[130:131]
	scratch_load_b64 v[130:131], off, off offset:384
	s_wait_loadcnt 0x5
	v_fmac_f64_e32 v[134:135], v[110:111], v[132:133]
	ds_load_2addr_b64 v[108:111], v2 offset0:89 offset1:90
	ds_load_2addr_b64 v[126:129], v2 offset0:91 offset1:92
	s_wait_dscnt 0x1
	v_fmac_f64_e32 v[134:135], v[112:113], v[108:109]
	s_wait_loadcnt 0x4
	s_delay_alu instid0(VALU_DEP_1)
	v_fmac_f64_e32 v[134:135], v[114:115], v[110:111]
	ds_load_2addr_b64 v[108:111], v2 offset0:93 offset1:94
	ds_load_2addr_b64 v[112:115], v2 offset0:95 offset1:96
	s_wait_dscnt 0x2
	v_fmac_f64_e32 v[134:135], v[116:117], v[126:127]
	s_wait_loadcnt 0x3
	s_delay_alu instid0(VALU_DEP_1) | instskip(SKIP_1) | instid1(VALU_DEP_1)
	v_fmac_f64_e32 v[134:135], v[118:119], v[128:129]
	s_wait_dscnt 0x1
	v_fmac_f64_e32 v[134:135], v[120:121], v[108:109]
	s_wait_loadcnt 0x2
	s_delay_alu instid0(VALU_DEP_1) | instskip(SKIP_4) | instid1(VALU_DEP_1)
	v_fmac_f64_e32 v[134:135], v[122:123], v[110:111]
	ds_load_2addr_b64 v[108:111], v2 offset0:97 offset1:98
	s_wait_dscnt 0x1
	v_fmac_f64_e32 v[134:135], v[124:125], v[112:113]
	s_wait_loadcnt 0x1
	v_fmac_f64_e32 v[134:135], v[104:105], v[114:115]
	s_wait_dscnt 0x0
	s_delay_alu instid0(VALU_DEP_1) | instskip(SKIP_1) | instid1(VALU_DEP_1)
	v_fmac_f64_e32 v[134:135], v[106:107], v[108:109]
	s_wait_loadcnt 0x0
	v_fmac_f64_e32 v[134:135], v[130:131], v[110:111]
	s_delay_alu instid0(VALU_DEP_1)
	v_add_f64_e64 v[2:3], v[102:103], -v[134:135]
	scratch_store_b64 off, v[2:3], off offset:272
	s_wait_xcnt 0x0
	v_cmpx_lt_u32_e32 33, v0
	s_cbranch_execz .LBB112_237
; %bb.236:
	scratch_load_b64 v[2:3], off, off offset:264
	v_mov_b64_e32 v[102:103], 0
	scratch_store_b64 off, v[102:103], off offset:264
	s_wait_loadcnt 0x0
	ds_store_b64 v1, v[2:3]
.LBB112_237:
	s_wait_xcnt 0x0
	s_or_b32 exec_lo, exec_lo, s0
	s_wait_storecnt_dscnt 0x0
	s_barrier_signal -1
	s_barrier_wait -1
	s_clause 0x5
	scratch_load_b128 v[102:105], off, off offset:264
	scratch_load_b128 v[106:109], off, off offset:280
	;; [unrolled: 1-line block ×6, first 2 shown]
	v_mov_b32_e32 v2, 0
	ds_load_b128 v[126:129], v2 offset:672
	ds_load_b128 v[130:133], v2 offset:688
	s_mov_b32 s0, exec_lo
	s_wait_loadcnt_dscnt 0x501
	v_fma_f64 v[134:135], v[104:105], v[126:127], 0
	s_wait_loadcnt 0x4
	s_delay_alu instid0(VALU_DEP_1) | instskip(SKIP_4) | instid1(VALU_DEP_1)
	v_fmac_f64_e32 v[134:135], v[106:107], v[128:129]
	scratch_load_b128 v[104:107], off, off offset:360
	s_wait_dscnt 0x0
	v_fmac_f64_e32 v[134:135], v[108:109], v[130:131]
	s_wait_loadcnt 0x4
	v_fmac_f64_e32 v[134:135], v[110:111], v[132:133]
	scratch_load_b128 v[108:111], off, off offset:376
	ds_load_b128 v[126:129], v2 offset:704
	ds_load_b128 v[130:133], v2 offset:720
	s_wait_dscnt 0x1
	v_fmac_f64_e32 v[134:135], v[112:113], v[126:127]
	s_wait_loadcnt 0x4
	s_delay_alu instid0(VALU_DEP_1) | instskip(SKIP_1) | instid1(VALU_DEP_1)
	v_fmac_f64_e32 v[134:135], v[114:115], v[128:129]
	s_wait_dscnt 0x0
	v_fmac_f64_e32 v[134:135], v[116:117], v[130:131]
	s_wait_loadcnt 0x3
	s_delay_alu instid0(VALU_DEP_1)
	v_fmac_f64_e32 v[134:135], v[118:119], v[132:133]
	ds_load_b128 v[112:115], v2 offset:736
	ds_load_b128 v[116:119], v2 offset:752
	s_wait_dscnt 0x1
	v_fmac_f64_e32 v[134:135], v[120:121], v[112:113]
	s_wait_loadcnt 0x2
	s_delay_alu instid0(VALU_DEP_1) | instskip(SKIP_1) | instid1(VALU_DEP_1)
	v_fmac_f64_e32 v[134:135], v[122:123], v[114:115]
	s_wait_dscnt 0x0
	v_fmac_f64_e32 v[134:135], v[124:125], v[116:117]
	s_wait_loadcnt 0x1
	s_delay_alu instid0(VALU_DEP_1)
	v_fmac_f64_e32 v[134:135], v[104:105], v[118:119]
	ds_load_b128 v[112:115], v2 offset:768
	ds_load_b64 v[104:105], v2 offset:784
	s_wait_dscnt 0x1
	v_fmac_f64_e32 v[134:135], v[106:107], v[112:113]
	s_wait_loadcnt 0x0
	s_delay_alu instid0(VALU_DEP_1) | instskip(SKIP_1) | instid1(VALU_DEP_1)
	v_fmac_f64_e32 v[134:135], v[108:109], v[114:115]
	s_wait_dscnt 0x0
	v_fmac_f64_e32 v[134:135], v[110:111], v[104:105]
	s_delay_alu instid0(VALU_DEP_1)
	v_add_f64_e64 v[102:103], v[102:103], -v[134:135]
	scratch_store_b64 off, v[102:103], off offset:264
	s_wait_xcnt 0x0
	v_cmpx_lt_u32_e32 32, v0
	s_cbranch_execz .LBB112_239
; %bb.238:
	scratch_load_b64 v[102:103], off, off offset:256
	v_mov_b64_e32 v[104:105], 0
	scratch_store_b64 off, v[104:105], off offset:256
	s_wait_loadcnt 0x0
	ds_store_b64 v1, v[102:103]
.LBB112_239:
	s_wait_xcnt 0x0
	s_or_b32 exec_lo, exec_lo, s0
	s_wait_storecnt_dscnt 0x0
	s_barrier_signal -1
	s_barrier_wait -1
	s_clause 0x5
	scratch_load_b128 v[102:105], off, off offset:256
	scratch_load_b128 v[106:109], off, off offset:272
	;; [unrolled: 1-line block ×6, first 2 shown]
	ds_load_2addr_b64 v[126:129], v2 offset0:83 offset1:84
	ds_load_2addr_b64 v[130:133], v2 offset0:85 offset1:86
	s_mov_b32 s0, exec_lo
	s_wait_loadcnt_dscnt 0x501
	v_fma_f64 v[134:135], v[104:105], v[126:127], 0
	s_wait_loadcnt 0x4
	s_delay_alu instid0(VALU_DEP_1) | instskip(SKIP_4) | instid1(VALU_DEP_1)
	v_fmac_f64_e32 v[134:135], v[106:107], v[128:129]
	scratch_load_b128 v[104:107], off, off offset:352
	s_wait_dscnt 0x0
	v_fmac_f64_e32 v[134:135], v[108:109], v[130:131]
	s_wait_loadcnt 0x4
	v_fmac_f64_e32 v[134:135], v[110:111], v[132:133]
	scratch_load_b128 v[108:111], off, off offset:368
	ds_load_2addr_b64 v[126:129], v2 offset0:87 offset1:88
	ds_load_2addr_b64 v[130:133], v2 offset0:89 offset1:90
	s_wait_dscnt 0x1
	v_fmac_f64_e32 v[134:135], v[112:113], v[126:127]
	scratch_load_b64 v[126:127], off, off offset:384
	s_wait_loadcnt 0x5
	v_fmac_f64_e32 v[134:135], v[114:115], v[128:129]
	s_wait_dscnt 0x0
	s_delay_alu instid0(VALU_DEP_1) | instskip(SKIP_1) | instid1(VALU_DEP_1)
	v_fmac_f64_e32 v[134:135], v[116:117], v[130:131]
	s_wait_loadcnt 0x4
	v_fmac_f64_e32 v[134:135], v[118:119], v[132:133]
	ds_load_2addr_b64 v[112:115], v2 offset0:91 offset1:92
	ds_load_2addr_b64 v[116:119], v2 offset0:93 offset1:94
	s_wait_dscnt 0x1
	v_fmac_f64_e32 v[134:135], v[120:121], v[112:113]
	s_wait_loadcnt 0x3
	s_delay_alu instid0(VALU_DEP_1) | instskip(SKIP_1) | instid1(VALU_DEP_1)
	v_fmac_f64_e32 v[134:135], v[122:123], v[114:115]
	s_wait_dscnt 0x0
	v_fmac_f64_e32 v[134:135], v[124:125], v[116:117]
	s_wait_loadcnt 0x2
	s_delay_alu instid0(VALU_DEP_1)
	v_fmac_f64_e32 v[134:135], v[104:105], v[118:119]
	ds_load_2addr_b64 v[112:115], v2 offset0:95 offset1:96
	ds_load_2addr_b64 v[116:119], v2 offset0:97 offset1:98
	s_wait_dscnt 0x1
	v_fmac_f64_e32 v[134:135], v[106:107], v[112:113]
	s_wait_loadcnt 0x1
	s_delay_alu instid0(VALU_DEP_1) | instskip(SKIP_1) | instid1(VALU_DEP_1)
	v_fmac_f64_e32 v[134:135], v[108:109], v[114:115]
	s_wait_dscnt 0x0
	v_fmac_f64_e32 v[134:135], v[110:111], v[116:117]
	s_wait_loadcnt 0x0
	s_delay_alu instid0(VALU_DEP_1) | instskip(NEXT) | instid1(VALU_DEP_1)
	v_fmac_f64_e32 v[134:135], v[126:127], v[118:119]
	v_add_f64_e64 v[2:3], v[102:103], -v[134:135]
	scratch_store_b64 off, v[2:3], off offset:256
	s_wait_xcnt 0x0
	v_cmpx_lt_u32_e32 31, v0
	s_cbranch_execz .LBB112_241
; %bb.240:
	scratch_load_b64 v[2:3], off, off offset:248
	v_mov_b64_e32 v[102:103], 0
	scratch_store_b64 off, v[102:103], off offset:248
	s_wait_loadcnt 0x0
	ds_store_b64 v1, v[2:3]
.LBB112_241:
	s_wait_xcnt 0x0
	s_or_b32 exec_lo, exec_lo, s0
	s_wait_storecnt_dscnt 0x0
	s_barrier_signal -1
	s_barrier_wait -1
	s_clause 0x5
	scratch_load_b128 v[102:105], off, off offset:248
	scratch_load_b128 v[106:109], off, off offset:264
	;; [unrolled: 1-line block ×6, first 2 shown]
	v_mov_b32_e32 v2, 0
	ds_load_b128 v[126:129], v2 offset:656
	ds_load_b128 v[130:133], v2 offset:672
	s_mov_b32 s0, exec_lo
	s_wait_loadcnt_dscnt 0x501
	v_fma_f64 v[134:135], v[104:105], v[126:127], 0
	s_wait_loadcnt 0x4
	s_delay_alu instid0(VALU_DEP_1) | instskip(SKIP_4) | instid1(VALU_DEP_1)
	v_fmac_f64_e32 v[134:135], v[106:107], v[128:129]
	scratch_load_b128 v[104:107], off, off offset:344
	s_wait_dscnt 0x0
	v_fmac_f64_e32 v[134:135], v[108:109], v[130:131]
	s_wait_loadcnt 0x4
	v_fmac_f64_e32 v[134:135], v[110:111], v[132:133]
	scratch_load_b128 v[108:111], off, off offset:360
	ds_load_b128 v[126:129], v2 offset:688
	ds_load_b128 v[130:133], v2 offset:704
	s_wait_dscnt 0x1
	v_fmac_f64_e32 v[134:135], v[112:113], v[126:127]
	s_wait_loadcnt 0x4
	s_delay_alu instid0(VALU_DEP_1) | instskip(SKIP_4) | instid1(VALU_DEP_1)
	v_fmac_f64_e32 v[134:135], v[114:115], v[128:129]
	scratch_load_b128 v[112:115], off, off offset:376
	s_wait_dscnt 0x0
	v_fmac_f64_e32 v[134:135], v[116:117], v[130:131]
	s_wait_loadcnt 0x4
	v_fmac_f64_e32 v[134:135], v[118:119], v[132:133]
	ds_load_b128 v[116:119], v2 offset:720
	ds_load_b128 v[126:129], v2 offset:736
	s_wait_dscnt 0x1
	v_fmac_f64_e32 v[134:135], v[120:121], v[116:117]
	s_wait_loadcnt 0x3
	s_delay_alu instid0(VALU_DEP_1)
	v_fmac_f64_e32 v[134:135], v[122:123], v[118:119]
	ds_load_b128 v[116:119], v2 offset:752
	ds_load_b128 v[120:123], v2 offset:768
	s_wait_dscnt 0x2
	v_fmac_f64_e32 v[134:135], v[124:125], v[126:127]
	s_wait_loadcnt 0x2
	s_delay_alu instid0(VALU_DEP_1) | instskip(SKIP_4) | instid1(VALU_DEP_1)
	v_fmac_f64_e32 v[134:135], v[104:105], v[128:129]
	ds_load_b64 v[104:105], v2 offset:784
	s_wait_dscnt 0x2
	v_fmac_f64_e32 v[134:135], v[106:107], v[116:117]
	s_wait_loadcnt 0x1
	v_fmac_f64_e32 v[134:135], v[108:109], v[118:119]
	s_wait_dscnt 0x1
	s_delay_alu instid0(VALU_DEP_1) | instskip(SKIP_1) | instid1(VALU_DEP_1)
	v_fmac_f64_e32 v[134:135], v[110:111], v[120:121]
	s_wait_loadcnt 0x0
	v_fmac_f64_e32 v[134:135], v[112:113], v[122:123]
	s_wait_dscnt 0x0
	s_delay_alu instid0(VALU_DEP_1) | instskip(NEXT) | instid1(VALU_DEP_1)
	v_fmac_f64_e32 v[134:135], v[114:115], v[104:105]
	v_add_f64_e64 v[102:103], v[102:103], -v[134:135]
	scratch_store_b64 off, v[102:103], off offset:248
	s_wait_xcnt 0x0
	v_cmpx_lt_u32_e32 30, v0
	s_cbranch_execz .LBB112_243
; %bb.242:
	scratch_load_b64 v[102:103], off, off offset:240
	v_mov_b64_e32 v[104:105], 0
	scratch_store_b64 off, v[104:105], off offset:240
	s_wait_loadcnt 0x0
	ds_store_b64 v1, v[102:103]
.LBB112_243:
	s_wait_xcnt 0x0
	s_or_b32 exec_lo, exec_lo, s0
	s_wait_storecnt_dscnt 0x0
	s_barrier_signal -1
	s_barrier_wait -1
	s_clause 0x5
	scratch_load_b128 v[102:105], off, off offset:240
	scratch_load_b128 v[106:109], off, off offset:256
	;; [unrolled: 1-line block ×6, first 2 shown]
	ds_load_2addr_b64 v[126:129], v2 offset0:81 offset1:82
	ds_load_2addr_b64 v[130:133], v2 offset0:83 offset1:84
	s_mov_b32 s0, exec_lo
	s_wait_loadcnt_dscnt 0x501
	v_fma_f64 v[134:135], v[104:105], v[126:127], 0
	s_wait_loadcnt 0x4
	s_delay_alu instid0(VALU_DEP_1) | instskip(SKIP_4) | instid1(VALU_DEP_1)
	v_fmac_f64_e32 v[134:135], v[106:107], v[128:129]
	scratch_load_b128 v[104:107], off, off offset:336
	s_wait_dscnt 0x0
	v_fmac_f64_e32 v[134:135], v[108:109], v[130:131]
	s_wait_loadcnt 0x4
	v_fmac_f64_e32 v[134:135], v[110:111], v[132:133]
	scratch_load_b128 v[108:111], off, off offset:352
	ds_load_2addr_b64 v[126:129], v2 offset0:85 offset1:86
	ds_load_2addr_b64 v[130:133], v2 offset0:87 offset1:88
	s_wait_dscnt 0x1
	v_fmac_f64_e32 v[134:135], v[112:113], v[126:127]
	s_wait_loadcnt 0x4
	s_delay_alu instid0(VALU_DEP_1)
	v_fmac_f64_e32 v[134:135], v[114:115], v[128:129]
	scratch_load_b128 v[112:115], off, off offset:368
	s_wait_dscnt 0x0
	v_fmac_f64_e32 v[134:135], v[116:117], v[130:131]
	scratch_load_b64 v[130:131], off, off offset:384
	s_wait_loadcnt 0x5
	v_fmac_f64_e32 v[134:135], v[118:119], v[132:133]
	ds_load_2addr_b64 v[116:119], v2 offset0:89 offset1:90
	ds_load_2addr_b64 v[126:129], v2 offset0:91 offset1:92
	s_wait_dscnt 0x1
	v_fmac_f64_e32 v[134:135], v[120:121], v[116:117]
	s_wait_loadcnt 0x4
	s_delay_alu instid0(VALU_DEP_1)
	v_fmac_f64_e32 v[134:135], v[122:123], v[118:119]
	ds_load_2addr_b64 v[116:119], v2 offset0:93 offset1:94
	ds_load_2addr_b64 v[120:123], v2 offset0:95 offset1:96
	s_wait_dscnt 0x2
	v_fmac_f64_e32 v[134:135], v[124:125], v[126:127]
	s_wait_loadcnt 0x3
	s_delay_alu instid0(VALU_DEP_1) | instskip(SKIP_1) | instid1(VALU_DEP_1)
	v_fmac_f64_e32 v[134:135], v[104:105], v[128:129]
	s_wait_dscnt 0x1
	v_fmac_f64_e32 v[134:135], v[106:107], v[116:117]
	ds_load_2addr_b64 v[104:107], v2 offset0:97 offset1:98
	s_wait_loadcnt 0x2
	v_fmac_f64_e32 v[134:135], v[108:109], v[118:119]
	s_wait_dscnt 0x1
	s_delay_alu instid0(VALU_DEP_1) | instskip(SKIP_1) | instid1(VALU_DEP_1)
	v_fmac_f64_e32 v[134:135], v[110:111], v[120:121]
	s_wait_loadcnt 0x1
	v_fmac_f64_e32 v[134:135], v[112:113], v[122:123]
	s_wait_dscnt 0x0
	s_delay_alu instid0(VALU_DEP_1) | instskip(SKIP_1) | instid1(VALU_DEP_1)
	v_fmac_f64_e32 v[134:135], v[114:115], v[104:105]
	s_wait_loadcnt 0x0
	v_fmac_f64_e32 v[134:135], v[130:131], v[106:107]
	s_delay_alu instid0(VALU_DEP_1)
	v_add_f64_e64 v[2:3], v[102:103], -v[134:135]
	scratch_store_b64 off, v[2:3], off offset:240
	s_wait_xcnt 0x0
	v_cmpx_lt_u32_e32 29, v0
	s_cbranch_execz .LBB112_245
; %bb.244:
	scratch_load_b64 v[2:3], off, off offset:232
	v_mov_b64_e32 v[102:103], 0
	scratch_store_b64 off, v[102:103], off offset:232
	s_wait_loadcnt 0x0
	ds_store_b64 v1, v[2:3]
.LBB112_245:
	s_wait_xcnt 0x0
	s_or_b32 exec_lo, exec_lo, s0
	s_wait_storecnt_dscnt 0x0
	s_barrier_signal -1
	s_barrier_wait -1
	s_clause 0x5
	scratch_load_b128 v[102:105], off, off offset:232
	scratch_load_b128 v[106:109], off, off offset:248
	;; [unrolled: 1-line block ×6, first 2 shown]
	v_mov_b32_e32 v2, 0
	ds_load_b128 v[126:129], v2 offset:640
	ds_load_b128 v[130:133], v2 offset:656
	s_mov_b32 s0, exec_lo
	s_wait_loadcnt_dscnt 0x501
	v_fma_f64 v[134:135], v[104:105], v[126:127], 0
	s_wait_loadcnt 0x4
	s_delay_alu instid0(VALU_DEP_1) | instskip(SKIP_4) | instid1(VALU_DEP_1)
	v_fmac_f64_e32 v[134:135], v[106:107], v[128:129]
	scratch_load_b128 v[104:107], off, off offset:328
	s_wait_dscnt 0x0
	v_fmac_f64_e32 v[134:135], v[108:109], v[130:131]
	s_wait_loadcnt 0x4
	v_fmac_f64_e32 v[134:135], v[110:111], v[132:133]
	scratch_load_b128 v[108:111], off, off offset:344
	ds_load_b128 v[126:129], v2 offset:672
	ds_load_b128 v[130:133], v2 offset:688
	s_wait_dscnt 0x1
	v_fmac_f64_e32 v[134:135], v[112:113], v[126:127]
	s_wait_loadcnt 0x4
	s_delay_alu instid0(VALU_DEP_1) | instskip(SKIP_4) | instid1(VALU_DEP_1)
	v_fmac_f64_e32 v[134:135], v[114:115], v[128:129]
	scratch_load_b128 v[112:115], off, off offset:360
	s_wait_dscnt 0x0
	v_fmac_f64_e32 v[134:135], v[116:117], v[130:131]
	s_wait_loadcnt 0x4
	v_fmac_f64_e32 v[134:135], v[118:119], v[132:133]
	scratch_load_b128 v[116:119], off, off offset:376
	ds_load_b128 v[126:129], v2 offset:704
	ds_load_b128 v[130:133], v2 offset:720
	s_wait_dscnt 0x1
	v_fmac_f64_e32 v[134:135], v[120:121], v[126:127]
	s_wait_loadcnt 0x4
	s_delay_alu instid0(VALU_DEP_1) | instskip(SKIP_1) | instid1(VALU_DEP_1)
	v_fmac_f64_e32 v[134:135], v[122:123], v[128:129]
	s_wait_dscnt 0x0
	v_fmac_f64_e32 v[134:135], v[124:125], v[130:131]
	ds_load_b128 v[120:123], v2 offset:736
	ds_load_b128 v[124:127], v2 offset:752
	s_wait_loadcnt 0x3
	v_fmac_f64_e32 v[134:135], v[104:105], v[132:133]
	s_wait_dscnt 0x1
	s_delay_alu instid0(VALU_DEP_1) | instskip(SKIP_1) | instid1(VALU_DEP_1)
	v_fmac_f64_e32 v[134:135], v[106:107], v[120:121]
	s_wait_loadcnt 0x2
	v_fmac_f64_e32 v[134:135], v[108:109], v[122:123]
	ds_load_b128 v[104:107], v2 offset:768
	ds_load_b64 v[108:109], v2 offset:784
	s_wait_dscnt 0x2
	v_fmac_f64_e32 v[134:135], v[110:111], v[124:125]
	s_wait_loadcnt 0x1
	s_delay_alu instid0(VALU_DEP_1) | instskip(SKIP_1) | instid1(VALU_DEP_1)
	v_fmac_f64_e32 v[134:135], v[112:113], v[126:127]
	s_wait_dscnt 0x1
	v_fmac_f64_e32 v[134:135], v[114:115], v[104:105]
	s_wait_loadcnt 0x0
	s_delay_alu instid0(VALU_DEP_1) | instskip(SKIP_1) | instid1(VALU_DEP_1)
	v_fmac_f64_e32 v[134:135], v[116:117], v[106:107]
	s_wait_dscnt 0x0
	v_fmac_f64_e32 v[134:135], v[118:119], v[108:109]
	s_delay_alu instid0(VALU_DEP_1)
	v_add_f64_e64 v[102:103], v[102:103], -v[134:135]
	scratch_store_b64 off, v[102:103], off offset:232
	s_wait_xcnt 0x0
	v_cmpx_lt_u32_e32 28, v0
	s_cbranch_execz .LBB112_247
; %bb.246:
	scratch_load_b64 v[102:103], off, off offset:224
	v_mov_b64_e32 v[104:105], 0
	scratch_store_b64 off, v[104:105], off offset:224
	s_wait_loadcnt 0x0
	ds_store_b64 v1, v[102:103]
.LBB112_247:
	s_wait_xcnt 0x0
	s_or_b32 exec_lo, exec_lo, s0
	s_wait_storecnt_dscnt 0x0
	s_barrier_signal -1
	s_barrier_wait -1
	s_clause 0x5
	scratch_load_b128 v[102:105], off, off offset:224
	scratch_load_b128 v[106:109], off, off offset:240
	;; [unrolled: 1-line block ×6, first 2 shown]
	ds_load_2addr_b64 v[126:129], v2 offset0:79 offset1:80
	ds_load_2addr_b64 v[130:133], v2 offset0:81 offset1:82
	s_mov_b32 s0, exec_lo
	s_wait_loadcnt_dscnt 0x501
	v_fma_f64 v[134:135], v[104:105], v[126:127], 0
	s_wait_loadcnt 0x4
	s_delay_alu instid0(VALU_DEP_1) | instskip(SKIP_4) | instid1(VALU_DEP_1)
	v_fmac_f64_e32 v[134:135], v[106:107], v[128:129]
	scratch_load_b128 v[104:107], off, off offset:320
	s_wait_dscnt 0x0
	v_fmac_f64_e32 v[134:135], v[108:109], v[130:131]
	s_wait_loadcnt 0x4
	v_fmac_f64_e32 v[134:135], v[110:111], v[132:133]
	scratch_load_b128 v[108:111], off, off offset:336
	ds_load_2addr_b64 v[126:129], v2 offset0:83 offset1:84
	ds_load_2addr_b64 v[130:133], v2 offset0:85 offset1:86
	s_wait_dscnt 0x1
	v_fmac_f64_e32 v[134:135], v[112:113], v[126:127]
	s_wait_loadcnt 0x4
	s_delay_alu instid0(VALU_DEP_1) | instskip(SKIP_4) | instid1(VALU_DEP_1)
	v_fmac_f64_e32 v[134:135], v[114:115], v[128:129]
	scratch_load_b128 v[112:115], off, off offset:352
	s_wait_dscnt 0x0
	v_fmac_f64_e32 v[134:135], v[116:117], v[130:131]
	s_wait_loadcnt 0x4
	v_fmac_f64_e32 v[134:135], v[118:119], v[132:133]
	scratch_load_b128 v[116:119], off, off offset:368
	ds_load_2addr_b64 v[126:129], v2 offset0:87 offset1:88
	ds_load_2addr_b64 v[130:133], v2 offset0:89 offset1:90
	s_wait_dscnt 0x1
	v_fmac_f64_e32 v[134:135], v[120:121], v[126:127]
	s_wait_loadcnt 0x4
	s_delay_alu instid0(VALU_DEP_1)
	v_fmac_f64_e32 v[134:135], v[122:123], v[128:129]
	scratch_load_b64 v[128:129], off, off offset:384
	s_wait_dscnt 0x0
	v_fmac_f64_e32 v[134:135], v[124:125], v[130:131]
	ds_load_2addr_b64 v[120:123], v2 offset0:91 offset1:92
	ds_load_2addr_b64 v[124:127], v2 offset0:93 offset1:94
	s_wait_loadcnt 0x4
	v_fmac_f64_e32 v[134:135], v[104:105], v[132:133]
	s_wait_dscnt 0x1
	s_delay_alu instid0(VALU_DEP_1) | instskip(SKIP_1) | instid1(VALU_DEP_1)
	v_fmac_f64_e32 v[134:135], v[106:107], v[120:121]
	s_wait_loadcnt 0x3
	v_fmac_f64_e32 v[134:135], v[108:109], v[122:123]
	s_wait_dscnt 0x0
	s_delay_alu instid0(VALU_DEP_1)
	v_fmac_f64_e32 v[134:135], v[110:111], v[124:125]
	ds_load_2addr_b64 v[104:107], v2 offset0:95 offset1:96
	ds_load_2addr_b64 v[108:111], v2 offset0:97 offset1:98
	s_wait_loadcnt 0x2
	v_fmac_f64_e32 v[134:135], v[112:113], v[126:127]
	s_wait_dscnt 0x1
	s_delay_alu instid0(VALU_DEP_1) | instskip(SKIP_1) | instid1(VALU_DEP_1)
	v_fmac_f64_e32 v[134:135], v[114:115], v[104:105]
	s_wait_loadcnt 0x1
	v_fmac_f64_e32 v[134:135], v[116:117], v[106:107]
	s_wait_dscnt 0x0
	s_delay_alu instid0(VALU_DEP_1) | instskip(SKIP_1) | instid1(VALU_DEP_1)
	v_fmac_f64_e32 v[134:135], v[118:119], v[108:109]
	s_wait_loadcnt 0x0
	v_fmac_f64_e32 v[134:135], v[128:129], v[110:111]
	s_delay_alu instid0(VALU_DEP_1)
	v_add_f64_e64 v[2:3], v[102:103], -v[134:135]
	scratch_store_b64 off, v[2:3], off offset:224
	s_wait_xcnt 0x0
	v_cmpx_lt_u32_e32 27, v0
	s_cbranch_execz .LBB112_249
; %bb.248:
	scratch_load_b64 v[2:3], off, off offset:216
	v_mov_b64_e32 v[102:103], 0
	scratch_store_b64 off, v[102:103], off offset:216
	s_wait_loadcnt 0x0
	ds_store_b64 v1, v[2:3]
.LBB112_249:
	s_wait_xcnt 0x0
	s_or_b32 exec_lo, exec_lo, s0
	s_wait_storecnt_dscnt 0x0
	s_barrier_signal -1
	s_barrier_wait -1
	s_clause 0x5
	scratch_load_b128 v[102:105], off, off offset:216
	scratch_load_b128 v[106:109], off, off offset:232
	;; [unrolled: 1-line block ×6, first 2 shown]
	v_mov_b32_e32 v2, 0
	ds_load_b128 v[126:129], v2 offset:624
	ds_load_b128 v[130:133], v2 offset:640
	s_mov_b32 s0, exec_lo
	s_wait_loadcnt_dscnt 0x501
	v_fma_f64 v[134:135], v[104:105], v[126:127], 0
	s_wait_loadcnt 0x4
	s_delay_alu instid0(VALU_DEP_1) | instskip(SKIP_4) | instid1(VALU_DEP_1)
	v_fmac_f64_e32 v[134:135], v[106:107], v[128:129]
	scratch_load_b128 v[104:107], off, off offset:312
	s_wait_dscnt 0x0
	v_fmac_f64_e32 v[134:135], v[108:109], v[130:131]
	s_wait_loadcnt 0x4
	v_fmac_f64_e32 v[134:135], v[110:111], v[132:133]
	scratch_load_b128 v[108:111], off, off offset:328
	ds_load_b128 v[126:129], v2 offset:656
	ds_load_b128 v[130:133], v2 offset:672
	s_wait_dscnt 0x1
	v_fmac_f64_e32 v[134:135], v[112:113], v[126:127]
	s_wait_loadcnt 0x4
	s_delay_alu instid0(VALU_DEP_1) | instskip(SKIP_4) | instid1(VALU_DEP_1)
	v_fmac_f64_e32 v[134:135], v[114:115], v[128:129]
	scratch_load_b128 v[112:115], off, off offset:344
	s_wait_dscnt 0x0
	v_fmac_f64_e32 v[134:135], v[116:117], v[130:131]
	s_wait_loadcnt 0x4
	v_fmac_f64_e32 v[134:135], v[118:119], v[132:133]
	scratch_load_b128 v[116:119], off, off offset:360
	ds_load_b128 v[126:129], v2 offset:688
	ds_load_b128 v[130:133], v2 offset:704
	s_wait_dscnt 0x1
	v_fmac_f64_e32 v[134:135], v[120:121], v[126:127]
	s_wait_loadcnt 0x4
	s_delay_alu instid0(VALU_DEP_1)
	v_fmac_f64_e32 v[134:135], v[122:123], v[128:129]
	scratch_load_b128 v[120:123], off, off offset:376
	s_wait_dscnt 0x0
	v_fmac_f64_e32 v[134:135], v[124:125], v[130:131]
	ds_load_b128 v[124:127], v2 offset:720
	ds_load_b128 v[128:131], v2 offset:736
	s_wait_loadcnt 0x4
	v_fmac_f64_e32 v[134:135], v[104:105], v[132:133]
	s_wait_dscnt 0x1
	s_delay_alu instid0(VALU_DEP_1) | instskip(SKIP_1) | instid1(VALU_DEP_1)
	v_fmac_f64_e32 v[134:135], v[106:107], v[124:125]
	s_wait_loadcnt 0x3
	v_fmac_f64_e32 v[134:135], v[108:109], v[126:127]
	s_wait_dscnt 0x0
	s_delay_alu instid0(VALU_DEP_1)
	v_fmac_f64_e32 v[134:135], v[110:111], v[128:129]
	ds_load_b128 v[104:107], v2 offset:752
	ds_load_b128 v[108:111], v2 offset:768
	s_wait_loadcnt 0x2
	v_fmac_f64_e32 v[134:135], v[112:113], v[130:131]
	s_wait_dscnt 0x1
	s_delay_alu instid0(VALU_DEP_1) | instskip(SKIP_4) | instid1(VALU_DEP_1)
	v_fmac_f64_e32 v[134:135], v[114:115], v[104:105]
	ds_load_b64 v[104:105], v2 offset:784
	s_wait_loadcnt 0x1
	v_fmac_f64_e32 v[134:135], v[116:117], v[106:107]
	s_wait_dscnt 0x1
	v_fmac_f64_e32 v[134:135], v[118:119], v[108:109]
	s_wait_loadcnt 0x0
	s_delay_alu instid0(VALU_DEP_1) | instskip(SKIP_1) | instid1(VALU_DEP_1)
	v_fmac_f64_e32 v[134:135], v[120:121], v[110:111]
	s_wait_dscnt 0x0
	v_fmac_f64_e32 v[134:135], v[122:123], v[104:105]
	s_delay_alu instid0(VALU_DEP_1)
	v_add_f64_e64 v[102:103], v[102:103], -v[134:135]
	scratch_store_b64 off, v[102:103], off offset:216
	s_wait_xcnt 0x0
	v_cmpx_lt_u32_e32 26, v0
	s_cbranch_execz .LBB112_251
; %bb.250:
	scratch_load_b64 v[102:103], off, off offset:208
	v_mov_b64_e32 v[104:105], 0
	scratch_store_b64 off, v[104:105], off offset:208
	s_wait_loadcnt 0x0
	ds_store_b64 v1, v[102:103]
.LBB112_251:
	s_wait_xcnt 0x0
	s_or_b32 exec_lo, exec_lo, s0
	s_wait_storecnt_dscnt 0x0
	s_barrier_signal -1
	s_barrier_wait -1
	s_clause 0x5
	scratch_load_b128 v[102:105], off, off offset:208
	scratch_load_b128 v[106:109], off, off offset:224
	;; [unrolled: 1-line block ×6, first 2 shown]
	ds_load_2addr_b64 v[126:129], v2 offset0:77 offset1:78
	ds_load_2addr_b64 v[130:133], v2 offset0:79 offset1:80
	scratch_load_b128 v[134:137], off, off offset:304
	s_mov_b32 s0, exec_lo
	s_wait_loadcnt_dscnt 0x601
	v_fma_f64 v[138:139], v[104:105], v[126:127], 0
	s_wait_loadcnt 0x5
	s_delay_alu instid0(VALU_DEP_1) | instskip(SKIP_4) | instid1(VALU_DEP_1)
	v_fmac_f64_e32 v[138:139], v[106:107], v[128:129]
	scratch_load_b128 v[104:107], off, off offset:320
	s_wait_dscnt 0x0
	v_fmac_f64_e32 v[138:139], v[108:109], v[130:131]
	s_wait_loadcnt 0x5
	v_fmac_f64_e32 v[138:139], v[110:111], v[132:133]
	ds_load_2addr_b64 v[108:111], v2 offset0:81 offset1:82
	ds_load_2addr_b64 v[126:129], v2 offset0:83 offset1:84
	s_wait_dscnt 0x1
	v_fmac_f64_e32 v[138:139], v[112:113], v[108:109]
	s_wait_loadcnt 0x4
	s_delay_alu instid0(VALU_DEP_1)
	v_fmac_f64_e32 v[138:139], v[114:115], v[110:111]
	s_clause 0x1
	scratch_load_b128 v[108:111], off, off offset:336
	scratch_load_b128 v[112:115], off, off offset:352
	s_wait_dscnt 0x0
	v_fmac_f64_e32 v[138:139], v[116:117], v[126:127]
	s_wait_loadcnt 0x5
	s_delay_alu instid0(VALU_DEP_1)
	v_fmac_f64_e32 v[138:139], v[118:119], v[128:129]
	ds_load_2addr_b64 v[116:119], v2 offset0:85 offset1:86
	ds_load_2addr_b64 v[126:129], v2 offset0:87 offset1:88
	s_wait_dscnt 0x1
	v_fmac_f64_e32 v[138:139], v[120:121], v[116:117]
	s_wait_loadcnt 0x4
	s_delay_alu instid0(VALU_DEP_1) | instskip(SKIP_4) | instid1(VALU_DEP_1)
	v_fmac_f64_e32 v[138:139], v[122:123], v[118:119]
	scratch_load_b128 v[116:119], off, off offset:368
	s_wait_dscnt 0x0
	v_fmac_f64_e32 v[138:139], v[124:125], v[126:127]
	s_wait_loadcnt 0x4
	v_fmac_f64_e32 v[138:139], v[134:135], v[128:129]
	scratch_load_b64 v[128:129], off, off offset:384
	ds_load_2addr_b64 v[120:123], v2 offset0:89 offset1:90
	ds_load_2addr_b64 v[124:127], v2 offset0:91 offset1:92
	s_wait_dscnt 0x1
	v_fmac_f64_e32 v[138:139], v[136:137], v[120:121]
	s_wait_loadcnt 0x4
	s_delay_alu instid0(VALU_DEP_1) | instskip(SKIP_1) | instid1(VALU_DEP_1)
	v_fmac_f64_e32 v[138:139], v[104:105], v[122:123]
	s_wait_dscnt 0x0
	v_fmac_f64_e32 v[138:139], v[106:107], v[124:125]
	ds_load_2addr_b64 v[104:107], v2 offset0:93 offset1:94
	ds_load_2addr_b64 v[120:123], v2 offset0:95 offset1:96
	s_wait_loadcnt 0x3
	v_fmac_f64_e32 v[138:139], v[108:109], v[126:127]
	s_wait_dscnt 0x1
	s_delay_alu instid0(VALU_DEP_1) | instskip(SKIP_1) | instid1(VALU_DEP_1)
	v_fmac_f64_e32 v[138:139], v[110:111], v[104:105]
	s_wait_loadcnt 0x2
	v_fmac_f64_e32 v[138:139], v[112:113], v[106:107]
	ds_load_2addr_b64 v[104:107], v2 offset0:97 offset1:98
	s_wait_dscnt 0x1
	v_fmac_f64_e32 v[138:139], v[114:115], v[120:121]
	s_wait_loadcnt 0x1
	s_delay_alu instid0(VALU_DEP_1) | instskip(SKIP_1) | instid1(VALU_DEP_1)
	v_fmac_f64_e32 v[138:139], v[116:117], v[122:123]
	s_wait_dscnt 0x0
	v_fmac_f64_e32 v[138:139], v[118:119], v[104:105]
	s_wait_loadcnt 0x0
	s_delay_alu instid0(VALU_DEP_1) | instskip(NEXT) | instid1(VALU_DEP_1)
	v_fmac_f64_e32 v[138:139], v[128:129], v[106:107]
	v_add_f64_e64 v[2:3], v[102:103], -v[138:139]
	scratch_store_b64 off, v[2:3], off offset:208
	s_wait_xcnt 0x0
	v_cmpx_lt_u32_e32 25, v0
	s_cbranch_execz .LBB112_253
; %bb.252:
	scratch_load_b64 v[2:3], off, off offset:200
	v_mov_b64_e32 v[102:103], 0
	scratch_store_b64 off, v[102:103], off offset:200
	s_wait_loadcnt 0x0
	ds_store_b64 v1, v[2:3]
.LBB112_253:
	s_wait_xcnt 0x0
	s_or_b32 exec_lo, exec_lo, s0
	s_wait_storecnt_dscnt 0x0
	s_barrier_signal -1
	s_barrier_wait -1
	s_clause 0x5
	scratch_load_b128 v[102:105], off, off offset:200
	scratch_load_b128 v[106:109], off, off offset:216
	;; [unrolled: 1-line block ×6, first 2 shown]
	v_mov_b32_e32 v2, 0
	ds_load_b128 v[126:129], v2 offset:608
	ds_load_b128 v[130:133], v2 offset:624
	scratch_load_b128 v[134:137], off, off offset:296
	s_mov_b32 s0, exec_lo
	s_wait_loadcnt_dscnt 0x601
	v_fma_f64 v[138:139], v[104:105], v[126:127], 0
	s_wait_loadcnt 0x5
	s_delay_alu instid0(VALU_DEP_1) | instskip(SKIP_4) | instid1(VALU_DEP_1)
	v_fmac_f64_e32 v[138:139], v[106:107], v[128:129]
	scratch_load_b128 v[104:107], off, off offset:312
	s_wait_dscnt 0x0
	v_fmac_f64_e32 v[138:139], v[108:109], v[130:131]
	s_wait_loadcnt 0x5
	v_fmac_f64_e32 v[138:139], v[110:111], v[132:133]
	ds_load_b128 v[108:111], v2 offset:640
	ds_load_b128 v[126:129], v2 offset:656
	s_wait_dscnt 0x1
	v_fmac_f64_e32 v[138:139], v[112:113], v[108:109]
	s_wait_loadcnt 0x4
	s_delay_alu instid0(VALU_DEP_1)
	v_fmac_f64_e32 v[138:139], v[114:115], v[110:111]
	s_clause 0x1
	scratch_load_b128 v[108:111], off, off offset:328
	scratch_load_b128 v[112:115], off, off offset:344
	s_wait_dscnt 0x0
	v_fmac_f64_e32 v[138:139], v[116:117], v[126:127]
	s_wait_loadcnt 0x5
	s_delay_alu instid0(VALU_DEP_1)
	v_fmac_f64_e32 v[138:139], v[118:119], v[128:129]
	ds_load_b128 v[116:119], v2 offset:672
	ds_load_b128 v[126:129], v2 offset:688
	s_wait_dscnt 0x1
	v_fmac_f64_e32 v[138:139], v[120:121], v[116:117]
	s_wait_loadcnt 0x4
	s_delay_alu instid0(VALU_DEP_1)
	v_fmac_f64_e32 v[138:139], v[122:123], v[118:119]
	s_clause 0x1
	scratch_load_b128 v[116:119], off, off offset:360
	scratch_load_b128 v[120:123], off, off offset:376
	s_wait_dscnt 0x0
	v_fmac_f64_e32 v[138:139], v[124:125], v[126:127]
	s_wait_loadcnt 0x5
	s_delay_alu instid0(VALU_DEP_1)
	v_fmac_f64_e32 v[138:139], v[134:135], v[128:129]
	ds_load_b128 v[124:127], v2 offset:704
	ds_load_b128 v[128:131], v2 offset:720
	s_wait_dscnt 0x1
	v_fmac_f64_e32 v[138:139], v[136:137], v[124:125]
	s_wait_loadcnt 0x4
	s_delay_alu instid0(VALU_DEP_1) | instskip(SKIP_1) | instid1(VALU_DEP_1)
	v_fmac_f64_e32 v[138:139], v[104:105], v[126:127]
	s_wait_dscnt 0x0
	v_fmac_f64_e32 v[138:139], v[106:107], v[128:129]
	ds_load_b128 v[104:107], v2 offset:736
	ds_load_b128 v[124:127], v2 offset:752
	s_wait_loadcnt 0x3
	v_fmac_f64_e32 v[138:139], v[108:109], v[130:131]
	s_wait_dscnt 0x1
	s_delay_alu instid0(VALU_DEP_1) | instskip(SKIP_1) | instid1(VALU_DEP_1)
	v_fmac_f64_e32 v[138:139], v[110:111], v[104:105]
	s_wait_loadcnt 0x2
	v_fmac_f64_e32 v[138:139], v[112:113], v[106:107]
	ds_load_b128 v[104:107], v2 offset:768
	ds_load_b64 v[108:109], v2 offset:784
	s_wait_dscnt 0x2
	v_fmac_f64_e32 v[138:139], v[114:115], v[124:125]
	s_wait_loadcnt 0x1
	s_delay_alu instid0(VALU_DEP_1) | instskip(SKIP_1) | instid1(VALU_DEP_1)
	v_fmac_f64_e32 v[138:139], v[116:117], v[126:127]
	s_wait_dscnt 0x1
	v_fmac_f64_e32 v[138:139], v[118:119], v[104:105]
	s_wait_loadcnt 0x0
	s_delay_alu instid0(VALU_DEP_1) | instskip(SKIP_1) | instid1(VALU_DEP_1)
	v_fmac_f64_e32 v[138:139], v[120:121], v[106:107]
	s_wait_dscnt 0x0
	v_fmac_f64_e32 v[138:139], v[122:123], v[108:109]
	s_delay_alu instid0(VALU_DEP_1)
	v_add_f64_e64 v[102:103], v[102:103], -v[138:139]
	scratch_store_b64 off, v[102:103], off offset:200
	s_wait_xcnt 0x0
	v_cmpx_lt_u32_e32 24, v0
	s_cbranch_execz .LBB112_255
; %bb.254:
	scratch_load_b64 v[102:103], off, off offset:192
	v_mov_b64_e32 v[104:105], 0
	scratch_store_b64 off, v[104:105], off offset:192
	s_wait_loadcnt 0x0
	ds_store_b64 v1, v[102:103]
.LBB112_255:
	s_wait_xcnt 0x0
	s_or_b32 exec_lo, exec_lo, s0
	s_wait_storecnt_dscnt 0x0
	s_barrier_signal -1
	s_barrier_wait -1
	s_clause 0x5
	scratch_load_b128 v[102:105], off, off offset:192
	scratch_load_b128 v[106:109], off, off offset:208
	;; [unrolled: 1-line block ×6, first 2 shown]
	ds_load_2addr_b64 v[126:129], v2 offset0:75 offset1:76
	ds_load_2addr_b64 v[130:133], v2 offset0:77 offset1:78
	scratch_load_b128 v[134:137], off, off offset:288
	s_mov_b32 s0, exec_lo
	s_wait_loadcnt_dscnt 0x601
	v_fma_f64 v[138:139], v[104:105], v[126:127], 0
	s_wait_loadcnt 0x5
	s_delay_alu instid0(VALU_DEP_1) | instskip(SKIP_4) | instid1(VALU_DEP_1)
	v_fmac_f64_e32 v[138:139], v[106:107], v[128:129]
	scratch_load_b128 v[104:107], off, off offset:304
	s_wait_dscnt 0x0
	v_fmac_f64_e32 v[138:139], v[108:109], v[130:131]
	s_wait_loadcnt 0x5
	v_fmac_f64_e32 v[138:139], v[110:111], v[132:133]
	ds_load_2addr_b64 v[108:111], v2 offset0:79 offset1:80
	ds_load_2addr_b64 v[126:129], v2 offset0:81 offset1:82
	s_wait_dscnt 0x1
	v_fmac_f64_e32 v[138:139], v[112:113], v[108:109]
	s_wait_loadcnt 0x4
	s_delay_alu instid0(VALU_DEP_1)
	v_fmac_f64_e32 v[138:139], v[114:115], v[110:111]
	s_clause 0x1
	scratch_load_b128 v[108:111], off, off offset:320
	scratch_load_b128 v[112:115], off, off offset:336
	s_wait_dscnt 0x0
	v_fmac_f64_e32 v[138:139], v[116:117], v[126:127]
	s_wait_loadcnt 0x5
	s_delay_alu instid0(VALU_DEP_1)
	v_fmac_f64_e32 v[138:139], v[118:119], v[128:129]
	ds_load_2addr_b64 v[116:119], v2 offset0:83 offset1:84
	ds_load_2addr_b64 v[126:129], v2 offset0:85 offset1:86
	s_wait_dscnt 0x1
	v_fmac_f64_e32 v[138:139], v[120:121], v[116:117]
	s_wait_loadcnt 0x4
	s_delay_alu instid0(VALU_DEP_1)
	v_fmac_f64_e32 v[138:139], v[122:123], v[118:119]
	s_clause 0x1
	scratch_load_b128 v[116:119], off, off offset:352
	scratch_load_b128 v[120:123], off, off offset:368
	s_wait_dscnt 0x0
	v_fmac_f64_e32 v[138:139], v[124:125], v[126:127]
	s_wait_loadcnt 0x5
	s_delay_alu instid0(VALU_DEP_1)
	v_fmac_f64_e32 v[138:139], v[134:135], v[128:129]
	ds_load_2addr_b64 v[124:127], v2 offset0:87 offset1:88
	ds_load_2addr_b64 v[128:131], v2 offset0:89 offset1:90
	scratch_load_b64 v[132:133], off, off offset:384
	s_wait_dscnt 0x1
	v_fmac_f64_e32 v[138:139], v[136:137], v[124:125]
	s_wait_loadcnt 0x5
	s_delay_alu instid0(VALU_DEP_1) | instskip(SKIP_1) | instid1(VALU_DEP_1)
	v_fmac_f64_e32 v[138:139], v[104:105], v[126:127]
	s_wait_dscnt 0x0
	v_fmac_f64_e32 v[138:139], v[106:107], v[128:129]
	ds_load_2addr_b64 v[104:107], v2 offset0:91 offset1:92
	ds_load_2addr_b64 v[124:127], v2 offset0:93 offset1:94
	s_wait_loadcnt 0x4
	v_fmac_f64_e32 v[138:139], v[108:109], v[130:131]
	s_wait_dscnt 0x1
	s_delay_alu instid0(VALU_DEP_1) | instskip(SKIP_1) | instid1(VALU_DEP_1)
	v_fmac_f64_e32 v[138:139], v[110:111], v[104:105]
	s_wait_loadcnt 0x3
	v_fmac_f64_e32 v[138:139], v[112:113], v[106:107]
	ds_load_2addr_b64 v[104:107], v2 offset0:95 offset1:96
	ds_load_2addr_b64 v[108:111], v2 offset0:97 offset1:98
	s_wait_dscnt 0x2
	v_fmac_f64_e32 v[138:139], v[114:115], v[124:125]
	s_wait_loadcnt 0x2
	s_delay_alu instid0(VALU_DEP_1) | instskip(SKIP_1) | instid1(VALU_DEP_1)
	v_fmac_f64_e32 v[138:139], v[116:117], v[126:127]
	s_wait_dscnt 0x1
	v_fmac_f64_e32 v[138:139], v[118:119], v[104:105]
	s_wait_loadcnt 0x1
	s_delay_alu instid0(VALU_DEP_1) | instskip(SKIP_1) | instid1(VALU_DEP_1)
	v_fmac_f64_e32 v[138:139], v[120:121], v[106:107]
	s_wait_dscnt 0x0
	v_fmac_f64_e32 v[138:139], v[122:123], v[108:109]
	s_wait_loadcnt 0x0
	s_delay_alu instid0(VALU_DEP_1) | instskip(NEXT) | instid1(VALU_DEP_1)
	v_fmac_f64_e32 v[138:139], v[132:133], v[110:111]
	v_add_f64_e64 v[2:3], v[102:103], -v[138:139]
	scratch_store_b64 off, v[2:3], off offset:192
	s_wait_xcnt 0x0
	v_cmpx_lt_u32_e32 23, v0
	s_cbranch_execz .LBB112_257
; %bb.256:
	scratch_load_b64 v[2:3], off, off offset:184
	v_mov_b64_e32 v[102:103], 0
	scratch_store_b64 off, v[102:103], off offset:184
	s_wait_loadcnt 0x0
	ds_store_b64 v1, v[2:3]
.LBB112_257:
	s_wait_xcnt 0x0
	s_or_b32 exec_lo, exec_lo, s0
	s_wait_storecnt_dscnt 0x0
	s_barrier_signal -1
	s_barrier_wait -1
	s_clause 0x5
	scratch_load_b128 v[102:105], off, off offset:184
	scratch_load_b128 v[106:109], off, off offset:200
	;; [unrolled: 1-line block ×6, first 2 shown]
	v_mov_b32_e32 v2, 0
	ds_load_b128 v[126:129], v2 offset:592
	ds_load_b128 v[130:133], v2 offset:608
	scratch_load_b128 v[134:137], off, off offset:280
	s_mov_b32 s0, exec_lo
	s_wait_loadcnt_dscnt 0x601
	v_fma_f64 v[138:139], v[104:105], v[126:127], 0
	s_wait_loadcnt 0x5
	s_delay_alu instid0(VALU_DEP_1) | instskip(SKIP_4) | instid1(VALU_DEP_1)
	v_fmac_f64_e32 v[138:139], v[106:107], v[128:129]
	scratch_load_b128 v[104:107], off, off offset:296
	s_wait_dscnt 0x0
	v_fmac_f64_e32 v[138:139], v[108:109], v[130:131]
	s_wait_loadcnt 0x5
	v_fmac_f64_e32 v[138:139], v[110:111], v[132:133]
	ds_load_b128 v[108:111], v2 offset:624
	ds_load_b128 v[126:129], v2 offset:640
	s_wait_dscnt 0x1
	v_fmac_f64_e32 v[138:139], v[112:113], v[108:109]
	s_wait_loadcnt 0x4
	s_delay_alu instid0(VALU_DEP_1)
	v_fmac_f64_e32 v[138:139], v[114:115], v[110:111]
	s_clause 0x1
	scratch_load_b128 v[108:111], off, off offset:312
	scratch_load_b128 v[112:115], off, off offset:328
	s_wait_dscnt 0x0
	v_fmac_f64_e32 v[138:139], v[116:117], v[126:127]
	s_wait_loadcnt 0x5
	s_delay_alu instid0(VALU_DEP_1)
	v_fmac_f64_e32 v[138:139], v[118:119], v[128:129]
	ds_load_b128 v[116:119], v2 offset:656
	ds_load_b128 v[126:129], v2 offset:672
	s_wait_dscnt 0x1
	v_fmac_f64_e32 v[138:139], v[120:121], v[116:117]
	s_wait_loadcnt 0x4
	s_delay_alu instid0(VALU_DEP_1)
	v_fmac_f64_e32 v[138:139], v[122:123], v[118:119]
	s_clause 0x1
	scratch_load_b128 v[116:119], off, off offset:344
	scratch_load_b128 v[120:123], off, off offset:360
	s_wait_dscnt 0x0
	v_fmac_f64_e32 v[138:139], v[124:125], v[126:127]
	s_wait_loadcnt 0x5
	s_delay_alu instid0(VALU_DEP_1)
	v_fmac_f64_e32 v[138:139], v[134:135], v[128:129]
	ds_load_b128 v[124:127], v2 offset:688
	ds_load_b128 v[128:131], v2 offset:704
	s_wait_dscnt 0x1
	v_fmac_f64_e32 v[138:139], v[136:137], v[124:125]
	s_wait_loadcnt 0x4
	s_delay_alu instid0(VALU_DEP_1) | instskip(SKIP_4) | instid1(VALU_DEP_1)
	v_fmac_f64_e32 v[138:139], v[104:105], v[126:127]
	scratch_load_b128 v[124:127], off, off offset:376
	s_wait_dscnt 0x0
	v_fmac_f64_e32 v[138:139], v[106:107], v[128:129]
	s_wait_loadcnt 0x4
	v_fmac_f64_e32 v[138:139], v[108:109], v[130:131]
	ds_load_b128 v[104:107], v2 offset:720
	ds_load_b128 v[128:131], v2 offset:736
	s_wait_dscnt 0x1
	v_fmac_f64_e32 v[138:139], v[110:111], v[104:105]
	s_wait_loadcnt 0x3
	s_delay_alu instid0(VALU_DEP_1)
	v_fmac_f64_e32 v[138:139], v[112:113], v[106:107]
	ds_load_b128 v[104:107], v2 offset:752
	ds_load_b128 v[108:111], v2 offset:768
	s_wait_dscnt 0x2
	v_fmac_f64_e32 v[138:139], v[114:115], v[128:129]
	s_wait_loadcnt 0x2
	s_delay_alu instid0(VALU_DEP_1) | instskip(SKIP_1) | instid1(VALU_DEP_1)
	v_fmac_f64_e32 v[138:139], v[116:117], v[130:131]
	s_wait_dscnt 0x1
	v_fmac_f64_e32 v[138:139], v[118:119], v[104:105]
	ds_load_b64 v[104:105], v2 offset:784
	s_wait_loadcnt 0x1
	v_fmac_f64_e32 v[138:139], v[120:121], v[106:107]
	s_wait_dscnt 0x1
	s_delay_alu instid0(VALU_DEP_1) | instskip(SKIP_1) | instid1(VALU_DEP_1)
	v_fmac_f64_e32 v[138:139], v[122:123], v[108:109]
	s_wait_loadcnt 0x0
	v_fmac_f64_e32 v[138:139], v[124:125], v[110:111]
	s_wait_dscnt 0x0
	s_delay_alu instid0(VALU_DEP_1) | instskip(NEXT) | instid1(VALU_DEP_1)
	v_fmac_f64_e32 v[138:139], v[126:127], v[104:105]
	v_add_f64_e64 v[102:103], v[102:103], -v[138:139]
	scratch_store_b64 off, v[102:103], off offset:184
	s_wait_xcnt 0x0
	v_cmpx_lt_u32_e32 22, v0
	s_cbranch_execz .LBB112_259
; %bb.258:
	scratch_load_b64 v[102:103], off, off offset:176
	v_mov_b64_e32 v[104:105], 0
	scratch_store_b64 off, v[104:105], off offset:176
	s_wait_loadcnt 0x0
	ds_store_b64 v1, v[102:103]
.LBB112_259:
	s_wait_xcnt 0x0
	s_or_b32 exec_lo, exec_lo, s0
	s_wait_storecnt_dscnt 0x0
	s_barrier_signal -1
	s_barrier_wait -1
	s_clause 0x5
	scratch_load_b128 v[102:105], off, off offset:176
	scratch_load_b128 v[106:109], off, off offset:192
	;; [unrolled: 1-line block ×6, first 2 shown]
	ds_load_2addr_b64 v[126:129], v2 offset0:73 offset1:74
	ds_load_2addr_b64 v[130:133], v2 offset0:75 offset1:76
	scratch_load_b128 v[134:137], off, off offset:272
	s_mov_b32 s0, exec_lo
	s_wait_loadcnt_dscnt 0x601
	v_fma_f64 v[138:139], v[104:105], v[126:127], 0
	s_wait_loadcnt 0x5
	s_delay_alu instid0(VALU_DEP_1) | instskip(SKIP_4) | instid1(VALU_DEP_1)
	v_fmac_f64_e32 v[138:139], v[106:107], v[128:129]
	scratch_load_b128 v[104:107], off, off offset:288
	s_wait_dscnt 0x0
	v_fmac_f64_e32 v[138:139], v[108:109], v[130:131]
	s_wait_loadcnt 0x5
	v_fmac_f64_e32 v[138:139], v[110:111], v[132:133]
	ds_load_2addr_b64 v[108:111], v2 offset0:77 offset1:78
	ds_load_2addr_b64 v[126:129], v2 offset0:79 offset1:80
	scratch_load_b128 v[130:133], off, off offset:304
	s_wait_dscnt 0x1
	v_fmac_f64_e32 v[138:139], v[112:113], v[108:109]
	s_wait_loadcnt 0x5
	s_delay_alu instid0(VALU_DEP_1) | instskip(SKIP_4) | instid1(VALU_DEP_1)
	v_fmac_f64_e32 v[138:139], v[114:115], v[110:111]
	scratch_load_b128 v[108:111], off, off offset:320
	s_wait_dscnt 0x0
	v_fmac_f64_e32 v[138:139], v[116:117], v[126:127]
	s_wait_loadcnt 0x5
	v_fmac_f64_e32 v[138:139], v[118:119], v[128:129]
	ds_load_2addr_b64 v[112:115], v2 offset0:81 offset1:82
	ds_load_2addr_b64 v[116:119], v2 offset0:83 offset1:84
	s_wait_dscnt 0x1
	v_fmac_f64_e32 v[138:139], v[120:121], v[112:113]
	s_wait_loadcnt 0x4
	s_delay_alu instid0(VALU_DEP_1) | instskip(SKIP_4) | instid1(VALU_DEP_1)
	v_fmac_f64_e32 v[138:139], v[122:123], v[114:115]
	scratch_load_b128 v[112:115], off, off offset:336
	s_wait_dscnt 0x0
	v_fmac_f64_e32 v[138:139], v[124:125], v[116:117]
	s_wait_loadcnt 0x4
	v_fmac_f64_e32 v[138:139], v[134:135], v[118:119]
	scratch_load_b128 v[116:119], off, off offset:352
	ds_load_2addr_b64 v[120:123], v2 offset0:85 offset1:86
	ds_load_2addr_b64 v[124:127], v2 offset0:87 offset1:88
	scratch_load_b64 v[128:129], off, off offset:384
	s_wait_dscnt 0x1
	v_fmac_f64_e32 v[138:139], v[136:137], v[120:121]
	s_wait_loadcnt 0x5
	s_delay_alu instid0(VALU_DEP_1) | instskip(SKIP_4) | instid1(VALU_DEP_1)
	v_fmac_f64_e32 v[138:139], v[104:105], v[122:123]
	scratch_load_b128 v[120:123], off, off offset:368
	s_wait_dscnt 0x0
	v_fmac_f64_e32 v[138:139], v[106:107], v[124:125]
	s_wait_loadcnt 0x5
	v_fmac_f64_e32 v[138:139], v[130:131], v[126:127]
	ds_load_2addr_b64 v[104:107], v2 offset0:89 offset1:90
	ds_load_2addr_b64 v[124:127], v2 offset0:91 offset1:92
	s_wait_dscnt 0x1
	v_fmac_f64_e32 v[138:139], v[132:133], v[104:105]
	s_wait_loadcnt 0x4
	s_delay_alu instid0(VALU_DEP_1) | instskip(SKIP_1) | instid1(VALU_DEP_1)
	v_fmac_f64_e32 v[138:139], v[108:109], v[106:107]
	s_wait_dscnt 0x0
	v_fmac_f64_e32 v[138:139], v[110:111], v[124:125]
	ds_load_2addr_b64 v[104:107], v2 offset0:93 offset1:94
	ds_load_2addr_b64 v[108:111], v2 offset0:95 offset1:96
	s_wait_loadcnt 0x3
	v_fmac_f64_e32 v[138:139], v[112:113], v[126:127]
	s_wait_dscnt 0x1
	s_delay_alu instid0(VALU_DEP_1) | instskip(SKIP_1) | instid1(VALU_DEP_1)
	v_fmac_f64_e32 v[138:139], v[114:115], v[104:105]
	s_wait_loadcnt 0x2
	v_fmac_f64_e32 v[138:139], v[116:117], v[106:107]
	ds_load_2addr_b64 v[104:107], v2 offset0:97 offset1:98
	s_wait_dscnt 0x1
	v_fmac_f64_e32 v[138:139], v[118:119], v[108:109]
	s_wait_loadcnt 0x0
	s_delay_alu instid0(VALU_DEP_1) | instskip(SKIP_1) | instid1(VALU_DEP_1)
	v_fmac_f64_e32 v[138:139], v[120:121], v[110:111]
	s_wait_dscnt 0x0
	v_fmac_f64_e32 v[138:139], v[122:123], v[104:105]
	s_delay_alu instid0(VALU_DEP_1) | instskip(NEXT) | instid1(VALU_DEP_1)
	v_fmac_f64_e32 v[138:139], v[128:129], v[106:107]
	v_add_f64_e64 v[2:3], v[102:103], -v[138:139]
	scratch_store_b64 off, v[2:3], off offset:176
	s_wait_xcnt 0x0
	v_cmpx_lt_u32_e32 21, v0
	s_cbranch_execz .LBB112_261
; %bb.260:
	scratch_load_b64 v[2:3], off, off offset:168
	v_mov_b64_e32 v[102:103], 0
	scratch_store_b64 off, v[102:103], off offset:168
	s_wait_loadcnt 0x0
	ds_store_b64 v1, v[2:3]
.LBB112_261:
	s_wait_xcnt 0x0
	s_or_b32 exec_lo, exec_lo, s0
	s_wait_storecnt_dscnt 0x0
	s_barrier_signal -1
	s_barrier_wait -1
	s_clause 0x5
	scratch_load_b128 v[102:105], off, off offset:168
	scratch_load_b128 v[106:109], off, off offset:184
	;; [unrolled: 1-line block ×6, first 2 shown]
	v_mov_b32_e32 v2, 0
	ds_load_b128 v[126:129], v2 offset:576
	ds_load_b128 v[130:133], v2 offset:592
	scratch_load_b128 v[134:137], off, off offset:264
	s_mov_b32 s0, exec_lo
	s_wait_loadcnt_dscnt 0x601
	v_fma_f64 v[138:139], v[104:105], v[126:127], 0
	s_wait_loadcnt 0x5
	s_delay_alu instid0(VALU_DEP_1) | instskip(SKIP_4) | instid1(VALU_DEP_1)
	v_fmac_f64_e32 v[138:139], v[106:107], v[128:129]
	scratch_load_b128 v[104:107], off, off offset:280
	s_wait_dscnt 0x0
	v_fmac_f64_e32 v[138:139], v[108:109], v[130:131]
	s_wait_loadcnt 0x5
	v_fmac_f64_e32 v[138:139], v[110:111], v[132:133]
	ds_load_b128 v[108:111], v2 offset:608
	ds_load_b128 v[126:129], v2 offset:624
	scratch_load_b128 v[130:133], off, off offset:296
	s_wait_dscnt 0x1
	v_fmac_f64_e32 v[138:139], v[112:113], v[108:109]
	s_wait_loadcnt 0x5
	s_delay_alu instid0(VALU_DEP_1) | instskip(SKIP_4) | instid1(VALU_DEP_1)
	v_fmac_f64_e32 v[138:139], v[114:115], v[110:111]
	scratch_load_b128 v[108:111], off, off offset:312
	s_wait_dscnt 0x0
	v_fmac_f64_e32 v[138:139], v[116:117], v[126:127]
	s_wait_loadcnt 0x5
	v_fmac_f64_e32 v[138:139], v[118:119], v[128:129]
	ds_load_b128 v[112:115], v2 offset:640
	ds_load_b128 v[116:119], v2 offset:656
	s_wait_dscnt 0x1
	v_fmac_f64_e32 v[138:139], v[120:121], v[112:113]
	s_wait_loadcnt 0x4
	s_delay_alu instid0(VALU_DEP_1) | instskip(SKIP_4) | instid1(VALU_DEP_1)
	v_fmac_f64_e32 v[138:139], v[122:123], v[114:115]
	scratch_load_b128 v[112:115], off, off offset:328
	s_wait_dscnt 0x0
	v_fmac_f64_e32 v[138:139], v[124:125], v[116:117]
	s_wait_loadcnt 0x4
	v_fmac_f64_e32 v[138:139], v[134:135], v[118:119]
	scratch_load_b128 v[116:119], off, off offset:344
	ds_load_b128 v[120:123], v2 offset:672
	ds_load_b128 v[124:127], v2 offset:688
	s_wait_dscnt 0x1
	v_fmac_f64_e32 v[138:139], v[136:137], v[120:121]
	s_wait_loadcnt 0x4
	s_delay_alu instid0(VALU_DEP_1)
	v_fmac_f64_e32 v[138:139], v[104:105], v[122:123]
	scratch_load_b128 v[120:123], off, off offset:360
	s_wait_dscnt 0x0
	v_fmac_f64_e32 v[138:139], v[106:107], v[124:125]
	scratch_load_b128 v[104:107], off, off offset:376
	s_wait_loadcnt 0x5
	v_fmac_f64_e32 v[138:139], v[130:131], v[126:127]
	ds_load_b128 v[124:127], v2 offset:704
	ds_load_b128 v[128:131], v2 offset:720
	s_wait_dscnt 0x1
	v_fmac_f64_e32 v[138:139], v[132:133], v[124:125]
	s_wait_loadcnt 0x4
	s_delay_alu instid0(VALU_DEP_1) | instskip(SKIP_1) | instid1(VALU_DEP_1)
	v_fmac_f64_e32 v[138:139], v[108:109], v[126:127]
	s_wait_dscnt 0x0
	v_fmac_f64_e32 v[138:139], v[110:111], v[128:129]
	ds_load_b128 v[108:111], v2 offset:736
	ds_load_b128 v[124:127], v2 offset:752
	s_wait_loadcnt 0x3
	v_fmac_f64_e32 v[138:139], v[112:113], v[130:131]
	s_wait_dscnt 0x1
	s_delay_alu instid0(VALU_DEP_1) | instskip(SKIP_1) | instid1(VALU_DEP_1)
	v_fmac_f64_e32 v[138:139], v[114:115], v[108:109]
	s_wait_loadcnt 0x2
	v_fmac_f64_e32 v[138:139], v[116:117], v[110:111]
	ds_load_b128 v[108:111], v2 offset:768
	ds_load_b64 v[112:113], v2 offset:784
	s_wait_dscnt 0x2
	v_fmac_f64_e32 v[138:139], v[118:119], v[124:125]
	s_wait_loadcnt 0x1
	s_delay_alu instid0(VALU_DEP_1) | instskip(SKIP_1) | instid1(VALU_DEP_1)
	v_fmac_f64_e32 v[138:139], v[120:121], v[126:127]
	s_wait_dscnt 0x1
	v_fmac_f64_e32 v[138:139], v[122:123], v[108:109]
	s_wait_loadcnt 0x0
	s_delay_alu instid0(VALU_DEP_1) | instskip(SKIP_1) | instid1(VALU_DEP_1)
	v_fmac_f64_e32 v[138:139], v[104:105], v[110:111]
	s_wait_dscnt 0x0
	v_fmac_f64_e32 v[138:139], v[106:107], v[112:113]
	s_delay_alu instid0(VALU_DEP_1)
	v_add_f64_e64 v[102:103], v[102:103], -v[138:139]
	scratch_store_b64 off, v[102:103], off offset:168
	s_wait_xcnt 0x0
	v_cmpx_lt_u32_e32 20, v0
	s_cbranch_execz .LBB112_263
; %bb.262:
	scratch_load_b64 v[102:103], off, off offset:160
	v_mov_b64_e32 v[104:105], 0
	scratch_store_b64 off, v[104:105], off offset:160
	s_wait_loadcnt 0x0
	ds_store_b64 v1, v[102:103]
.LBB112_263:
	s_wait_xcnt 0x0
	s_or_b32 exec_lo, exec_lo, s0
	s_wait_storecnt_dscnt 0x0
	s_barrier_signal -1
	s_barrier_wait -1
	s_clause 0x5
	scratch_load_b128 v[102:105], off, off offset:160
	scratch_load_b128 v[106:109], off, off offset:176
	;; [unrolled: 1-line block ×6, first 2 shown]
	ds_load_2addr_b64 v[126:129], v2 offset0:71 offset1:72
	ds_load_2addr_b64 v[130:133], v2 offset0:73 offset1:74
	scratch_load_b128 v[134:137], off, off offset:256
	s_mov_b32 s0, exec_lo
	s_wait_loadcnt_dscnt 0x601
	v_fma_f64 v[138:139], v[104:105], v[126:127], 0
	s_wait_loadcnt 0x5
	s_delay_alu instid0(VALU_DEP_1) | instskip(SKIP_4) | instid1(VALU_DEP_1)
	v_fmac_f64_e32 v[138:139], v[106:107], v[128:129]
	scratch_load_b128 v[104:107], off, off offset:272
	s_wait_dscnt 0x0
	v_fmac_f64_e32 v[138:139], v[108:109], v[130:131]
	s_wait_loadcnt 0x5
	v_fmac_f64_e32 v[138:139], v[110:111], v[132:133]
	ds_load_2addr_b64 v[108:111], v2 offset0:75 offset1:76
	ds_load_2addr_b64 v[126:129], v2 offset0:77 offset1:78
	scratch_load_b128 v[130:133], off, off offset:288
	s_wait_dscnt 0x1
	v_fmac_f64_e32 v[138:139], v[112:113], v[108:109]
	s_wait_loadcnt 0x5
	s_delay_alu instid0(VALU_DEP_1) | instskip(SKIP_4) | instid1(VALU_DEP_1)
	v_fmac_f64_e32 v[138:139], v[114:115], v[110:111]
	scratch_load_b128 v[108:111], off, off offset:304
	s_wait_dscnt 0x0
	v_fmac_f64_e32 v[138:139], v[116:117], v[126:127]
	s_wait_loadcnt 0x5
	v_fmac_f64_e32 v[138:139], v[118:119], v[128:129]
	ds_load_2addr_b64 v[112:115], v2 offset0:79 offset1:80
	ds_load_2addr_b64 v[116:119], v2 offset0:81 offset1:82
	s_wait_dscnt 0x1
	v_fmac_f64_e32 v[138:139], v[120:121], v[112:113]
	s_wait_loadcnt 0x4
	s_delay_alu instid0(VALU_DEP_1) | instskip(SKIP_4) | instid1(VALU_DEP_1)
	v_fmac_f64_e32 v[138:139], v[122:123], v[114:115]
	scratch_load_b128 v[112:115], off, off offset:320
	s_wait_dscnt 0x0
	v_fmac_f64_e32 v[138:139], v[124:125], v[116:117]
	s_wait_loadcnt 0x4
	v_fmac_f64_e32 v[138:139], v[134:135], v[118:119]
	scratch_load_b128 v[116:119], off, off offset:336
	ds_load_2addr_b64 v[120:123], v2 offset0:83 offset1:84
	ds_load_2addr_b64 v[124:127], v2 offset0:85 offset1:86
	s_wait_dscnt 0x1
	v_fmac_f64_e32 v[138:139], v[136:137], v[120:121]
	s_wait_loadcnt 0x4
	s_delay_alu instid0(VALU_DEP_1)
	v_fmac_f64_e32 v[138:139], v[104:105], v[122:123]
	scratch_load_b128 v[120:123], off, off offset:352
	s_wait_dscnt 0x0
	v_fmac_f64_e32 v[138:139], v[106:107], v[124:125]
	scratch_load_b128 v[104:107], off, off offset:368
	s_wait_loadcnt 0x5
	v_fmac_f64_e32 v[138:139], v[130:131], v[126:127]
	ds_load_2addr_b64 v[124:127], v2 offset0:87 offset1:88
	ds_load_2addr_b64 v[128:131], v2 offset0:89 offset1:90
	s_wait_dscnt 0x1
	v_fmac_f64_e32 v[138:139], v[132:133], v[124:125]
	scratch_load_b64 v[132:133], off, off offset:384
	s_wait_loadcnt 0x5
	v_fmac_f64_e32 v[138:139], v[108:109], v[126:127]
	s_wait_dscnt 0x0
	s_delay_alu instid0(VALU_DEP_1)
	v_fmac_f64_e32 v[138:139], v[110:111], v[128:129]
	ds_load_2addr_b64 v[108:111], v2 offset0:91 offset1:92
	ds_load_2addr_b64 v[124:127], v2 offset0:93 offset1:94
	s_wait_loadcnt 0x4
	v_fmac_f64_e32 v[138:139], v[112:113], v[130:131]
	s_wait_dscnt 0x1
	s_delay_alu instid0(VALU_DEP_1) | instskip(SKIP_1) | instid1(VALU_DEP_1)
	v_fmac_f64_e32 v[138:139], v[114:115], v[108:109]
	s_wait_loadcnt 0x3
	v_fmac_f64_e32 v[138:139], v[116:117], v[110:111]
	ds_load_2addr_b64 v[108:111], v2 offset0:95 offset1:96
	ds_load_2addr_b64 v[112:115], v2 offset0:97 offset1:98
	s_wait_dscnt 0x2
	v_fmac_f64_e32 v[138:139], v[118:119], v[124:125]
	s_wait_loadcnt 0x2
	s_delay_alu instid0(VALU_DEP_1) | instskip(SKIP_1) | instid1(VALU_DEP_1)
	v_fmac_f64_e32 v[138:139], v[120:121], v[126:127]
	s_wait_dscnt 0x1
	v_fmac_f64_e32 v[138:139], v[122:123], v[108:109]
	s_wait_loadcnt 0x1
	s_delay_alu instid0(VALU_DEP_1) | instskip(SKIP_1) | instid1(VALU_DEP_1)
	v_fmac_f64_e32 v[138:139], v[104:105], v[110:111]
	s_wait_dscnt 0x0
	v_fmac_f64_e32 v[138:139], v[106:107], v[112:113]
	s_wait_loadcnt 0x0
	s_delay_alu instid0(VALU_DEP_1) | instskip(NEXT) | instid1(VALU_DEP_1)
	v_fmac_f64_e32 v[138:139], v[132:133], v[114:115]
	v_add_f64_e64 v[2:3], v[102:103], -v[138:139]
	scratch_store_b64 off, v[2:3], off offset:160
	s_wait_xcnt 0x0
	v_cmpx_lt_u32_e32 19, v0
	s_cbranch_execz .LBB112_265
; %bb.264:
	scratch_load_b64 v[2:3], off, off offset:152
	v_mov_b64_e32 v[102:103], 0
	scratch_store_b64 off, v[102:103], off offset:152
	s_wait_loadcnt 0x0
	ds_store_b64 v1, v[2:3]
.LBB112_265:
	s_wait_xcnt 0x0
	s_or_b32 exec_lo, exec_lo, s0
	s_wait_storecnt_dscnt 0x0
	s_barrier_signal -1
	s_barrier_wait -1
	s_clause 0x5
	scratch_load_b128 v[102:105], off, off offset:152
	scratch_load_b128 v[106:109], off, off offset:168
	;; [unrolled: 1-line block ×6, first 2 shown]
	v_mov_b32_e32 v2, 0
	ds_load_b128 v[126:129], v2 offset:560
	ds_load_b128 v[130:133], v2 offset:576
	scratch_load_b128 v[134:137], off, off offset:248
	s_mov_b32 s0, exec_lo
	s_wait_loadcnt_dscnt 0x601
	v_fma_f64 v[138:139], v[104:105], v[126:127], 0
	s_wait_loadcnt 0x5
	s_delay_alu instid0(VALU_DEP_1) | instskip(SKIP_4) | instid1(VALU_DEP_1)
	v_fmac_f64_e32 v[138:139], v[106:107], v[128:129]
	scratch_load_b128 v[104:107], off, off offset:264
	s_wait_dscnt 0x0
	v_fmac_f64_e32 v[138:139], v[108:109], v[130:131]
	s_wait_loadcnt 0x5
	v_fmac_f64_e32 v[138:139], v[110:111], v[132:133]
	ds_load_b128 v[108:111], v2 offset:592
	ds_load_b128 v[126:129], v2 offset:608
	scratch_load_b128 v[130:133], off, off offset:280
	s_wait_dscnt 0x1
	v_fmac_f64_e32 v[138:139], v[112:113], v[108:109]
	s_wait_loadcnt 0x5
	s_delay_alu instid0(VALU_DEP_1) | instskip(SKIP_4) | instid1(VALU_DEP_1)
	v_fmac_f64_e32 v[138:139], v[114:115], v[110:111]
	scratch_load_b128 v[108:111], off, off offset:296
	s_wait_dscnt 0x0
	v_fmac_f64_e32 v[138:139], v[116:117], v[126:127]
	s_wait_loadcnt 0x5
	v_fmac_f64_e32 v[138:139], v[118:119], v[128:129]
	ds_load_b128 v[112:115], v2 offset:624
	ds_load_b128 v[116:119], v2 offset:640
	s_wait_dscnt 0x1
	v_fmac_f64_e32 v[138:139], v[120:121], v[112:113]
	s_wait_loadcnt 0x4
	s_delay_alu instid0(VALU_DEP_1) | instskip(SKIP_4) | instid1(VALU_DEP_1)
	v_fmac_f64_e32 v[138:139], v[122:123], v[114:115]
	scratch_load_b128 v[112:115], off, off offset:312
	s_wait_dscnt 0x0
	v_fmac_f64_e32 v[138:139], v[124:125], v[116:117]
	s_wait_loadcnt 0x4
	v_fmac_f64_e32 v[138:139], v[134:135], v[118:119]
	scratch_load_b128 v[116:119], off, off offset:328
	ds_load_b128 v[120:123], v2 offset:656
	ds_load_b128 v[124:127], v2 offset:672
	s_wait_dscnt 0x1
	v_fmac_f64_e32 v[138:139], v[136:137], v[120:121]
	s_wait_loadcnt 0x4
	s_delay_alu instid0(VALU_DEP_1)
	v_fmac_f64_e32 v[138:139], v[104:105], v[122:123]
	scratch_load_b128 v[120:123], off, off offset:344
	s_wait_dscnt 0x0
	v_fmac_f64_e32 v[138:139], v[106:107], v[124:125]
	scratch_load_b128 v[104:107], off, off offset:360
	s_wait_loadcnt 0x5
	v_fmac_f64_e32 v[138:139], v[130:131], v[126:127]
	ds_load_b128 v[124:127], v2 offset:688
	ds_load_b128 v[128:131], v2 offset:704
	s_wait_dscnt 0x1
	v_fmac_f64_e32 v[138:139], v[132:133], v[124:125]
	s_wait_loadcnt 0x4
	s_delay_alu instid0(VALU_DEP_1) | instskip(SKIP_4) | instid1(VALU_DEP_1)
	v_fmac_f64_e32 v[138:139], v[108:109], v[126:127]
	scratch_load_b128 v[124:127], off, off offset:376
	s_wait_dscnt 0x0
	v_fmac_f64_e32 v[138:139], v[110:111], v[128:129]
	s_wait_loadcnt 0x4
	v_fmac_f64_e32 v[138:139], v[112:113], v[130:131]
	ds_load_b128 v[108:111], v2 offset:720
	ds_load_b128 v[128:131], v2 offset:736
	s_wait_dscnt 0x1
	v_fmac_f64_e32 v[138:139], v[114:115], v[108:109]
	s_wait_loadcnt 0x3
	s_delay_alu instid0(VALU_DEP_1)
	v_fmac_f64_e32 v[138:139], v[116:117], v[110:111]
	ds_load_b128 v[108:111], v2 offset:752
	ds_load_b128 v[112:115], v2 offset:768
	s_wait_dscnt 0x2
	v_fmac_f64_e32 v[138:139], v[118:119], v[128:129]
	s_wait_loadcnt 0x2
	s_delay_alu instid0(VALU_DEP_1) | instskip(SKIP_1) | instid1(VALU_DEP_1)
	v_fmac_f64_e32 v[138:139], v[120:121], v[130:131]
	s_wait_dscnt 0x1
	v_fmac_f64_e32 v[138:139], v[122:123], v[108:109]
	s_wait_loadcnt 0x1
	s_delay_alu instid0(VALU_DEP_1) | instskip(SKIP_4) | instid1(VALU_DEP_1)
	v_fmac_f64_e32 v[138:139], v[104:105], v[110:111]
	ds_load_b64 v[104:105], v2 offset:784
	s_wait_dscnt 0x1
	v_fmac_f64_e32 v[138:139], v[106:107], v[112:113]
	s_wait_loadcnt 0x0
	v_fmac_f64_e32 v[138:139], v[124:125], v[114:115]
	s_wait_dscnt 0x0
	s_delay_alu instid0(VALU_DEP_1) | instskip(NEXT) | instid1(VALU_DEP_1)
	v_fmac_f64_e32 v[138:139], v[126:127], v[104:105]
	v_add_f64_e64 v[102:103], v[102:103], -v[138:139]
	scratch_store_b64 off, v[102:103], off offset:152
	s_wait_xcnt 0x0
	v_cmpx_lt_u32_e32 18, v0
	s_cbranch_execz .LBB112_267
; %bb.266:
	scratch_load_b64 v[102:103], off, off offset:144
	v_mov_b64_e32 v[104:105], 0
	scratch_store_b64 off, v[104:105], off offset:144
	s_wait_loadcnt 0x0
	ds_store_b64 v1, v[102:103]
.LBB112_267:
	s_wait_xcnt 0x0
	s_or_b32 exec_lo, exec_lo, s0
	s_wait_storecnt_dscnt 0x0
	s_barrier_signal -1
	s_barrier_wait -1
	s_clause 0x5
	scratch_load_b128 v[102:105], off, off offset:144
	scratch_load_b128 v[106:109], off, off offset:160
	;; [unrolled: 1-line block ×6, first 2 shown]
	ds_load_2addr_b64 v[126:129], v2 offset0:69 offset1:70
	ds_load_2addr_b64 v[130:133], v2 offset0:71 offset1:72
	scratch_load_b128 v[134:137], off, off offset:240
	s_mov_b32 s0, exec_lo
	s_wait_loadcnt_dscnt 0x601
	v_fma_f64 v[138:139], v[104:105], v[126:127], 0
	s_wait_loadcnt 0x5
	s_delay_alu instid0(VALU_DEP_1) | instskip(SKIP_4) | instid1(VALU_DEP_1)
	v_fmac_f64_e32 v[138:139], v[106:107], v[128:129]
	scratch_load_b128 v[104:107], off, off offset:256
	s_wait_dscnt 0x0
	v_fmac_f64_e32 v[138:139], v[108:109], v[130:131]
	s_wait_loadcnt 0x5
	v_fmac_f64_e32 v[138:139], v[110:111], v[132:133]
	ds_load_2addr_b64 v[108:111], v2 offset0:73 offset1:74
	ds_load_2addr_b64 v[126:129], v2 offset0:75 offset1:76
	scratch_load_b128 v[130:133], off, off offset:272
	s_wait_dscnt 0x1
	v_fmac_f64_e32 v[138:139], v[112:113], v[108:109]
	s_wait_loadcnt 0x5
	s_delay_alu instid0(VALU_DEP_1) | instskip(SKIP_4) | instid1(VALU_DEP_1)
	v_fmac_f64_e32 v[138:139], v[114:115], v[110:111]
	scratch_load_b128 v[108:111], off, off offset:288
	s_wait_dscnt 0x0
	v_fmac_f64_e32 v[138:139], v[116:117], v[126:127]
	s_wait_loadcnt 0x5
	v_fmac_f64_e32 v[138:139], v[118:119], v[128:129]
	ds_load_2addr_b64 v[112:115], v2 offset0:77 offset1:78
	ds_load_2addr_b64 v[116:119], v2 offset0:79 offset1:80
	scratch_load_b128 v[126:129], off, off offset:304
	s_wait_dscnt 0x1
	v_fmac_f64_e32 v[138:139], v[120:121], v[112:113]
	s_wait_loadcnt 0x5
	s_delay_alu instid0(VALU_DEP_1) | instskip(SKIP_4) | instid1(VALU_DEP_1)
	v_fmac_f64_e32 v[138:139], v[122:123], v[114:115]
	scratch_load_b128 v[112:115], off, off offset:320
	s_wait_dscnt 0x0
	v_fmac_f64_e32 v[138:139], v[124:125], v[116:117]
	s_wait_loadcnt 0x5
	v_fmac_f64_e32 v[138:139], v[134:135], v[118:119]
	ds_load_2addr_b64 v[116:119], v2 offset0:81 offset1:82
	ds_load_2addr_b64 v[120:123], v2 offset0:83 offset1:84
	s_wait_dscnt 0x1
	v_fmac_f64_e32 v[138:139], v[136:137], v[116:117]
	s_wait_loadcnt 0x4
	s_delay_alu instid0(VALU_DEP_1)
	v_fmac_f64_e32 v[138:139], v[104:105], v[118:119]
	scratch_load_b128 v[116:119], off, off offset:336
	s_wait_dscnt 0x0
	v_fmac_f64_e32 v[138:139], v[106:107], v[120:121]
	scratch_load_b128 v[104:107], off, off offset:352
	s_wait_loadcnt 0x5
	v_fmac_f64_e32 v[138:139], v[130:131], v[122:123]
	ds_load_2addr_b64 v[120:123], v2 offset0:85 offset1:86
	ds_load_2addr_b64 v[134:137], v2 offset0:87 offset1:88
	scratch_load_b64 v[130:131], off, off offset:384
	s_wait_dscnt 0x1
	v_fmac_f64_e32 v[138:139], v[132:133], v[120:121]
	s_wait_loadcnt 0x5
	s_delay_alu instid0(VALU_DEP_1) | instskip(SKIP_4) | instid1(VALU_DEP_1)
	v_fmac_f64_e32 v[138:139], v[108:109], v[122:123]
	scratch_load_b128 v[120:123], off, off offset:368
	s_wait_dscnt 0x0
	v_fmac_f64_e32 v[138:139], v[110:111], v[134:135]
	s_wait_loadcnt 0x5
	v_fmac_f64_e32 v[138:139], v[126:127], v[136:137]
	ds_load_2addr_b64 v[108:111], v2 offset0:89 offset1:90
	ds_load_2addr_b64 v[124:127], v2 offset0:91 offset1:92
	s_wait_dscnt 0x1
	v_fmac_f64_e32 v[138:139], v[128:129], v[108:109]
	s_wait_loadcnt 0x4
	s_delay_alu instid0(VALU_DEP_1) | instskip(SKIP_1) | instid1(VALU_DEP_1)
	v_fmac_f64_e32 v[138:139], v[112:113], v[110:111]
	s_wait_dscnt 0x0
	v_fmac_f64_e32 v[138:139], v[114:115], v[124:125]
	ds_load_2addr_b64 v[108:111], v2 offset0:93 offset1:94
	ds_load_2addr_b64 v[112:115], v2 offset0:95 offset1:96
	s_wait_loadcnt 0x3
	v_fmac_f64_e32 v[138:139], v[116:117], v[126:127]
	s_wait_dscnt 0x1
	s_delay_alu instid0(VALU_DEP_1) | instskip(SKIP_1) | instid1(VALU_DEP_1)
	v_fmac_f64_e32 v[138:139], v[118:119], v[108:109]
	s_wait_loadcnt 0x2
	v_fmac_f64_e32 v[138:139], v[104:105], v[110:111]
	s_wait_dscnt 0x0
	s_delay_alu instid0(VALU_DEP_1) | instskip(SKIP_4) | instid1(VALU_DEP_1)
	v_fmac_f64_e32 v[138:139], v[106:107], v[112:113]
	ds_load_2addr_b64 v[104:107], v2 offset0:97 offset1:98
	s_wait_loadcnt 0x0
	v_fmac_f64_e32 v[138:139], v[120:121], v[114:115]
	s_wait_dscnt 0x0
	v_fmac_f64_e32 v[138:139], v[122:123], v[104:105]
	s_delay_alu instid0(VALU_DEP_1) | instskip(NEXT) | instid1(VALU_DEP_1)
	v_fmac_f64_e32 v[138:139], v[130:131], v[106:107]
	v_add_f64_e64 v[2:3], v[102:103], -v[138:139]
	scratch_store_b64 off, v[2:3], off offset:144
	s_wait_xcnt 0x0
	v_cmpx_lt_u32_e32 17, v0
	s_cbranch_execz .LBB112_269
; %bb.268:
	scratch_load_b64 v[2:3], off, off offset:136
	v_mov_b64_e32 v[102:103], 0
	scratch_store_b64 off, v[102:103], off offset:136
	s_wait_loadcnt 0x0
	ds_store_b64 v1, v[2:3]
.LBB112_269:
	s_wait_xcnt 0x0
	s_or_b32 exec_lo, exec_lo, s0
	s_wait_storecnt_dscnt 0x0
	s_barrier_signal -1
	s_barrier_wait -1
	s_clause 0x5
	scratch_load_b128 v[102:105], off, off offset:136
	scratch_load_b128 v[106:109], off, off offset:152
	;; [unrolled: 1-line block ×6, first 2 shown]
	v_mov_b32_e32 v2, 0
	ds_load_b128 v[126:129], v2 offset:544
	ds_load_b128 v[130:133], v2 offset:560
	scratch_load_b128 v[134:137], off, off offset:232
	s_mov_b32 s0, exec_lo
	s_wait_loadcnt_dscnt 0x601
	v_fma_f64 v[138:139], v[104:105], v[126:127], 0
	s_wait_loadcnt 0x5
	s_delay_alu instid0(VALU_DEP_1) | instskip(SKIP_4) | instid1(VALU_DEP_1)
	v_fmac_f64_e32 v[138:139], v[106:107], v[128:129]
	scratch_load_b128 v[104:107], off, off offset:248
	s_wait_dscnt 0x0
	v_fmac_f64_e32 v[138:139], v[108:109], v[130:131]
	s_wait_loadcnt 0x5
	v_fmac_f64_e32 v[138:139], v[110:111], v[132:133]
	ds_load_b128 v[108:111], v2 offset:576
	ds_load_b128 v[126:129], v2 offset:592
	scratch_load_b128 v[130:133], off, off offset:264
	s_wait_dscnt 0x1
	v_fmac_f64_e32 v[138:139], v[112:113], v[108:109]
	s_wait_loadcnt 0x5
	s_delay_alu instid0(VALU_DEP_1) | instskip(SKIP_4) | instid1(VALU_DEP_1)
	v_fmac_f64_e32 v[138:139], v[114:115], v[110:111]
	scratch_load_b128 v[108:111], off, off offset:280
	s_wait_dscnt 0x0
	v_fmac_f64_e32 v[138:139], v[116:117], v[126:127]
	s_wait_loadcnt 0x5
	v_fmac_f64_e32 v[138:139], v[118:119], v[128:129]
	ds_load_b128 v[112:115], v2 offset:608
	ds_load_b128 v[116:119], v2 offset:624
	scratch_load_b128 v[126:129], off, off offset:296
	s_wait_dscnt 0x1
	v_fmac_f64_e32 v[138:139], v[120:121], v[112:113]
	s_wait_loadcnt 0x5
	s_delay_alu instid0(VALU_DEP_1) | instskip(SKIP_4) | instid1(VALU_DEP_1)
	v_fmac_f64_e32 v[138:139], v[122:123], v[114:115]
	scratch_load_b128 v[112:115], off, off offset:312
	s_wait_dscnt 0x0
	v_fmac_f64_e32 v[138:139], v[124:125], v[116:117]
	s_wait_loadcnt 0x5
	v_fmac_f64_e32 v[138:139], v[134:135], v[118:119]
	ds_load_b128 v[116:119], v2 offset:640
	ds_load_b128 v[120:123], v2 offset:656
	s_wait_dscnt 0x1
	v_fmac_f64_e32 v[138:139], v[136:137], v[116:117]
	s_wait_loadcnt 0x4
	s_delay_alu instid0(VALU_DEP_1)
	v_fmac_f64_e32 v[138:139], v[104:105], v[118:119]
	scratch_load_b128 v[116:119], off, off offset:328
	s_wait_dscnt 0x0
	v_fmac_f64_e32 v[138:139], v[106:107], v[120:121]
	scratch_load_b128 v[104:107], off, off offset:344
	s_wait_loadcnt 0x5
	v_fmac_f64_e32 v[138:139], v[130:131], v[122:123]
	ds_load_b128 v[120:123], v2 offset:672
	ds_load_b128 v[134:137], v2 offset:688
	s_wait_dscnt 0x1
	v_fmac_f64_e32 v[138:139], v[132:133], v[120:121]
	s_wait_loadcnt 0x4
	s_delay_alu instid0(VALU_DEP_1)
	v_fmac_f64_e32 v[138:139], v[108:109], v[122:123]
	scratch_load_b128 v[120:123], off, off offset:360
	s_wait_dscnt 0x0
	v_fmac_f64_e32 v[138:139], v[110:111], v[134:135]
	scratch_load_b128 v[108:111], off, off offset:376
	s_wait_loadcnt 0x5
	v_fmac_f64_e32 v[138:139], v[126:127], v[136:137]
	ds_load_b128 v[124:127], v2 offset:704
	ds_load_b128 v[130:133], v2 offset:720
	s_wait_dscnt 0x1
	v_fmac_f64_e32 v[138:139], v[128:129], v[124:125]
	s_wait_loadcnt 0x4
	s_delay_alu instid0(VALU_DEP_1) | instskip(SKIP_1) | instid1(VALU_DEP_1)
	v_fmac_f64_e32 v[138:139], v[112:113], v[126:127]
	s_wait_dscnt 0x0
	v_fmac_f64_e32 v[138:139], v[114:115], v[130:131]
	ds_load_b128 v[112:115], v2 offset:736
	ds_load_b128 v[124:127], v2 offset:752
	s_wait_loadcnt 0x3
	v_fmac_f64_e32 v[138:139], v[116:117], v[132:133]
	s_wait_dscnt 0x1
	s_delay_alu instid0(VALU_DEP_1) | instskip(SKIP_1) | instid1(VALU_DEP_1)
	v_fmac_f64_e32 v[138:139], v[118:119], v[112:113]
	s_wait_loadcnt 0x2
	v_fmac_f64_e32 v[138:139], v[104:105], v[114:115]
	s_wait_dscnt 0x0
	s_delay_alu instid0(VALU_DEP_1)
	v_fmac_f64_e32 v[138:139], v[106:107], v[124:125]
	ds_load_b128 v[104:107], v2 offset:768
	ds_load_b64 v[112:113], v2 offset:784
	s_wait_loadcnt 0x1
	v_fmac_f64_e32 v[138:139], v[120:121], v[126:127]
	s_wait_dscnt 0x1
	s_delay_alu instid0(VALU_DEP_1) | instskip(SKIP_1) | instid1(VALU_DEP_1)
	v_fmac_f64_e32 v[138:139], v[122:123], v[104:105]
	s_wait_loadcnt 0x0
	v_fmac_f64_e32 v[138:139], v[108:109], v[106:107]
	s_wait_dscnt 0x0
	s_delay_alu instid0(VALU_DEP_1) | instskip(NEXT) | instid1(VALU_DEP_1)
	v_fmac_f64_e32 v[138:139], v[110:111], v[112:113]
	v_add_f64_e64 v[102:103], v[102:103], -v[138:139]
	scratch_store_b64 off, v[102:103], off offset:136
	s_wait_xcnt 0x0
	v_cmpx_lt_u32_e32 16, v0
	s_cbranch_execz .LBB112_271
; %bb.270:
	scratch_load_b64 v[102:103], off, off offset:128
	v_mov_b64_e32 v[104:105], 0
	scratch_store_b64 off, v[104:105], off offset:128
	s_wait_loadcnt 0x0
	ds_store_b64 v1, v[102:103]
.LBB112_271:
	s_wait_xcnt 0x0
	s_or_b32 exec_lo, exec_lo, s0
	s_wait_storecnt_dscnt 0x0
	s_barrier_signal -1
	s_barrier_wait -1
	s_clause 0x5
	scratch_load_b128 v[102:105], off, off offset:128
	scratch_load_b128 v[106:109], off, off offset:144
	;; [unrolled: 1-line block ×6, first 2 shown]
	ds_load_2addr_b64 v[126:129], v2 offset0:67 offset1:68
	ds_load_2addr_b64 v[130:133], v2 offset0:69 offset1:70
	scratch_load_b128 v[134:137], off, off offset:224
	s_mov_b32 s0, exec_lo
	s_wait_loadcnt_dscnt 0x601
	v_fma_f64 v[138:139], v[104:105], v[126:127], 0
	s_wait_loadcnt 0x5
	s_delay_alu instid0(VALU_DEP_1) | instskip(SKIP_4) | instid1(VALU_DEP_1)
	v_fmac_f64_e32 v[138:139], v[106:107], v[128:129]
	scratch_load_b128 v[104:107], off, off offset:240
	s_wait_dscnt 0x0
	v_fmac_f64_e32 v[138:139], v[108:109], v[130:131]
	s_wait_loadcnt 0x5
	v_fmac_f64_e32 v[138:139], v[110:111], v[132:133]
	ds_load_2addr_b64 v[108:111], v2 offset0:71 offset1:72
	ds_load_2addr_b64 v[126:129], v2 offset0:73 offset1:74
	scratch_load_b128 v[130:133], off, off offset:256
	s_wait_dscnt 0x1
	v_fmac_f64_e32 v[138:139], v[112:113], v[108:109]
	s_wait_loadcnt 0x5
	s_delay_alu instid0(VALU_DEP_1) | instskip(SKIP_4) | instid1(VALU_DEP_1)
	v_fmac_f64_e32 v[138:139], v[114:115], v[110:111]
	scratch_load_b128 v[108:111], off, off offset:272
	s_wait_dscnt 0x0
	v_fmac_f64_e32 v[138:139], v[116:117], v[126:127]
	s_wait_loadcnt 0x5
	v_fmac_f64_e32 v[138:139], v[118:119], v[128:129]
	ds_load_2addr_b64 v[112:115], v2 offset0:75 offset1:76
	ds_load_2addr_b64 v[116:119], v2 offset0:77 offset1:78
	scratch_load_b128 v[126:129], off, off offset:288
	s_wait_dscnt 0x1
	v_fmac_f64_e32 v[138:139], v[120:121], v[112:113]
	s_wait_loadcnt 0x5
	s_delay_alu instid0(VALU_DEP_1) | instskip(SKIP_4) | instid1(VALU_DEP_1)
	v_fmac_f64_e32 v[138:139], v[122:123], v[114:115]
	scratch_load_b128 v[112:115], off, off offset:304
	s_wait_dscnt 0x0
	v_fmac_f64_e32 v[138:139], v[124:125], v[116:117]
	s_wait_loadcnt 0x5
	v_fmac_f64_e32 v[138:139], v[134:135], v[118:119]
	ds_load_2addr_b64 v[116:119], v2 offset0:79 offset1:80
	ds_load_2addr_b64 v[120:123], v2 offset0:81 offset1:82
	s_wait_dscnt 0x1
	v_fmac_f64_e32 v[138:139], v[136:137], v[116:117]
	s_wait_loadcnt 0x4
	s_delay_alu instid0(VALU_DEP_1)
	v_fmac_f64_e32 v[138:139], v[104:105], v[118:119]
	scratch_load_b128 v[116:119], off, off offset:320
	s_wait_dscnt 0x0
	v_fmac_f64_e32 v[138:139], v[106:107], v[120:121]
	scratch_load_b128 v[104:107], off, off offset:336
	s_wait_loadcnt 0x5
	v_fmac_f64_e32 v[138:139], v[130:131], v[122:123]
	ds_load_2addr_b64 v[120:123], v2 offset0:83 offset1:84
	ds_load_2addr_b64 v[134:137], v2 offset0:85 offset1:86
	s_wait_dscnt 0x1
	v_fmac_f64_e32 v[138:139], v[132:133], v[120:121]
	s_wait_loadcnt 0x4
	s_delay_alu instid0(VALU_DEP_1)
	v_fmac_f64_e32 v[138:139], v[108:109], v[122:123]
	scratch_load_b128 v[120:123], off, off offset:352
	s_wait_dscnt 0x0
	v_fmac_f64_e32 v[138:139], v[110:111], v[134:135]
	scratch_load_b128 v[108:111], off, off offset:368
	s_wait_loadcnt 0x5
	v_fmac_f64_e32 v[138:139], v[126:127], v[136:137]
	ds_load_2addr_b64 v[124:127], v2 offset0:87 offset1:88
	ds_load_2addr_b64 v[130:133], v2 offset0:89 offset1:90
	s_wait_dscnt 0x1
	v_fmac_f64_e32 v[138:139], v[128:129], v[124:125]
	scratch_load_b64 v[128:129], off, off offset:384
	s_wait_loadcnt 0x5
	v_fmac_f64_e32 v[138:139], v[112:113], v[126:127]
	s_wait_dscnt 0x0
	s_delay_alu instid0(VALU_DEP_1)
	v_fmac_f64_e32 v[138:139], v[114:115], v[130:131]
	ds_load_2addr_b64 v[112:115], v2 offset0:91 offset1:92
	ds_load_2addr_b64 v[124:127], v2 offset0:93 offset1:94
	s_wait_loadcnt 0x4
	v_fmac_f64_e32 v[138:139], v[116:117], v[132:133]
	s_wait_dscnt 0x1
	s_delay_alu instid0(VALU_DEP_1) | instskip(SKIP_1) | instid1(VALU_DEP_1)
	v_fmac_f64_e32 v[138:139], v[118:119], v[112:113]
	s_wait_loadcnt 0x3
	v_fmac_f64_e32 v[138:139], v[104:105], v[114:115]
	s_wait_dscnt 0x0
	s_delay_alu instid0(VALU_DEP_1)
	v_fmac_f64_e32 v[138:139], v[106:107], v[124:125]
	ds_load_2addr_b64 v[104:107], v2 offset0:95 offset1:96
	ds_load_2addr_b64 v[112:115], v2 offset0:97 offset1:98
	s_wait_loadcnt 0x2
	v_fmac_f64_e32 v[138:139], v[120:121], v[126:127]
	s_wait_dscnt 0x1
	s_delay_alu instid0(VALU_DEP_1) | instskip(SKIP_1) | instid1(VALU_DEP_1)
	v_fmac_f64_e32 v[138:139], v[122:123], v[104:105]
	s_wait_loadcnt 0x1
	v_fmac_f64_e32 v[138:139], v[108:109], v[106:107]
	s_wait_dscnt 0x0
	s_delay_alu instid0(VALU_DEP_1) | instskip(SKIP_1) | instid1(VALU_DEP_1)
	v_fmac_f64_e32 v[138:139], v[110:111], v[112:113]
	s_wait_loadcnt 0x0
	v_fmac_f64_e32 v[138:139], v[128:129], v[114:115]
	s_delay_alu instid0(VALU_DEP_1)
	v_add_f64_e64 v[2:3], v[102:103], -v[138:139]
	scratch_store_b64 off, v[2:3], off offset:128
	s_wait_xcnt 0x0
	v_cmpx_lt_u32_e32 15, v0
	s_cbranch_execz .LBB112_273
; %bb.272:
	scratch_load_b64 v[2:3], off, off offset:120
	v_mov_b64_e32 v[102:103], 0
	scratch_store_b64 off, v[102:103], off offset:120
	s_wait_loadcnt 0x0
	ds_store_b64 v1, v[2:3]
.LBB112_273:
	s_wait_xcnt 0x0
	s_or_b32 exec_lo, exec_lo, s0
	s_wait_storecnt_dscnt 0x0
	s_barrier_signal -1
	s_barrier_wait -1
	s_clause 0x5
	scratch_load_b128 v[102:105], off, off offset:120
	scratch_load_b128 v[106:109], off, off offset:136
	;; [unrolled: 1-line block ×6, first 2 shown]
	v_mov_b32_e32 v2, 0
	ds_load_b128 v[126:129], v2 offset:528
	ds_load_b128 v[130:133], v2 offset:544
	scratch_load_b128 v[134:137], off, off offset:216
	s_mov_b32 s0, exec_lo
	s_wait_loadcnt_dscnt 0x601
	v_fma_f64 v[138:139], v[104:105], v[126:127], 0
	s_wait_loadcnt 0x5
	s_delay_alu instid0(VALU_DEP_1) | instskip(SKIP_4) | instid1(VALU_DEP_1)
	v_fmac_f64_e32 v[138:139], v[106:107], v[128:129]
	scratch_load_b128 v[104:107], off, off offset:232
	s_wait_dscnt 0x0
	v_fmac_f64_e32 v[138:139], v[108:109], v[130:131]
	s_wait_loadcnt 0x5
	v_fmac_f64_e32 v[138:139], v[110:111], v[132:133]
	ds_load_b128 v[108:111], v2 offset:560
	ds_load_b128 v[126:129], v2 offset:576
	scratch_load_b128 v[130:133], off, off offset:248
	s_wait_dscnt 0x1
	v_fmac_f64_e32 v[138:139], v[112:113], v[108:109]
	s_wait_loadcnt 0x5
	s_delay_alu instid0(VALU_DEP_1) | instskip(SKIP_4) | instid1(VALU_DEP_1)
	v_fmac_f64_e32 v[138:139], v[114:115], v[110:111]
	scratch_load_b128 v[108:111], off, off offset:264
	s_wait_dscnt 0x0
	v_fmac_f64_e32 v[138:139], v[116:117], v[126:127]
	s_wait_loadcnt 0x5
	v_fmac_f64_e32 v[138:139], v[118:119], v[128:129]
	ds_load_b128 v[112:115], v2 offset:592
	ds_load_b128 v[116:119], v2 offset:608
	scratch_load_b128 v[126:129], off, off offset:280
	s_wait_dscnt 0x1
	v_fmac_f64_e32 v[138:139], v[120:121], v[112:113]
	s_wait_loadcnt 0x5
	s_delay_alu instid0(VALU_DEP_1) | instskip(SKIP_4) | instid1(VALU_DEP_1)
	v_fmac_f64_e32 v[138:139], v[122:123], v[114:115]
	scratch_load_b128 v[112:115], off, off offset:296
	s_wait_dscnt 0x0
	v_fmac_f64_e32 v[138:139], v[124:125], v[116:117]
	s_wait_loadcnt 0x5
	v_fmac_f64_e32 v[138:139], v[134:135], v[118:119]
	ds_load_b128 v[116:119], v2 offset:624
	ds_load_b128 v[120:123], v2 offset:640
	s_wait_dscnt 0x1
	v_fmac_f64_e32 v[138:139], v[136:137], v[116:117]
	s_wait_loadcnt 0x4
	s_delay_alu instid0(VALU_DEP_1)
	v_fmac_f64_e32 v[138:139], v[104:105], v[118:119]
	scratch_load_b128 v[116:119], off, off offset:312
	s_wait_dscnt 0x0
	v_fmac_f64_e32 v[138:139], v[106:107], v[120:121]
	scratch_load_b128 v[104:107], off, off offset:328
	s_wait_loadcnt 0x5
	v_fmac_f64_e32 v[138:139], v[130:131], v[122:123]
	ds_load_b128 v[120:123], v2 offset:656
	ds_load_b128 v[134:137], v2 offset:672
	s_wait_dscnt 0x1
	v_fmac_f64_e32 v[138:139], v[132:133], v[120:121]
	s_wait_loadcnt 0x4
	s_delay_alu instid0(VALU_DEP_1)
	v_fmac_f64_e32 v[138:139], v[108:109], v[122:123]
	scratch_load_b128 v[120:123], off, off offset:344
	s_wait_dscnt 0x0
	v_fmac_f64_e32 v[138:139], v[110:111], v[134:135]
	scratch_load_b128 v[108:111], off, off offset:360
	s_wait_loadcnt 0x5
	v_fmac_f64_e32 v[138:139], v[126:127], v[136:137]
	ds_load_b128 v[124:127], v2 offset:688
	ds_load_b128 v[130:133], v2 offset:704
	s_wait_dscnt 0x1
	v_fmac_f64_e32 v[138:139], v[128:129], v[124:125]
	s_wait_loadcnt 0x4
	s_delay_alu instid0(VALU_DEP_1)
	v_fmac_f64_e32 v[138:139], v[112:113], v[126:127]
	scratch_load_b128 v[124:127], off, off offset:376
	s_wait_dscnt 0x0
	v_fmac_f64_e32 v[138:139], v[114:115], v[130:131]
	ds_load_b128 v[112:115], v2 offset:720
	ds_load_b128 v[128:131], v2 offset:736
	s_wait_loadcnt 0x4
	v_fmac_f64_e32 v[138:139], v[116:117], v[132:133]
	s_wait_dscnt 0x1
	s_delay_alu instid0(VALU_DEP_1) | instskip(SKIP_1) | instid1(VALU_DEP_1)
	v_fmac_f64_e32 v[138:139], v[118:119], v[112:113]
	s_wait_loadcnt 0x3
	v_fmac_f64_e32 v[138:139], v[104:105], v[114:115]
	s_wait_dscnt 0x0
	s_delay_alu instid0(VALU_DEP_1)
	v_fmac_f64_e32 v[138:139], v[106:107], v[128:129]
	ds_load_b128 v[104:107], v2 offset:752
	ds_load_b128 v[112:115], v2 offset:768
	s_wait_loadcnt 0x2
	v_fmac_f64_e32 v[138:139], v[120:121], v[130:131]
	s_wait_dscnt 0x1
	s_delay_alu instid0(VALU_DEP_1) | instskip(SKIP_4) | instid1(VALU_DEP_1)
	v_fmac_f64_e32 v[138:139], v[122:123], v[104:105]
	ds_load_b64 v[104:105], v2 offset:784
	s_wait_loadcnt 0x1
	v_fmac_f64_e32 v[138:139], v[108:109], v[106:107]
	s_wait_dscnt 0x1
	v_fmac_f64_e32 v[138:139], v[110:111], v[112:113]
	s_wait_loadcnt 0x0
	s_delay_alu instid0(VALU_DEP_1) | instskip(SKIP_1) | instid1(VALU_DEP_1)
	v_fmac_f64_e32 v[138:139], v[124:125], v[114:115]
	s_wait_dscnt 0x0
	v_fmac_f64_e32 v[138:139], v[126:127], v[104:105]
	s_delay_alu instid0(VALU_DEP_1)
	v_add_f64_e64 v[102:103], v[102:103], -v[138:139]
	scratch_store_b64 off, v[102:103], off offset:120
	s_wait_xcnt 0x0
	v_cmpx_lt_u32_e32 14, v0
	s_cbranch_execz .LBB112_275
; %bb.274:
	scratch_load_b64 v[102:103], off, off offset:112
	v_mov_b64_e32 v[104:105], 0
	scratch_store_b64 off, v[104:105], off offset:112
	s_wait_loadcnt 0x0
	ds_store_b64 v1, v[102:103]
.LBB112_275:
	s_wait_xcnt 0x0
	s_or_b32 exec_lo, exec_lo, s0
	s_wait_storecnt_dscnt 0x0
	s_barrier_signal -1
	s_barrier_wait -1
	s_clause 0x5
	scratch_load_b128 v[102:105], off, off offset:112
	scratch_load_b128 v[106:109], off, off offset:128
	;; [unrolled: 1-line block ×6, first 2 shown]
	ds_load_2addr_b64 v[126:129], v2 offset0:65 offset1:66
	ds_load_2addr_b64 v[130:133], v2 offset0:67 offset1:68
	scratch_load_b128 v[134:137], off, off offset:208
	s_mov_b32 s0, exec_lo
	s_wait_loadcnt_dscnt 0x601
	v_fma_f64 v[138:139], v[104:105], v[126:127], 0
	s_wait_loadcnt 0x5
	s_delay_alu instid0(VALU_DEP_1) | instskip(SKIP_4) | instid1(VALU_DEP_1)
	v_fmac_f64_e32 v[138:139], v[106:107], v[128:129]
	scratch_load_b128 v[104:107], off, off offset:224
	s_wait_dscnt 0x0
	v_fmac_f64_e32 v[138:139], v[108:109], v[130:131]
	s_wait_loadcnt 0x5
	v_fmac_f64_e32 v[138:139], v[110:111], v[132:133]
	ds_load_2addr_b64 v[108:111], v2 offset0:69 offset1:70
	ds_load_2addr_b64 v[126:129], v2 offset0:71 offset1:72
	scratch_load_b128 v[130:133], off, off offset:240
	s_wait_dscnt 0x1
	v_fmac_f64_e32 v[138:139], v[112:113], v[108:109]
	s_wait_loadcnt 0x5
	s_delay_alu instid0(VALU_DEP_1) | instskip(SKIP_4) | instid1(VALU_DEP_1)
	v_fmac_f64_e32 v[138:139], v[114:115], v[110:111]
	scratch_load_b128 v[108:111], off, off offset:256
	s_wait_dscnt 0x0
	v_fmac_f64_e32 v[138:139], v[116:117], v[126:127]
	s_wait_loadcnt 0x5
	v_fmac_f64_e32 v[138:139], v[118:119], v[128:129]
	ds_load_2addr_b64 v[112:115], v2 offset0:73 offset1:74
	ds_load_2addr_b64 v[116:119], v2 offset0:75 offset1:76
	scratch_load_b128 v[126:129], off, off offset:272
	s_wait_dscnt 0x1
	v_fmac_f64_e32 v[138:139], v[120:121], v[112:113]
	s_wait_loadcnt 0x5
	s_delay_alu instid0(VALU_DEP_1) | instskip(SKIP_4) | instid1(VALU_DEP_1)
	v_fmac_f64_e32 v[138:139], v[122:123], v[114:115]
	scratch_load_b128 v[112:115], off, off offset:288
	s_wait_dscnt 0x0
	v_fmac_f64_e32 v[138:139], v[124:125], v[116:117]
	s_wait_loadcnt 0x5
	v_fmac_f64_e32 v[138:139], v[134:135], v[118:119]
	ds_load_2addr_b64 v[116:119], v2 offset0:77 offset1:78
	ds_load_2addr_b64 v[120:123], v2 offset0:79 offset1:80
	s_wait_dscnt 0x1
	v_fmac_f64_e32 v[138:139], v[136:137], v[116:117]
	scratch_load_b128 v[134:137], off, off offset:304
	s_wait_loadcnt 0x5
	v_fmac_f64_e32 v[138:139], v[104:105], v[118:119]
	s_wait_dscnt 0x0
	s_delay_alu instid0(VALU_DEP_1)
	v_fmac_f64_e32 v[138:139], v[106:107], v[120:121]
	scratch_load_b128 v[104:107], off, off offset:320
	s_wait_loadcnt 0x5
	v_fmac_f64_e32 v[138:139], v[130:131], v[122:123]
	ds_load_2addr_b64 v[116:119], v2 offset0:81 offset1:82
	ds_load_2addr_b64 v[120:123], v2 offset0:83 offset1:84
	s_wait_dscnt 0x1
	v_fmac_f64_e32 v[138:139], v[132:133], v[116:117]
	s_wait_loadcnt 0x4
	s_delay_alu instid0(VALU_DEP_1)
	v_fmac_f64_e32 v[138:139], v[108:109], v[118:119]
	scratch_load_b128 v[116:119], off, off offset:336
	s_wait_dscnt 0x0
	v_fmac_f64_e32 v[138:139], v[110:111], v[120:121]
	scratch_load_b128 v[108:111], off, off offset:352
	s_wait_loadcnt 0x5
	v_fmac_f64_e32 v[138:139], v[126:127], v[122:123]
	ds_load_2addr_b64 v[120:123], v2 offset0:85 offset1:86
	ds_load_2addr_b64 v[124:127], v2 offset0:87 offset1:88
	s_wait_dscnt 0x1
	v_fmac_f64_e32 v[138:139], v[128:129], v[120:121]
	scratch_load_b64 v[128:129], off, off offset:384
	s_wait_loadcnt 0x5
	v_fmac_f64_e32 v[138:139], v[112:113], v[122:123]
	scratch_load_b128 v[120:123], off, off offset:368
	s_wait_dscnt 0x0
	v_fmac_f64_e32 v[138:139], v[114:115], v[124:125]
	s_wait_loadcnt 0x5
	s_delay_alu instid0(VALU_DEP_1)
	v_fmac_f64_e32 v[138:139], v[134:135], v[126:127]
	ds_load_2addr_b64 v[112:115], v2 offset0:89 offset1:90
	ds_load_2addr_b64 v[124:127], v2 offset0:91 offset1:92
	s_wait_dscnt 0x1
	v_fmac_f64_e32 v[138:139], v[136:137], v[112:113]
	s_wait_loadcnt 0x4
	s_delay_alu instid0(VALU_DEP_1) | instskip(SKIP_1) | instid1(VALU_DEP_1)
	v_fmac_f64_e32 v[138:139], v[104:105], v[114:115]
	s_wait_dscnt 0x0
	v_fmac_f64_e32 v[138:139], v[106:107], v[124:125]
	ds_load_2addr_b64 v[104:107], v2 offset0:93 offset1:94
	ds_load_2addr_b64 v[112:115], v2 offset0:95 offset1:96
	s_wait_loadcnt 0x3
	v_fmac_f64_e32 v[138:139], v[116:117], v[126:127]
	s_wait_dscnt 0x1
	s_delay_alu instid0(VALU_DEP_1) | instskip(SKIP_1) | instid1(VALU_DEP_1)
	v_fmac_f64_e32 v[138:139], v[118:119], v[104:105]
	s_wait_loadcnt 0x2
	v_fmac_f64_e32 v[138:139], v[108:109], v[106:107]
	ds_load_2addr_b64 v[104:107], v2 offset0:97 offset1:98
	s_wait_dscnt 0x1
	v_fmac_f64_e32 v[138:139], v[110:111], v[112:113]
	s_wait_loadcnt 0x0
	s_delay_alu instid0(VALU_DEP_1) | instskip(SKIP_1) | instid1(VALU_DEP_1)
	v_fmac_f64_e32 v[138:139], v[120:121], v[114:115]
	s_wait_dscnt 0x0
	v_fmac_f64_e32 v[138:139], v[122:123], v[104:105]
	s_delay_alu instid0(VALU_DEP_1) | instskip(NEXT) | instid1(VALU_DEP_1)
	v_fmac_f64_e32 v[138:139], v[128:129], v[106:107]
	v_add_f64_e64 v[2:3], v[102:103], -v[138:139]
	scratch_store_b64 off, v[2:3], off offset:112
	s_wait_xcnt 0x0
	v_cmpx_lt_u32_e32 13, v0
	s_cbranch_execz .LBB112_277
; %bb.276:
	scratch_load_b64 v[2:3], off, off offset:104
	v_mov_b64_e32 v[102:103], 0
	scratch_store_b64 off, v[102:103], off offset:104
	s_wait_loadcnt 0x0
	ds_store_b64 v1, v[2:3]
.LBB112_277:
	s_wait_xcnt 0x0
	s_or_b32 exec_lo, exec_lo, s0
	s_wait_storecnt_dscnt 0x0
	s_barrier_signal -1
	s_barrier_wait -1
	s_clause 0x5
	scratch_load_b128 v[102:105], off, off offset:104
	scratch_load_b128 v[106:109], off, off offset:120
	;; [unrolled: 1-line block ×6, first 2 shown]
	v_mov_b32_e32 v2, 0
	ds_load_b128 v[126:129], v2 offset:512
	ds_load_b128 v[130:133], v2 offset:528
	scratch_load_b128 v[134:137], off, off offset:200
	s_mov_b32 s0, exec_lo
	s_wait_loadcnt_dscnt 0x601
	v_fma_f64 v[138:139], v[104:105], v[126:127], 0
	s_wait_loadcnt 0x5
	s_delay_alu instid0(VALU_DEP_1) | instskip(SKIP_4) | instid1(VALU_DEP_1)
	v_fmac_f64_e32 v[138:139], v[106:107], v[128:129]
	scratch_load_b128 v[104:107], off, off offset:216
	s_wait_dscnt 0x0
	v_fmac_f64_e32 v[138:139], v[108:109], v[130:131]
	s_wait_loadcnt 0x5
	v_fmac_f64_e32 v[138:139], v[110:111], v[132:133]
	ds_load_b128 v[108:111], v2 offset:544
	ds_load_b128 v[126:129], v2 offset:560
	scratch_load_b128 v[130:133], off, off offset:232
	s_wait_dscnt 0x1
	v_fmac_f64_e32 v[138:139], v[112:113], v[108:109]
	s_wait_loadcnt 0x5
	s_delay_alu instid0(VALU_DEP_1) | instskip(SKIP_4) | instid1(VALU_DEP_1)
	v_fmac_f64_e32 v[138:139], v[114:115], v[110:111]
	scratch_load_b128 v[108:111], off, off offset:248
	s_wait_dscnt 0x0
	v_fmac_f64_e32 v[138:139], v[116:117], v[126:127]
	s_wait_loadcnt 0x5
	v_fmac_f64_e32 v[138:139], v[118:119], v[128:129]
	ds_load_b128 v[112:115], v2 offset:576
	ds_load_b128 v[116:119], v2 offset:592
	scratch_load_b128 v[126:129], off, off offset:264
	s_wait_dscnt 0x1
	v_fmac_f64_e32 v[138:139], v[120:121], v[112:113]
	s_wait_loadcnt 0x5
	s_delay_alu instid0(VALU_DEP_1) | instskip(SKIP_4) | instid1(VALU_DEP_1)
	v_fmac_f64_e32 v[138:139], v[122:123], v[114:115]
	scratch_load_b128 v[112:115], off, off offset:280
	s_wait_dscnt 0x0
	v_fmac_f64_e32 v[138:139], v[124:125], v[116:117]
	s_wait_loadcnt 0x5
	v_fmac_f64_e32 v[138:139], v[134:135], v[118:119]
	ds_load_b128 v[116:119], v2 offset:608
	ds_load_b128 v[120:123], v2 offset:624
	s_wait_dscnt 0x1
	v_fmac_f64_e32 v[138:139], v[136:137], v[116:117]
	scratch_load_b128 v[134:137], off, off offset:296
	s_wait_loadcnt 0x5
	v_fmac_f64_e32 v[138:139], v[104:105], v[118:119]
	s_wait_dscnt 0x0
	s_delay_alu instid0(VALU_DEP_1)
	v_fmac_f64_e32 v[138:139], v[106:107], v[120:121]
	scratch_load_b128 v[104:107], off, off offset:312
	s_wait_loadcnt 0x5
	v_fmac_f64_e32 v[138:139], v[130:131], v[122:123]
	ds_load_b128 v[116:119], v2 offset:640
	ds_load_b128 v[120:123], v2 offset:656
	s_wait_dscnt 0x1
	v_fmac_f64_e32 v[138:139], v[132:133], v[116:117]
	s_wait_loadcnt 0x4
	s_delay_alu instid0(VALU_DEP_1)
	v_fmac_f64_e32 v[138:139], v[108:109], v[118:119]
	scratch_load_b128 v[116:119], off, off offset:328
	s_wait_dscnt 0x0
	v_fmac_f64_e32 v[138:139], v[110:111], v[120:121]
	scratch_load_b128 v[108:111], off, off offset:344
	s_wait_loadcnt 0x5
	v_fmac_f64_e32 v[138:139], v[126:127], v[122:123]
	ds_load_b128 v[120:123], v2 offset:672
	ds_load_b128 v[124:127], v2 offset:688
	s_wait_dscnt 0x1
	v_fmac_f64_e32 v[138:139], v[128:129], v[120:121]
	s_wait_loadcnt 0x4
	s_delay_alu instid0(VALU_DEP_1)
	v_fmac_f64_e32 v[138:139], v[112:113], v[122:123]
	scratch_load_b128 v[120:123], off, off offset:360
	s_wait_dscnt 0x0
	v_fmac_f64_e32 v[138:139], v[114:115], v[124:125]
	scratch_load_b128 v[112:115], off, off offset:376
	s_wait_loadcnt 0x5
	v_fmac_f64_e32 v[138:139], v[134:135], v[126:127]
	ds_load_b128 v[124:127], v2 offset:704
	ds_load_b128 v[128:131], v2 offset:720
	s_wait_dscnt 0x1
	v_fmac_f64_e32 v[138:139], v[136:137], v[124:125]
	s_wait_loadcnt 0x4
	s_delay_alu instid0(VALU_DEP_1) | instskip(SKIP_1) | instid1(VALU_DEP_1)
	v_fmac_f64_e32 v[138:139], v[104:105], v[126:127]
	s_wait_dscnt 0x0
	v_fmac_f64_e32 v[138:139], v[106:107], v[128:129]
	ds_load_b128 v[104:107], v2 offset:736
	ds_load_b128 v[124:127], v2 offset:752
	s_wait_loadcnt 0x3
	v_fmac_f64_e32 v[138:139], v[116:117], v[130:131]
	s_wait_dscnt 0x1
	s_delay_alu instid0(VALU_DEP_1) | instskip(SKIP_1) | instid1(VALU_DEP_1)
	v_fmac_f64_e32 v[138:139], v[118:119], v[104:105]
	s_wait_loadcnt 0x2
	v_fmac_f64_e32 v[138:139], v[108:109], v[106:107]
	ds_load_b128 v[104:107], v2 offset:768
	ds_load_b64 v[108:109], v2 offset:784
	s_wait_dscnt 0x2
	v_fmac_f64_e32 v[138:139], v[110:111], v[124:125]
	s_wait_loadcnt 0x1
	s_delay_alu instid0(VALU_DEP_1) | instskip(SKIP_1) | instid1(VALU_DEP_1)
	v_fmac_f64_e32 v[138:139], v[120:121], v[126:127]
	s_wait_dscnt 0x1
	v_fmac_f64_e32 v[138:139], v[122:123], v[104:105]
	s_wait_loadcnt 0x0
	s_delay_alu instid0(VALU_DEP_1) | instskip(SKIP_1) | instid1(VALU_DEP_1)
	v_fmac_f64_e32 v[138:139], v[112:113], v[106:107]
	s_wait_dscnt 0x0
	v_fmac_f64_e32 v[138:139], v[114:115], v[108:109]
	s_delay_alu instid0(VALU_DEP_1)
	v_add_f64_e64 v[102:103], v[102:103], -v[138:139]
	scratch_store_b64 off, v[102:103], off offset:104
	s_wait_xcnt 0x0
	v_cmpx_lt_u32_e32 12, v0
	s_cbranch_execz .LBB112_279
; %bb.278:
	scratch_load_b64 v[102:103], off, off offset:96
	v_mov_b64_e32 v[104:105], 0
	scratch_store_b64 off, v[104:105], off offset:96
	s_wait_loadcnt 0x0
	ds_store_b64 v1, v[102:103]
.LBB112_279:
	s_wait_xcnt 0x0
	s_or_b32 exec_lo, exec_lo, s0
	s_wait_storecnt_dscnt 0x0
	s_barrier_signal -1
	s_barrier_wait -1
	s_clause 0x5
	scratch_load_b128 v[102:105], off, off offset:96
	scratch_load_b128 v[106:109], off, off offset:112
	;; [unrolled: 1-line block ×6, first 2 shown]
	ds_load_2addr_b64 v[126:129], v2 offset0:63 offset1:64
	ds_load_2addr_b64 v[130:133], v2 offset0:65 offset1:66
	scratch_load_b128 v[134:137], off, off offset:192
	s_mov_b32 s0, exec_lo
	s_wait_loadcnt_dscnt 0x601
	v_fma_f64 v[138:139], v[104:105], v[126:127], 0
	s_wait_loadcnt 0x5
	s_delay_alu instid0(VALU_DEP_1) | instskip(SKIP_4) | instid1(VALU_DEP_1)
	v_fmac_f64_e32 v[138:139], v[106:107], v[128:129]
	scratch_load_b128 v[104:107], off, off offset:208
	s_wait_dscnt 0x0
	v_fmac_f64_e32 v[138:139], v[108:109], v[130:131]
	s_wait_loadcnt 0x5
	v_fmac_f64_e32 v[138:139], v[110:111], v[132:133]
	ds_load_2addr_b64 v[108:111], v2 offset0:67 offset1:68
	ds_load_2addr_b64 v[126:129], v2 offset0:69 offset1:70
	scratch_load_b128 v[130:133], off, off offset:224
	s_wait_dscnt 0x1
	v_fmac_f64_e32 v[138:139], v[112:113], v[108:109]
	s_wait_loadcnt 0x5
	s_delay_alu instid0(VALU_DEP_1) | instskip(SKIP_4) | instid1(VALU_DEP_1)
	v_fmac_f64_e32 v[138:139], v[114:115], v[110:111]
	scratch_load_b128 v[108:111], off, off offset:240
	s_wait_dscnt 0x0
	v_fmac_f64_e32 v[138:139], v[116:117], v[126:127]
	s_wait_loadcnt 0x5
	v_fmac_f64_e32 v[138:139], v[118:119], v[128:129]
	ds_load_2addr_b64 v[112:115], v2 offset0:71 offset1:72
	ds_load_2addr_b64 v[116:119], v2 offset0:73 offset1:74
	scratch_load_b128 v[126:129], off, off offset:256
	s_wait_dscnt 0x1
	v_fmac_f64_e32 v[138:139], v[120:121], v[112:113]
	s_wait_loadcnt 0x5
	s_delay_alu instid0(VALU_DEP_1) | instskip(SKIP_4) | instid1(VALU_DEP_1)
	v_fmac_f64_e32 v[138:139], v[122:123], v[114:115]
	scratch_load_b128 v[112:115], off, off offset:272
	s_wait_dscnt 0x0
	v_fmac_f64_e32 v[138:139], v[124:125], v[116:117]
	s_wait_loadcnt 0x5
	v_fmac_f64_e32 v[138:139], v[134:135], v[118:119]
	ds_load_2addr_b64 v[116:119], v2 offset0:75 offset1:76
	ds_load_2addr_b64 v[120:123], v2 offset0:77 offset1:78
	s_wait_dscnt 0x1
	v_fmac_f64_e32 v[138:139], v[136:137], v[116:117]
	scratch_load_b128 v[134:137], off, off offset:288
	s_wait_loadcnt 0x5
	v_fmac_f64_e32 v[138:139], v[104:105], v[118:119]
	s_wait_dscnt 0x0
	s_delay_alu instid0(VALU_DEP_1)
	v_fmac_f64_e32 v[138:139], v[106:107], v[120:121]
	scratch_load_b128 v[104:107], off, off offset:304
	s_wait_loadcnt 0x5
	v_fmac_f64_e32 v[138:139], v[130:131], v[122:123]
	ds_load_2addr_b64 v[116:119], v2 offset0:79 offset1:80
	ds_load_2addr_b64 v[120:123], v2 offset0:81 offset1:82
	s_wait_dscnt 0x1
	v_fmac_f64_e32 v[138:139], v[132:133], v[116:117]
	s_wait_loadcnt 0x4
	s_delay_alu instid0(VALU_DEP_1)
	v_fmac_f64_e32 v[138:139], v[108:109], v[118:119]
	scratch_load_b128 v[116:119], off, off offset:320
	s_wait_dscnt 0x0
	v_fmac_f64_e32 v[138:139], v[110:111], v[120:121]
	scratch_load_b128 v[108:111], off, off offset:336
	s_wait_loadcnt 0x5
	v_fmac_f64_e32 v[138:139], v[126:127], v[122:123]
	ds_load_2addr_b64 v[120:123], v2 offset0:83 offset1:84
	ds_load_2addr_b64 v[124:127], v2 offset0:85 offset1:86
	s_wait_dscnt 0x1
	v_fmac_f64_e32 v[138:139], v[128:129], v[120:121]
	s_wait_loadcnt 0x4
	s_delay_alu instid0(VALU_DEP_1)
	v_fmac_f64_e32 v[138:139], v[112:113], v[122:123]
	scratch_load_b128 v[120:123], off, off offset:352
	s_wait_dscnt 0x0
	v_fmac_f64_e32 v[138:139], v[114:115], v[124:125]
	scratch_load_b128 v[112:115], off, off offset:368
	s_wait_loadcnt 0x5
	v_fmac_f64_e32 v[138:139], v[134:135], v[126:127]
	ds_load_2addr_b64 v[124:127], v2 offset0:87 offset1:88
	ds_load_2addr_b64 v[128:131], v2 offset0:89 offset1:90
	scratch_load_b64 v[132:133], off, off offset:384
	s_wait_dscnt 0x1
	v_fmac_f64_e32 v[138:139], v[136:137], v[124:125]
	s_wait_loadcnt 0x5
	s_delay_alu instid0(VALU_DEP_1) | instskip(SKIP_1) | instid1(VALU_DEP_1)
	v_fmac_f64_e32 v[138:139], v[104:105], v[126:127]
	s_wait_dscnt 0x0
	v_fmac_f64_e32 v[138:139], v[106:107], v[128:129]
	ds_load_2addr_b64 v[104:107], v2 offset0:91 offset1:92
	ds_load_2addr_b64 v[124:127], v2 offset0:93 offset1:94
	s_wait_loadcnt 0x4
	v_fmac_f64_e32 v[138:139], v[116:117], v[130:131]
	s_wait_dscnt 0x1
	s_delay_alu instid0(VALU_DEP_1) | instskip(SKIP_1) | instid1(VALU_DEP_1)
	v_fmac_f64_e32 v[138:139], v[118:119], v[104:105]
	s_wait_loadcnt 0x3
	v_fmac_f64_e32 v[138:139], v[108:109], v[106:107]
	s_wait_dscnt 0x0
	s_delay_alu instid0(VALU_DEP_1)
	v_fmac_f64_e32 v[138:139], v[110:111], v[124:125]
	ds_load_2addr_b64 v[104:107], v2 offset0:95 offset1:96
	ds_load_2addr_b64 v[108:111], v2 offset0:97 offset1:98
	s_wait_loadcnt 0x2
	v_fmac_f64_e32 v[138:139], v[120:121], v[126:127]
	s_wait_dscnt 0x1
	s_delay_alu instid0(VALU_DEP_1) | instskip(SKIP_1) | instid1(VALU_DEP_1)
	v_fmac_f64_e32 v[138:139], v[122:123], v[104:105]
	s_wait_loadcnt 0x1
	v_fmac_f64_e32 v[138:139], v[112:113], v[106:107]
	s_wait_dscnt 0x0
	s_delay_alu instid0(VALU_DEP_1) | instskip(SKIP_1) | instid1(VALU_DEP_1)
	v_fmac_f64_e32 v[138:139], v[114:115], v[108:109]
	s_wait_loadcnt 0x0
	v_fmac_f64_e32 v[138:139], v[132:133], v[110:111]
	s_delay_alu instid0(VALU_DEP_1)
	v_add_f64_e64 v[2:3], v[102:103], -v[138:139]
	scratch_store_b64 off, v[2:3], off offset:96
	s_wait_xcnt 0x0
	v_cmpx_lt_u32_e32 11, v0
	s_cbranch_execz .LBB112_281
; %bb.280:
	scratch_load_b64 v[2:3], off, off offset:88
	v_mov_b64_e32 v[102:103], 0
	scratch_store_b64 off, v[102:103], off offset:88
	s_wait_loadcnt 0x0
	ds_store_b64 v1, v[2:3]
.LBB112_281:
	s_wait_xcnt 0x0
	s_or_b32 exec_lo, exec_lo, s0
	s_wait_storecnt_dscnt 0x0
	s_barrier_signal -1
	s_barrier_wait -1
	s_clause 0x5
	scratch_load_b128 v[102:105], off, off offset:88
	scratch_load_b128 v[106:109], off, off offset:104
	;; [unrolled: 1-line block ×6, first 2 shown]
	v_mov_b32_e32 v2, 0
	ds_load_b128 v[126:129], v2 offset:496
	ds_load_b128 v[130:133], v2 offset:512
	scratch_load_b128 v[134:137], off, off offset:184
	s_mov_b32 s0, exec_lo
	s_wait_loadcnt_dscnt 0x601
	v_fma_f64 v[138:139], v[104:105], v[126:127], 0
	s_wait_loadcnt 0x5
	s_delay_alu instid0(VALU_DEP_1) | instskip(SKIP_4) | instid1(VALU_DEP_1)
	v_fmac_f64_e32 v[138:139], v[106:107], v[128:129]
	scratch_load_b128 v[104:107], off, off offset:200
	s_wait_dscnt 0x0
	v_fmac_f64_e32 v[138:139], v[108:109], v[130:131]
	s_wait_loadcnt 0x5
	v_fmac_f64_e32 v[138:139], v[110:111], v[132:133]
	ds_load_b128 v[108:111], v2 offset:528
	ds_load_b128 v[126:129], v2 offset:544
	scratch_load_b128 v[130:133], off, off offset:216
	s_wait_dscnt 0x1
	v_fmac_f64_e32 v[138:139], v[112:113], v[108:109]
	s_wait_loadcnt 0x5
	s_delay_alu instid0(VALU_DEP_1) | instskip(SKIP_4) | instid1(VALU_DEP_1)
	v_fmac_f64_e32 v[138:139], v[114:115], v[110:111]
	scratch_load_b128 v[108:111], off, off offset:232
	s_wait_dscnt 0x0
	v_fmac_f64_e32 v[138:139], v[116:117], v[126:127]
	s_wait_loadcnt 0x5
	v_fmac_f64_e32 v[138:139], v[118:119], v[128:129]
	ds_load_b128 v[112:115], v2 offset:560
	ds_load_b128 v[116:119], v2 offset:576
	scratch_load_b128 v[126:129], off, off offset:248
	s_wait_dscnt 0x1
	v_fmac_f64_e32 v[138:139], v[120:121], v[112:113]
	s_wait_loadcnt 0x5
	s_delay_alu instid0(VALU_DEP_1) | instskip(SKIP_4) | instid1(VALU_DEP_1)
	v_fmac_f64_e32 v[138:139], v[122:123], v[114:115]
	scratch_load_b128 v[112:115], off, off offset:264
	s_wait_dscnt 0x0
	v_fmac_f64_e32 v[138:139], v[124:125], v[116:117]
	s_wait_loadcnt 0x5
	v_fmac_f64_e32 v[138:139], v[134:135], v[118:119]
	ds_load_b128 v[116:119], v2 offset:592
	ds_load_b128 v[120:123], v2 offset:608
	s_wait_dscnt 0x1
	v_fmac_f64_e32 v[138:139], v[136:137], v[116:117]
	scratch_load_b128 v[134:137], off, off offset:280
	s_wait_loadcnt 0x5
	v_fmac_f64_e32 v[138:139], v[104:105], v[118:119]
	s_wait_dscnt 0x0
	s_delay_alu instid0(VALU_DEP_1)
	v_fmac_f64_e32 v[138:139], v[106:107], v[120:121]
	scratch_load_b128 v[104:107], off, off offset:296
	s_wait_loadcnt 0x5
	v_fmac_f64_e32 v[138:139], v[130:131], v[122:123]
	ds_load_b128 v[116:119], v2 offset:624
	ds_load_b128 v[120:123], v2 offset:640
	s_wait_dscnt 0x1
	v_fmac_f64_e32 v[138:139], v[132:133], v[116:117]
	s_wait_loadcnt 0x4
	s_delay_alu instid0(VALU_DEP_1)
	v_fmac_f64_e32 v[138:139], v[108:109], v[118:119]
	scratch_load_b128 v[116:119], off, off offset:312
	s_wait_dscnt 0x0
	v_fmac_f64_e32 v[138:139], v[110:111], v[120:121]
	scratch_load_b128 v[108:111], off, off offset:328
	s_wait_loadcnt 0x5
	v_fmac_f64_e32 v[138:139], v[126:127], v[122:123]
	ds_load_b128 v[120:123], v2 offset:656
	ds_load_b128 v[124:127], v2 offset:672
	s_wait_dscnt 0x1
	v_fmac_f64_e32 v[138:139], v[128:129], v[120:121]
	s_wait_loadcnt 0x4
	s_delay_alu instid0(VALU_DEP_1)
	v_fmac_f64_e32 v[138:139], v[112:113], v[122:123]
	scratch_load_b128 v[120:123], off, off offset:344
	s_wait_dscnt 0x0
	v_fmac_f64_e32 v[138:139], v[114:115], v[124:125]
	scratch_load_b128 v[112:115], off, off offset:360
	s_wait_loadcnt 0x5
	v_fmac_f64_e32 v[138:139], v[134:135], v[126:127]
	ds_load_b128 v[124:127], v2 offset:688
	ds_load_b128 v[128:131], v2 offset:704
	s_wait_dscnt 0x1
	v_fmac_f64_e32 v[138:139], v[136:137], v[124:125]
	s_wait_loadcnt 0x4
	s_delay_alu instid0(VALU_DEP_1) | instskip(SKIP_4) | instid1(VALU_DEP_1)
	v_fmac_f64_e32 v[138:139], v[104:105], v[126:127]
	scratch_load_b128 v[124:127], off, off offset:376
	s_wait_dscnt 0x0
	v_fmac_f64_e32 v[138:139], v[106:107], v[128:129]
	s_wait_loadcnt 0x4
	v_fmac_f64_e32 v[138:139], v[116:117], v[130:131]
	ds_load_b128 v[104:107], v2 offset:720
	ds_load_b128 v[128:131], v2 offset:736
	s_wait_dscnt 0x1
	v_fmac_f64_e32 v[138:139], v[118:119], v[104:105]
	s_wait_loadcnt 0x3
	s_delay_alu instid0(VALU_DEP_1) | instskip(SKIP_1) | instid1(VALU_DEP_1)
	v_fmac_f64_e32 v[138:139], v[108:109], v[106:107]
	s_wait_dscnt 0x0
	v_fmac_f64_e32 v[138:139], v[110:111], v[128:129]
	ds_load_b128 v[104:107], v2 offset:752
	ds_load_b128 v[108:111], v2 offset:768
	s_wait_loadcnt 0x2
	v_fmac_f64_e32 v[138:139], v[120:121], v[130:131]
	s_wait_dscnt 0x1
	s_delay_alu instid0(VALU_DEP_1) | instskip(SKIP_4) | instid1(VALU_DEP_1)
	v_fmac_f64_e32 v[138:139], v[122:123], v[104:105]
	ds_load_b64 v[104:105], v2 offset:784
	s_wait_loadcnt 0x1
	v_fmac_f64_e32 v[138:139], v[112:113], v[106:107]
	s_wait_dscnt 0x1
	v_fmac_f64_e32 v[138:139], v[114:115], v[108:109]
	s_wait_loadcnt 0x0
	s_delay_alu instid0(VALU_DEP_1) | instskip(SKIP_1) | instid1(VALU_DEP_1)
	v_fmac_f64_e32 v[138:139], v[124:125], v[110:111]
	s_wait_dscnt 0x0
	v_fmac_f64_e32 v[138:139], v[126:127], v[104:105]
	s_delay_alu instid0(VALU_DEP_1)
	v_add_f64_e64 v[102:103], v[102:103], -v[138:139]
	scratch_store_b64 off, v[102:103], off offset:88
	s_wait_xcnt 0x0
	v_cmpx_lt_u32_e32 10, v0
	s_cbranch_execz .LBB112_283
; %bb.282:
	scratch_load_b64 v[102:103], off, off offset:80
	v_mov_b64_e32 v[104:105], 0
	scratch_store_b64 off, v[104:105], off offset:80
	s_wait_loadcnt 0x0
	ds_store_b64 v1, v[102:103]
.LBB112_283:
	s_wait_xcnt 0x0
	s_or_b32 exec_lo, exec_lo, s0
	s_wait_storecnt_dscnt 0x0
	s_barrier_signal -1
	s_barrier_wait -1
	s_clause 0x5
	scratch_load_b128 v[102:105], off, off offset:80
	scratch_load_b128 v[106:109], off, off offset:96
	;; [unrolled: 1-line block ×6, first 2 shown]
	ds_load_2addr_b64 v[126:129], v2 offset0:61 offset1:62
	ds_load_2addr_b64 v[130:133], v2 offset0:63 offset1:64
	scratch_load_b128 v[134:137], off, off offset:176
	s_mov_b32 s0, exec_lo
	s_wait_loadcnt_dscnt 0x601
	v_fma_f64 v[138:139], v[104:105], v[126:127], 0
	s_wait_loadcnt 0x5
	s_delay_alu instid0(VALU_DEP_1) | instskip(SKIP_4) | instid1(VALU_DEP_1)
	v_fmac_f64_e32 v[138:139], v[106:107], v[128:129]
	scratch_load_b128 v[104:107], off, off offset:192
	s_wait_dscnt 0x0
	v_fmac_f64_e32 v[138:139], v[108:109], v[130:131]
	s_wait_loadcnt 0x5
	v_fmac_f64_e32 v[138:139], v[110:111], v[132:133]
	ds_load_2addr_b64 v[108:111], v2 offset0:65 offset1:66
	ds_load_2addr_b64 v[126:129], v2 offset0:67 offset1:68
	scratch_load_b128 v[130:133], off, off offset:208
	s_wait_dscnt 0x1
	v_fmac_f64_e32 v[138:139], v[112:113], v[108:109]
	s_wait_loadcnt 0x5
	s_delay_alu instid0(VALU_DEP_1) | instskip(SKIP_4) | instid1(VALU_DEP_1)
	v_fmac_f64_e32 v[138:139], v[114:115], v[110:111]
	scratch_load_b128 v[108:111], off, off offset:224
	s_wait_dscnt 0x0
	v_fmac_f64_e32 v[138:139], v[116:117], v[126:127]
	s_wait_loadcnt 0x5
	v_fmac_f64_e32 v[138:139], v[118:119], v[128:129]
	ds_load_2addr_b64 v[112:115], v2 offset0:69 offset1:70
	ds_load_2addr_b64 v[116:119], v2 offset0:71 offset1:72
	scratch_load_b128 v[126:129], off, off offset:240
	s_wait_dscnt 0x1
	v_fmac_f64_e32 v[138:139], v[120:121], v[112:113]
	s_wait_loadcnt 0x5
	s_delay_alu instid0(VALU_DEP_1) | instskip(SKIP_4) | instid1(VALU_DEP_1)
	v_fmac_f64_e32 v[138:139], v[122:123], v[114:115]
	scratch_load_b128 v[112:115], off, off offset:256
	s_wait_dscnt 0x0
	v_fmac_f64_e32 v[138:139], v[124:125], v[116:117]
	s_wait_loadcnt 0x5
	v_fmac_f64_e32 v[138:139], v[134:135], v[118:119]
	ds_load_2addr_b64 v[116:119], v2 offset0:73 offset1:74
	ds_load_2addr_b64 v[120:123], v2 offset0:75 offset1:76
	s_wait_dscnt 0x1
	v_fmac_f64_e32 v[138:139], v[136:137], v[116:117]
	scratch_load_b128 v[134:137], off, off offset:272
	s_wait_loadcnt 0x5
	v_fmac_f64_e32 v[138:139], v[104:105], v[118:119]
	s_wait_dscnt 0x0
	s_delay_alu instid0(VALU_DEP_1)
	v_fmac_f64_e32 v[138:139], v[106:107], v[120:121]
	scratch_load_b128 v[104:107], off, off offset:288
	s_wait_loadcnt 0x5
	v_fmac_f64_e32 v[138:139], v[130:131], v[122:123]
	ds_load_2addr_b64 v[116:119], v2 offset0:77 offset1:78
	ds_load_2addr_b64 v[120:123], v2 offset0:79 offset1:80
	s_wait_dscnt 0x1
	v_fmac_f64_e32 v[138:139], v[132:133], v[116:117]
	scratch_load_b128 v[130:133], off, off offset:304
	s_wait_loadcnt 0x5
	v_fmac_f64_e32 v[138:139], v[108:109], v[118:119]
	s_wait_dscnt 0x0
	s_delay_alu instid0(VALU_DEP_1)
	v_fmac_f64_e32 v[138:139], v[110:111], v[120:121]
	scratch_load_b128 v[108:111], off, off offset:320
	s_wait_loadcnt 0x5
	v_fmac_f64_e32 v[138:139], v[126:127], v[122:123]
	ds_load_2addr_b64 v[116:119], v2 offset0:81 offset1:82
	ds_load_2addr_b64 v[120:123], v2 offset0:83 offset1:84
	s_wait_dscnt 0x1
	v_fmac_f64_e32 v[138:139], v[128:129], v[116:117]
	s_wait_loadcnt 0x4
	s_delay_alu instid0(VALU_DEP_1)
	v_fmac_f64_e32 v[138:139], v[112:113], v[118:119]
	scratch_load_b128 v[116:119], off, off offset:336
	s_wait_dscnt 0x0
	v_fmac_f64_e32 v[138:139], v[114:115], v[120:121]
	scratch_load_b128 v[112:115], off, off offset:352
	s_wait_loadcnt 0x5
	v_fmac_f64_e32 v[138:139], v[134:135], v[122:123]
	ds_load_2addr_b64 v[120:123], v2 offset0:85 offset1:86
	ds_load_2addr_b64 v[124:127], v2 offset0:87 offset1:88
	scratch_load_b64 v[128:129], off, off offset:384
	s_wait_dscnt 0x1
	v_fmac_f64_e32 v[138:139], v[136:137], v[120:121]
	s_wait_loadcnt 0x5
	s_delay_alu instid0(VALU_DEP_1) | instskip(SKIP_4) | instid1(VALU_DEP_1)
	v_fmac_f64_e32 v[138:139], v[104:105], v[122:123]
	scratch_load_b128 v[120:123], off, off offset:368
	s_wait_dscnt 0x0
	v_fmac_f64_e32 v[138:139], v[106:107], v[124:125]
	s_wait_loadcnt 0x5
	v_fmac_f64_e32 v[138:139], v[130:131], v[126:127]
	ds_load_2addr_b64 v[104:107], v2 offset0:89 offset1:90
	ds_load_2addr_b64 v[124:127], v2 offset0:91 offset1:92
	s_wait_dscnt 0x1
	v_fmac_f64_e32 v[138:139], v[132:133], v[104:105]
	s_wait_loadcnt 0x4
	s_delay_alu instid0(VALU_DEP_1) | instskip(SKIP_1) | instid1(VALU_DEP_1)
	v_fmac_f64_e32 v[138:139], v[108:109], v[106:107]
	s_wait_dscnt 0x0
	v_fmac_f64_e32 v[138:139], v[110:111], v[124:125]
	ds_load_2addr_b64 v[104:107], v2 offset0:93 offset1:94
	ds_load_2addr_b64 v[108:111], v2 offset0:95 offset1:96
	s_wait_loadcnt 0x3
	v_fmac_f64_e32 v[138:139], v[116:117], v[126:127]
	s_wait_dscnt 0x1
	s_delay_alu instid0(VALU_DEP_1) | instskip(SKIP_1) | instid1(VALU_DEP_1)
	v_fmac_f64_e32 v[138:139], v[118:119], v[104:105]
	s_wait_loadcnt 0x2
	v_fmac_f64_e32 v[138:139], v[112:113], v[106:107]
	ds_load_2addr_b64 v[104:107], v2 offset0:97 offset1:98
	s_wait_dscnt 0x1
	v_fmac_f64_e32 v[138:139], v[114:115], v[108:109]
	s_wait_loadcnt 0x0
	s_delay_alu instid0(VALU_DEP_1) | instskip(SKIP_1) | instid1(VALU_DEP_1)
	v_fmac_f64_e32 v[138:139], v[120:121], v[110:111]
	s_wait_dscnt 0x0
	v_fmac_f64_e32 v[138:139], v[122:123], v[104:105]
	s_delay_alu instid0(VALU_DEP_1) | instskip(NEXT) | instid1(VALU_DEP_1)
	v_fmac_f64_e32 v[138:139], v[128:129], v[106:107]
	v_add_f64_e64 v[2:3], v[102:103], -v[138:139]
	scratch_store_b64 off, v[2:3], off offset:80
	s_wait_xcnt 0x0
	v_cmpx_lt_u32_e32 9, v0
	s_cbranch_execz .LBB112_285
; %bb.284:
	scratch_load_b64 v[2:3], off, off offset:72
	v_mov_b64_e32 v[102:103], 0
	scratch_store_b64 off, v[102:103], off offset:72
	s_wait_loadcnt 0x0
	ds_store_b64 v1, v[2:3]
.LBB112_285:
	s_wait_xcnt 0x0
	s_or_b32 exec_lo, exec_lo, s0
	s_wait_storecnt_dscnt 0x0
	s_barrier_signal -1
	s_barrier_wait -1
	s_clause 0x5
	scratch_load_b128 v[102:105], off, off offset:72
	scratch_load_b128 v[106:109], off, off offset:88
	;; [unrolled: 1-line block ×6, first 2 shown]
	v_mov_b32_e32 v2, 0
	ds_load_b128 v[126:129], v2 offset:480
	ds_load_b128 v[130:133], v2 offset:496
	scratch_load_b128 v[134:137], off, off offset:168
	s_mov_b32 s0, exec_lo
	s_wait_loadcnt_dscnt 0x601
	v_fma_f64 v[138:139], v[104:105], v[126:127], 0
	s_wait_loadcnt 0x5
	s_delay_alu instid0(VALU_DEP_1) | instskip(SKIP_4) | instid1(VALU_DEP_1)
	v_fmac_f64_e32 v[138:139], v[106:107], v[128:129]
	scratch_load_b128 v[104:107], off, off offset:184
	s_wait_dscnt 0x0
	v_fmac_f64_e32 v[138:139], v[108:109], v[130:131]
	s_wait_loadcnt 0x5
	v_fmac_f64_e32 v[138:139], v[110:111], v[132:133]
	ds_load_b128 v[108:111], v2 offset:512
	ds_load_b128 v[126:129], v2 offset:528
	scratch_load_b128 v[130:133], off, off offset:200
	s_wait_dscnt 0x1
	v_fmac_f64_e32 v[138:139], v[112:113], v[108:109]
	s_wait_loadcnt 0x5
	s_delay_alu instid0(VALU_DEP_1) | instskip(SKIP_4) | instid1(VALU_DEP_1)
	v_fmac_f64_e32 v[138:139], v[114:115], v[110:111]
	scratch_load_b128 v[108:111], off, off offset:216
	s_wait_dscnt 0x0
	v_fmac_f64_e32 v[138:139], v[116:117], v[126:127]
	s_wait_loadcnt 0x5
	v_fmac_f64_e32 v[138:139], v[118:119], v[128:129]
	ds_load_b128 v[112:115], v2 offset:544
	ds_load_b128 v[116:119], v2 offset:560
	scratch_load_b128 v[126:129], off, off offset:232
	s_wait_dscnt 0x1
	v_fmac_f64_e32 v[138:139], v[120:121], v[112:113]
	s_wait_loadcnt 0x5
	s_delay_alu instid0(VALU_DEP_1) | instskip(SKIP_4) | instid1(VALU_DEP_1)
	v_fmac_f64_e32 v[138:139], v[122:123], v[114:115]
	scratch_load_b128 v[112:115], off, off offset:248
	s_wait_dscnt 0x0
	v_fmac_f64_e32 v[138:139], v[124:125], v[116:117]
	s_wait_loadcnt 0x5
	v_fmac_f64_e32 v[138:139], v[134:135], v[118:119]
	ds_load_b128 v[116:119], v2 offset:576
	ds_load_b128 v[120:123], v2 offset:592
	s_wait_dscnt 0x1
	v_fmac_f64_e32 v[138:139], v[136:137], v[116:117]
	scratch_load_b128 v[134:137], off, off offset:264
	s_wait_loadcnt 0x5
	v_fmac_f64_e32 v[138:139], v[104:105], v[118:119]
	s_wait_dscnt 0x0
	s_delay_alu instid0(VALU_DEP_1)
	v_fmac_f64_e32 v[138:139], v[106:107], v[120:121]
	scratch_load_b128 v[104:107], off, off offset:280
	s_wait_loadcnt 0x5
	v_fmac_f64_e32 v[138:139], v[130:131], v[122:123]
	ds_load_b128 v[116:119], v2 offset:608
	ds_load_b128 v[120:123], v2 offset:624
	s_wait_dscnt 0x1
	v_fmac_f64_e32 v[138:139], v[132:133], v[116:117]
	scratch_load_b128 v[130:133], off, off offset:296
	s_wait_loadcnt 0x5
	v_fmac_f64_e32 v[138:139], v[108:109], v[118:119]
	s_wait_dscnt 0x0
	s_delay_alu instid0(VALU_DEP_1)
	v_fmac_f64_e32 v[138:139], v[110:111], v[120:121]
	scratch_load_b128 v[108:111], off, off offset:312
	s_wait_loadcnt 0x5
	v_fmac_f64_e32 v[138:139], v[126:127], v[122:123]
	ds_load_b128 v[116:119], v2 offset:640
	ds_load_b128 v[120:123], v2 offset:656
	s_wait_dscnt 0x1
	v_fmac_f64_e32 v[138:139], v[128:129], v[116:117]
	s_wait_loadcnt 0x4
	s_delay_alu instid0(VALU_DEP_1)
	v_fmac_f64_e32 v[138:139], v[112:113], v[118:119]
	scratch_load_b128 v[116:119], off, off offset:328
	s_wait_dscnt 0x0
	v_fmac_f64_e32 v[138:139], v[114:115], v[120:121]
	scratch_load_b128 v[112:115], off, off offset:344
	s_wait_loadcnt 0x5
	v_fmac_f64_e32 v[138:139], v[134:135], v[122:123]
	ds_load_b128 v[120:123], v2 offset:672
	ds_load_b128 v[124:127], v2 offset:688
	s_wait_dscnt 0x1
	v_fmac_f64_e32 v[138:139], v[136:137], v[120:121]
	s_wait_loadcnt 0x4
	s_delay_alu instid0(VALU_DEP_1)
	v_fmac_f64_e32 v[138:139], v[104:105], v[122:123]
	scratch_load_b128 v[120:123], off, off offset:360
	s_wait_dscnt 0x0
	v_fmac_f64_e32 v[138:139], v[106:107], v[124:125]
	scratch_load_b128 v[104:107], off, off offset:376
	s_wait_loadcnt 0x5
	v_fmac_f64_e32 v[138:139], v[130:131], v[126:127]
	ds_load_b128 v[124:127], v2 offset:704
	ds_load_b128 v[128:131], v2 offset:720
	s_wait_dscnt 0x1
	v_fmac_f64_e32 v[138:139], v[132:133], v[124:125]
	s_wait_loadcnt 0x4
	s_delay_alu instid0(VALU_DEP_1) | instskip(SKIP_1) | instid1(VALU_DEP_1)
	v_fmac_f64_e32 v[138:139], v[108:109], v[126:127]
	s_wait_dscnt 0x0
	v_fmac_f64_e32 v[138:139], v[110:111], v[128:129]
	ds_load_b128 v[108:111], v2 offset:736
	ds_load_b128 v[124:127], v2 offset:752
	s_wait_loadcnt 0x3
	v_fmac_f64_e32 v[138:139], v[116:117], v[130:131]
	s_wait_dscnt 0x1
	s_delay_alu instid0(VALU_DEP_1) | instskip(SKIP_1) | instid1(VALU_DEP_1)
	v_fmac_f64_e32 v[138:139], v[118:119], v[108:109]
	s_wait_loadcnt 0x2
	v_fmac_f64_e32 v[138:139], v[112:113], v[110:111]
	ds_load_b128 v[108:111], v2 offset:768
	ds_load_b64 v[112:113], v2 offset:784
	s_wait_dscnt 0x2
	v_fmac_f64_e32 v[138:139], v[114:115], v[124:125]
	s_wait_loadcnt 0x1
	s_delay_alu instid0(VALU_DEP_1) | instskip(SKIP_1) | instid1(VALU_DEP_1)
	v_fmac_f64_e32 v[138:139], v[120:121], v[126:127]
	s_wait_dscnt 0x1
	v_fmac_f64_e32 v[138:139], v[122:123], v[108:109]
	s_wait_loadcnt 0x0
	s_delay_alu instid0(VALU_DEP_1) | instskip(SKIP_1) | instid1(VALU_DEP_1)
	v_fmac_f64_e32 v[138:139], v[104:105], v[110:111]
	s_wait_dscnt 0x0
	v_fmac_f64_e32 v[138:139], v[106:107], v[112:113]
	s_delay_alu instid0(VALU_DEP_1)
	v_add_f64_e64 v[102:103], v[102:103], -v[138:139]
	scratch_store_b64 off, v[102:103], off offset:72
	s_wait_xcnt 0x0
	v_cmpx_lt_u32_e32 8, v0
	s_cbranch_execz .LBB112_287
; %bb.286:
	scratch_load_b64 v[102:103], off, off offset:64
	v_mov_b64_e32 v[104:105], 0
	scratch_store_b64 off, v[104:105], off offset:64
	s_wait_loadcnt 0x0
	ds_store_b64 v1, v[102:103]
.LBB112_287:
	s_wait_xcnt 0x0
	s_or_b32 exec_lo, exec_lo, s0
	s_wait_storecnt_dscnt 0x0
	s_barrier_signal -1
	s_barrier_wait -1
	s_clause 0x5
	scratch_load_b128 v[102:105], off, off offset:64
	scratch_load_b128 v[106:109], off, off offset:80
	scratch_load_b128 v[110:113], off, off offset:96
	scratch_load_b128 v[114:117], off, off offset:112
	scratch_load_b128 v[118:121], off, off offset:128
	scratch_load_b128 v[122:125], off, off offset:144
	ds_load_2addr_b64 v[126:129], v2 offset0:59 offset1:60
	ds_load_2addr_b64 v[130:133], v2 offset0:61 offset1:62
	scratch_load_b128 v[134:137], off, off offset:160
	s_mov_b32 s0, exec_lo
	s_wait_loadcnt_dscnt 0x601
	v_fma_f64 v[138:139], v[104:105], v[126:127], 0
	s_wait_loadcnt 0x5
	s_delay_alu instid0(VALU_DEP_1) | instskip(SKIP_4) | instid1(VALU_DEP_1)
	v_fmac_f64_e32 v[138:139], v[106:107], v[128:129]
	scratch_load_b128 v[104:107], off, off offset:176
	s_wait_dscnt 0x0
	v_fmac_f64_e32 v[138:139], v[108:109], v[130:131]
	s_wait_loadcnt 0x5
	v_fmac_f64_e32 v[138:139], v[110:111], v[132:133]
	ds_load_2addr_b64 v[108:111], v2 offset0:63 offset1:64
	ds_load_2addr_b64 v[126:129], v2 offset0:65 offset1:66
	scratch_load_b128 v[130:133], off, off offset:192
	s_wait_dscnt 0x1
	v_fmac_f64_e32 v[138:139], v[112:113], v[108:109]
	s_wait_loadcnt 0x5
	s_delay_alu instid0(VALU_DEP_1) | instskip(SKIP_4) | instid1(VALU_DEP_1)
	v_fmac_f64_e32 v[138:139], v[114:115], v[110:111]
	scratch_load_b128 v[108:111], off, off offset:208
	s_wait_dscnt 0x0
	v_fmac_f64_e32 v[138:139], v[116:117], v[126:127]
	s_wait_loadcnt 0x5
	v_fmac_f64_e32 v[138:139], v[118:119], v[128:129]
	ds_load_2addr_b64 v[112:115], v2 offset0:67 offset1:68
	ds_load_2addr_b64 v[116:119], v2 offset0:69 offset1:70
	scratch_load_b128 v[126:129], off, off offset:224
	s_wait_dscnt 0x1
	v_fmac_f64_e32 v[138:139], v[120:121], v[112:113]
	s_wait_loadcnt 0x5
	s_delay_alu instid0(VALU_DEP_1) | instskip(SKIP_4) | instid1(VALU_DEP_1)
	v_fmac_f64_e32 v[138:139], v[122:123], v[114:115]
	scratch_load_b128 v[112:115], off, off offset:240
	s_wait_dscnt 0x0
	v_fmac_f64_e32 v[138:139], v[124:125], v[116:117]
	s_wait_loadcnt 0x5
	v_fmac_f64_e32 v[138:139], v[134:135], v[118:119]
	ds_load_2addr_b64 v[116:119], v2 offset0:71 offset1:72
	ds_load_2addr_b64 v[120:123], v2 offset0:73 offset1:74
	s_wait_dscnt 0x1
	v_fmac_f64_e32 v[138:139], v[136:137], v[116:117]
	scratch_load_b128 v[134:137], off, off offset:256
	s_wait_loadcnt 0x5
	v_fmac_f64_e32 v[138:139], v[104:105], v[118:119]
	s_wait_dscnt 0x0
	s_delay_alu instid0(VALU_DEP_1)
	v_fmac_f64_e32 v[138:139], v[106:107], v[120:121]
	scratch_load_b128 v[104:107], off, off offset:272
	s_wait_loadcnt 0x5
	v_fmac_f64_e32 v[138:139], v[130:131], v[122:123]
	ds_load_2addr_b64 v[116:119], v2 offset0:75 offset1:76
	ds_load_2addr_b64 v[120:123], v2 offset0:77 offset1:78
	s_wait_dscnt 0x1
	v_fmac_f64_e32 v[138:139], v[132:133], v[116:117]
	scratch_load_b128 v[130:133], off, off offset:288
	s_wait_loadcnt 0x5
	v_fmac_f64_e32 v[138:139], v[108:109], v[118:119]
	s_wait_dscnt 0x0
	s_delay_alu instid0(VALU_DEP_1)
	v_fmac_f64_e32 v[138:139], v[110:111], v[120:121]
	scratch_load_b128 v[108:111], off, off offset:304
	s_wait_loadcnt 0x5
	v_fmac_f64_e32 v[138:139], v[126:127], v[122:123]
	ds_load_2addr_b64 v[116:119], v2 offset0:79 offset1:80
	ds_load_2addr_b64 v[120:123], v2 offset0:81 offset1:82
	s_wait_dscnt 0x1
	v_fmac_f64_e32 v[138:139], v[128:129], v[116:117]
	s_wait_loadcnt 0x4
	s_delay_alu instid0(VALU_DEP_1)
	v_fmac_f64_e32 v[138:139], v[112:113], v[118:119]
	scratch_load_b128 v[116:119], off, off offset:320
	s_wait_dscnt 0x0
	v_fmac_f64_e32 v[138:139], v[114:115], v[120:121]
	scratch_load_b128 v[112:115], off, off offset:336
	s_wait_loadcnt 0x5
	v_fmac_f64_e32 v[138:139], v[134:135], v[122:123]
	ds_load_2addr_b64 v[120:123], v2 offset0:83 offset1:84
	ds_load_2addr_b64 v[124:127], v2 offset0:85 offset1:86
	s_wait_dscnt 0x1
	v_fmac_f64_e32 v[138:139], v[136:137], v[120:121]
	s_wait_loadcnt 0x4
	s_delay_alu instid0(VALU_DEP_1)
	v_fmac_f64_e32 v[138:139], v[104:105], v[122:123]
	scratch_load_b128 v[120:123], off, off offset:352
	s_wait_dscnt 0x0
	v_fmac_f64_e32 v[138:139], v[106:107], v[124:125]
	scratch_load_b128 v[104:107], off, off offset:368
	s_wait_loadcnt 0x5
	v_fmac_f64_e32 v[138:139], v[130:131], v[126:127]
	ds_load_2addr_b64 v[124:127], v2 offset0:87 offset1:88
	ds_load_2addr_b64 v[128:131], v2 offset0:89 offset1:90
	s_wait_dscnt 0x1
	v_fmac_f64_e32 v[138:139], v[132:133], v[124:125]
	scratch_load_b64 v[132:133], off, off offset:384
	s_wait_loadcnt 0x5
	v_fmac_f64_e32 v[138:139], v[108:109], v[126:127]
	s_wait_dscnt 0x0
	s_delay_alu instid0(VALU_DEP_1)
	v_fmac_f64_e32 v[138:139], v[110:111], v[128:129]
	ds_load_2addr_b64 v[108:111], v2 offset0:91 offset1:92
	ds_load_2addr_b64 v[124:127], v2 offset0:93 offset1:94
	s_wait_loadcnt 0x4
	v_fmac_f64_e32 v[138:139], v[116:117], v[130:131]
	s_wait_dscnt 0x1
	s_delay_alu instid0(VALU_DEP_1) | instskip(SKIP_1) | instid1(VALU_DEP_1)
	v_fmac_f64_e32 v[138:139], v[118:119], v[108:109]
	s_wait_loadcnt 0x3
	v_fmac_f64_e32 v[138:139], v[112:113], v[110:111]
	s_wait_dscnt 0x0
	s_delay_alu instid0(VALU_DEP_1)
	v_fmac_f64_e32 v[138:139], v[114:115], v[124:125]
	ds_load_2addr_b64 v[108:111], v2 offset0:95 offset1:96
	ds_load_2addr_b64 v[112:115], v2 offset0:97 offset1:98
	s_wait_loadcnt 0x2
	v_fmac_f64_e32 v[138:139], v[120:121], v[126:127]
	s_wait_dscnt 0x1
	s_delay_alu instid0(VALU_DEP_1) | instskip(SKIP_1) | instid1(VALU_DEP_1)
	v_fmac_f64_e32 v[138:139], v[122:123], v[108:109]
	s_wait_loadcnt 0x1
	v_fmac_f64_e32 v[138:139], v[104:105], v[110:111]
	s_wait_dscnt 0x0
	s_delay_alu instid0(VALU_DEP_1) | instskip(SKIP_1) | instid1(VALU_DEP_1)
	v_fmac_f64_e32 v[138:139], v[106:107], v[112:113]
	s_wait_loadcnt 0x0
	v_fmac_f64_e32 v[138:139], v[132:133], v[114:115]
	s_delay_alu instid0(VALU_DEP_1)
	v_add_f64_e64 v[2:3], v[102:103], -v[138:139]
	scratch_store_b64 off, v[2:3], off offset:64
	s_wait_xcnt 0x0
	v_cmpx_lt_u32_e32 7, v0
	s_cbranch_execz .LBB112_289
; %bb.288:
	scratch_load_b64 v[2:3], off, off offset:56
	v_mov_b64_e32 v[102:103], 0
	scratch_store_b64 off, v[102:103], off offset:56
	s_wait_loadcnt 0x0
	ds_store_b64 v1, v[2:3]
.LBB112_289:
	s_wait_xcnt 0x0
	s_or_b32 exec_lo, exec_lo, s0
	s_wait_storecnt_dscnt 0x0
	s_barrier_signal -1
	s_barrier_wait -1
	s_clause 0x5
	scratch_load_b128 v[102:105], off, off offset:56
	scratch_load_b128 v[106:109], off, off offset:72
	;; [unrolled: 1-line block ×6, first 2 shown]
	v_mov_b32_e32 v2, 0
	ds_load_b128 v[126:129], v2 offset:464
	ds_load_b128 v[130:133], v2 offset:480
	scratch_load_b128 v[134:137], off, off offset:152
	s_mov_b32 s0, exec_lo
	s_wait_loadcnt_dscnt 0x601
	v_fma_f64 v[138:139], v[104:105], v[126:127], 0
	s_wait_loadcnt 0x5
	s_delay_alu instid0(VALU_DEP_1) | instskip(SKIP_4) | instid1(VALU_DEP_1)
	v_fmac_f64_e32 v[138:139], v[106:107], v[128:129]
	scratch_load_b128 v[104:107], off, off offset:168
	s_wait_dscnt 0x0
	v_fmac_f64_e32 v[138:139], v[108:109], v[130:131]
	s_wait_loadcnt 0x5
	v_fmac_f64_e32 v[138:139], v[110:111], v[132:133]
	ds_load_b128 v[108:111], v2 offset:496
	ds_load_b128 v[126:129], v2 offset:512
	scratch_load_b128 v[130:133], off, off offset:184
	s_wait_dscnt 0x1
	v_fmac_f64_e32 v[138:139], v[112:113], v[108:109]
	s_wait_loadcnt 0x5
	s_delay_alu instid0(VALU_DEP_1) | instskip(SKIP_4) | instid1(VALU_DEP_1)
	v_fmac_f64_e32 v[138:139], v[114:115], v[110:111]
	scratch_load_b128 v[108:111], off, off offset:200
	s_wait_dscnt 0x0
	v_fmac_f64_e32 v[138:139], v[116:117], v[126:127]
	s_wait_loadcnt 0x5
	v_fmac_f64_e32 v[138:139], v[118:119], v[128:129]
	ds_load_b128 v[112:115], v2 offset:528
	ds_load_b128 v[116:119], v2 offset:544
	scratch_load_b128 v[126:129], off, off offset:216
	s_wait_dscnt 0x1
	v_fmac_f64_e32 v[138:139], v[120:121], v[112:113]
	s_wait_loadcnt 0x5
	s_delay_alu instid0(VALU_DEP_1) | instskip(SKIP_4) | instid1(VALU_DEP_1)
	v_fmac_f64_e32 v[138:139], v[122:123], v[114:115]
	scratch_load_b128 v[112:115], off, off offset:232
	s_wait_dscnt 0x0
	v_fmac_f64_e32 v[138:139], v[124:125], v[116:117]
	s_wait_loadcnt 0x5
	v_fmac_f64_e32 v[138:139], v[134:135], v[118:119]
	ds_load_b128 v[116:119], v2 offset:560
	ds_load_b128 v[120:123], v2 offset:576
	s_wait_dscnt 0x1
	v_fmac_f64_e32 v[138:139], v[136:137], v[116:117]
	scratch_load_b128 v[134:137], off, off offset:248
	s_wait_loadcnt 0x5
	v_fmac_f64_e32 v[138:139], v[104:105], v[118:119]
	s_wait_dscnt 0x0
	s_delay_alu instid0(VALU_DEP_1)
	v_fmac_f64_e32 v[138:139], v[106:107], v[120:121]
	scratch_load_b128 v[104:107], off, off offset:264
	s_wait_loadcnt 0x5
	v_fmac_f64_e32 v[138:139], v[130:131], v[122:123]
	ds_load_b128 v[116:119], v2 offset:592
	ds_load_b128 v[120:123], v2 offset:608
	s_wait_dscnt 0x1
	v_fmac_f64_e32 v[138:139], v[132:133], v[116:117]
	scratch_load_b128 v[130:133], off, off offset:280
	s_wait_loadcnt 0x5
	v_fmac_f64_e32 v[138:139], v[108:109], v[118:119]
	s_wait_dscnt 0x0
	s_delay_alu instid0(VALU_DEP_1)
	v_fmac_f64_e32 v[138:139], v[110:111], v[120:121]
	scratch_load_b128 v[108:111], off, off offset:296
	s_wait_loadcnt 0x5
	v_fmac_f64_e32 v[138:139], v[126:127], v[122:123]
	ds_load_b128 v[116:119], v2 offset:624
	ds_load_b128 v[120:123], v2 offset:640
	s_wait_dscnt 0x1
	v_fmac_f64_e32 v[138:139], v[128:129], v[116:117]
	s_wait_loadcnt 0x4
	s_delay_alu instid0(VALU_DEP_1)
	v_fmac_f64_e32 v[138:139], v[112:113], v[118:119]
	scratch_load_b128 v[116:119], off, off offset:312
	s_wait_dscnt 0x0
	v_fmac_f64_e32 v[138:139], v[114:115], v[120:121]
	scratch_load_b128 v[112:115], off, off offset:328
	s_wait_loadcnt 0x5
	v_fmac_f64_e32 v[138:139], v[134:135], v[122:123]
	ds_load_b128 v[120:123], v2 offset:656
	ds_load_b128 v[124:127], v2 offset:672
	s_wait_dscnt 0x1
	v_fmac_f64_e32 v[138:139], v[136:137], v[120:121]
	s_wait_loadcnt 0x4
	s_delay_alu instid0(VALU_DEP_1)
	v_fmac_f64_e32 v[138:139], v[104:105], v[122:123]
	scratch_load_b128 v[120:123], off, off offset:344
	s_wait_dscnt 0x0
	v_fmac_f64_e32 v[138:139], v[106:107], v[124:125]
	scratch_load_b128 v[104:107], off, off offset:360
	s_wait_loadcnt 0x5
	v_fmac_f64_e32 v[138:139], v[130:131], v[126:127]
	ds_load_b128 v[124:127], v2 offset:688
	ds_load_b128 v[128:131], v2 offset:704
	s_wait_dscnt 0x1
	v_fmac_f64_e32 v[138:139], v[132:133], v[124:125]
	s_wait_loadcnt 0x4
	s_delay_alu instid0(VALU_DEP_1) | instskip(SKIP_4) | instid1(VALU_DEP_1)
	v_fmac_f64_e32 v[138:139], v[108:109], v[126:127]
	scratch_load_b128 v[124:127], off, off offset:376
	s_wait_dscnt 0x0
	v_fmac_f64_e32 v[138:139], v[110:111], v[128:129]
	s_wait_loadcnt 0x4
	v_fmac_f64_e32 v[138:139], v[116:117], v[130:131]
	ds_load_b128 v[108:111], v2 offset:720
	ds_load_b128 v[128:131], v2 offset:736
	s_wait_dscnt 0x1
	v_fmac_f64_e32 v[138:139], v[118:119], v[108:109]
	s_wait_loadcnt 0x3
	s_delay_alu instid0(VALU_DEP_1) | instskip(SKIP_1) | instid1(VALU_DEP_1)
	v_fmac_f64_e32 v[138:139], v[112:113], v[110:111]
	s_wait_dscnt 0x0
	v_fmac_f64_e32 v[138:139], v[114:115], v[128:129]
	ds_load_b128 v[108:111], v2 offset:752
	ds_load_b128 v[112:115], v2 offset:768
	s_wait_loadcnt 0x2
	v_fmac_f64_e32 v[138:139], v[120:121], v[130:131]
	s_wait_dscnt 0x1
	s_delay_alu instid0(VALU_DEP_1) | instskip(SKIP_1) | instid1(VALU_DEP_1)
	v_fmac_f64_e32 v[138:139], v[122:123], v[108:109]
	s_wait_loadcnt 0x1
	v_fmac_f64_e32 v[138:139], v[104:105], v[110:111]
	ds_load_b64 v[104:105], v2 offset:784
	s_wait_dscnt 0x1
	v_fmac_f64_e32 v[138:139], v[106:107], v[112:113]
	s_wait_loadcnt 0x0
	s_delay_alu instid0(VALU_DEP_1) | instskip(SKIP_1) | instid1(VALU_DEP_1)
	v_fmac_f64_e32 v[138:139], v[124:125], v[114:115]
	s_wait_dscnt 0x0
	v_fmac_f64_e32 v[138:139], v[126:127], v[104:105]
	s_delay_alu instid0(VALU_DEP_1)
	v_add_f64_e64 v[102:103], v[102:103], -v[138:139]
	scratch_store_b64 off, v[102:103], off offset:56
	s_wait_xcnt 0x0
	v_cmpx_lt_u32_e32 6, v0
	s_cbranch_execz .LBB112_291
; %bb.290:
	scratch_load_b64 v[102:103], off, off offset:48
	v_mov_b64_e32 v[104:105], 0
	scratch_store_b64 off, v[104:105], off offset:48
	s_wait_loadcnt 0x0
	ds_store_b64 v1, v[102:103]
.LBB112_291:
	s_wait_xcnt 0x0
	s_or_b32 exec_lo, exec_lo, s0
	s_wait_storecnt_dscnt 0x0
	s_barrier_signal -1
	s_barrier_wait -1
	s_clause 0x5
	scratch_load_b128 v[102:105], off, off offset:48
	scratch_load_b128 v[106:109], off, off offset:64
	;; [unrolled: 1-line block ×6, first 2 shown]
	ds_load_2addr_b64 v[126:129], v2 offset0:57 offset1:58
	ds_load_2addr_b64 v[130:133], v2 offset0:59 offset1:60
	scratch_load_b128 v[134:137], off, off offset:144
	s_mov_b32 s0, exec_lo
	s_wait_loadcnt_dscnt 0x601
	v_fma_f64 v[138:139], v[104:105], v[126:127], 0
	s_wait_loadcnt 0x5
	s_delay_alu instid0(VALU_DEP_1) | instskip(SKIP_4) | instid1(VALU_DEP_1)
	v_fmac_f64_e32 v[138:139], v[106:107], v[128:129]
	scratch_load_b128 v[104:107], off, off offset:160
	s_wait_dscnt 0x0
	v_fmac_f64_e32 v[138:139], v[108:109], v[130:131]
	s_wait_loadcnt 0x5
	v_fmac_f64_e32 v[138:139], v[110:111], v[132:133]
	ds_load_2addr_b64 v[108:111], v2 offset0:61 offset1:62
	ds_load_2addr_b64 v[126:129], v2 offset0:63 offset1:64
	scratch_load_b128 v[130:133], off, off offset:176
	s_wait_dscnt 0x1
	v_fmac_f64_e32 v[138:139], v[112:113], v[108:109]
	s_wait_loadcnt 0x5
	s_delay_alu instid0(VALU_DEP_1) | instskip(SKIP_4) | instid1(VALU_DEP_1)
	v_fmac_f64_e32 v[138:139], v[114:115], v[110:111]
	scratch_load_b128 v[108:111], off, off offset:192
	s_wait_dscnt 0x0
	v_fmac_f64_e32 v[138:139], v[116:117], v[126:127]
	s_wait_loadcnt 0x5
	v_fmac_f64_e32 v[138:139], v[118:119], v[128:129]
	ds_load_2addr_b64 v[112:115], v2 offset0:65 offset1:66
	ds_load_2addr_b64 v[116:119], v2 offset0:67 offset1:68
	scratch_load_b128 v[126:129], off, off offset:208
	s_wait_dscnt 0x1
	v_fmac_f64_e32 v[138:139], v[120:121], v[112:113]
	s_wait_loadcnt 0x5
	s_delay_alu instid0(VALU_DEP_1) | instskip(SKIP_4) | instid1(VALU_DEP_1)
	v_fmac_f64_e32 v[138:139], v[122:123], v[114:115]
	scratch_load_b128 v[112:115], off, off offset:224
	s_wait_dscnt 0x0
	v_fmac_f64_e32 v[138:139], v[124:125], v[116:117]
	s_wait_loadcnt 0x5
	v_fmac_f64_e32 v[138:139], v[134:135], v[118:119]
	ds_load_2addr_b64 v[116:119], v2 offset0:69 offset1:70
	ds_load_2addr_b64 v[120:123], v2 offset0:71 offset1:72
	s_wait_dscnt 0x1
	v_fmac_f64_e32 v[138:139], v[136:137], v[116:117]
	scratch_load_b128 v[134:137], off, off offset:240
	s_wait_loadcnt 0x5
	v_fmac_f64_e32 v[138:139], v[104:105], v[118:119]
	s_wait_dscnt 0x0
	s_delay_alu instid0(VALU_DEP_1)
	v_fmac_f64_e32 v[138:139], v[106:107], v[120:121]
	scratch_load_b128 v[104:107], off, off offset:256
	s_wait_loadcnt 0x5
	v_fmac_f64_e32 v[138:139], v[130:131], v[122:123]
	ds_load_2addr_b64 v[116:119], v2 offset0:73 offset1:74
	ds_load_2addr_b64 v[120:123], v2 offset0:75 offset1:76
	s_wait_dscnt 0x1
	v_fmac_f64_e32 v[138:139], v[132:133], v[116:117]
	scratch_load_b128 v[130:133], off, off offset:272
	s_wait_loadcnt 0x5
	v_fmac_f64_e32 v[138:139], v[108:109], v[118:119]
	s_wait_dscnt 0x0
	s_delay_alu instid0(VALU_DEP_1)
	v_fmac_f64_e32 v[138:139], v[110:111], v[120:121]
	scratch_load_b128 v[108:111], off, off offset:288
	s_wait_loadcnt 0x5
	v_fmac_f64_e32 v[138:139], v[126:127], v[122:123]
	ds_load_2addr_b64 v[116:119], v2 offset0:77 offset1:78
	ds_load_2addr_b64 v[120:123], v2 offset0:79 offset1:80
	scratch_load_b128 v[124:127], off, off offset:304
	s_wait_dscnt 0x1
	v_fmac_f64_e32 v[138:139], v[128:129], v[116:117]
	s_wait_loadcnt 0x5
	s_delay_alu instid0(VALU_DEP_1) | instskip(SKIP_1) | instid1(VALU_DEP_1)
	v_fmac_f64_e32 v[138:139], v[112:113], v[118:119]
	s_wait_dscnt 0x0
	v_fmac_f64_e32 v[138:139], v[114:115], v[120:121]
	scratch_load_b128 v[112:115], off, off offset:320
	s_wait_loadcnt 0x5
	v_fmac_f64_e32 v[138:139], v[134:135], v[122:123]
	ds_load_2addr_b64 v[116:119], v2 offset0:81 offset1:82
	ds_load_2addr_b64 v[120:123], v2 offset0:83 offset1:84
	s_wait_dscnt 0x1
	v_fmac_f64_e32 v[138:139], v[136:137], v[116:117]
	s_wait_loadcnt 0x4
	s_delay_alu instid0(VALU_DEP_1)
	v_fmac_f64_e32 v[138:139], v[104:105], v[118:119]
	scratch_load_b128 v[116:119], off, off offset:336
	s_wait_dscnt 0x0
	v_fmac_f64_e32 v[138:139], v[106:107], v[120:121]
	scratch_load_b128 v[104:107], off, off offset:352
	s_wait_loadcnt 0x5
	v_fmac_f64_e32 v[138:139], v[130:131], v[122:123]
	ds_load_2addr_b64 v[120:123], v2 offset0:85 offset1:86
	ds_load_2addr_b64 v[128:131], v2 offset0:87 offset1:88
	s_wait_dscnt 0x1
	v_fmac_f64_e32 v[138:139], v[132:133], v[120:121]
	s_wait_loadcnt 0x4
	s_delay_alu instid0(VALU_DEP_1) | instskip(SKIP_4) | instid1(VALU_DEP_1)
	v_fmac_f64_e32 v[138:139], v[108:109], v[122:123]
	scratch_load_b128 v[120:123], off, off offset:368
	s_wait_dscnt 0x0
	v_fmac_f64_e32 v[138:139], v[110:111], v[128:129]
	s_wait_loadcnt 0x4
	v_fmac_f64_e32 v[138:139], v[124:125], v[130:131]
	scratch_load_b64 v[124:125], off, off offset:384
	ds_load_2addr_b64 v[108:111], v2 offset0:89 offset1:90
	ds_load_2addr_b64 v[128:131], v2 offset0:91 offset1:92
	s_wait_dscnt 0x1
	v_fmac_f64_e32 v[138:139], v[126:127], v[108:109]
	s_wait_loadcnt 0x4
	s_delay_alu instid0(VALU_DEP_1) | instskip(SKIP_1) | instid1(VALU_DEP_1)
	v_fmac_f64_e32 v[138:139], v[112:113], v[110:111]
	s_wait_dscnt 0x0
	v_fmac_f64_e32 v[138:139], v[114:115], v[128:129]
	ds_load_2addr_b64 v[108:111], v2 offset0:93 offset1:94
	ds_load_2addr_b64 v[112:115], v2 offset0:95 offset1:96
	s_wait_loadcnt 0x3
	v_fmac_f64_e32 v[138:139], v[116:117], v[130:131]
	s_wait_dscnt 0x1
	s_delay_alu instid0(VALU_DEP_1) | instskip(SKIP_1) | instid1(VALU_DEP_1)
	v_fmac_f64_e32 v[138:139], v[118:119], v[108:109]
	s_wait_loadcnt 0x2
	v_fmac_f64_e32 v[138:139], v[104:105], v[110:111]
	s_wait_dscnt 0x0
	s_delay_alu instid0(VALU_DEP_1) | instskip(SKIP_4) | instid1(VALU_DEP_1)
	v_fmac_f64_e32 v[138:139], v[106:107], v[112:113]
	ds_load_2addr_b64 v[104:107], v2 offset0:97 offset1:98
	s_wait_loadcnt 0x1
	v_fmac_f64_e32 v[138:139], v[120:121], v[114:115]
	s_wait_dscnt 0x0
	v_fmac_f64_e32 v[138:139], v[122:123], v[104:105]
	s_wait_loadcnt 0x0
	s_delay_alu instid0(VALU_DEP_1) | instskip(NEXT) | instid1(VALU_DEP_1)
	v_fmac_f64_e32 v[138:139], v[124:125], v[106:107]
	v_add_f64_e64 v[2:3], v[102:103], -v[138:139]
	scratch_store_b64 off, v[2:3], off offset:48
	s_wait_xcnt 0x0
	v_cmpx_lt_u32_e32 5, v0
	s_cbranch_execz .LBB112_293
; %bb.292:
	scratch_load_b64 v[2:3], off, off offset:40
	v_mov_b64_e32 v[102:103], 0
	scratch_store_b64 off, v[102:103], off offset:40
	s_wait_loadcnt 0x0
	ds_store_b64 v1, v[2:3]
.LBB112_293:
	s_wait_xcnt 0x0
	s_or_b32 exec_lo, exec_lo, s0
	s_wait_storecnt_dscnt 0x0
	s_barrier_signal -1
	s_barrier_wait -1
	s_clause 0x5
	scratch_load_b128 v[102:105], off, off offset:40
	scratch_load_b128 v[106:109], off, off offset:56
	;; [unrolled: 1-line block ×6, first 2 shown]
	v_mov_b32_e32 v2, 0
	ds_load_b128 v[126:129], v2 offset:448
	ds_load_b128 v[130:133], v2 offset:464
	scratch_load_b128 v[134:137], off, off offset:136
	s_mov_b32 s0, exec_lo
	s_wait_loadcnt_dscnt 0x601
	v_fma_f64 v[138:139], v[104:105], v[126:127], 0
	s_wait_loadcnt 0x5
	s_delay_alu instid0(VALU_DEP_1) | instskip(SKIP_4) | instid1(VALU_DEP_1)
	v_fmac_f64_e32 v[138:139], v[106:107], v[128:129]
	scratch_load_b128 v[104:107], off, off offset:152
	s_wait_dscnt 0x0
	v_fmac_f64_e32 v[138:139], v[108:109], v[130:131]
	s_wait_loadcnt 0x5
	v_fmac_f64_e32 v[138:139], v[110:111], v[132:133]
	ds_load_b128 v[108:111], v2 offset:480
	ds_load_b128 v[126:129], v2 offset:496
	scratch_load_b128 v[130:133], off, off offset:168
	s_wait_dscnt 0x1
	v_fmac_f64_e32 v[138:139], v[112:113], v[108:109]
	s_wait_loadcnt 0x5
	s_delay_alu instid0(VALU_DEP_1) | instskip(SKIP_4) | instid1(VALU_DEP_1)
	v_fmac_f64_e32 v[138:139], v[114:115], v[110:111]
	scratch_load_b128 v[108:111], off, off offset:184
	s_wait_dscnt 0x0
	v_fmac_f64_e32 v[138:139], v[116:117], v[126:127]
	s_wait_loadcnt 0x5
	v_fmac_f64_e32 v[138:139], v[118:119], v[128:129]
	ds_load_b128 v[112:115], v2 offset:512
	ds_load_b128 v[116:119], v2 offset:528
	scratch_load_b128 v[126:129], off, off offset:200
	s_wait_dscnt 0x1
	v_fmac_f64_e32 v[138:139], v[120:121], v[112:113]
	s_wait_loadcnt 0x5
	s_delay_alu instid0(VALU_DEP_1) | instskip(SKIP_4) | instid1(VALU_DEP_1)
	v_fmac_f64_e32 v[138:139], v[122:123], v[114:115]
	scratch_load_b128 v[112:115], off, off offset:216
	s_wait_dscnt 0x0
	v_fmac_f64_e32 v[138:139], v[124:125], v[116:117]
	s_wait_loadcnt 0x5
	v_fmac_f64_e32 v[138:139], v[134:135], v[118:119]
	ds_load_b128 v[116:119], v2 offset:544
	ds_load_b128 v[120:123], v2 offset:560
	s_wait_dscnt 0x1
	v_fmac_f64_e32 v[138:139], v[136:137], v[116:117]
	scratch_load_b128 v[134:137], off, off offset:232
	s_wait_loadcnt 0x5
	v_fmac_f64_e32 v[138:139], v[104:105], v[118:119]
	s_wait_dscnt 0x0
	s_delay_alu instid0(VALU_DEP_1)
	v_fmac_f64_e32 v[138:139], v[106:107], v[120:121]
	scratch_load_b128 v[104:107], off, off offset:248
	s_wait_loadcnt 0x5
	v_fmac_f64_e32 v[138:139], v[130:131], v[122:123]
	ds_load_b128 v[116:119], v2 offset:576
	ds_load_b128 v[120:123], v2 offset:592
	s_wait_dscnt 0x1
	v_fmac_f64_e32 v[138:139], v[132:133], v[116:117]
	scratch_load_b128 v[130:133], off, off offset:264
	s_wait_loadcnt 0x5
	v_fmac_f64_e32 v[138:139], v[108:109], v[118:119]
	s_wait_dscnt 0x0
	s_delay_alu instid0(VALU_DEP_1)
	v_fmac_f64_e32 v[138:139], v[110:111], v[120:121]
	scratch_load_b128 v[108:111], off, off offset:280
	s_wait_loadcnt 0x5
	v_fmac_f64_e32 v[138:139], v[126:127], v[122:123]
	ds_load_b128 v[116:119], v2 offset:608
	ds_load_b128 v[120:123], v2 offset:624
	scratch_load_b128 v[124:127], off, off offset:296
	s_wait_dscnt 0x1
	v_fmac_f64_e32 v[138:139], v[128:129], v[116:117]
	s_wait_loadcnt 0x5
	s_delay_alu instid0(VALU_DEP_1) | instskip(SKIP_1) | instid1(VALU_DEP_1)
	v_fmac_f64_e32 v[138:139], v[112:113], v[118:119]
	s_wait_dscnt 0x0
	v_fmac_f64_e32 v[138:139], v[114:115], v[120:121]
	scratch_load_b128 v[112:115], off, off offset:312
	s_wait_loadcnt 0x5
	v_fmac_f64_e32 v[138:139], v[134:135], v[122:123]
	ds_load_b128 v[116:119], v2 offset:640
	ds_load_b128 v[120:123], v2 offset:656
	s_wait_dscnt 0x1
	v_fmac_f64_e32 v[138:139], v[136:137], v[116:117]
	s_wait_loadcnt 0x4
	s_delay_alu instid0(VALU_DEP_1)
	v_fmac_f64_e32 v[138:139], v[104:105], v[118:119]
	scratch_load_b128 v[116:119], off, off offset:328
	s_wait_dscnt 0x0
	v_fmac_f64_e32 v[138:139], v[106:107], v[120:121]
	scratch_load_b128 v[104:107], off, off offset:344
	s_wait_loadcnt 0x5
	v_fmac_f64_e32 v[138:139], v[130:131], v[122:123]
	ds_load_b128 v[120:123], v2 offset:672
	ds_load_b128 v[128:131], v2 offset:688
	s_wait_dscnt 0x1
	v_fmac_f64_e32 v[138:139], v[132:133], v[120:121]
	s_wait_loadcnt 0x4
	s_delay_alu instid0(VALU_DEP_1)
	v_fmac_f64_e32 v[138:139], v[108:109], v[122:123]
	scratch_load_b128 v[120:123], off, off offset:360
	s_wait_dscnt 0x0
	v_fmac_f64_e32 v[138:139], v[110:111], v[128:129]
	scratch_load_b128 v[108:111], off, off offset:376
	s_wait_loadcnt 0x5
	v_fmac_f64_e32 v[138:139], v[124:125], v[130:131]
	ds_load_b128 v[128:131], v2 offset:704
	ds_load_b128 v[132:135], v2 offset:720
	s_wait_dscnt 0x1
	v_fmac_f64_e32 v[138:139], v[126:127], v[128:129]
	s_wait_loadcnt 0x4
	s_delay_alu instid0(VALU_DEP_1) | instskip(SKIP_1) | instid1(VALU_DEP_1)
	v_fmac_f64_e32 v[138:139], v[112:113], v[130:131]
	s_wait_dscnt 0x0
	v_fmac_f64_e32 v[138:139], v[114:115], v[132:133]
	ds_load_b128 v[112:115], v2 offset:736
	ds_load_b128 v[124:127], v2 offset:752
	s_wait_loadcnt 0x3
	v_fmac_f64_e32 v[138:139], v[116:117], v[134:135]
	s_wait_dscnt 0x1
	s_delay_alu instid0(VALU_DEP_1) | instskip(SKIP_1) | instid1(VALU_DEP_1)
	v_fmac_f64_e32 v[138:139], v[118:119], v[112:113]
	s_wait_loadcnt 0x2
	v_fmac_f64_e32 v[138:139], v[104:105], v[114:115]
	s_wait_dscnt 0x0
	s_delay_alu instid0(VALU_DEP_1)
	v_fmac_f64_e32 v[138:139], v[106:107], v[124:125]
	ds_load_b128 v[104:107], v2 offset:768
	ds_load_b64 v[112:113], v2 offset:784
	s_wait_loadcnt 0x1
	v_fmac_f64_e32 v[138:139], v[120:121], v[126:127]
	s_wait_dscnt 0x1
	s_delay_alu instid0(VALU_DEP_1) | instskip(SKIP_1) | instid1(VALU_DEP_1)
	v_fmac_f64_e32 v[138:139], v[122:123], v[104:105]
	s_wait_loadcnt 0x0
	v_fmac_f64_e32 v[138:139], v[108:109], v[106:107]
	s_wait_dscnt 0x0
	s_delay_alu instid0(VALU_DEP_1) | instskip(NEXT) | instid1(VALU_DEP_1)
	v_fmac_f64_e32 v[138:139], v[110:111], v[112:113]
	v_add_f64_e64 v[102:103], v[102:103], -v[138:139]
	scratch_store_b64 off, v[102:103], off offset:40
	s_wait_xcnt 0x0
	v_cmpx_lt_u32_e32 4, v0
	s_cbranch_execz .LBB112_295
; %bb.294:
	scratch_load_b64 v[102:103], off, off offset:32
	v_mov_b64_e32 v[104:105], 0
	scratch_store_b64 off, v[104:105], off offset:32
	s_wait_loadcnt 0x0
	ds_store_b64 v1, v[102:103]
.LBB112_295:
	s_wait_xcnt 0x0
	s_or_b32 exec_lo, exec_lo, s0
	s_wait_storecnt_dscnt 0x0
	s_barrier_signal -1
	s_barrier_wait -1
	s_clause 0x5
	scratch_load_b128 v[102:105], off, off offset:32
	scratch_load_b128 v[106:109], off, off offset:48
	;; [unrolled: 1-line block ×6, first 2 shown]
	ds_load_2addr_b64 v[126:129], v2 offset0:55 offset1:56
	ds_load_2addr_b64 v[130:133], v2 offset0:57 offset1:58
	scratch_load_b128 v[134:137], off, off offset:128
	s_mov_b32 s0, exec_lo
	s_wait_loadcnt_dscnt 0x601
	v_fma_f64 v[138:139], v[104:105], v[126:127], 0
	s_wait_loadcnt 0x5
	s_delay_alu instid0(VALU_DEP_1) | instskip(SKIP_4) | instid1(VALU_DEP_1)
	v_fmac_f64_e32 v[138:139], v[106:107], v[128:129]
	scratch_load_b128 v[104:107], off, off offset:144
	s_wait_dscnt 0x0
	v_fmac_f64_e32 v[138:139], v[108:109], v[130:131]
	s_wait_loadcnt 0x5
	v_fmac_f64_e32 v[138:139], v[110:111], v[132:133]
	ds_load_2addr_b64 v[108:111], v2 offset0:59 offset1:60
	ds_load_2addr_b64 v[126:129], v2 offset0:61 offset1:62
	scratch_load_b128 v[130:133], off, off offset:160
	s_wait_dscnt 0x1
	v_fmac_f64_e32 v[138:139], v[112:113], v[108:109]
	s_wait_loadcnt 0x5
	s_delay_alu instid0(VALU_DEP_1) | instskip(SKIP_4) | instid1(VALU_DEP_1)
	v_fmac_f64_e32 v[138:139], v[114:115], v[110:111]
	scratch_load_b128 v[108:111], off, off offset:176
	s_wait_dscnt 0x0
	v_fmac_f64_e32 v[138:139], v[116:117], v[126:127]
	s_wait_loadcnt 0x5
	v_fmac_f64_e32 v[138:139], v[118:119], v[128:129]
	ds_load_2addr_b64 v[112:115], v2 offset0:63 offset1:64
	ds_load_2addr_b64 v[116:119], v2 offset0:65 offset1:66
	scratch_load_b128 v[126:129], off, off offset:192
	s_wait_dscnt 0x1
	v_fmac_f64_e32 v[138:139], v[120:121], v[112:113]
	s_wait_loadcnt 0x5
	s_delay_alu instid0(VALU_DEP_1) | instskip(SKIP_4) | instid1(VALU_DEP_1)
	v_fmac_f64_e32 v[138:139], v[122:123], v[114:115]
	scratch_load_b128 v[112:115], off, off offset:208
	s_wait_dscnt 0x0
	v_fmac_f64_e32 v[138:139], v[124:125], v[116:117]
	s_wait_loadcnt 0x5
	v_fmac_f64_e32 v[138:139], v[134:135], v[118:119]
	ds_load_2addr_b64 v[116:119], v2 offset0:67 offset1:68
	ds_load_2addr_b64 v[120:123], v2 offset0:69 offset1:70
	s_wait_dscnt 0x1
	v_fmac_f64_e32 v[138:139], v[136:137], v[116:117]
	scratch_load_b128 v[134:137], off, off offset:224
	s_wait_loadcnt 0x5
	v_fmac_f64_e32 v[138:139], v[104:105], v[118:119]
	s_wait_dscnt 0x0
	s_delay_alu instid0(VALU_DEP_1)
	v_fmac_f64_e32 v[138:139], v[106:107], v[120:121]
	scratch_load_b128 v[104:107], off, off offset:240
	s_wait_loadcnt 0x5
	v_fmac_f64_e32 v[138:139], v[130:131], v[122:123]
	ds_load_2addr_b64 v[116:119], v2 offset0:71 offset1:72
	ds_load_2addr_b64 v[120:123], v2 offset0:73 offset1:74
	s_wait_dscnt 0x1
	v_fmac_f64_e32 v[138:139], v[132:133], v[116:117]
	scratch_load_b128 v[130:133], off, off offset:256
	s_wait_loadcnt 0x5
	v_fmac_f64_e32 v[138:139], v[108:109], v[118:119]
	s_wait_dscnt 0x0
	s_delay_alu instid0(VALU_DEP_1)
	v_fmac_f64_e32 v[138:139], v[110:111], v[120:121]
	scratch_load_b128 v[108:111], off, off offset:272
	s_wait_loadcnt 0x5
	v_fmac_f64_e32 v[138:139], v[126:127], v[122:123]
	ds_load_2addr_b64 v[116:119], v2 offset0:75 offset1:76
	ds_load_2addr_b64 v[120:123], v2 offset0:77 offset1:78
	scratch_load_b128 v[124:127], off, off offset:288
	s_wait_dscnt 0x1
	v_fmac_f64_e32 v[138:139], v[128:129], v[116:117]
	s_wait_loadcnt 0x5
	s_delay_alu instid0(VALU_DEP_1) | instskip(SKIP_1) | instid1(VALU_DEP_1)
	v_fmac_f64_e32 v[138:139], v[112:113], v[118:119]
	s_wait_dscnt 0x0
	v_fmac_f64_e32 v[138:139], v[114:115], v[120:121]
	scratch_load_b128 v[112:115], off, off offset:304
	s_wait_loadcnt 0x5
	v_fmac_f64_e32 v[138:139], v[134:135], v[122:123]
	ds_load_2addr_b64 v[116:119], v2 offset0:79 offset1:80
	ds_load_2addr_b64 v[120:123], v2 offset0:81 offset1:82
	s_wait_dscnt 0x1
	v_fmac_f64_e32 v[138:139], v[136:137], v[116:117]
	s_wait_loadcnt 0x4
	s_delay_alu instid0(VALU_DEP_1)
	v_fmac_f64_e32 v[138:139], v[104:105], v[118:119]
	scratch_load_b128 v[116:119], off, off offset:320
	s_wait_dscnt 0x0
	v_fmac_f64_e32 v[138:139], v[106:107], v[120:121]
	scratch_load_b128 v[104:107], off, off offset:336
	s_wait_loadcnt 0x5
	v_fmac_f64_e32 v[138:139], v[130:131], v[122:123]
	ds_load_2addr_b64 v[120:123], v2 offset0:83 offset1:84
	ds_load_2addr_b64 v[128:131], v2 offset0:85 offset1:86
	s_wait_dscnt 0x1
	v_fmac_f64_e32 v[138:139], v[132:133], v[120:121]
	s_wait_loadcnt 0x4
	s_delay_alu instid0(VALU_DEP_1)
	v_fmac_f64_e32 v[138:139], v[108:109], v[122:123]
	scratch_load_b128 v[120:123], off, off offset:352
	s_wait_dscnt 0x0
	v_fmac_f64_e32 v[138:139], v[110:111], v[128:129]
	scratch_load_b128 v[108:111], off, off offset:368
	s_wait_loadcnt 0x5
	v_fmac_f64_e32 v[138:139], v[124:125], v[130:131]
	ds_load_2addr_b64 v[128:131], v2 offset0:87 offset1:88
	ds_load_2addr_b64 v[132:135], v2 offset0:89 offset1:90
	s_wait_dscnt 0x1
	v_fmac_f64_e32 v[138:139], v[126:127], v[128:129]
	scratch_load_b64 v[128:129], off, off offset:384
	s_wait_loadcnt 0x5
	v_fmac_f64_e32 v[138:139], v[112:113], v[130:131]
	s_wait_dscnt 0x0
	s_delay_alu instid0(VALU_DEP_1)
	v_fmac_f64_e32 v[138:139], v[114:115], v[132:133]
	ds_load_2addr_b64 v[112:115], v2 offset0:91 offset1:92
	ds_load_2addr_b64 v[124:127], v2 offset0:93 offset1:94
	s_wait_loadcnt 0x4
	v_fmac_f64_e32 v[138:139], v[116:117], v[134:135]
	s_wait_dscnt 0x1
	s_delay_alu instid0(VALU_DEP_1) | instskip(SKIP_1) | instid1(VALU_DEP_1)
	v_fmac_f64_e32 v[138:139], v[118:119], v[112:113]
	s_wait_loadcnt 0x3
	v_fmac_f64_e32 v[138:139], v[104:105], v[114:115]
	s_wait_dscnt 0x0
	s_delay_alu instid0(VALU_DEP_1)
	v_fmac_f64_e32 v[138:139], v[106:107], v[124:125]
	ds_load_2addr_b64 v[104:107], v2 offset0:95 offset1:96
	ds_load_2addr_b64 v[112:115], v2 offset0:97 offset1:98
	s_wait_loadcnt 0x2
	v_fmac_f64_e32 v[138:139], v[120:121], v[126:127]
	s_wait_dscnt 0x1
	s_delay_alu instid0(VALU_DEP_1) | instskip(SKIP_1) | instid1(VALU_DEP_1)
	v_fmac_f64_e32 v[138:139], v[122:123], v[104:105]
	s_wait_loadcnt 0x1
	v_fmac_f64_e32 v[138:139], v[108:109], v[106:107]
	s_wait_dscnt 0x0
	s_delay_alu instid0(VALU_DEP_1) | instskip(SKIP_1) | instid1(VALU_DEP_1)
	v_fmac_f64_e32 v[138:139], v[110:111], v[112:113]
	s_wait_loadcnt 0x0
	v_fmac_f64_e32 v[138:139], v[128:129], v[114:115]
	s_delay_alu instid0(VALU_DEP_1)
	v_add_f64_e64 v[2:3], v[102:103], -v[138:139]
	scratch_store_b64 off, v[2:3], off offset:32
	s_wait_xcnt 0x0
	v_cmpx_lt_u32_e32 3, v0
	s_cbranch_execz .LBB112_297
; %bb.296:
	scratch_load_b64 v[2:3], off, off offset:24
	v_mov_b64_e32 v[102:103], 0
	scratch_store_b64 off, v[102:103], off offset:24
	s_wait_loadcnt 0x0
	ds_store_b64 v1, v[2:3]
.LBB112_297:
	s_wait_xcnt 0x0
	s_or_b32 exec_lo, exec_lo, s0
	s_wait_storecnt_dscnt 0x0
	s_barrier_signal -1
	s_barrier_wait -1
	s_clause 0x5
	scratch_load_b128 v[102:105], off, off offset:24
	scratch_load_b128 v[106:109], off, off offset:40
	;; [unrolled: 1-line block ×6, first 2 shown]
	v_mov_b32_e32 v2, 0
	ds_load_b128 v[126:129], v2 offset:432
	ds_load_b128 v[130:133], v2 offset:448
	scratch_load_b128 v[134:137], off, off offset:120
	s_mov_b32 s0, exec_lo
	s_wait_loadcnt_dscnt 0x601
	v_fma_f64 v[138:139], v[104:105], v[126:127], 0
	s_wait_loadcnt 0x5
	s_delay_alu instid0(VALU_DEP_1) | instskip(SKIP_4) | instid1(VALU_DEP_1)
	v_fmac_f64_e32 v[138:139], v[106:107], v[128:129]
	scratch_load_b128 v[104:107], off, off offset:136
	s_wait_dscnt 0x0
	v_fmac_f64_e32 v[138:139], v[108:109], v[130:131]
	s_wait_loadcnt 0x5
	v_fmac_f64_e32 v[138:139], v[110:111], v[132:133]
	ds_load_b128 v[108:111], v2 offset:464
	ds_load_b128 v[126:129], v2 offset:480
	scratch_load_b128 v[130:133], off, off offset:152
	s_wait_dscnt 0x1
	v_fmac_f64_e32 v[138:139], v[112:113], v[108:109]
	s_wait_loadcnt 0x5
	s_delay_alu instid0(VALU_DEP_1) | instskip(SKIP_4) | instid1(VALU_DEP_1)
	v_fmac_f64_e32 v[138:139], v[114:115], v[110:111]
	scratch_load_b128 v[108:111], off, off offset:168
	s_wait_dscnt 0x0
	v_fmac_f64_e32 v[138:139], v[116:117], v[126:127]
	s_wait_loadcnt 0x5
	v_fmac_f64_e32 v[138:139], v[118:119], v[128:129]
	ds_load_b128 v[112:115], v2 offset:496
	ds_load_b128 v[116:119], v2 offset:512
	scratch_load_b128 v[126:129], off, off offset:184
	s_wait_dscnt 0x1
	v_fmac_f64_e32 v[138:139], v[120:121], v[112:113]
	s_wait_loadcnt 0x5
	s_delay_alu instid0(VALU_DEP_1) | instskip(SKIP_4) | instid1(VALU_DEP_1)
	v_fmac_f64_e32 v[138:139], v[122:123], v[114:115]
	scratch_load_b128 v[112:115], off, off offset:200
	s_wait_dscnt 0x0
	v_fmac_f64_e32 v[138:139], v[124:125], v[116:117]
	s_wait_loadcnt 0x5
	v_fmac_f64_e32 v[138:139], v[134:135], v[118:119]
	ds_load_b128 v[116:119], v2 offset:528
	ds_load_b128 v[120:123], v2 offset:544
	s_wait_dscnt 0x1
	v_fmac_f64_e32 v[138:139], v[136:137], v[116:117]
	scratch_load_b128 v[134:137], off, off offset:216
	s_wait_loadcnt 0x5
	v_fmac_f64_e32 v[138:139], v[104:105], v[118:119]
	s_wait_dscnt 0x0
	s_delay_alu instid0(VALU_DEP_1)
	v_fmac_f64_e32 v[138:139], v[106:107], v[120:121]
	scratch_load_b128 v[104:107], off, off offset:232
	s_wait_loadcnt 0x5
	v_fmac_f64_e32 v[138:139], v[130:131], v[122:123]
	ds_load_b128 v[116:119], v2 offset:560
	ds_load_b128 v[120:123], v2 offset:576
	s_wait_dscnt 0x1
	v_fmac_f64_e32 v[138:139], v[132:133], v[116:117]
	scratch_load_b128 v[130:133], off, off offset:248
	s_wait_loadcnt 0x5
	v_fmac_f64_e32 v[138:139], v[108:109], v[118:119]
	s_wait_dscnt 0x0
	s_delay_alu instid0(VALU_DEP_1)
	v_fmac_f64_e32 v[138:139], v[110:111], v[120:121]
	scratch_load_b128 v[108:111], off, off offset:264
	s_wait_loadcnt 0x5
	v_fmac_f64_e32 v[138:139], v[126:127], v[122:123]
	ds_load_b128 v[116:119], v2 offset:592
	ds_load_b128 v[120:123], v2 offset:608
	scratch_load_b128 v[124:127], off, off offset:280
	s_wait_dscnt 0x1
	v_fmac_f64_e32 v[138:139], v[128:129], v[116:117]
	s_wait_loadcnt 0x5
	s_delay_alu instid0(VALU_DEP_1) | instskip(SKIP_1) | instid1(VALU_DEP_1)
	v_fmac_f64_e32 v[138:139], v[112:113], v[118:119]
	s_wait_dscnt 0x0
	v_fmac_f64_e32 v[138:139], v[114:115], v[120:121]
	scratch_load_b128 v[112:115], off, off offset:296
	s_wait_loadcnt 0x5
	v_fmac_f64_e32 v[138:139], v[134:135], v[122:123]
	ds_load_b128 v[116:119], v2 offset:624
	ds_load_b128 v[120:123], v2 offset:640
	s_wait_dscnt 0x1
	v_fmac_f64_e32 v[138:139], v[136:137], v[116:117]
	s_wait_loadcnt 0x4
	s_delay_alu instid0(VALU_DEP_1)
	v_fmac_f64_e32 v[138:139], v[104:105], v[118:119]
	scratch_load_b128 v[116:119], off, off offset:312
	s_wait_dscnt 0x0
	v_fmac_f64_e32 v[138:139], v[106:107], v[120:121]
	scratch_load_b128 v[104:107], off, off offset:328
	s_wait_loadcnt 0x5
	v_fmac_f64_e32 v[138:139], v[130:131], v[122:123]
	ds_load_b128 v[120:123], v2 offset:656
	ds_load_b128 v[128:131], v2 offset:672
	s_wait_dscnt 0x1
	v_fmac_f64_e32 v[138:139], v[132:133], v[120:121]
	s_wait_loadcnt 0x4
	s_delay_alu instid0(VALU_DEP_1)
	v_fmac_f64_e32 v[138:139], v[108:109], v[122:123]
	scratch_load_b128 v[120:123], off, off offset:344
	s_wait_dscnt 0x0
	v_fmac_f64_e32 v[138:139], v[110:111], v[128:129]
	scratch_load_b128 v[108:111], off, off offset:360
	s_wait_loadcnt 0x5
	v_fmac_f64_e32 v[138:139], v[124:125], v[130:131]
	ds_load_b128 v[128:131], v2 offset:688
	ds_load_b128 v[132:135], v2 offset:704
	s_wait_dscnt 0x1
	v_fmac_f64_e32 v[138:139], v[126:127], v[128:129]
	scratch_load_b128 v[124:127], off, off offset:376
	s_wait_loadcnt 0x5
	v_fmac_f64_e32 v[138:139], v[112:113], v[130:131]
	s_wait_dscnt 0x0
	s_delay_alu instid0(VALU_DEP_1)
	v_fmac_f64_e32 v[138:139], v[114:115], v[132:133]
	ds_load_b128 v[112:115], v2 offset:720
	ds_load_b128 v[128:131], v2 offset:736
	s_wait_loadcnt 0x4
	v_fmac_f64_e32 v[138:139], v[116:117], v[134:135]
	s_wait_dscnt 0x1
	s_delay_alu instid0(VALU_DEP_1) | instskip(SKIP_1) | instid1(VALU_DEP_1)
	v_fmac_f64_e32 v[138:139], v[118:119], v[112:113]
	s_wait_loadcnt 0x3
	v_fmac_f64_e32 v[138:139], v[104:105], v[114:115]
	s_wait_dscnt 0x0
	s_delay_alu instid0(VALU_DEP_1)
	v_fmac_f64_e32 v[138:139], v[106:107], v[128:129]
	ds_load_b128 v[104:107], v2 offset:752
	ds_load_b128 v[112:115], v2 offset:768
	s_wait_loadcnt 0x2
	v_fmac_f64_e32 v[138:139], v[120:121], v[130:131]
	s_wait_dscnt 0x1
	s_delay_alu instid0(VALU_DEP_1) | instskip(SKIP_4) | instid1(VALU_DEP_1)
	v_fmac_f64_e32 v[138:139], v[122:123], v[104:105]
	ds_load_b64 v[104:105], v2 offset:784
	s_wait_loadcnt 0x1
	v_fmac_f64_e32 v[138:139], v[108:109], v[106:107]
	s_wait_dscnt 0x1
	v_fmac_f64_e32 v[138:139], v[110:111], v[112:113]
	s_wait_loadcnt 0x0
	s_delay_alu instid0(VALU_DEP_1) | instskip(SKIP_1) | instid1(VALU_DEP_1)
	v_fmac_f64_e32 v[138:139], v[124:125], v[114:115]
	s_wait_dscnt 0x0
	v_fmac_f64_e32 v[138:139], v[126:127], v[104:105]
	s_delay_alu instid0(VALU_DEP_1)
	v_add_f64_e64 v[102:103], v[102:103], -v[138:139]
	scratch_store_b64 off, v[102:103], off offset:24
	s_wait_xcnt 0x0
	v_cmpx_lt_u32_e32 2, v0
	s_cbranch_execz .LBB112_299
; %bb.298:
	scratch_load_b64 v[102:103], off, off offset:16
	v_mov_b64_e32 v[104:105], 0
	scratch_store_b64 off, v[104:105], off offset:16
	s_wait_loadcnt 0x0
	ds_store_b64 v1, v[102:103]
.LBB112_299:
	s_wait_xcnt 0x0
	s_or_b32 exec_lo, exec_lo, s0
	s_wait_storecnt_dscnt 0x0
	s_barrier_signal -1
	s_barrier_wait -1
	s_clause 0x5
	scratch_load_b128 v[102:105], off, off offset:16
	scratch_load_b128 v[106:109], off, off offset:32
	;; [unrolled: 1-line block ×6, first 2 shown]
	ds_load_2addr_b64 v[126:129], v2 offset0:53 offset1:54
	ds_load_2addr_b64 v[130:133], v2 offset0:55 offset1:56
	scratch_load_b128 v[134:137], off, off offset:112
	s_mov_b32 s0, exec_lo
	s_wait_loadcnt_dscnt 0x601
	v_fma_f64 v[138:139], v[104:105], v[126:127], 0
	s_wait_loadcnt 0x5
	s_delay_alu instid0(VALU_DEP_1) | instskip(SKIP_4) | instid1(VALU_DEP_1)
	v_fmac_f64_e32 v[138:139], v[106:107], v[128:129]
	scratch_load_b128 v[104:107], off, off offset:128
	s_wait_dscnt 0x0
	v_fmac_f64_e32 v[138:139], v[108:109], v[130:131]
	s_wait_loadcnt 0x5
	v_fmac_f64_e32 v[138:139], v[110:111], v[132:133]
	ds_load_2addr_b64 v[108:111], v2 offset0:57 offset1:58
	ds_load_2addr_b64 v[126:129], v2 offset0:59 offset1:60
	scratch_load_b128 v[130:133], off, off offset:144
	s_wait_dscnt 0x1
	v_fmac_f64_e32 v[138:139], v[112:113], v[108:109]
	s_wait_loadcnt 0x5
	s_delay_alu instid0(VALU_DEP_1) | instskip(SKIP_4) | instid1(VALU_DEP_1)
	v_fmac_f64_e32 v[138:139], v[114:115], v[110:111]
	scratch_load_b128 v[108:111], off, off offset:160
	s_wait_dscnt 0x0
	v_fmac_f64_e32 v[138:139], v[116:117], v[126:127]
	s_wait_loadcnt 0x5
	v_fmac_f64_e32 v[138:139], v[118:119], v[128:129]
	ds_load_2addr_b64 v[112:115], v2 offset0:61 offset1:62
	ds_load_2addr_b64 v[116:119], v2 offset0:63 offset1:64
	scratch_load_b128 v[126:129], off, off offset:176
	s_wait_dscnt 0x1
	v_fmac_f64_e32 v[138:139], v[120:121], v[112:113]
	s_wait_loadcnt 0x5
	s_delay_alu instid0(VALU_DEP_1) | instskip(SKIP_4) | instid1(VALU_DEP_1)
	v_fmac_f64_e32 v[138:139], v[122:123], v[114:115]
	scratch_load_b128 v[112:115], off, off offset:192
	s_wait_dscnt 0x0
	v_fmac_f64_e32 v[138:139], v[124:125], v[116:117]
	s_wait_loadcnt 0x5
	v_fmac_f64_e32 v[138:139], v[134:135], v[118:119]
	ds_load_2addr_b64 v[116:119], v2 offset0:65 offset1:66
	ds_load_2addr_b64 v[120:123], v2 offset0:67 offset1:68
	s_wait_dscnt 0x1
	v_fmac_f64_e32 v[138:139], v[136:137], v[116:117]
	scratch_load_b128 v[134:137], off, off offset:208
	s_wait_loadcnt 0x5
	v_fmac_f64_e32 v[138:139], v[104:105], v[118:119]
	s_wait_dscnt 0x0
	s_delay_alu instid0(VALU_DEP_1)
	v_fmac_f64_e32 v[138:139], v[106:107], v[120:121]
	scratch_load_b128 v[104:107], off, off offset:224
	s_wait_loadcnt 0x5
	v_fmac_f64_e32 v[138:139], v[130:131], v[122:123]
	ds_load_2addr_b64 v[116:119], v2 offset0:69 offset1:70
	ds_load_2addr_b64 v[120:123], v2 offset0:71 offset1:72
	s_wait_dscnt 0x1
	v_fmac_f64_e32 v[138:139], v[132:133], v[116:117]
	scratch_load_b128 v[130:133], off, off offset:240
	s_wait_loadcnt 0x5
	v_fmac_f64_e32 v[138:139], v[108:109], v[118:119]
	s_wait_dscnt 0x0
	s_delay_alu instid0(VALU_DEP_1)
	v_fmac_f64_e32 v[138:139], v[110:111], v[120:121]
	scratch_load_b128 v[108:111], off, off offset:256
	s_wait_loadcnt 0x5
	v_fmac_f64_e32 v[138:139], v[126:127], v[122:123]
	ds_load_2addr_b64 v[116:119], v2 offset0:73 offset1:74
	ds_load_2addr_b64 v[120:123], v2 offset0:75 offset1:76
	scratch_load_b128 v[124:127], off, off offset:272
	s_wait_dscnt 0x1
	v_fmac_f64_e32 v[138:139], v[128:129], v[116:117]
	s_wait_loadcnt 0x5
	s_delay_alu instid0(VALU_DEP_1) | instskip(SKIP_1) | instid1(VALU_DEP_1)
	v_fmac_f64_e32 v[138:139], v[112:113], v[118:119]
	s_wait_dscnt 0x0
	v_fmac_f64_e32 v[138:139], v[114:115], v[120:121]
	scratch_load_b128 v[112:115], off, off offset:288
	s_wait_loadcnt 0x5
	v_fmac_f64_e32 v[138:139], v[134:135], v[122:123]
	ds_load_2addr_b64 v[116:119], v2 offset0:77 offset1:78
	ds_load_2addr_b64 v[120:123], v2 offset0:79 offset1:80
	s_wait_dscnt 0x1
	v_fmac_f64_e32 v[138:139], v[136:137], v[116:117]
	scratch_load_b128 v[134:137], off, off offset:304
	s_wait_loadcnt 0x5
	v_fmac_f64_e32 v[138:139], v[104:105], v[118:119]
	s_wait_dscnt 0x0
	s_delay_alu instid0(VALU_DEP_1)
	v_fmac_f64_e32 v[138:139], v[106:107], v[120:121]
	scratch_load_b128 v[104:107], off, off offset:320
	s_wait_loadcnt 0x5
	v_fmac_f64_e32 v[138:139], v[130:131], v[122:123]
	ds_load_2addr_b64 v[116:119], v2 offset0:81 offset1:82
	ds_load_2addr_b64 v[120:123], v2 offset0:83 offset1:84
	s_wait_dscnt 0x1
	v_fmac_f64_e32 v[138:139], v[132:133], v[116:117]
	s_wait_loadcnt 0x4
	s_delay_alu instid0(VALU_DEP_1)
	v_fmac_f64_e32 v[138:139], v[108:109], v[118:119]
	scratch_load_b128 v[116:119], off, off offset:336
	s_wait_dscnt 0x0
	v_fmac_f64_e32 v[138:139], v[110:111], v[120:121]
	scratch_load_b128 v[108:111], off, off offset:352
	s_wait_loadcnt 0x5
	v_fmac_f64_e32 v[138:139], v[124:125], v[122:123]
	ds_load_2addr_b64 v[120:123], v2 offset0:85 offset1:86
	ds_load_2addr_b64 v[128:131], v2 offset0:87 offset1:88
	s_wait_dscnt 0x1
	v_fmac_f64_e32 v[138:139], v[126:127], v[120:121]
	s_wait_loadcnt 0x4
	s_delay_alu instid0(VALU_DEP_1)
	v_fmac_f64_e32 v[138:139], v[112:113], v[122:123]
	scratch_load_b128 v[120:123], off, off offset:368
	s_wait_dscnt 0x0
	v_fmac_f64_e32 v[138:139], v[114:115], v[128:129]
	scratch_load_b64 v[128:129], off, off offset:384
	ds_load_2addr_b64 v[112:115], v2 offset0:89 offset1:90
	ds_load_2addr_b64 v[124:127], v2 offset0:91 offset1:92
	s_wait_loadcnt 0x5
	v_fmac_f64_e32 v[138:139], v[134:135], v[130:131]
	s_wait_dscnt 0x1
	s_delay_alu instid0(VALU_DEP_1) | instskip(SKIP_1) | instid1(VALU_DEP_1)
	v_fmac_f64_e32 v[138:139], v[136:137], v[112:113]
	s_wait_loadcnt 0x4
	v_fmac_f64_e32 v[138:139], v[104:105], v[114:115]
	s_wait_dscnt 0x0
	s_delay_alu instid0(VALU_DEP_1)
	v_fmac_f64_e32 v[138:139], v[106:107], v[124:125]
	ds_load_2addr_b64 v[104:107], v2 offset0:93 offset1:94
	ds_load_2addr_b64 v[112:115], v2 offset0:95 offset1:96
	s_wait_loadcnt 0x3
	v_fmac_f64_e32 v[138:139], v[116:117], v[126:127]
	s_wait_dscnt 0x1
	s_delay_alu instid0(VALU_DEP_1) | instskip(SKIP_1) | instid1(VALU_DEP_1)
	v_fmac_f64_e32 v[138:139], v[118:119], v[104:105]
	s_wait_loadcnt 0x2
	v_fmac_f64_e32 v[138:139], v[108:109], v[106:107]
	ds_load_2addr_b64 v[104:107], v2 offset0:97 offset1:98
	s_wait_dscnt 0x1
	v_fmac_f64_e32 v[138:139], v[110:111], v[112:113]
	s_wait_loadcnt 0x1
	s_delay_alu instid0(VALU_DEP_1) | instskip(SKIP_1) | instid1(VALU_DEP_1)
	v_fmac_f64_e32 v[138:139], v[120:121], v[114:115]
	s_wait_dscnt 0x0
	v_fmac_f64_e32 v[138:139], v[122:123], v[104:105]
	s_wait_loadcnt 0x0
	s_delay_alu instid0(VALU_DEP_1) | instskip(NEXT) | instid1(VALU_DEP_1)
	v_fmac_f64_e32 v[138:139], v[128:129], v[106:107]
	v_add_f64_e64 v[2:3], v[102:103], -v[138:139]
	scratch_store_b64 off, v[2:3], off offset:16
	s_wait_xcnt 0x0
	v_cmpx_lt_u32_e32 1, v0
	s_cbranch_execz .LBB112_301
; %bb.300:
	scratch_load_b64 v[2:3], off, off offset:8
	v_mov_b64_e32 v[102:103], 0
	scratch_store_b64 off, v[102:103], off offset:8
	s_wait_loadcnt 0x0
	ds_store_b64 v1, v[2:3]
.LBB112_301:
	s_wait_xcnt 0x0
	s_or_b32 exec_lo, exec_lo, s0
	s_wait_storecnt_dscnt 0x0
	s_barrier_signal -1
	s_barrier_wait -1
	s_clause 0x5
	scratch_load_b128 v[104:107], off, off offset:8
	scratch_load_b128 v[108:111], off, off offset:24
	;; [unrolled: 1-line block ×6, first 2 shown]
	v_dual_mov_b32 v102, 0 :: v_dual_ashrrev_i32 v9, 31, v8
	ds_load_b128 v[128:131], v102 offset:416
	ds_load_b128 v[132:135], v102 offset:432
	scratch_load_b128 v[136:139], off, off offset:104
	v_dual_ashrrev_i32 v11, 31, v10 :: v_dual_ashrrev_i32 v13, 31, v12
	v_dual_ashrrev_i32 v15, 31, v14 :: v_dual_ashrrev_i32 v17, 31, v16
	;; [unrolled: 1-line block ×22, first 2 shown]
	v_ashrrev_i32_e32 v99, 31, v98
	s_mov_b32 s0, exec_lo
	v_ashrrev_i32_e32 v53, 31, v52
	s_wait_loadcnt_dscnt 0x601
	v_fma_f64 v[2:3], v[106:107], v[128:129], 0
	s_wait_loadcnt 0x5
	s_delay_alu instid0(VALU_DEP_1) | instskip(SKIP_4) | instid1(VALU_DEP_1)
	v_fmac_f64_e32 v[2:3], v[108:109], v[130:131]
	scratch_load_b128 v[106:109], off, off offset:120
	s_wait_dscnt 0x0
	v_fmac_f64_e32 v[2:3], v[110:111], v[132:133]
	s_wait_loadcnt 0x5
	v_fmac_f64_e32 v[2:3], v[112:113], v[134:135]
	ds_load_b128 v[110:113], v102 offset:448
	ds_load_b128 v[128:131], v102 offset:464
	scratch_load_b128 v[132:135], off, off offset:136
	s_wait_dscnt 0x1
	v_fmac_f64_e32 v[2:3], v[114:115], v[110:111]
	s_wait_loadcnt 0x5
	s_delay_alu instid0(VALU_DEP_1) | instskip(SKIP_4) | instid1(VALU_DEP_1)
	v_fmac_f64_e32 v[2:3], v[116:117], v[112:113]
	scratch_load_b128 v[110:113], off, off offset:152
	s_wait_dscnt 0x0
	v_fmac_f64_e32 v[2:3], v[118:119], v[128:129]
	s_wait_loadcnt 0x5
	v_fmac_f64_e32 v[2:3], v[120:121], v[130:131]
	ds_load_b128 v[114:117], v102 offset:480
	ds_load_b128 v[118:121], v102 offset:496
	scratch_load_b128 v[128:131], off, off offset:168
	s_wait_dscnt 0x1
	v_fmac_f64_e32 v[2:3], v[122:123], v[114:115]
	s_wait_loadcnt 0x5
	s_delay_alu instid0(VALU_DEP_1) | instskip(SKIP_4) | instid1(VALU_DEP_1)
	v_fmac_f64_e32 v[2:3], v[124:125], v[116:117]
	scratch_load_b128 v[114:117], off, off offset:184
	s_wait_dscnt 0x0
	v_fmac_f64_e32 v[2:3], v[126:127], v[118:119]
	s_wait_loadcnt 0x5
	v_fmac_f64_e32 v[2:3], v[136:137], v[120:121]
	ds_load_b128 v[118:121], v102 offset:512
	ds_load_b128 v[122:125], v102 offset:528
	s_wait_dscnt 0x1
	v_fmac_f64_e32 v[2:3], v[138:139], v[118:119]
	scratch_load_b128 v[136:139], off, off offset:200
	s_wait_loadcnt 0x5
	v_fmac_f64_e32 v[2:3], v[106:107], v[120:121]
	s_wait_dscnt 0x0
	s_delay_alu instid0(VALU_DEP_1)
	v_fmac_f64_e32 v[2:3], v[108:109], v[122:123]
	scratch_load_b128 v[106:109], off, off offset:216
	s_wait_loadcnt 0x5
	v_fmac_f64_e32 v[2:3], v[132:133], v[124:125]
	ds_load_b128 v[118:121], v102 offset:544
	ds_load_b128 v[122:125], v102 offset:560
	s_wait_dscnt 0x1
	v_fmac_f64_e32 v[2:3], v[134:135], v[118:119]
	scratch_load_b128 v[132:135], off, off offset:232
	s_wait_loadcnt 0x5
	v_fmac_f64_e32 v[2:3], v[110:111], v[120:121]
	s_wait_dscnt 0x0
	s_delay_alu instid0(VALU_DEP_1)
	v_fmac_f64_e32 v[2:3], v[112:113], v[122:123]
	scratch_load_b128 v[110:113], off, off offset:248
	s_wait_loadcnt 0x5
	v_fmac_f64_e32 v[2:3], v[128:129], v[124:125]
	ds_load_b128 v[118:121], v102 offset:576
	ds_load_b128 v[122:125], v102 offset:592
	scratch_load_b128 v[126:129], off, off offset:264
	s_wait_dscnt 0x1
	v_fmac_f64_e32 v[2:3], v[130:131], v[118:119]
	s_wait_loadcnt 0x5
	s_delay_alu instid0(VALU_DEP_1) | instskip(SKIP_1) | instid1(VALU_DEP_1)
	v_fmac_f64_e32 v[2:3], v[114:115], v[120:121]
	s_wait_dscnt 0x0
	v_fmac_f64_e32 v[2:3], v[116:117], v[122:123]
	scratch_load_b128 v[114:117], off, off offset:280
	s_wait_loadcnt 0x5
	v_fmac_f64_e32 v[2:3], v[136:137], v[124:125]
	ds_load_b128 v[118:121], v102 offset:608
	ds_load_b128 v[122:125], v102 offset:624
	s_wait_dscnt 0x1
	v_fmac_f64_e32 v[2:3], v[138:139], v[118:119]
	scratch_load_b128 v[136:139], off, off offset:296
	s_wait_loadcnt 0x5
	v_fmac_f64_e32 v[2:3], v[106:107], v[120:121]
	s_wait_dscnt 0x0
	s_delay_alu instid0(VALU_DEP_1)
	v_fmac_f64_e32 v[2:3], v[108:109], v[122:123]
	scratch_load_b128 v[106:109], off, off offset:312
	s_wait_loadcnt 0x5
	v_fmac_f64_e32 v[2:3], v[132:133], v[124:125]
	ds_load_b128 v[118:121], v102 offset:640
	ds_load_b128 v[122:125], v102 offset:656
	s_wait_dscnt 0x1
	v_fmac_f64_e32 v[2:3], v[134:135], v[118:119]
	s_wait_loadcnt 0x4
	s_delay_alu instid0(VALU_DEP_1)
	v_fmac_f64_e32 v[2:3], v[110:111], v[120:121]
	scratch_load_b128 v[118:121], off, off offset:328
	s_wait_dscnt 0x0
	v_fmac_f64_e32 v[2:3], v[112:113], v[122:123]
	scratch_load_b128 v[110:113], off, off offset:344
	s_wait_loadcnt 0x5
	v_fmac_f64_e32 v[2:3], v[126:127], v[124:125]
	ds_load_b128 v[122:125], v102 offset:672
	ds_load_b128 v[130:133], v102 offset:688
	s_wait_dscnt 0x1
	v_fmac_f64_e32 v[2:3], v[128:129], v[122:123]
	s_wait_loadcnt 0x4
	s_delay_alu instid0(VALU_DEP_1)
	v_fmac_f64_e32 v[2:3], v[114:115], v[124:125]
	scratch_load_b128 v[122:125], off, off offset:360
	s_wait_dscnt 0x0
	v_fmac_f64_e32 v[2:3], v[116:117], v[130:131]
	scratch_load_b128 v[114:117], off, off offset:376
	s_wait_loadcnt 0x5
	v_fmac_f64_e32 v[2:3], v[136:137], v[132:133]
	ds_load_b128 v[126:129], v102 offset:704
	ds_load_b128 v[130:133], v102 offset:720
	s_wait_dscnt 0x1
	v_fmac_f64_e32 v[2:3], v[138:139], v[126:127]
	s_wait_loadcnt 0x4
	s_delay_alu instid0(VALU_DEP_1) | instskip(SKIP_1) | instid1(VALU_DEP_1)
	v_fmac_f64_e32 v[2:3], v[106:107], v[128:129]
	s_wait_dscnt 0x0
	v_fmac_f64_e32 v[2:3], v[108:109], v[130:131]
	ds_load_b128 v[106:109], v102 offset:736
	ds_load_b128 v[126:129], v102 offset:752
	s_wait_loadcnt 0x3
	v_fmac_f64_e32 v[2:3], v[118:119], v[132:133]
	s_wait_dscnt 0x1
	s_delay_alu instid0(VALU_DEP_1) | instskip(SKIP_1) | instid1(VALU_DEP_1)
	v_fmac_f64_e32 v[2:3], v[120:121], v[106:107]
	s_wait_loadcnt 0x2
	v_fmac_f64_e32 v[2:3], v[110:111], v[108:109]
	ds_load_b128 v[106:109], v102 offset:768
	s_wait_dscnt 0x1
	v_fmac_f64_e32 v[2:3], v[112:113], v[126:127]
	s_wait_loadcnt 0x1
	s_delay_alu instid0(VALU_DEP_1) | instskip(SKIP_1) | instid1(VALU_DEP_1)
	v_fmac_f64_e32 v[2:3], v[122:123], v[128:129]
	s_wait_dscnt 0x0
	v_fmac_f64_e32 v[2:3], v[124:125], v[106:107]
	ds_load_b64 v[106:107], v102 offset:784
	s_wait_loadcnt 0x0
	v_fmac_f64_e32 v[2:3], v[114:115], v[108:109]
	s_wait_dscnt 0x0
	s_delay_alu instid0(VALU_DEP_1) | instskip(NEXT) | instid1(VALU_DEP_1)
	v_fmac_f64_e32 v[2:3], v[116:117], v[106:107]
	v_add_f64_e64 v[2:3], v[104:105], -v[2:3]
	scratch_store_b64 off, v[2:3], off offset:8
	s_wait_xcnt 0x0
	v_cmpx_ne_u32_e32 0, v0
	s_cbranch_execz .LBB112_303
; %bb.302:
	scratch_load_b64 v[2:3], off, off
	v_mov_b64_e32 v[104:105], 0
	scratch_store_b64 off, v[104:105], off
	s_wait_loadcnt 0x0
	ds_store_b64 v1, v[2:3]
.LBB112_303:
	s_wait_xcnt 0x0
	s_or_b32 exec_lo, exec_lo, s0
	s_wait_storecnt_dscnt 0x0
	s_barrier_signal -1
	s_barrier_wait -1
	s_clause 0x5
	scratch_load_b128 v[104:107], off, off
	scratch_load_b128 v[0:3], off, off offset:16
	scratch_load_b128 v[108:111], off, off offset:32
	;; [unrolled: 1-line block ×5, first 2 shown]
	ds_load_2addr_b64 v[124:127], v102 offset0:51 offset1:52
	scratch_load_b128 v[128:131], off, off offset:96
	s_and_b32 vcc_lo, exec_lo, s12
	s_wait_loadcnt_dscnt 0x600
	v_fma_f64 v[134:135], v[106:107], v[124:125], 0
	s_wait_loadcnt 0x5
	s_delay_alu instid0(VALU_DEP_1)
	v_fmac_f64_e32 v[134:135], v[0:1], v[126:127]
	ds_load_2addr_b64 v[124:127], v102 offset0:53 offset1:54
	s_wait_dscnt 0x0
	v_fmac_f64_e32 v[134:135], v[2:3], v[124:125]
	scratch_load_b128 v[0:3], off, off offset:112
	s_wait_loadcnt 0x5
	v_fmac_f64_e32 v[134:135], v[108:109], v[126:127]
	ds_load_2addr_b64 v[106:109], v102 offset0:55 offset1:56
	scratch_load_b128 v[124:127], off, off offset:128
	s_wait_dscnt 0x0
	v_fmac_f64_e32 v[134:135], v[110:111], v[106:107]
	s_wait_loadcnt 0x5
	s_delay_alu instid0(VALU_DEP_1)
	v_fmac_f64_e32 v[134:135], v[112:113], v[108:109]
	ds_load_2addr_b64 v[106:109], v102 offset0:57 offset1:58
	scratch_load_b128 v[110:113], off, off offset:144
	s_wait_dscnt 0x0
	v_fmac_f64_e32 v[134:135], v[114:115], v[106:107]
	s_wait_loadcnt 0x5
	s_delay_alu instid0(VALU_DEP_1)
	;; [unrolled: 7-line block ×4, first 2 shown]
	v_fmac_f64_e32 v[134:135], v[128:129], v[108:109]
	ds_load_2addr_b64 v[106:109], v102 offset0:63 offset1:64
	s_wait_dscnt 0x0
	v_fmac_f64_e32 v[134:135], v[130:131], v[106:107]
	scratch_load_b128 v[128:131], off, off offset:192
	s_wait_loadcnt 0x5
	v_fmac_f64_e32 v[134:135], v[0:1], v[108:109]
	ds_load_2addr_b64 v[106:109], v102 offset0:65 offset1:66
	s_wait_dscnt 0x0
	v_fmac_f64_e32 v[134:135], v[2:3], v[106:107]
	scratch_load_b128 v[0:3], off, off offset:208
	s_wait_loadcnt 0x5
	v_fmac_f64_e32 v[134:135], v[124:125], v[108:109]
	ds_load_2addr_b64 v[106:109], v102 offset0:67 offset1:68
	scratch_load_b128 v[122:125], off, off offset:224
	s_wait_dscnt 0x0
	v_fmac_f64_e32 v[134:135], v[126:127], v[106:107]
	s_wait_loadcnt 0x5
	s_delay_alu instid0(VALU_DEP_1)
	v_fmac_f64_e32 v[134:135], v[110:111], v[108:109]
	ds_load_2addr_b64 v[106:109], v102 offset0:69 offset1:70
	s_wait_dscnt 0x0
	v_fmac_f64_e32 v[134:135], v[112:113], v[106:107]
	scratch_load_b128 v[110:113], off, off offset:240
	s_wait_loadcnt 0x5
	v_fmac_f64_e32 v[134:135], v[114:115], v[108:109]
	ds_load_2addr_b64 v[106:109], v102 offset0:71 offset1:72
	s_wait_dscnt 0x0
	v_fmac_f64_e32 v[134:135], v[116:117], v[106:107]
	scratch_load_b128 v[114:117], off, off offset:256
	s_wait_loadcnt 0x5
	;; [unrolled: 6-line block ×3, first 2 shown]
	v_fmac_f64_e32 v[134:135], v[128:129], v[108:109]
	ds_load_2addr_b64 v[106:109], v102 offset0:75 offset1:76
	scratch_load_b128 v[126:129], off, off offset:288
	s_wait_dscnt 0x0
	v_fmac_f64_e32 v[134:135], v[130:131], v[106:107]
	scratch_load_b128 v[130:133], off, off offset:304
	s_wait_loadcnt 0x6
	v_fmac_f64_e32 v[134:135], v[0:1], v[108:109]
	ds_load_2addr_b64 v[106:109], v102 offset0:77 offset1:78
	s_wait_dscnt 0x0
	v_fmac_f64_e32 v[134:135], v[2:3], v[106:107]
	ds_load_2addr_b64 v[0:3], v102 offset0:79 offset1:80
	s_wait_loadcnt 0x5
	v_fmac_f64_e32 v[134:135], v[122:123], v[108:109]
	scratch_load_b128 v[106:109], off, off offset:320
	s_wait_dscnt 0x0
	v_fmac_f64_e32 v[134:135], v[124:125], v[0:1]
	ds_load_2addr_b64 v[122:125], v102 offset0:85 offset1:86
	s_wait_loadcnt 0x5
	v_fmac_f64_e32 v[134:135], v[110:111], v[2:3]
	ds_load_2addr_b64 v[0:3], v102 offset0:81 offset1:82
	s_wait_dscnt 0x0
	v_fmac_f64_e32 v[134:135], v[112:113], v[0:1]
	scratch_load_b128 v[110:113], off, off offset:336
	s_wait_loadcnt 0x5
	v_fmac_f64_e32 v[134:135], v[114:115], v[2:3]
	ds_load_2addr_b64 v[0:3], v102 offset0:83 offset1:84
	s_wait_dscnt 0x0
	v_fmac_f64_e32 v[134:135], v[116:117], v[0:1]
	scratch_load_b128 v[114:117], off, off offset:352
	s_wait_loadcnt 0x5
	v_fmac_f64_e32 v[134:135], v[118:119], v[2:3]
	scratch_load_b128 v[0:3], off, off offset:368
	v_fmac_f64_e32 v[134:135], v[120:121], v[122:123]
	ds_load_2addr_b64 v[118:121], v102 offset0:87 offset1:88
	scratch_load_b64 v[122:123], off, off offset:384
	s_wait_loadcnt 0x6
	v_fmac_f64_e32 v[134:135], v[126:127], v[124:125]
	s_wait_dscnt 0x0
	s_delay_alu instid0(VALU_DEP_1) | instskip(SKIP_1) | instid1(VALU_DEP_1)
	v_fmac_f64_e32 v[134:135], v[128:129], v[118:119]
	s_wait_loadcnt 0x5
	v_fmac_f64_e32 v[134:135], v[130:131], v[120:121]
	ds_load_2addr_b64 v[118:121], v102 offset0:89 offset1:90
	s_wait_dscnt 0x0
	v_fmac_f64_e32 v[134:135], v[132:133], v[118:119]
	s_wait_loadcnt 0x4
	s_delay_alu instid0(VALU_DEP_1)
	v_fmac_f64_e32 v[134:135], v[106:107], v[120:121]
	ds_load_2addr_b64 v[118:121], v102 offset0:91 offset1:92
	s_wait_dscnt 0x0
	v_fmac_f64_e32 v[134:135], v[108:109], v[118:119]
	ds_load_2addr_b64 v[106:109], v102 offset0:93 offset1:94
	s_wait_loadcnt 0x3
	v_fmac_f64_e32 v[134:135], v[110:111], v[120:121]
	s_wait_dscnt 0x0
	s_delay_alu instid0(VALU_DEP_1) | instskip(SKIP_1) | instid1(VALU_DEP_1)
	v_fmac_f64_e32 v[134:135], v[112:113], v[106:107]
	s_wait_loadcnt 0x2
	v_fmac_f64_e32 v[134:135], v[114:115], v[108:109]
	ds_load_2addr_b64 v[106:109], v102 offset0:95 offset1:96
	s_wait_dscnt 0x0
	v_fmac_f64_e32 v[134:135], v[116:117], v[106:107]
	s_wait_loadcnt 0x1
	s_delay_alu instid0(VALU_DEP_1) | instskip(SKIP_4) | instid1(VALU_DEP_1)
	v_fmac_f64_e32 v[134:135], v[0:1], v[108:109]
	ds_load_2addr_b64 v[106:109], v102 offset0:97 offset1:98
	s_wait_dscnt 0x0
	v_fmac_f64_e32 v[134:135], v[2:3], v[106:107]
	s_wait_loadcnt 0x0
	v_fmac_f64_e32 v[134:135], v[122:123], v[108:109]
	s_delay_alu instid0(VALU_DEP_1)
	v_add_f64_e64 v[102:103], v[104:105], -v[134:135]
	scratch_store_b64 off, v[102:103], off
	s_cbranch_vccz .LBB112_400
; %bb.304:
	v_mov_b32_e32 v0, 0
	global_load_b32 v1, v0, s[8:9] offset:188
	s_wait_loadcnt 0x0
	v_cmp_ne_u32_e32 vcc_lo, 48, v1
	s_cbranch_vccz .LBB112_306
; %bb.305:
	v_lshlrev_b32_e32 v1, 3, v1
	scratch_load_b64 v[102:103], v1, off offset:-8
	s_wait_loadcnt 0x0
	scratch_store_b64 off, v[102:103], off offset:376
	scratch_store_b64 v1, v[2:3], off offset:-8
.LBB112_306:
	global_load_b32 v0, v0, s[8:9] offset:184
	s_wait_loadcnt 0x0
	v_cmp_eq_u32_e32 vcc_lo, 47, v0
	s_cbranch_vccnz .LBB112_308
; %bb.307:
	s_wait_xcnt 0x0
	v_lshlrev_b32_e32 v0, 3, v0
	s_delay_alu instid0(VALU_DEP_1)
	v_mov_b32_e32 v102, v0
	scratch_load_b64 v[0:1], v102, off offset:-8
	scratch_load_b64 v[2:3], off, off offset:368
	s_wait_loadcnt 0x1
	scratch_store_b64 off, v[0:1], off offset:368
	s_wait_loadcnt 0x0
	scratch_store_b64 v102, v[2:3], off offset:-8
.LBB112_308:
	s_wait_xcnt 0x0
	v_mov_b32_e32 v0, 0
	global_load_b32 v1, v0, s[8:9] offset:180
	s_wait_loadcnt 0x0
	v_cmp_eq_u32_e32 vcc_lo, 46, v1
	s_cbranch_vccnz .LBB112_310
; %bb.309:
	v_lshlrev_b32_e32 v1, 3, v1
	scratch_load_b64 v[2:3], v1, off offset:-8
	scratch_load_b64 v[102:103], off, off offset:360
	s_wait_loadcnt 0x1
	scratch_store_b64 off, v[2:3], off offset:360
	s_wait_loadcnt 0x0
	scratch_store_b64 v1, v[102:103], off offset:-8
.LBB112_310:
	global_load_b32 v0, v0, s[8:9] offset:176
	s_wait_loadcnt 0x0
	v_cmp_eq_u32_e32 vcc_lo, 45, v0
	s_cbranch_vccnz .LBB112_312
; %bb.311:
	s_wait_xcnt 0x0
	v_lshlrev_b32_e32 v0, 3, v0
	s_delay_alu instid0(VALU_DEP_1)
	v_mov_b32_e32 v102, v0
	scratch_load_b64 v[0:1], v102, off offset:-8
	scratch_load_b64 v[2:3], off, off offset:352
	s_wait_loadcnt 0x1
	scratch_store_b64 off, v[0:1], off offset:352
	s_wait_loadcnt 0x0
	scratch_store_b64 v102, v[2:3], off offset:-8
.LBB112_312:
	s_wait_xcnt 0x0
	v_mov_b32_e32 v0, 0
	global_load_b32 v1, v0, s[8:9] offset:172
	s_wait_loadcnt 0x0
	v_cmp_eq_u32_e32 vcc_lo, 44, v1
	s_cbranch_vccnz .LBB112_314
; %bb.313:
	v_lshlrev_b32_e32 v1, 3, v1
	scratch_load_b64 v[2:3], v1, off offset:-8
	scratch_load_b64 v[102:103], off, off offset:344
	s_wait_loadcnt 0x1
	scratch_store_b64 off, v[2:3], off offset:344
	s_wait_loadcnt 0x0
	scratch_store_b64 v1, v[102:103], off offset:-8
.LBB112_314:
	;; [unrolled: 31-line block ×23, first 2 shown]
	global_load_b32 v0, v0, s[8:9]
	scratch_load_b64 v[102:103], off, off
	s_wait_loadcnt 0x1
	v_cmp_eq_u32_e32 vcc_lo, 1, v0
	s_cbranch_vccnz .LBB112_400
; %bb.399:
	s_wait_xcnt 0x1
	v_lshlrev_b32_e32 v0, 3, v0
	s_delay_alu instid0(VALU_DEP_1)
	v_mov_b32_e32 v2, v0
	scratch_load_b64 v[0:1], v2, off offset:-8
	s_wait_loadcnt 0x0
	scratch_store_b64 off, v[0:1], off
	scratch_store_b64 v2, v[102:103], off offset:-8
	scratch_load_b64 v[102:103], off, off
.LBB112_400:
	s_wait_loadcnt 0x0
	flat_store_b64 v[4:5], v[102:103]
	scratch_load_b64 v[4:5], off, off offset:8
	v_lshl_add_u64 v[146:147], v[8:9], 3, s[2:3]
	v_lshl_add_u64 v[144:145], v[10:11], 3, s[2:3]
	;; [unrolled: 1-line block ×47, first 2 shown]
	s_wait_loadcnt 0x0
	flat_store_b64 v[6:7], v[4:5]
	scratch_load_b64 v[4:5], off, off offset:16
	s_wait_loadcnt 0x0
	flat_store_b64 v[146:147], v[4:5]
	scratch_load_b64 v[4:5], off, off offset:24
	;; [unrolled: 3-line block ×47, first 2 shown]
	s_wait_loadcnt 0x0
	flat_store_b64 v[0:1], v[2:3]
	s_sendmsg sendmsg(MSG_DEALLOC_VGPRS)
	s_endpgm
	.section	.rodata,"a",@progbits
	.p2align	6, 0x0
	.amdhsa_kernel _ZN9rocsolver6v33100L18getri_kernel_smallILi49EdPKPdEEvT1_iilPiilS6_bb
		.amdhsa_group_segment_fixed_size 792
		.amdhsa_private_segment_fixed_size 400
		.amdhsa_kernarg_size 60
		.amdhsa_user_sgpr_count 2
		.amdhsa_user_sgpr_dispatch_ptr 0
		.amdhsa_user_sgpr_queue_ptr 0
		.amdhsa_user_sgpr_kernarg_segment_ptr 1
		.amdhsa_user_sgpr_dispatch_id 0
		.amdhsa_user_sgpr_kernarg_preload_length 0
		.amdhsa_user_sgpr_kernarg_preload_offset 0
		.amdhsa_user_sgpr_private_segment_size 0
		.amdhsa_wavefront_size32 1
		.amdhsa_uses_dynamic_stack 0
		.amdhsa_enable_private_segment 1
		.amdhsa_system_sgpr_workgroup_id_x 1
		.amdhsa_system_sgpr_workgroup_id_y 0
		.amdhsa_system_sgpr_workgroup_id_z 0
		.amdhsa_system_sgpr_workgroup_info 0
		.amdhsa_system_vgpr_workitem_id 0
		.amdhsa_next_free_vgpr 148
		.amdhsa_next_free_sgpr 19
		.amdhsa_named_barrier_count 0
		.amdhsa_reserve_vcc 1
		.amdhsa_float_round_mode_32 0
		.amdhsa_float_round_mode_16_64 0
		.amdhsa_float_denorm_mode_32 3
		.amdhsa_float_denorm_mode_16_64 3
		.amdhsa_fp16_overflow 0
		.amdhsa_memory_ordered 1
		.amdhsa_forward_progress 1
		.amdhsa_inst_pref_size 255
		.amdhsa_round_robin_scheduling 0
		.amdhsa_exception_fp_ieee_invalid_op 0
		.amdhsa_exception_fp_denorm_src 0
		.amdhsa_exception_fp_ieee_div_zero 0
		.amdhsa_exception_fp_ieee_overflow 0
		.amdhsa_exception_fp_ieee_underflow 0
		.amdhsa_exception_fp_ieee_inexact 0
		.amdhsa_exception_int_div_zero 0
	.end_amdhsa_kernel
	.section	.text._ZN9rocsolver6v33100L18getri_kernel_smallILi49EdPKPdEEvT1_iilPiilS6_bb,"axG",@progbits,_ZN9rocsolver6v33100L18getri_kernel_smallILi49EdPKPdEEvT1_iilPiilS6_bb,comdat
.Lfunc_end112:
	.size	_ZN9rocsolver6v33100L18getri_kernel_smallILi49EdPKPdEEvT1_iilPiilS6_bb, .Lfunc_end112-_ZN9rocsolver6v33100L18getri_kernel_smallILi49EdPKPdEEvT1_iilPiilS6_bb
                                        ; -- End function
	.set _ZN9rocsolver6v33100L18getri_kernel_smallILi49EdPKPdEEvT1_iilPiilS6_bb.num_vgpr, 148
	.set _ZN9rocsolver6v33100L18getri_kernel_smallILi49EdPKPdEEvT1_iilPiilS6_bb.num_agpr, 0
	.set _ZN9rocsolver6v33100L18getri_kernel_smallILi49EdPKPdEEvT1_iilPiilS6_bb.numbered_sgpr, 19
	.set _ZN9rocsolver6v33100L18getri_kernel_smallILi49EdPKPdEEvT1_iilPiilS6_bb.num_named_barrier, 0
	.set _ZN9rocsolver6v33100L18getri_kernel_smallILi49EdPKPdEEvT1_iilPiilS6_bb.private_seg_size, 400
	.set _ZN9rocsolver6v33100L18getri_kernel_smallILi49EdPKPdEEvT1_iilPiilS6_bb.uses_vcc, 1
	.set _ZN9rocsolver6v33100L18getri_kernel_smallILi49EdPKPdEEvT1_iilPiilS6_bb.uses_flat_scratch, 1
	.set _ZN9rocsolver6v33100L18getri_kernel_smallILi49EdPKPdEEvT1_iilPiilS6_bb.has_dyn_sized_stack, 0
	.set _ZN9rocsolver6v33100L18getri_kernel_smallILi49EdPKPdEEvT1_iilPiilS6_bb.has_recursion, 0
	.set _ZN9rocsolver6v33100L18getri_kernel_smallILi49EdPKPdEEvT1_iilPiilS6_bb.has_indirect_call, 0
	.section	.AMDGPU.csdata,"",@progbits
; Kernel info:
; codeLenInByte = 46900
; TotalNumSgprs: 21
; NumVgprs: 148
; ScratchSize: 400
; MemoryBound: 0
; FloatMode: 240
; IeeeMode: 1
; LDSByteSize: 792 bytes/workgroup (compile time only)
; SGPRBlocks: 0
; VGPRBlocks: 9
; NumSGPRsForWavesPerEU: 21
; NumVGPRsForWavesPerEU: 148
; NamedBarCnt: 0
; Occupancy: 6
; WaveLimiterHint : 1
; COMPUTE_PGM_RSRC2:SCRATCH_EN: 1
; COMPUTE_PGM_RSRC2:USER_SGPR: 2
; COMPUTE_PGM_RSRC2:TRAP_HANDLER: 0
; COMPUTE_PGM_RSRC2:TGID_X_EN: 1
; COMPUTE_PGM_RSRC2:TGID_Y_EN: 0
; COMPUTE_PGM_RSRC2:TGID_Z_EN: 0
; COMPUTE_PGM_RSRC2:TIDIG_COMP_CNT: 0
	.section	.text._ZN9rocsolver6v33100L18getri_kernel_smallILi50EdPKPdEEvT1_iilPiilS6_bb,"axG",@progbits,_ZN9rocsolver6v33100L18getri_kernel_smallILi50EdPKPdEEvT1_iilPiilS6_bb,comdat
	.globl	_ZN9rocsolver6v33100L18getri_kernel_smallILi50EdPKPdEEvT1_iilPiilS6_bb ; -- Begin function _ZN9rocsolver6v33100L18getri_kernel_smallILi50EdPKPdEEvT1_iilPiilS6_bb
	.p2align	8
	.type	_ZN9rocsolver6v33100L18getri_kernel_smallILi50EdPKPdEEvT1_iilPiilS6_bb,@function
_ZN9rocsolver6v33100L18getri_kernel_smallILi50EdPKPdEEvT1_iilPiilS6_bb: ; @_ZN9rocsolver6v33100L18getri_kernel_smallILi50EdPKPdEEvT1_iilPiilS6_bb
; %bb.0:
	s_mov_b32 s2, exec_lo
	v_cmpx_gt_u32_e32 50, v0
	s_cbranch_execz .LBB113_210
; %bb.1:
	s_clause 0x1
	s_load_b32 s13, s[0:1], 0x38
	s_load_b64 s[2:3], s[0:1], 0x0
	s_getreg_b32 s6, hwreg(HW_REG_IB_STS2, 6, 4)
	s_wait_kmcnt 0x0
	s_bitcmp1_b32 s13, 8
	s_cselect_b32 s12, -1, 0
	s_bfe_u32 s4, ttmp6, 0x4000c
	s_and_b32 s5, ttmp6, 15
	s_add_co_i32 s4, s4, 1
	s_delay_alu instid0(SALU_CYCLE_1) | instskip(NEXT) | instid1(SALU_CYCLE_1)
	s_mul_i32 s4, ttmp9, s4
	s_add_co_i32 s5, s5, s4
	s_cmp_eq_u32 s6, 0
	s_cselect_b32 s10, ttmp9, s5
	s_load_b128 s[4:7], s[0:1], 0x28
	s_ashr_i32 s11, s10, 31
	s_delay_alu instid0(SALU_CYCLE_1) | instskip(NEXT) | instid1(SALU_CYCLE_1)
	s_lshl_b64 s[8:9], s[10:11], 3
	s_add_nc_u64 s[2:3], s[2:3], s[8:9]
	s_bfe_u32 s8, s13, 0x10008
	s_load_b64 s[2:3], s[2:3], 0x0
	s_cmp_eq_u32 s8, 0
                                        ; implicit-def: $sgpr8_sgpr9
	s_cbranch_scc1 .LBB113_3
; %bb.2:
	s_load_b96 s[16:18], s[0:1], 0x18
	s_wait_kmcnt 0x0
	s_mul_u64 s[4:5], s[4:5], s[10:11]
	s_delay_alu instid0(SALU_CYCLE_1) | instskip(SKIP_4) | instid1(SALU_CYCLE_1)
	s_lshl_b64 s[4:5], s[4:5], 2
	s_ashr_i32 s9, s18, 31
	s_mov_b32 s8, s18
	s_add_nc_u64 s[4:5], s[16:17], s[4:5]
	s_lshl_b64 s[8:9], s[8:9], 2
	s_add_nc_u64 s[8:9], s[4:5], s[8:9]
.LBB113_3:
	s_wait_kmcnt 0x0
	s_clause 0x1
	s_load_b64 s[4:5], s[0:1], 0x8
	s_load_b32 s13, s[0:1], 0x38
	v_dual_mov_b32 v3, 0 :: v_dual_lshlrev_b32 v2, 3, v0
	s_wait_kmcnt 0x0
	s_ashr_i32 s1, s4, 31
	s_mov_b32 s0, s4
	s_delay_alu instid0(SALU_CYCLE_1) | instskip(NEXT) | instid1(SALU_CYCLE_1)
	s_lshl_b64 s[0:1], s[0:1], 3
	s_add_nc_u64 s[2:3], s[2:3], s[0:1]
	s_ashr_i32 s1, s5, 31
	flat_load_b64 v[8:9], v0, s[2:3] scale_offset
	v_add_nc_u64_e32 v[4:5], s[2:3], v[2:3]
	s_mov_b32 s0, s5
	s_bitcmp0_b32 s13, 0
	s_delay_alu instid0(VALU_DEP_1)
	v_lshl_add_u64 v[6:7], s[0:1], 3, v[4:5]
	s_mov_b32 s1, -1
	s_wait_loadcnt_dscnt 0x0
	scratch_store_b64 off, v[8:9], off
	flat_load_b64 v[10:11], v[6:7]
	s_wait_xcnt 0x1
	v_add3_u32 v8, s5, s5, v0
	s_wait_loadcnt_dscnt 0x0
	scratch_store_b64 off, v[10:11], off offset:8
	flat_load_b64 v[12:13], v8, s[2:3] scale_offset
	s_wait_xcnt 0x1
	v_add_nc_u32_e32 v10, s5, v8
	s_wait_loadcnt_dscnt 0x0
	scratch_store_b64 off, v[12:13], off offset:16
	flat_load_b64 v[14:15], v10, s[2:3] scale_offset
	s_wait_xcnt 0x1
	v_add_nc_u32_e32 v12, s5, v10
	;; [unrolled: 5-line block ×47, first 2 shown]
	s_wait_loadcnt_dscnt 0x0
	scratch_store_b64 off, v[104:105], off offset:384
	flat_load_b64 v[104:105], v102, s[2:3] scale_offset
	s_wait_loadcnt_dscnt 0x0
	scratch_store_b64 off, v[104:105], off offset:392
	s_cbranch_scc1 .LBB113_208
; %bb.4:
	v_cmp_eq_u32_e64 s0, 0, v0
	s_wait_xcnt 0x0
	s_and_saveexec_b32 s1, s0
; %bb.5:
	v_mov_b32_e32 v1, 0
	ds_store_b32 v1, v1 offset:800
; %bb.6:
	s_or_b32 exec_lo, exec_lo, s1
	s_wait_storecnt_dscnt 0x0
	s_barrier_signal -1
	s_barrier_wait -1
	scratch_load_b64 v[104:105], v0, off scale_offset
	s_mov_b32 s4, exec_lo
	s_wait_loadcnt 0x0
	v_cmpx_eq_f64_e32 0, v[104:105]
	s_cbranch_execz .LBB113_10
; %bb.7:
	v_mov_b32_e32 v1, 0
	s_mov_b32 s5, 0
	ds_load_b32 v3, v1 offset:800
	s_wait_dscnt 0x0
	v_readfirstlane_b32 s1, v3
	v_add_nc_u32_e32 v3, 1, v0
	s_cmp_eq_u32 s1, 0
	s_delay_alu instid0(VALU_DEP_1) | instskip(SKIP_1) | instid1(SALU_CYCLE_1)
	v_cmp_gt_i32_e32 vcc_lo, s1, v3
	s_cselect_b32 s13, -1, 0
	s_or_b32 s13, s13, vcc_lo
	s_delay_alu instid0(SALU_CYCLE_1)
	s_and_b32 exec_lo, exec_lo, s13
	s_cbranch_execz .LBB113_10
; %bb.8:
	v_mov_b32_e32 v9, s1
.LBB113_9:                              ; =>This Inner Loop Header: Depth=1
	ds_cmpstore_rtn_b32 v9, v1, v3, v9 offset:800
	s_wait_dscnt 0x0
	v_cmp_ne_u32_e32 vcc_lo, 0, v9
	v_cmp_le_i32_e64 s1, v9, v3
	s_and_b32 s1, vcc_lo, s1
	s_delay_alu instid0(SALU_CYCLE_1) | instskip(NEXT) | instid1(SALU_CYCLE_1)
	s_and_b32 s1, exec_lo, s1
	s_or_b32 s5, s1, s5
	s_delay_alu instid0(SALU_CYCLE_1)
	s_and_not1_b32 exec_lo, exec_lo, s5
	s_cbranch_execnz .LBB113_9
.LBB113_10:
	s_or_b32 exec_lo, exec_lo, s4
	v_mov_b32_e32 v1, 0
	s_barrier_signal -1
	s_barrier_wait -1
	ds_load_b32 v3, v1 offset:800
	s_and_saveexec_b32 s1, s0
	s_cbranch_execz .LBB113_12
; %bb.11:
	s_lshl_b64 s[4:5], s[10:11], 2
	s_delay_alu instid0(SALU_CYCLE_1)
	s_add_nc_u64 s[4:5], s[6:7], s[4:5]
	s_wait_dscnt 0x0
	global_store_b32 v1, v3, s[4:5]
.LBB113_12:
	s_wait_xcnt 0x0
	s_or_b32 exec_lo, exec_lo, s1
	s_wait_dscnt 0x0
	v_cmp_ne_u32_e32 vcc_lo, 0, v3
	s_mov_b32 s1, 0
	s_cbranch_vccnz .LBB113_208
; %bb.13:
	v_lshl_add_u32 v3, v0, 3, 0
	v_add_nc_u32_e32 v1, 0x190, v2
	scratch_load_b64 v[104:105], v3, off
	s_wait_loadcnt 0x0
	v_div_scale_f64 v[106:107], null, v[104:105], v[104:105], 1.0
	v_div_scale_f64 v[112:113], vcc_lo, 1.0, v[104:105], 1.0
	s_delay_alu instid0(VALU_DEP_2) | instskip(SKIP_1) | instid1(TRANS32_DEP_1)
	v_rcp_f64_e32 v[108:109], v[106:107]
	v_nop
	v_fma_f64 v[110:111], -v[106:107], v[108:109], 1.0
	s_delay_alu instid0(VALU_DEP_1) | instskip(NEXT) | instid1(VALU_DEP_1)
	v_fmac_f64_e32 v[108:109], v[108:109], v[110:111]
	v_fma_f64 v[110:111], -v[106:107], v[108:109], 1.0
	s_delay_alu instid0(VALU_DEP_1) | instskip(NEXT) | instid1(VALU_DEP_1)
	v_fmac_f64_e32 v[108:109], v[108:109], v[110:111]
	v_mul_f64_e32 v[110:111], v[112:113], v[108:109]
	s_delay_alu instid0(VALU_DEP_1) | instskip(NEXT) | instid1(VALU_DEP_1)
	v_fma_f64 v[106:107], -v[106:107], v[110:111], v[112:113]
	v_div_fmas_f64 v[106:107], v[106:107], v[108:109], v[110:111]
	s_delay_alu instid0(VALU_DEP_1)
	v_div_fixup_f64 v[104:105], v[106:107], v[104:105], 1.0
	scratch_store_b64 v3, v[104:105], off
	scratch_load_b64 v[106:107], off, off offset:8
	s_wait_xcnt 0x1
	v_xor_b32_e32 v105, 0x80000000, v105
	s_wait_loadcnt 0x0
	ds_store_2addr_b64 v2, v[104:105], v[106:107] offset1:50
	s_wait_storecnt_dscnt 0x0
	s_barrier_signal -1
	s_barrier_wait -1
	s_wait_xcnt 0x0
	s_and_saveexec_b32 s1, s0
	s_cbranch_execz .LBB113_15
; %bb.14:
	scratch_load_b64 v[104:105], v3, off
	ds_load_b64 v[106:107], v1
	s_wait_loadcnt_dscnt 0x0
	v_fma_f64 v[104:105], v[104:105], v[106:107], 0
	v_mov_b32_e32 v9, 0
	ds_load_b64 v[108:109], v9 offset:8
	s_wait_dscnt 0x0
	v_mul_f64_e32 v[104:105], v[104:105], v[108:109]
	scratch_store_b64 off, v[104:105], off offset:8
.LBB113_15:
	s_wait_xcnt 0x0
	s_or_b32 exec_lo, exec_lo, s1
	s_wait_storecnt 0x0
	s_barrier_signal -1
	s_barrier_wait -1
	scratch_load_b64 v[104:105], off, off offset:16
	s_mov_b32 s1, exec_lo
	s_wait_loadcnt 0x0
	ds_store_b64 v1, v[104:105]
	s_wait_dscnt 0x0
	s_barrier_signal -1
	s_barrier_wait -1
	v_cmpx_gt_u32_e32 2, v0
	s_cbranch_execz .LBB113_19
; %bb.16:
	scratch_load_b64 v[104:105], v3, off
	ds_load_b64 v[106:107], v1
	s_wait_loadcnt_dscnt 0x0
	v_fma_f64 v[104:105], v[104:105], v[106:107], 0
	s_and_saveexec_b32 s4, s0
	s_cbranch_execz .LBB113_18
; %bb.17:
	scratch_load_b64 v[106:107], off, off offset:8
	v_mov_b32_e32 v3, 0
	ds_load_b64 v[108:109], v3 offset:408
	s_wait_loadcnt_dscnt 0x0
	v_fmac_f64_e32 v[104:105], v[106:107], v[108:109]
.LBB113_18:
	s_or_b32 exec_lo, exec_lo, s4
	v_mov_b32_e32 v3, 0
	ds_load_b64 v[106:107], v3 offset:16
	s_wait_dscnt 0x0
	v_mul_f64_e32 v[104:105], v[104:105], v[106:107]
	scratch_store_b64 off, v[104:105], off offset:16
.LBB113_19:
	s_wait_xcnt 0x0
	s_or_b32 exec_lo, exec_lo, s1
	s_wait_storecnt 0x0
	s_barrier_signal -1
	s_barrier_wait -1
	scratch_load_b64 v[104:105], off, off offset:24
	v_add_nc_u32_e32 v3, -1, v0
	s_mov_b32 s0, exec_lo
	s_wait_loadcnt 0x0
	ds_store_b64 v1, v[104:105]
	s_wait_dscnt 0x0
	s_barrier_signal -1
	s_barrier_wait -1
	v_cmpx_gt_u32_e32 3, v0
	s_cbranch_execz .LBB113_23
; %bb.20:
	v_mov_b64_e32 v[104:105], 0
	v_dual_add_nc_u32 v9, -1, v0 :: v_dual_mov_b32 v13, v2
	v_add_nc_u32_e32 v11, 0x190, v2
	s_mov_b32 s1, 0
.LBB113_21:                             ; =>This Inner Loop Header: Depth=1
	scratch_load_b64 v[106:107], v13, off
	ds_load_b64 v[108:109], v11
	v_dual_add_nc_u32 v9, 1, v9 :: v_dual_add_nc_u32 v11, 8, v11
	s_wait_xcnt 0x0
	v_add_nc_u32_e32 v13, 8, v13
	s_delay_alu instid0(VALU_DEP_2)
	v_cmp_lt_u32_e32 vcc_lo, 1, v9
	s_or_b32 s1, vcc_lo, s1
	s_wait_loadcnt_dscnt 0x0
	v_fmac_f64_e32 v[104:105], v[106:107], v[108:109]
	s_and_not1_b32 exec_lo, exec_lo, s1
	s_cbranch_execnz .LBB113_21
; %bb.22:
	s_or_b32 exec_lo, exec_lo, s1
	v_mov_b32_e32 v9, 0
	ds_load_b64 v[106:107], v9 offset:24
	s_wait_dscnt 0x0
	v_mul_f64_e32 v[104:105], v[104:105], v[106:107]
	scratch_store_b64 off, v[104:105], off offset:24
.LBB113_23:
	s_wait_xcnt 0x0
	s_or_b32 exec_lo, exec_lo, s0
	s_wait_storecnt 0x0
	s_barrier_signal -1
	s_barrier_wait -1
	scratch_load_b64 v[104:105], off, off offset:32
	s_mov_b32 s0, exec_lo
	s_wait_loadcnt 0x0
	ds_store_b64 v1, v[104:105]
	s_wait_dscnt 0x0
	s_barrier_signal -1
	s_barrier_wait -1
	v_cmpx_gt_u32_e32 4, v0
	s_cbranch_execz .LBB113_27
; %bb.24:
	v_mov_b64_e32 v[104:105], 0
	v_dual_add_nc_u32 v9, -1, v0 :: v_dual_mov_b32 v13, v2
	v_add_nc_u32_e32 v11, 0x190, v2
	s_mov_b32 s1, 0
.LBB113_25:                             ; =>This Inner Loop Header: Depth=1
	scratch_load_b64 v[106:107], v13, off
	ds_load_b64 v[108:109], v11
	v_dual_add_nc_u32 v9, 1, v9 :: v_dual_add_nc_u32 v11, 8, v11
	s_wait_xcnt 0x0
	v_add_nc_u32_e32 v13, 8, v13
	s_delay_alu instid0(VALU_DEP_2)
	v_cmp_lt_u32_e32 vcc_lo, 2, v9
	s_or_b32 s1, vcc_lo, s1
	s_wait_loadcnt_dscnt 0x0
	v_fmac_f64_e32 v[104:105], v[106:107], v[108:109]
	s_and_not1_b32 exec_lo, exec_lo, s1
	s_cbranch_execnz .LBB113_25
; %bb.26:
	s_or_b32 exec_lo, exec_lo, s1
	v_mov_b32_e32 v9, 0
	ds_load_b64 v[106:107], v9 offset:32
	s_wait_dscnt 0x0
	v_mul_f64_e32 v[104:105], v[104:105], v[106:107]
	scratch_store_b64 off, v[104:105], off offset:32
.LBB113_27:
	s_wait_xcnt 0x0
	s_or_b32 exec_lo, exec_lo, s0
	s_wait_storecnt 0x0
	s_barrier_signal -1
	s_barrier_wait -1
	scratch_load_b64 v[104:105], off, off offset:40
	;; [unrolled: 40-line block ×20, first 2 shown]
	s_mov_b32 s0, exec_lo
	s_wait_loadcnt 0x0
	ds_store_b64 v1, v[104:105]
	s_wait_dscnt 0x0
	s_barrier_signal -1
	s_barrier_wait -1
	v_cmpx_gt_u32_e32 23, v0
	s_cbranch_execz .LBB113_103
; %bb.100:
	v_mov_b64_e32 v[104:105], 0
	v_dual_add_nc_u32 v9, -1, v0 :: v_dual_mov_b32 v13, v2
	v_add_nc_u32_e32 v11, 0x190, v2
	s_mov_b32 s1, 0
.LBB113_101:                            ; =>This Inner Loop Header: Depth=1
	scratch_load_b64 v[106:107], v13, off
	ds_load_b64 v[108:109], v11
	v_dual_add_nc_u32 v9, 1, v9 :: v_dual_add_nc_u32 v11, 8, v11
	s_wait_xcnt 0x0
	v_add_nc_u32_e32 v13, 8, v13
	s_delay_alu instid0(VALU_DEP_2)
	v_cmp_lt_u32_e32 vcc_lo, 21, v9
	s_or_b32 s1, vcc_lo, s1
	s_wait_loadcnt_dscnt 0x0
	v_fmac_f64_e32 v[104:105], v[106:107], v[108:109]
	s_and_not1_b32 exec_lo, exec_lo, s1
	s_cbranch_execnz .LBB113_101
; %bb.102:
	s_or_b32 exec_lo, exec_lo, s1
	v_mov_b32_e32 v9, 0
	ds_load_b64 v[106:107], v9 offset:184
	s_wait_dscnt 0x0
	v_mul_f64_e32 v[104:105], v[104:105], v[106:107]
	scratch_store_b64 off, v[104:105], off offset:184
.LBB113_103:
	s_wait_xcnt 0x0
	s_or_b32 exec_lo, exec_lo, s0
	s_wait_storecnt 0x0
	s_barrier_signal -1
	s_barrier_wait -1
	scratch_load_b64 v[104:105], off, off offset:192
	s_mov_b32 s0, exec_lo
	s_wait_loadcnt 0x0
	ds_store_b64 v1, v[104:105]
	s_wait_dscnt 0x0
	s_barrier_signal -1
	s_barrier_wait -1
	v_cmpx_gt_u32_e32 24, v0
	s_cbranch_execz .LBB113_107
; %bb.104:
	v_mov_b64_e32 v[104:105], 0
	v_dual_add_nc_u32 v9, -1, v0 :: v_dual_mov_b32 v13, v2
	v_add_nc_u32_e32 v11, 0x190, v2
	s_mov_b32 s1, 0
.LBB113_105:                            ; =>This Inner Loop Header: Depth=1
	scratch_load_b64 v[106:107], v13, off
	ds_load_b64 v[108:109], v11
	v_dual_add_nc_u32 v9, 1, v9 :: v_dual_add_nc_u32 v11, 8, v11
	s_wait_xcnt 0x0
	v_add_nc_u32_e32 v13, 8, v13
	s_delay_alu instid0(VALU_DEP_2)
	v_cmp_lt_u32_e32 vcc_lo, 22, v9
	s_or_b32 s1, vcc_lo, s1
	s_wait_loadcnt_dscnt 0x0
	v_fmac_f64_e32 v[104:105], v[106:107], v[108:109]
	s_and_not1_b32 exec_lo, exec_lo, s1
	s_cbranch_execnz .LBB113_105
; %bb.106:
	s_or_b32 exec_lo, exec_lo, s1
	v_mov_b32_e32 v9, 0
	ds_load_b64 v[106:107], v9 offset:192
	s_wait_dscnt 0x0
	v_mul_f64_e32 v[104:105], v[104:105], v[106:107]
	scratch_store_b64 off, v[104:105], off offset:192
.LBB113_107:
	s_wait_xcnt 0x0
	s_or_b32 exec_lo, exec_lo, s0
	s_wait_storecnt 0x0
	s_barrier_signal -1
	s_barrier_wait -1
	scratch_load_b64 v[104:105], off, off offset:200
	;; [unrolled: 40-line block ×26, first 2 shown]
	s_mov_b32 s0, exec_lo
	s_wait_loadcnt 0x0
	ds_store_b64 v1, v[104:105]
	s_wait_dscnt 0x0
	s_barrier_signal -1
	s_barrier_wait -1
	v_cmpx_ne_u32_e32 49, v0
	s_cbranch_execz .LBB113_207
; %bb.204:
	v_mov_b64_e32 v[104:105], 0
	s_mov_b32 s1, 0
.LBB113_205:                            ; =>This Inner Loop Header: Depth=1
	scratch_load_b64 v[106:107], v2, off
	ds_load_b64 v[108:109], v1
	v_dual_add_nc_u32 v3, 1, v3 :: v_dual_add_nc_u32 v1, 8, v1
	s_wait_xcnt 0x0
	v_add_nc_u32_e32 v2, 8, v2
	s_delay_alu instid0(VALU_DEP_2)
	v_cmp_lt_u32_e32 vcc_lo, 47, v3
	s_or_b32 s1, vcc_lo, s1
	s_wait_loadcnt_dscnt 0x0
	v_fmac_f64_e32 v[104:105], v[106:107], v[108:109]
	s_and_not1_b32 exec_lo, exec_lo, s1
	s_cbranch_execnz .LBB113_205
; %bb.206:
	s_or_b32 exec_lo, exec_lo, s1
	v_mov_b32_e32 v1, 0
	ds_load_b64 v[2:3], v1 offset:392
	s_wait_dscnt 0x0
	v_mul_f64_e32 v[2:3], v[104:105], v[2:3]
	scratch_store_b64 off, v[2:3], off offset:392
.LBB113_207:
	s_wait_xcnt 0x0
	s_or_b32 exec_lo, exec_lo, s0
	s_mov_b32 s1, -1
	s_wait_storecnt 0x0
	s_barrier_signal -1
	s_barrier_wait -1
.LBB113_208:
	s_and_b32 vcc_lo, exec_lo, s1
	s_cbranch_vccz .LBB113_210
; %bb.209:
	v_mov_b32_e32 v1, 0
	s_lshl_b64 s[0:1], s[10:11], 2
	s_delay_alu instid0(SALU_CYCLE_1)
	s_add_nc_u64 s[0:1], s[6:7], s[0:1]
	global_load_b32 v1, v1, s[0:1]
	s_wait_loadcnt 0x0
	v_cmp_ne_u32_e32 vcc_lo, 0, v1
	s_cbranch_vccz .LBB113_211
.LBB113_210:
	s_sendmsg sendmsg(MSG_DEALLOC_VGPRS)
	s_endpgm
.LBB113_211:
	s_wait_xcnt 0x0
	v_lshl_add_u32 v1, v0, 3, 0x190
	s_mov_b32 s0, exec_lo
	v_cmpx_eq_u32_e32 49, v0
	s_cbranch_execz .LBB113_213
; %bb.212:
	scratch_load_b64 v[2:3], off, off offset:384
	v_mov_b64_e32 v[104:105], 0
	scratch_store_b64 off, v[104:105], off offset:384
	s_wait_loadcnt 0x0
	ds_store_b64 v1, v[2:3]
.LBB113_213:
	s_wait_xcnt 0x0
	s_or_b32 exec_lo, exec_lo, s0
	s_wait_storecnt_dscnt 0x0
	s_barrier_signal -1
	s_barrier_wait -1
	scratch_load_b128 v[104:107], off, off offset:384
	v_mov_b32_e32 v2, 0
	s_mov_b32 s0, exec_lo
	ds_load_b64 v[108:109], v2 offset:792
	s_wait_loadcnt_dscnt 0x0
	v_fma_f64 v[106:107], v[106:107], v[108:109], 0
	s_delay_alu instid0(VALU_DEP_1)
	v_add_f64_e64 v[104:105], v[104:105], -v[106:107]
	scratch_store_b64 off, v[104:105], off offset:384
	s_wait_xcnt 0x0
	v_cmpx_lt_u32_e32 47, v0
	s_cbranch_execz .LBB113_215
; %bb.214:
	scratch_load_b64 v[104:105], off, off offset:376
	v_mov_b64_e32 v[106:107], 0
	scratch_store_b64 off, v[106:107], off offset:376
	s_wait_loadcnt 0x0
	ds_store_b64 v1, v[104:105]
.LBB113_215:
	s_wait_xcnt 0x0
	s_or_b32 exec_lo, exec_lo, s0
	s_wait_storecnt_dscnt 0x0
	s_barrier_signal -1
	s_barrier_wait -1
	s_clause 0x1
	scratch_load_b128 v[104:107], off, off offset:376
	scratch_load_b64 v[112:113], off, off offset:392
	ds_load_b128 v[108:111], v2 offset:784
	s_mov_b32 s0, exec_lo
	s_wait_loadcnt_dscnt 0x100
	v_fma_f64 v[2:3], v[106:107], v[108:109], 0
	s_wait_loadcnt 0x0
	s_delay_alu instid0(VALU_DEP_1) | instskip(NEXT) | instid1(VALU_DEP_1)
	v_fmac_f64_e32 v[2:3], v[112:113], v[110:111]
	v_add_f64_e64 v[2:3], v[104:105], -v[2:3]
	scratch_store_b64 off, v[2:3], off offset:376
	s_wait_xcnt 0x0
	v_cmpx_lt_u32_e32 46, v0
	s_cbranch_execz .LBB113_217
; %bb.216:
	scratch_load_b64 v[2:3], off, off offset:368
	v_mov_b64_e32 v[104:105], 0
	scratch_store_b64 off, v[104:105], off offset:368
	s_wait_loadcnt 0x0
	ds_store_b64 v1, v[2:3]
.LBB113_217:
	s_wait_xcnt 0x0
	s_or_b32 exec_lo, exec_lo, s0
	s_wait_storecnt_dscnt 0x0
	s_barrier_signal -1
	s_barrier_wait -1
	s_clause 0x1
	scratch_load_b128 v[104:107], off, off offset:368
	scratch_load_b128 v[108:111], off, off offset:384
	v_mov_b32_e32 v2, 0
	ds_load_2addr_b64 v[112:115], v2 offset0:97 offset1:98
	ds_load_b64 v[116:117], v2 offset:792
	s_mov_b32 s0, exec_lo
	s_wait_loadcnt_dscnt 0x101
	v_fma_f64 v[106:107], v[106:107], v[112:113], 0
	s_wait_loadcnt 0x0
	s_delay_alu instid0(VALU_DEP_1) | instskip(SKIP_1) | instid1(VALU_DEP_1)
	v_fmac_f64_e32 v[106:107], v[108:109], v[114:115]
	s_wait_dscnt 0x0
	v_fmac_f64_e32 v[106:107], v[110:111], v[116:117]
	s_delay_alu instid0(VALU_DEP_1)
	v_add_f64_e64 v[104:105], v[104:105], -v[106:107]
	scratch_store_b64 off, v[104:105], off offset:368
	s_wait_xcnt 0x0
	v_cmpx_lt_u32_e32 45, v0
	s_cbranch_execz .LBB113_219
; %bb.218:
	scratch_load_b64 v[104:105], off, off offset:360
	v_mov_b64_e32 v[106:107], 0
	scratch_store_b64 off, v[106:107], off offset:360
	s_wait_loadcnt 0x0
	ds_store_b64 v1, v[104:105]
.LBB113_219:
	s_wait_xcnt 0x0
	s_or_b32 exec_lo, exec_lo, s0
	s_wait_storecnt_dscnt 0x0
	s_barrier_signal -1
	s_barrier_wait -1
	s_clause 0x2
	scratch_load_b128 v[104:107], off, off offset:360
	scratch_load_b128 v[108:111], off, off offset:376
	scratch_load_b64 v[120:121], off, off offset:392
	ds_load_b128 v[112:115], v2 offset:768
	ds_load_b128 v[116:119], v2 offset:784
	s_mov_b32 s0, exec_lo
	s_wait_loadcnt_dscnt 0x201
	v_fma_f64 v[2:3], v[106:107], v[112:113], 0
	s_wait_loadcnt 0x1
	s_delay_alu instid0(VALU_DEP_1) | instskip(SKIP_1) | instid1(VALU_DEP_1)
	v_fmac_f64_e32 v[2:3], v[108:109], v[114:115]
	s_wait_dscnt 0x0
	v_fmac_f64_e32 v[2:3], v[110:111], v[116:117]
	s_wait_loadcnt 0x0
	s_delay_alu instid0(VALU_DEP_1) | instskip(NEXT) | instid1(VALU_DEP_1)
	v_fmac_f64_e32 v[2:3], v[120:121], v[118:119]
	v_add_f64_e64 v[2:3], v[104:105], -v[2:3]
	scratch_store_b64 off, v[2:3], off offset:360
	s_wait_xcnt 0x0
	v_cmpx_lt_u32_e32 44, v0
	s_cbranch_execz .LBB113_221
; %bb.220:
	scratch_load_b64 v[2:3], off, off offset:352
	v_mov_b64_e32 v[104:105], 0
	scratch_store_b64 off, v[104:105], off offset:352
	s_wait_loadcnt 0x0
	ds_store_b64 v1, v[2:3]
.LBB113_221:
	s_wait_xcnt 0x0
	s_or_b32 exec_lo, exec_lo, s0
	s_wait_storecnt_dscnt 0x0
	s_barrier_signal -1
	s_barrier_wait -1
	s_clause 0x2
	scratch_load_b128 v[104:107], off, off offset:352
	scratch_load_b128 v[108:111], off, off offset:368
	;; [unrolled: 1-line block ×3, first 2 shown]
	v_mov_b32_e32 v2, 0
	ds_load_2addr_b64 v[116:119], v2 offset0:95 offset1:96
	ds_load_2addr_b64 v[120:123], v2 offset0:97 offset1:98
	s_mov_b32 s0, exec_lo
	s_wait_loadcnt_dscnt 0x201
	v_fma_f64 v[106:107], v[106:107], v[116:117], 0
	s_wait_loadcnt 0x1
	s_delay_alu instid0(VALU_DEP_1) | instskip(SKIP_4) | instid1(VALU_DEP_1)
	v_fmac_f64_e32 v[106:107], v[108:109], v[118:119]
	ds_load_b64 v[108:109], v2 offset:792
	s_wait_dscnt 0x1
	v_fmac_f64_e32 v[106:107], v[110:111], v[120:121]
	s_wait_loadcnt 0x0
	v_fmac_f64_e32 v[106:107], v[112:113], v[122:123]
	s_wait_dscnt 0x0
	s_delay_alu instid0(VALU_DEP_1) | instskip(NEXT) | instid1(VALU_DEP_1)
	v_fmac_f64_e32 v[106:107], v[114:115], v[108:109]
	v_add_f64_e64 v[104:105], v[104:105], -v[106:107]
	scratch_store_b64 off, v[104:105], off offset:352
	s_wait_xcnt 0x0
	v_cmpx_lt_u32_e32 43, v0
	s_cbranch_execz .LBB113_223
; %bb.222:
	scratch_load_b64 v[104:105], off, off offset:344
	v_mov_b64_e32 v[106:107], 0
	scratch_store_b64 off, v[106:107], off offset:344
	s_wait_loadcnt 0x0
	ds_store_b64 v1, v[104:105]
.LBB113_223:
	s_wait_xcnt 0x0
	s_or_b32 exec_lo, exec_lo, s0
	s_wait_storecnt_dscnt 0x0
	s_barrier_signal -1
	s_barrier_wait -1
	s_clause 0x3
	scratch_load_b128 v[104:107], off, off offset:344
	scratch_load_b128 v[108:111], off, off offset:360
	;; [unrolled: 1-line block ×3, first 2 shown]
	scratch_load_b64 v[124:125], off, off offset:392
	ds_load_b128 v[116:119], v2 offset:752
	ds_load_b128 v[120:123], v2 offset:768
	s_mov_b32 s0, exec_lo
	s_wait_loadcnt_dscnt 0x301
	v_fma_f64 v[116:117], v[106:107], v[116:117], 0
	s_wait_loadcnt 0x2
	s_delay_alu instid0(VALU_DEP_1) | instskip(SKIP_4) | instid1(VALU_DEP_1)
	v_fmac_f64_e32 v[116:117], v[108:109], v[118:119]
	ds_load_b128 v[106:109], v2 offset:784
	s_wait_dscnt 0x1
	v_fmac_f64_e32 v[116:117], v[110:111], v[120:121]
	s_wait_loadcnt 0x1
	v_fmac_f64_e32 v[116:117], v[112:113], v[122:123]
	s_wait_dscnt 0x0
	s_delay_alu instid0(VALU_DEP_1) | instskip(SKIP_1) | instid1(VALU_DEP_1)
	v_fmac_f64_e32 v[116:117], v[114:115], v[106:107]
	s_wait_loadcnt 0x0
	v_fmac_f64_e32 v[116:117], v[124:125], v[108:109]
	s_delay_alu instid0(VALU_DEP_1)
	v_add_f64_e64 v[2:3], v[104:105], -v[116:117]
	scratch_store_b64 off, v[2:3], off offset:344
	s_wait_xcnt 0x0
	v_cmpx_lt_u32_e32 42, v0
	s_cbranch_execz .LBB113_225
; %bb.224:
	scratch_load_b64 v[2:3], off, off offset:336
	v_mov_b64_e32 v[104:105], 0
	scratch_store_b64 off, v[104:105], off offset:336
	s_wait_loadcnt 0x0
	ds_store_b64 v1, v[2:3]
.LBB113_225:
	s_wait_xcnt 0x0
	s_or_b32 exec_lo, exec_lo, s0
	s_wait_storecnt_dscnt 0x0
	s_barrier_signal -1
	s_barrier_wait -1
	s_clause 0x3
	scratch_load_b128 v[104:107], off, off offset:336
	scratch_load_b128 v[108:111], off, off offset:352
	;; [unrolled: 1-line block ×4, first 2 shown]
	v_mov_b32_e32 v2, 0
	ds_load_2addr_b64 v[120:123], v2 offset0:93 offset1:94
	ds_load_2addr_b64 v[124:127], v2 offset0:95 offset1:96
	s_mov_b32 s0, exec_lo
	s_wait_loadcnt_dscnt 0x301
	v_fma_f64 v[120:121], v[106:107], v[120:121], 0
	s_wait_loadcnt 0x2
	s_delay_alu instid0(VALU_DEP_1) | instskip(SKIP_1) | instid1(VALU_DEP_1)
	v_fmac_f64_e32 v[120:121], v[108:109], v[122:123]
	s_wait_dscnt 0x0
	v_fmac_f64_e32 v[120:121], v[110:111], v[124:125]
	ds_load_2addr_b64 v[106:109], v2 offset0:97 offset1:98
	ds_load_b64 v[110:111], v2 offset:792
	s_wait_loadcnt 0x1
	v_fmac_f64_e32 v[120:121], v[112:113], v[126:127]
	s_wait_dscnt 0x1
	s_delay_alu instid0(VALU_DEP_1) | instskip(SKIP_1) | instid1(VALU_DEP_1)
	v_fmac_f64_e32 v[120:121], v[114:115], v[106:107]
	s_wait_loadcnt 0x0
	v_fmac_f64_e32 v[120:121], v[116:117], v[108:109]
	s_wait_dscnt 0x0
	s_delay_alu instid0(VALU_DEP_1) | instskip(NEXT) | instid1(VALU_DEP_1)
	v_fmac_f64_e32 v[120:121], v[118:119], v[110:111]
	v_add_f64_e64 v[104:105], v[104:105], -v[120:121]
	scratch_store_b64 off, v[104:105], off offset:336
	s_wait_xcnt 0x0
	v_cmpx_lt_u32_e32 41, v0
	s_cbranch_execz .LBB113_227
; %bb.226:
	scratch_load_b64 v[104:105], off, off offset:328
	v_mov_b64_e32 v[106:107], 0
	scratch_store_b64 off, v[106:107], off offset:328
	s_wait_loadcnt 0x0
	ds_store_b64 v1, v[104:105]
.LBB113_227:
	s_wait_xcnt 0x0
	s_or_b32 exec_lo, exec_lo, s0
	s_wait_storecnt_dscnt 0x0
	s_barrier_signal -1
	s_barrier_wait -1
	s_clause 0x4
	scratch_load_b128 v[104:107], off, off offset:328
	scratch_load_b128 v[108:111], off, off offset:344
	;; [unrolled: 1-line block ×4, first 2 shown]
	scratch_load_b64 v[128:129], off, off offset:392
	ds_load_b128 v[120:123], v2 offset:736
	ds_load_b128 v[124:127], v2 offset:752
	s_mov_b32 s0, exec_lo
	s_wait_loadcnt_dscnt 0x401
	v_fma_f64 v[120:121], v[106:107], v[120:121], 0
	s_wait_loadcnt 0x3
	s_delay_alu instid0(VALU_DEP_1) | instskip(SKIP_1) | instid1(VALU_DEP_1)
	v_fmac_f64_e32 v[120:121], v[108:109], v[122:123]
	s_wait_dscnt 0x0
	v_fmac_f64_e32 v[120:121], v[110:111], v[124:125]
	s_wait_loadcnt 0x2
	s_delay_alu instid0(VALU_DEP_1)
	v_fmac_f64_e32 v[120:121], v[112:113], v[126:127]
	ds_load_b128 v[106:109], v2 offset:768
	ds_load_b128 v[110:113], v2 offset:784
	s_wait_dscnt 0x1
	v_fmac_f64_e32 v[120:121], v[114:115], v[106:107]
	s_wait_loadcnt 0x1
	s_delay_alu instid0(VALU_DEP_1) | instskip(SKIP_1) | instid1(VALU_DEP_1)
	v_fmac_f64_e32 v[120:121], v[116:117], v[108:109]
	s_wait_dscnt 0x0
	v_fmac_f64_e32 v[120:121], v[118:119], v[110:111]
	s_wait_loadcnt 0x0
	s_delay_alu instid0(VALU_DEP_1) | instskip(NEXT) | instid1(VALU_DEP_1)
	v_fmac_f64_e32 v[120:121], v[128:129], v[112:113]
	v_add_f64_e64 v[2:3], v[104:105], -v[120:121]
	scratch_store_b64 off, v[2:3], off offset:328
	s_wait_xcnt 0x0
	v_cmpx_lt_u32_e32 40, v0
	s_cbranch_execz .LBB113_229
; %bb.228:
	scratch_load_b64 v[2:3], off, off offset:320
	v_mov_b64_e32 v[104:105], 0
	scratch_store_b64 off, v[104:105], off offset:320
	s_wait_loadcnt 0x0
	ds_store_b64 v1, v[2:3]
.LBB113_229:
	s_wait_xcnt 0x0
	s_or_b32 exec_lo, exec_lo, s0
	s_wait_storecnt_dscnt 0x0
	s_barrier_signal -1
	s_barrier_wait -1
	s_clause 0x4
	scratch_load_b128 v[104:107], off, off offset:320
	scratch_load_b128 v[108:111], off, off offset:336
	scratch_load_b128 v[112:115], off, off offset:352
	scratch_load_b128 v[116:119], off, off offset:368
	scratch_load_b128 v[120:123], off, off offset:384
	v_mov_b32_e32 v2, 0
	ds_load_2addr_b64 v[124:127], v2 offset0:91 offset1:92
	ds_load_2addr_b64 v[128:131], v2 offset0:93 offset1:94
	s_mov_b32 s0, exec_lo
	s_wait_loadcnt_dscnt 0x401
	v_fma_f64 v[124:125], v[106:107], v[124:125], 0
	s_wait_loadcnt 0x3
	s_delay_alu instid0(VALU_DEP_1) | instskip(SKIP_1) | instid1(VALU_DEP_1)
	v_fmac_f64_e32 v[124:125], v[108:109], v[126:127]
	s_wait_dscnt 0x0
	v_fmac_f64_e32 v[124:125], v[110:111], v[128:129]
	s_wait_loadcnt 0x2
	s_delay_alu instid0(VALU_DEP_1)
	v_fmac_f64_e32 v[124:125], v[112:113], v[130:131]
	ds_load_2addr_b64 v[106:109], v2 offset0:95 offset1:96
	ds_load_2addr_b64 v[110:113], v2 offset0:97 offset1:98
	s_wait_dscnt 0x1
	v_fmac_f64_e32 v[124:125], v[114:115], v[106:107]
	ds_load_b64 v[106:107], v2 offset:792
	s_wait_loadcnt 0x1
	v_fmac_f64_e32 v[124:125], v[116:117], v[108:109]
	s_wait_dscnt 0x1
	s_delay_alu instid0(VALU_DEP_1) | instskip(SKIP_1) | instid1(VALU_DEP_1)
	v_fmac_f64_e32 v[124:125], v[118:119], v[110:111]
	s_wait_loadcnt 0x0
	v_fmac_f64_e32 v[124:125], v[120:121], v[112:113]
	s_wait_dscnt 0x0
	s_delay_alu instid0(VALU_DEP_1) | instskip(NEXT) | instid1(VALU_DEP_1)
	v_fmac_f64_e32 v[124:125], v[122:123], v[106:107]
	v_add_f64_e64 v[104:105], v[104:105], -v[124:125]
	scratch_store_b64 off, v[104:105], off offset:320
	s_wait_xcnt 0x0
	v_cmpx_lt_u32_e32 39, v0
	s_cbranch_execz .LBB113_231
; %bb.230:
	scratch_load_b64 v[104:105], off, off offset:312
	v_mov_b64_e32 v[106:107], 0
	scratch_store_b64 off, v[106:107], off offset:312
	s_wait_loadcnt 0x0
	ds_store_b64 v1, v[104:105]
.LBB113_231:
	s_wait_xcnt 0x0
	s_or_b32 exec_lo, exec_lo, s0
	s_wait_storecnt_dscnt 0x0
	s_barrier_signal -1
	s_barrier_wait -1
	s_clause 0x5
	scratch_load_b128 v[104:107], off, off offset:312
	scratch_load_b128 v[108:111], off, off offset:328
	;; [unrolled: 1-line block ×5, first 2 shown]
	scratch_load_b64 v[132:133], off, off offset:392
	ds_load_b128 v[124:127], v2 offset:720
	ds_load_b128 v[128:131], v2 offset:736
	s_mov_b32 s0, exec_lo
	s_wait_loadcnt_dscnt 0x501
	v_fma_f64 v[124:125], v[106:107], v[124:125], 0
	s_wait_loadcnt 0x4
	s_delay_alu instid0(VALU_DEP_1) | instskip(SKIP_1) | instid1(VALU_DEP_1)
	v_fmac_f64_e32 v[124:125], v[108:109], v[126:127]
	s_wait_dscnt 0x0
	v_fmac_f64_e32 v[124:125], v[110:111], v[128:129]
	s_wait_loadcnt 0x3
	s_delay_alu instid0(VALU_DEP_1)
	v_fmac_f64_e32 v[124:125], v[112:113], v[130:131]
	ds_load_b128 v[106:109], v2 offset:752
	ds_load_b128 v[110:113], v2 offset:768
	s_wait_dscnt 0x1
	v_fmac_f64_e32 v[124:125], v[114:115], v[106:107]
	s_wait_loadcnt 0x2
	s_delay_alu instid0(VALU_DEP_1) | instskip(SKIP_4) | instid1(VALU_DEP_1)
	v_fmac_f64_e32 v[124:125], v[116:117], v[108:109]
	ds_load_b128 v[106:109], v2 offset:784
	s_wait_dscnt 0x1
	v_fmac_f64_e32 v[124:125], v[118:119], v[110:111]
	s_wait_loadcnt 0x1
	v_fmac_f64_e32 v[124:125], v[120:121], v[112:113]
	s_wait_dscnt 0x0
	s_delay_alu instid0(VALU_DEP_1) | instskip(SKIP_1) | instid1(VALU_DEP_1)
	v_fmac_f64_e32 v[124:125], v[122:123], v[106:107]
	s_wait_loadcnt 0x0
	v_fmac_f64_e32 v[124:125], v[132:133], v[108:109]
	s_delay_alu instid0(VALU_DEP_1)
	v_add_f64_e64 v[2:3], v[104:105], -v[124:125]
	scratch_store_b64 off, v[2:3], off offset:312
	s_wait_xcnt 0x0
	v_cmpx_lt_u32_e32 38, v0
	s_cbranch_execz .LBB113_233
; %bb.232:
	scratch_load_b64 v[2:3], off, off offset:304
	v_mov_b64_e32 v[104:105], 0
	scratch_store_b64 off, v[104:105], off offset:304
	s_wait_loadcnt 0x0
	ds_store_b64 v1, v[2:3]
.LBB113_233:
	s_wait_xcnt 0x0
	s_or_b32 exec_lo, exec_lo, s0
	s_wait_storecnt_dscnt 0x0
	s_barrier_signal -1
	s_barrier_wait -1
	s_clause 0x5
	scratch_load_b128 v[104:107], off, off offset:304
	scratch_load_b128 v[108:111], off, off offset:320
	;; [unrolled: 1-line block ×6, first 2 shown]
	v_mov_b32_e32 v2, 0
	ds_load_2addr_b64 v[128:131], v2 offset0:89 offset1:90
	ds_load_2addr_b64 v[132:135], v2 offset0:91 offset1:92
	s_mov_b32 s0, exec_lo
	s_wait_loadcnt_dscnt 0x501
	v_fma_f64 v[128:129], v[106:107], v[128:129], 0
	s_wait_loadcnt 0x4
	s_delay_alu instid0(VALU_DEP_1) | instskip(SKIP_1) | instid1(VALU_DEP_1)
	v_fmac_f64_e32 v[128:129], v[108:109], v[130:131]
	s_wait_dscnt 0x0
	v_fmac_f64_e32 v[128:129], v[110:111], v[132:133]
	s_wait_loadcnt 0x3
	s_delay_alu instid0(VALU_DEP_1)
	v_fmac_f64_e32 v[128:129], v[112:113], v[134:135]
	ds_load_2addr_b64 v[106:109], v2 offset0:93 offset1:94
	ds_load_2addr_b64 v[110:113], v2 offset0:95 offset1:96
	s_wait_dscnt 0x1
	v_fmac_f64_e32 v[128:129], v[114:115], v[106:107]
	s_wait_loadcnt 0x2
	s_delay_alu instid0(VALU_DEP_1) | instskip(SKIP_1) | instid1(VALU_DEP_1)
	v_fmac_f64_e32 v[128:129], v[116:117], v[108:109]
	s_wait_dscnt 0x0
	v_fmac_f64_e32 v[128:129], v[118:119], v[110:111]
	ds_load_2addr_b64 v[106:109], v2 offset0:97 offset1:98
	ds_load_b64 v[110:111], v2 offset:792
	s_wait_loadcnt 0x1
	v_fmac_f64_e32 v[128:129], v[120:121], v[112:113]
	s_wait_dscnt 0x1
	s_delay_alu instid0(VALU_DEP_1) | instskip(SKIP_1) | instid1(VALU_DEP_1)
	v_fmac_f64_e32 v[128:129], v[122:123], v[106:107]
	s_wait_loadcnt 0x0
	v_fmac_f64_e32 v[128:129], v[124:125], v[108:109]
	s_wait_dscnt 0x0
	s_delay_alu instid0(VALU_DEP_1) | instskip(NEXT) | instid1(VALU_DEP_1)
	v_fmac_f64_e32 v[128:129], v[126:127], v[110:111]
	v_add_f64_e64 v[104:105], v[104:105], -v[128:129]
	scratch_store_b64 off, v[104:105], off offset:304
	s_wait_xcnt 0x0
	v_cmpx_lt_u32_e32 37, v0
	s_cbranch_execz .LBB113_235
; %bb.234:
	scratch_load_b64 v[104:105], off, off offset:296
	v_mov_b64_e32 v[106:107], 0
	scratch_store_b64 off, v[106:107], off offset:296
	s_wait_loadcnt 0x0
	ds_store_b64 v1, v[104:105]
.LBB113_235:
	s_wait_xcnt 0x0
	s_or_b32 exec_lo, exec_lo, s0
	s_wait_storecnt_dscnt 0x0
	s_barrier_signal -1
	s_barrier_wait -1
	s_clause 0x5
	scratch_load_b128 v[104:107], off, off offset:296
	scratch_load_b128 v[108:111], off, off offset:312
	;; [unrolled: 1-line block ×6, first 2 shown]
	ds_load_b128 v[128:131], v2 offset:704
	ds_load_b128 v[132:135], v2 offset:720
	s_mov_b32 s0, exec_lo
	s_wait_loadcnt_dscnt 0x501
	v_fma_f64 v[128:129], v[106:107], v[128:129], 0
	s_wait_loadcnt 0x4
	s_delay_alu instid0(VALU_DEP_1) | instskip(SKIP_4) | instid1(VALU_DEP_1)
	v_fmac_f64_e32 v[128:129], v[108:109], v[130:131]
	scratch_load_b64 v[130:131], off, off offset:392
	s_wait_dscnt 0x0
	v_fmac_f64_e32 v[128:129], v[110:111], v[132:133]
	s_wait_loadcnt 0x4
	v_fmac_f64_e32 v[128:129], v[112:113], v[134:135]
	ds_load_b128 v[106:109], v2 offset:736
	ds_load_b128 v[110:113], v2 offset:752
	s_wait_dscnt 0x1
	v_fmac_f64_e32 v[128:129], v[114:115], v[106:107]
	s_wait_loadcnt 0x3
	s_delay_alu instid0(VALU_DEP_1) | instskip(SKIP_1) | instid1(VALU_DEP_1)
	v_fmac_f64_e32 v[128:129], v[116:117], v[108:109]
	s_wait_dscnt 0x0
	v_fmac_f64_e32 v[128:129], v[118:119], v[110:111]
	s_wait_loadcnt 0x2
	s_delay_alu instid0(VALU_DEP_1)
	v_fmac_f64_e32 v[128:129], v[120:121], v[112:113]
	ds_load_b128 v[106:109], v2 offset:768
	ds_load_b128 v[110:113], v2 offset:784
	s_wait_dscnt 0x1
	v_fmac_f64_e32 v[128:129], v[122:123], v[106:107]
	s_wait_loadcnt 0x1
	s_delay_alu instid0(VALU_DEP_1) | instskip(SKIP_1) | instid1(VALU_DEP_1)
	v_fmac_f64_e32 v[128:129], v[124:125], v[108:109]
	s_wait_dscnt 0x0
	v_fmac_f64_e32 v[128:129], v[126:127], v[110:111]
	s_wait_loadcnt 0x0
	s_delay_alu instid0(VALU_DEP_1) | instskip(NEXT) | instid1(VALU_DEP_1)
	v_fmac_f64_e32 v[128:129], v[130:131], v[112:113]
	v_add_f64_e64 v[2:3], v[104:105], -v[128:129]
	scratch_store_b64 off, v[2:3], off offset:296
	s_wait_xcnt 0x0
	v_cmpx_lt_u32_e32 36, v0
	s_cbranch_execz .LBB113_237
; %bb.236:
	scratch_load_b64 v[2:3], off, off offset:288
	v_mov_b64_e32 v[104:105], 0
	scratch_store_b64 off, v[104:105], off offset:288
	s_wait_loadcnt 0x0
	ds_store_b64 v1, v[2:3]
.LBB113_237:
	s_wait_xcnt 0x0
	s_or_b32 exec_lo, exec_lo, s0
	s_wait_storecnt_dscnt 0x0
	s_barrier_signal -1
	s_barrier_wait -1
	s_clause 0x5
	scratch_load_b128 v[104:107], off, off offset:288
	scratch_load_b128 v[108:111], off, off offset:304
	;; [unrolled: 1-line block ×6, first 2 shown]
	v_mov_b32_e32 v2, 0
	ds_load_2addr_b64 v[128:131], v2 offset0:87 offset1:88
	ds_load_2addr_b64 v[132:135], v2 offset0:89 offset1:90
	s_mov_b32 s0, exec_lo
	s_wait_loadcnt_dscnt 0x501
	v_fma_f64 v[136:137], v[106:107], v[128:129], 0
	s_wait_loadcnt 0x4
	s_delay_alu instid0(VALU_DEP_1) | instskip(SKIP_4) | instid1(VALU_DEP_1)
	v_fmac_f64_e32 v[136:137], v[108:109], v[130:131]
	scratch_load_b128 v[106:109], off, off offset:384
	s_wait_dscnt 0x0
	v_fmac_f64_e32 v[136:137], v[110:111], v[132:133]
	s_wait_loadcnt 0x4
	v_fmac_f64_e32 v[136:137], v[112:113], v[134:135]
	ds_load_2addr_b64 v[110:113], v2 offset0:91 offset1:92
	ds_load_2addr_b64 v[128:131], v2 offset0:93 offset1:94
	s_wait_dscnt 0x1
	v_fmac_f64_e32 v[136:137], v[114:115], v[110:111]
	s_wait_loadcnt 0x3
	s_delay_alu instid0(VALU_DEP_1)
	v_fmac_f64_e32 v[136:137], v[116:117], v[112:113]
	ds_load_2addr_b64 v[110:113], v2 offset0:95 offset1:96
	ds_load_2addr_b64 v[114:117], v2 offset0:97 offset1:98
	s_wait_dscnt 0x2
	v_fmac_f64_e32 v[136:137], v[118:119], v[128:129]
	s_wait_loadcnt 0x2
	s_delay_alu instid0(VALU_DEP_1) | instskip(SKIP_1) | instid1(VALU_DEP_1)
	v_fmac_f64_e32 v[136:137], v[120:121], v[130:131]
	s_wait_dscnt 0x1
	v_fmac_f64_e32 v[136:137], v[122:123], v[110:111]
	s_wait_loadcnt 0x1
	s_delay_alu instid0(VALU_DEP_1) | instskip(SKIP_1) | instid1(VALU_DEP_1)
	v_fmac_f64_e32 v[136:137], v[124:125], v[112:113]
	s_wait_dscnt 0x0
	v_fmac_f64_e32 v[136:137], v[126:127], v[114:115]
	s_wait_loadcnt 0x0
	s_delay_alu instid0(VALU_DEP_1) | instskip(SKIP_3) | instid1(VALU_DEP_1)
	v_fmac_f64_e32 v[136:137], v[106:107], v[116:117]
	ds_load_b64 v[106:107], v2 offset:792
	s_wait_dscnt 0x0
	v_fmac_f64_e32 v[136:137], v[108:109], v[106:107]
	v_add_f64_e64 v[104:105], v[104:105], -v[136:137]
	scratch_store_b64 off, v[104:105], off offset:288
	s_wait_xcnt 0x0
	v_cmpx_lt_u32_e32 35, v0
	s_cbranch_execz .LBB113_239
; %bb.238:
	scratch_load_b64 v[104:105], off, off offset:280
	v_mov_b64_e32 v[106:107], 0
	scratch_store_b64 off, v[106:107], off offset:280
	s_wait_loadcnt 0x0
	ds_store_b64 v1, v[104:105]
.LBB113_239:
	s_wait_xcnt 0x0
	s_or_b32 exec_lo, exec_lo, s0
	s_wait_storecnt_dscnt 0x0
	s_barrier_signal -1
	s_barrier_wait -1
	s_clause 0x5
	scratch_load_b128 v[104:107], off, off offset:280
	scratch_load_b128 v[108:111], off, off offset:296
	;; [unrolled: 1-line block ×6, first 2 shown]
	ds_load_b128 v[128:131], v2 offset:688
	ds_load_b128 v[132:135], v2 offset:704
	s_mov_b32 s0, exec_lo
	s_wait_loadcnt_dscnt 0x501
	v_fma_f64 v[136:137], v[106:107], v[128:129], 0
	s_wait_loadcnt 0x4
	s_delay_alu instid0(VALU_DEP_1)
	v_fmac_f64_e32 v[136:137], v[108:109], v[130:131]
	scratch_load_b128 v[106:109], off, off offset:376
	s_wait_dscnt 0x0
	v_fmac_f64_e32 v[136:137], v[110:111], v[132:133]
	scratch_load_b64 v[132:133], off, off offset:392
	s_wait_loadcnt 0x5
	v_fmac_f64_e32 v[136:137], v[112:113], v[134:135]
	ds_load_b128 v[110:113], v2 offset:720
	ds_load_b128 v[128:131], v2 offset:736
	s_wait_dscnt 0x1
	v_fmac_f64_e32 v[136:137], v[114:115], v[110:111]
	s_wait_loadcnt 0x4
	s_delay_alu instid0(VALU_DEP_1)
	v_fmac_f64_e32 v[136:137], v[116:117], v[112:113]
	ds_load_b128 v[110:113], v2 offset:752
	ds_load_b128 v[114:117], v2 offset:768
	s_wait_dscnt 0x2
	v_fmac_f64_e32 v[136:137], v[118:119], v[128:129]
	s_wait_loadcnt 0x3
	s_delay_alu instid0(VALU_DEP_1) | instskip(SKIP_1) | instid1(VALU_DEP_1)
	v_fmac_f64_e32 v[136:137], v[120:121], v[130:131]
	s_wait_dscnt 0x1
	v_fmac_f64_e32 v[136:137], v[122:123], v[110:111]
	s_wait_loadcnt 0x2
	s_delay_alu instid0(VALU_DEP_1) | instskip(SKIP_4) | instid1(VALU_DEP_1)
	v_fmac_f64_e32 v[136:137], v[124:125], v[112:113]
	ds_load_b128 v[110:113], v2 offset:784
	s_wait_dscnt 0x1
	v_fmac_f64_e32 v[136:137], v[126:127], v[114:115]
	s_wait_loadcnt 0x1
	v_fmac_f64_e32 v[136:137], v[106:107], v[116:117]
	s_wait_dscnt 0x0
	s_delay_alu instid0(VALU_DEP_1) | instskip(SKIP_1) | instid1(VALU_DEP_1)
	v_fmac_f64_e32 v[136:137], v[108:109], v[110:111]
	s_wait_loadcnt 0x0
	v_fmac_f64_e32 v[136:137], v[132:133], v[112:113]
	s_delay_alu instid0(VALU_DEP_1)
	v_add_f64_e64 v[2:3], v[104:105], -v[136:137]
	scratch_store_b64 off, v[2:3], off offset:280
	s_wait_xcnt 0x0
	v_cmpx_lt_u32_e32 34, v0
	s_cbranch_execz .LBB113_241
; %bb.240:
	scratch_load_b64 v[2:3], off, off offset:272
	v_mov_b64_e32 v[104:105], 0
	scratch_store_b64 off, v[104:105], off offset:272
	s_wait_loadcnt 0x0
	ds_store_b64 v1, v[2:3]
.LBB113_241:
	s_wait_xcnt 0x0
	s_or_b32 exec_lo, exec_lo, s0
	s_wait_storecnt_dscnt 0x0
	s_barrier_signal -1
	s_barrier_wait -1
	s_clause 0x5
	scratch_load_b128 v[104:107], off, off offset:272
	scratch_load_b128 v[108:111], off, off offset:288
	;; [unrolled: 1-line block ×6, first 2 shown]
	v_mov_b32_e32 v2, 0
	ds_load_2addr_b64 v[128:131], v2 offset0:85 offset1:86
	ds_load_2addr_b64 v[132:135], v2 offset0:87 offset1:88
	s_mov_b32 s0, exec_lo
	s_wait_loadcnt_dscnt 0x501
	v_fma_f64 v[136:137], v[106:107], v[128:129], 0
	s_wait_loadcnt 0x4
	s_delay_alu instid0(VALU_DEP_1) | instskip(SKIP_4) | instid1(VALU_DEP_1)
	v_fmac_f64_e32 v[136:137], v[108:109], v[130:131]
	scratch_load_b128 v[106:109], off, off offset:368
	s_wait_dscnt 0x0
	v_fmac_f64_e32 v[136:137], v[110:111], v[132:133]
	s_wait_loadcnt 0x4
	v_fmac_f64_e32 v[136:137], v[112:113], v[134:135]
	scratch_load_b128 v[110:113], off, off offset:384
	ds_load_2addr_b64 v[128:131], v2 offset0:89 offset1:90
	ds_load_2addr_b64 v[132:135], v2 offset0:91 offset1:92
	s_wait_dscnt 0x1
	v_fmac_f64_e32 v[136:137], v[114:115], v[128:129]
	s_wait_loadcnt 0x4
	s_delay_alu instid0(VALU_DEP_1) | instskip(SKIP_1) | instid1(VALU_DEP_1)
	v_fmac_f64_e32 v[136:137], v[116:117], v[130:131]
	s_wait_dscnt 0x0
	v_fmac_f64_e32 v[136:137], v[118:119], v[132:133]
	s_wait_loadcnt 0x3
	s_delay_alu instid0(VALU_DEP_1)
	v_fmac_f64_e32 v[136:137], v[120:121], v[134:135]
	ds_load_2addr_b64 v[114:117], v2 offset0:93 offset1:94
	ds_load_2addr_b64 v[118:121], v2 offset0:95 offset1:96
	s_wait_dscnt 0x1
	v_fmac_f64_e32 v[136:137], v[122:123], v[114:115]
	s_wait_loadcnt 0x2
	s_delay_alu instid0(VALU_DEP_1) | instskip(SKIP_1) | instid1(VALU_DEP_1)
	v_fmac_f64_e32 v[136:137], v[124:125], v[116:117]
	s_wait_dscnt 0x0
	v_fmac_f64_e32 v[136:137], v[126:127], v[118:119]
	s_wait_loadcnt 0x1
	s_delay_alu instid0(VALU_DEP_1)
	v_fmac_f64_e32 v[136:137], v[106:107], v[120:121]
	ds_load_2addr_b64 v[114:117], v2 offset0:97 offset1:98
	ds_load_b64 v[106:107], v2 offset:792
	s_wait_dscnt 0x1
	v_fmac_f64_e32 v[136:137], v[108:109], v[114:115]
	s_wait_loadcnt 0x0
	s_delay_alu instid0(VALU_DEP_1) | instskip(SKIP_1) | instid1(VALU_DEP_1)
	v_fmac_f64_e32 v[136:137], v[110:111], v[116:117]
	s_wait_dscnt 0x0
	v_fmac_f64_e32 v[136:137], v[112:113], v[106:107]
	s_delay_alu instid0(VALU_DEP_1)
	v_add_f64_e64 v[104:105], v[104:105], -v[136:137]
	scratch_store_b64 off, v[104:105], off offset:272
	s_wait_xcnt 0x0
	v_cmpx_lt_u32_e32 33, v0
	s_cbranch_execz .LBB113_243
; %bb.242:
	scratch_load_b64 v[104:105], off, off offset:264
	v_mov_b64_e32 v[106:107], 0
	scratch_store_b64 off, v[106:107], off offset:264
	s_wait_loadcnt 0x0
	ds_store_b64 v1, v[104:105]
.LBB113_243:
	s_wait_xcnt 0x0
	s_or_b32 exec_lo, exec_lo, s0
	s_wait_storecnt_dscnt 0x0
	s_barrier_signal -1
	s_barrier_wait -1
	s_clause 0x5
	scratch_load_b128 v[104:107], off, off offset:264
	scratch_load_b128 v[108:111], off, off offset:280
	;; [unrolled: 1-line block ×6, first 2 shown]
	ds_load_b128 v[128:131], v2 offset:672
	ds_load_b128 v[132:135], v2 offset:688
	s_mov_b32 s0, exec_lo
	s_wait_loadcnt_dscnt 0x501
	v_fma_f64 v[136:137], v[106:107], v[128:129], 0
	s_wait_loadcnt 0x4
	s_delay_alu instid0(VALU_DEP_1) | instskip(SKIP_4) | instid1(VALU_DEP_1)
	v_fmac_f64_e32 v[136:137], v[108:109], v[130:131]
	scratch_load_b128 v[106:109], off, off offset:360
	s_wait_dscnt 0x0
	v_fmac_f64_e32 v[136:137], v[110:111], v[132:133]
	s_wait_loadcnt 0x4
	v_fmac_f64_e32 v[136:137], v[112:113], v[134:135]
	scratch_load_b128 v[110:113], off, off offset:376
	ds_load_b128 v[128:131], v2 offset:704
	ds_load_b128 v[132:135], v2 offset:720
	s_wait_dscnt 0x1
	v_fmac_f64_e32 v[136:137], v[114:115], v[128:129]
	scratch_load_b64 v[128:129], off, off offset:392
	s_wait_loadcnt 0x5
	v_fmac_f64_e32 v[136:137], v[116:117], v[130:131]
	s_wait_dscnt 0x0
	s_delay_alu instid0(VALU_DEP_1) | instskip(SKIP_1) | instid1(VALU_DEP_1)
	v_fmac_f64_e32 v[136:137], v[118:119], v[132:133]
	s_wait_loadcnt 0x4
	v_fmac_f64_e32 v[136:137], v[120:121], v[134:135]
	ds_load_b128 v[114:117], v2 offset:736
	ds_load_b128 v[118:121], v2 offset:752
	s_wait_dscnt 0x1
	v_fmac_f64_e32 v[136:137], v[122:123], v[114:115]
	s_wait_loadcnt 0x3
	s_delay_alu instid0(VALU_DEP_1) | instskip(SKIP_1) | instid1(VALU_DEP_1)
	v_fmac_f64_e32 v[136:137], v[124:125], v[116:117]
	s_wait_dscnt 0x0
	v_fmac_f64_e32 v[136:137], v[126:127], v[118:119]
	s_wait_loadcnt 0x2
	s_delay_alu instid0(VALU_DEP_1)
	v_fmac_f64_e32 v[136:137], v[106:107], v[120:121]
	ds_load_b128 v[114:117], v2 offset:768
	ds_load_b128 v[118:121], v2 offset:784
	s_wait_dscnt 0x1
	v_fmac_f64_e32 v[136:137], v[108:109], v[114:115]
	s_wait_loadcnt 0x1
	s_delay_alu instid0(VALU_DEP_1) | instskip(SKIP_1) | instid1(VALU_DEP_1)
	v_fmac_f64_e32 v[136:137], v[110:111], v[116:117]
	s_wait_dscnt 0x0
	v_fmac_f64_e32 v[136:137], v[112:113], v[118:119]
	s_wait_loadcnt 0x0
	s_delay_alu instid0(VALU_DEP_1) | instskip(NEXT) | instid1(VALU_DEP_1)
	v_fmac_f64_e32 v[136:137], v[128:129], v[120:121]
	v_add_f64_e64 v[2:3], v[104:105], -v[136:137]
	scratch_store_b64 off, v[2:3], off offset:264
	s_wait_xcnt 0x0
	v_cmpx_lt_u32_e32 32, v0
	s_cbranch_execz .LBB113_245
; %bb.244:
	scratch_load_b64 v[2:3], off, off offset:256
	v_mov_b64_e32 v[104:105], 0
	scratch_store_b64 off, v[104:105], off offset:256
	s_wait_loadcnt 0x0
	ds_store_b64 v1, v[2:3]
.LBB113_245:
	s_wait_xcnt 0x0
	s_or_b32 exec_lo, exec_lo, s0
	s_wait_storecnt_dscnt 0x0
	s_barrier_signal -1
	s_barrier_wait -1
	s_clause 0x5
	scratch_load_b128 v[104:107], off, off offset:256
	scratch_load_b128 v[108:111], off, off offset:272
	;; [unrolled: 1-line block ×6, first 2 shown]
	v_mov_b32_e32 v2, 0
	ds_load_2addr_b64 v[128:131], v2 offset0:83 offset1:84
	ds_load_2addr_b64 v[132:135], v2 offset0:85 offset1:86
	s_mov_b32 s0, exec_lo
	s_wait_loadcnt_dscnt 0x501
	v_fma_f64 v[136:137], v[106:107], v[128:129], 0
	s_wait_loadcnt 0x4
	s_delay_alu instid0(VALU_DEP_1) | instskip(SKIP_4) | instid1(VALU_DEP_1)
	v_fmac_f64_e32 v[136:137], v[108:109], v[130:131]
	scratch_load_b128 v[106:109], off, off offset:352
	s_wait_dscnt 0x0
	v_fmac_f64_e32 v[136:137], v[110:111], v[132:133]
	s_wait_loadcnt 0x4
	v_fmac_f64_e32 v[136:137], v[112:113], v[134:135]
	scratch_load_b128 v[110:113], off, off offset:368
	ds_load_2addr_b64 v[128:131], v2 offset0:87 offset1:88
	ds_load_2addr_b64 v[132:135], v2 offset0:89 offset1:90
	s_wait_dscnt 0x1
	v_fmac_f64_e32 v[136:137], v[114:115], v[128:129]
	s_wait_loadcnt 0x4
	s_delay_alu instid0(VALU_DEP_1) | instskip(SKIP_4) | instid1(VALU_DEP_1)
	v_fmac_f64_e32 v[136:137], v[116:117], v[130:131]
	scratch_load_b128 v[114:117], off, off offset:384
	s_wait_dscnt 0x0
	v_fmac_f64_e32 v[136:137], v[118:119], v[132:133]
	s_wait_loadcnt 0x4
	v_fmac_f64_e32 v[136:137], v[120:121], v[134:135]
	ds_load_2addr_b64 v[118:121], v2 offset0:91 offset1:92
	ds_load_2addr_b64 v[128:131], v2 offset0:93 offset1:94
	s_wait_dscnt 0x1
	v_fmac_f64_e32 v[136:137], v[122:123], v[118:119]
	s_wait_loadcnt 0x3
	s_delay_alu instid0(VALU_DEP_1)
	v_fmac_f64_e32 v[136:137], v[124:125], v[120:121]
	ds_load_2addr_b64 v[118:121], v2 offset0:95 offset1:96
	ds_load_2addr_b64 v[122:125], v2 offset0:97 offset1:98
	s_wait_dscnt 0x2
	v_fmac_f64_e32 v[136:137], v[126:127], v[128:129]
	s_wait_loadcnt 0x2
	s_delay_alu instid0(VALU_DEP_1) | instskip(SKIP_4) | instid1(VALU_DEP_1)
	v_fmac_f64_e32 v[136:137], v[106:107], v[130:131]
	ds_load_b64 v[106:107], v2 offset:792
	s_wait_dscnt 0x2
	v_fmac_f64_e32 v[136:137], v[108:109], v[118:119]
	s_wait_loadcnt 0x1
	v_fmac_f64_e32 v[136:137], v[110:111], v[120:121]
	s_wait_dscnt 0x1
	s_delay_alu instid0(VALU_DEP_1) | instskip(SKIP_1) | instid1(VALU_DEP_1)
	v_fmac_f64_e32 v[136:137], v[112:113], v[122:123]
	s_wait_loadcnt 0x0
	v_fmac_f64_e32 v[136:137], v[114:115], v[124:125]
	s_wait_dscnt 0x0
	s_delay_alu instid0(VALU_DEP_1) | instskip(NEXT) | instid1(VALU_DEP_1)
	v_fmac_f64_e32 v[136:137], v[116:117], v[106:107]
	v_add_f64_e64 v[104:105], v[104:105], -v[136:137]
	scratch_store_b64 off, v[104:105], off offset:256
	s_wait_xcnt 0x0
	v_cmpx_lt_u32_e32 31, v0
	s_cbranch_execz .LBB113_247
; %bb.246:
	scratch_load_b64 v[104:105], off, off offset:248
	v_mov_b64_e32 v[106:107], 0
	scratch_store_b64 off, v[106:107], off offset:248
	s_wait_loadcnt 0x0
	ds_store_b64 v1, v[104:105]
.LBB113_247:
	s_wait_xcnt 0x0
	s_or_b32 exec_lo, exec_lo, s0
	s_wait_storecnt_dscnt 0x0
	s_barrier_signal -1
	s_barrier_wait -1
	s_clause 0x5
	scratch_load_b128 v[104:107], off, off offset:248
	scratch_load_b128 v[108:111], off, off offset:264
	scratch_load_b128 v[112:115], off, off offset:280
	scratch_load_b128 v[116:119], off, off offset:296
	scratch_load_b128 v[120:123], off, off offset:312
	scratch_load_b128 v[124:127], off, off offset:328
	ds_load_b128 v[128:131], v2 offset:656
	ds_load_b128 v[132:135], v2 offset:672
	s_mov_b32 s0, exec_lo
	s_wait_loadcnt_dscnt 0x501
	v_fma_f64 v[136:137], v[106:107], v[128:129], 0
	s_wait_loadcnt 0x4
	s_delay_alu instid0(VALU_DEP_1) | instskip(SKIP_4) | instid1(VALU_DEP_1)
	v_fmac_f64_e32 v[136:137], v[108:109], v[130:131]
	scratch_load_b128 v[106:109], off, off offset:344
	s_wait_dscnt 0x0
	v_fmac_f64_e32 v[136:137], v[110:111], v[132:133]
	s_wait_loadcnt 0x4
	v_fmac_f64_e32 v[136:137], v[112:113], v[134:135]
	scratch_load_b128 v[110:113], off, off offset:360
	ds_load_b128 v[128:131], v2 offset:688
	ds_load_b128 v[132:135], v2 offset:704
	s_wait_dscnt 0x1
	v_fmac_f64_e32 v[136:137], v[114:115], v[128:129]
	s_wait_loadcnt 0x4
	s_delay_alu instid0(VALU_DEP_1)
	v_fmac_f64_e32 v[136:137], v[116:117], v[130:131]
	scratch_load_b128 v[114:117], off, off offset:376
	s_wait_dscnt 0x0
	v_fmac_f64_e32 v[136:137], v[118:119], v[132:133]
	scratch_load_b64 v[132:133], off, off offset:392
	s_wait_loadcnt 0x5
	v_fmac_f64_e32 v[136:137], v[120:121], v[134:135]
	ds_load_b128 v[118:121], v2 offset:720
	ds_load_b128 v[128:131], v2 offset:736
	s_wait_dscnt 0x1
	v_fmac_f64_e32 v[136:137], v[122:123], v[118:119]
	s_wait_loadcnt 0x4
	s_delay_alu instid0(VALU_DEP_1)
	v_fmac_f64_e32 v[136:137], v[124:125], v[120:121]
	ds_load_b128 v[118:121], v2 offset:752
	ds_load_b128 v[122:125], v2 offset:768
	s_wait_dscnt 0x2
	v_fmac_f64_e32 v[136:137], v[126:127], v[128:129]
	s_wait_loadcnt 0x3
	s_delay_alu instid0(VALU_DEP_1) | instskip(SKIP_1) | instid1(VALU_DEP_1)
	v_fmac_f64_e32 v[136:137], v[106:107], v[130:131]
	s_wait_dscnt 0x1
	v_fmac_f64_e32 v[136:137], v[108:109], v[118:119]
	ds_load_b128 v[106:109], v2 offset:784
	s_wait_loadcnt 0x2
	v_fmac_f64_e32 v[136:137], v[110:111], v[120:121]
	s_wait_dscnt 0x1
	s_delay_alu instid0(VALU_DEP_1) | instskip(SKIP_1) | instid1(VALU_DEP_1)
	v_fmac_f64_e32 v[136:137], v[112:113], v[122:123]
	s_wait_loadcnt 0x1
	v_fmac_f64_e32 v[136:137], v[114:115], v[124:125]
	s_wait_dscnt 0x0
	s_delay_alu instid0(VALU_DEP_1) | instskip(SKIP_1) | instid1(VALU_DEP_1)
	v_fmac_f64_e32 v[136:137], v[116:117], v[106:107]
	s_wait_loadcnt 0x0
	v_fmac_f64_e32 v[136:137], v[132:133], v[108:109]
	s_delay_alu instid0(VALU_DEP_1)
	v_add_f64_e64 v[2:3], v[104:105], -v[136:137]
	scratch_store_b64 off, v[2:3], off offset:248
	s_wait_xcnt 0x0
	v_cmpx_lt_u32_e32 30, v0
	s_cbranch_execz .LBB113_249
; %bb.248:
	scratch_load_b64 v[2:3], off, off offset:240
	v_mov_b64_e32 v[104:105], 0
	scratch_store_b64 off, v[104:105], off offset:240
	s_wait_loadcnt 0x0
	ds_store_b64 v1, v[2:3]
.LBB113_249:
	s_wait_xcnt 0x0
	s_or_b32 exec_lo, exec_lo, s0
	s_wait_storecnt_dscnt 0x0
	s_barrier_signal -1
	s_barrier_wait -1
	s_clause 0x5
	scratch_load_b128 v[104:107], off, off offset:240
	scratch_load_b128 v[108:111], off, off offset:256
	;; [unrolled: 1-line block ×6, first 2 shown]
	v_mov_b32_e32 v2, 0
	ds_load_2addr_b64 v[128:131], v2 offset0:81 offset1:82
	ds_load_2addr_b64 v[132:135], v2 offset0:83 offset1:84
	s_mov_b32 s0, exec_lo
	s_wait_loadcnt_dscnt 0x501
	v_fma_f64 v[136:137], v[106:107], v[128:129], 0
	s_wait_loadcnt 0x4
	s_delay_alu instid0(VALU_DEP_1) | instskip(SKIP_4) | instid1(VALU_DEP_1)
	v_fmac_f64_e32 v[136:137], v[108:109], v[130:131]
	scratch_load_b128 v[106:109], off, off offset:336
	s_wait_dscnt 0x0
	v_fmac_f64_e32 v[136:137], v[110:111], v[132:133]
	s_wait_loadcnt 0x4
	v_fmac_f64_e32 v[136:137], v[112:113], v[134:135]
	scratch_load_b128 v[110:113], off, off offset:352
	ds_load_2addr_b64 v[128:131], v2 offset0:85 offset1:86
	ds_load_2addr_b64 v[132:135], v2 offset0:87 offset1:88
	s_wait_dscnt 0x1
	v_fmac_f64_e32 v[136:137], v[114:115], v[128:129]
	s_wait_loadcnt 0x4
	s_delay_alu instid0(VALU_DEP_1) | instskip(SKIP_4) | instid1(VALU_DEP_1)
	v_fmac_f64_e32 v[136:137], v[116:117], v[130:131]
	scratch_load_b128 v[114:117], off, off offset:368
	s_wait_dscnt 0x0
	v_fmac_f64_e32 v[136:137], v[118:119], v[132:133]
	s_wait_loadcnt 0x4
	v_fmac_f64_e32 v[136:137], v[120:121], v[134:135]
	scratch_load_b128 v[118:121], off, off offset:384
	ds_load_2addr_b64 v[128:131], v2 offset0:89 offset1:90
	ds_load_2addr_b64 v[132:135], v2 offset0:91 offset1:92
	s_wait_dscnt 0x1
	v_fmac_f64_e32 v[136:137], v[122:123], v[128:129]
	s_wait_loadcnt 0x4
	s_delay_alu instid0(VALU_DEP_1) | instskip(SKIP_1) | instid1(VALU_DEP_1)
	v_fmac_f64_e32 v[136:137], v[124:125], v[130:131]
	s_wait_dscnt 0x0
	v_fmac_f64_e32 v[136:137], v[126:127], v[132:133]
	ds_load_2addr_b64 v[122:125], v2 offset0:93 offset1:94
	ds_load_2addr_b64 v[126:129], v2 offset0:95 offset1:96
	s_wait_loadcnt 0x3
	v_fmac_f64_e32 v[136:137], v[106:107], v[134:135]
	s_wait_dscnt 0x1
	s_delay_alu instid0(VALU_DEP_1) | instskip(SKIP_1) | instid1(VALU_DEP_1)
	v_fmac_f64_e32 v[136:137], v[108:109], v[122:123]
	s_wait_loadcnt 0x2
	v_fmac_f64_e32 v[136:137], v[110:111], v[124:125]
	ds_load_2addr_b64 v[106:109], v2 offset0:97 offset1:98
	ds_load_b64 v[110:111], v2 offset:792
	s_wait_dscnt 0x2
	v_fmac_f64_e32 v[136:137], v[112:113], v[126:127]
	s_wait_loadcnt 0x1
	s_delay_alu instid0(VALU_DEP_1) | instskip(SKIP_1) | instid1(VALU_DEP_1)
	v_fmac_f64_e32 v[136:137], v[114:115], v[128:129]
	s_wait_dscnt 0x1
	v_fmac_f64_e32 v[136:137], v[116:117], v[106:107]
	s_wait_loadcnt 0x0
	s_delay_alu instid0(VALU_DEP_1) | instskip(SKIP_1) | instid1(VALU_DEP_1)
	v_fmac_f64_e32 v[136:137], v[118:119], v[108:109]
	s_wait_dscnt 0x0
	v_fmac_f64_e32 v[136:137], v[120:121], v[110:111]
	s_delay_alu instid0(VALU_DEP_1)
	v_add_f64_e64 v[104:105], v[104:105], -v[136:137]
	scratch_store_b64 off, v[104:105], off offset:240
	s_wait_xcnt 0x0
	v_cmpx_lt_u32_e32 29, v0
	s_cbranch_execz .LBB113_251
; %bb.250:
	scratch_load_b64 v[104:105], off, off offset:232
	v_mov_b64_e32 v[106:107], 0
	scratch_store_b64 off, v[106:107], off offset:232
	s_wait_loadcnt 0x0
	ds_store_b64 v1, v[104:105]
.LBB113_251:
	s_wait_xcnt 0x0
	s_or_b32 exec_lo, exec_lo, s0
	s_wait_storecnt_dscnt 0x0
	s_barrier_signal -1
	s_barrier_wait -1
	s_clause 0x5
	scratch_load_b128 v[104:107], off, off offset:232
	scratch_load_b128 v[108:111], off, off offset:248
	;; [unrolled: 1-line block ×6, first 2 shown]
	ds_load_b128 v[128:131], v2 offset:640
	ds_load_b128 v[132:135], v2 offset:656
	s_mov_b32 s0, exec_lo
	s_wait_loadcnt_dscnt 0x501
	v_fma_f64 v[136:137], v[106:107], v[128:129], 0
	s_wait_loadcnt 0x4
	s_delay_alu instid0(VALU_DEP_1) | instskip(SKIP_4) | instid1(VALU_DEP_1)
	v_fmac_f64_e32 v[136:137], v[108:109], v[130:131]
	scratch_load_b128 v[106:109], off, off offset:328
	s_wait_dscnt 0x0
	v_fmac_f64_e32 v[136:137], v[110:111], v[132:133]
	s_wait_loadcnt 0x4
	v_fmac_f64_e32 v[136:137], v[112:113], v[134:135]
	scratch_load_b128 v[110:113], off, off offset:344
	ds_load_b128 v[128:131], v2 offset:672
	ds_load_b128 v[132:135], v2 offset:688
	s_wait_dscnt 0x1
	v_fmac_f64_e32 v[136:137], v[114:115], v[128:129]
	s_wait_loadcnt 0x4
	s_delay_alu instid0(VALU_DEP_1) | instskip(SKIP_4) | instid1(VALU_DEP_1)
	v_fmac_f64_e32 v[136:137], v[116:117], v[130:131]
	scratch_load_b128 v[114:117], off, off offset:360
	s_wait_dscnt 0x0
	v_fmac_f64_e32 v[136:137], v[118:119], v[132:133]
	s_wait_loadcnt 0x4
	v_fmac_f64_e32 v[136:137], v[120:121], v[134:135]
	scratch_load_b128 v[118:121], off, off offset:376
	ds_load_b128 v[128:131], v2 offset:704
	ds_load_b128 v[132:135], v2 offset:720
	s_wait_dscnt 0x1
	v_fmac_f64_e32 v[136:137], v[122:123], v[128:129]
	s_wait_loadcnt 0x4
	s_delay_alu instid0(VALU_DEP_1)
	v_fmac_f64_e32 v[136:137], v[124:125], v[130:131]
	scratch_load_b64 v[130:131], off, off offset:392
	s_wait_dscnt 0x0
	v_fmac_f64_e32 v[136:137], v[126:127], v[132:133]
	ds_load_b128 v[122:125], v2 offset:736
	ds_load_b128 v[126:129], v2 offset:752
	s_wait_loadcnt 0x4
	v_fmac_f64_e32 v[136:137], v[106:107], v[134:135]
	s_wait_dscnt 0x1
	s_delay_alu instid0(VALU_DEP_1) | instskip(SKIP_1) | instid1(VALU_DEP_1)
	v_fmac_f64_e32 v[136:137], v[108:109], v[122:123]
	s_wait_loadcnt 0x3
	v_fmac_f64_e32 v[136:137], v[110:111], v[124:125]
	s_wait_dscnt 0x0
	s_delay_alu instid0(VALU_DEP_1)
	v_fmac_f64_e32 v[136:137], v[112:113], v[126:127]
	ds_load_b128 v[106:109], v2 offset:768
	ds_load_b128 v[110:113], v2 offset:784
	s_wait_loadcnt 0x2
	v_fmac_f64_e32 v[136:137], v[114:115], v[128:129]
	s_wait_dscnt 0x1
	s_delay_alu instid0(VALU_DEP_1) | instskip(SKIP_1) | instid1(VALU_DEP_1)
	v_fmac_f64_e32 v[136:137], v[116:117], v[106:107]
	s_wait_loadcnt 0x1
	v_fmac_f64_e32 v[136:137], v[118:119], v[108:109]
	s_wait_dscnt 0x0
	s_delay_alu instid0(VALU_DEP_1) | instskip(SKIP_1) | instid1(VALU_DEP_1)
	v_fmac_f64_e32 v[136:137], v[120:121], v[110:111]
	s_wait_loadcnt 0x0
	v_fmac_f64_e32 v[136:137], v[130:131], v[112:113]
	s_delay_alu instid0(VALU_DEP_1)
	v_add_f64_e64 v[2:3], v[104:105], -v[136:137]
	scratch_store_b64 off, v[2:3], off offset:232
	s_wait_xcnt 0x0
	v_cmpx_lt_u32_e32 28, v0
	s_cbranch_execz .LBB113_253
; %bb.252:
	scratch_load_b64 v[2:3], off, off offset:224
	v_mov_b64_e32 v[104:105], 0
	scratch_store_b64 off, v[104:105], off offset:224
	s_wait_loadcnt 0x0
	ds_store_b64 v1, v[2:3]
.LBB113_253:
	s_wait_xcnt 0x0
	s_or_b32 exec_lo, exec_lo, s0
	s_wait_storecnt_dscnt 0x0
	s_barrier_signal -1
	s_barrier_wait -1
	s_clause 0x5
	scratch_load_b128 v[104:107], off, off offset:224
	scratch_load_b128 v[108:111], off, off offset:240
	;; [unrolled: 1-line block ×6, first 2 shown]
	v_mov_b32_e32 v2, 0
	ds_load_2addr_b64 v[128:131], v2 offset0:79 offset1:80
	ds_load_2addr_b64 v[132:135], v2 offset0:81 offset1:82
	s_mov_b32 s0, exec_lo
	s_wait_loadcnt_dscnt 0x501
	v_fma_f64 v[136:137], v[106:107], v[128:129], 0
	s_wait_loadcnt 0x4
	s_delay_alu instid0(VALU_DEP_1) | instskip(SKIP_4) | instid1(VALU_DEP_1)
	v_fmac_f64_e32 v[136:137], v[108:109], v[130:131]
	scratch_load_b128 v[106:109], off, off offset:320
	s_wait_dscnt 0x0
	v_fmac_f64_e32 v[136:137], v[110:111], v[132:133]
	s_wait_loadcnt 0x4
	v_fmac_f64_e32 v[136:137], v[112:113], v[134:135]
	scratch_load_b128 v[110:113], off, off offset:336
	ds_load_2addr_b64 v[128:131], v2 offset0:83 offset1:84
	ds_load_2addr_b64 v[132:135], v2 offset0:85 offset1:86
	s_wait_dscnt 0x1
	v_fmac_f64_e32 v[136:137], v[114:115], v[128:129]
	s_wait_loadcnt 0x4
	s_delay_alu instid0(VALU_DEP_1) | instskip(SKIP_4) | instid1(VALU_DEP_1)
	v_fmac_f64_e32 v[136:137], v[116:117], v[130:131]
	scratch_load_b128 v[114:117], off, off offset:352
	s_wait_dscnt 0x0
	v_fmac_f64_e32 v[136:137], v[118:119], v[132:133]
	s_wait_loadcnt 0x4
	v_fmac_f64_e32 v[136:137], v[120:121], v[134:135]
	scratch_load_b128 v[118:121], off, off offset:368
	ds_load_2addr_b64 v[128:131], v2 offset0:87 offset1:88
	ds_load_2addr_b64 v[132:135], v2 offset0:89 offset1:90
	s_wait_dscnt 0x1
	v_fmac_f64_e32 v[136:137], v[122:123], v[128:129]
	s_wait_loadcnt 0x4
	s_delay_alu instid0(VALU_DEP_1)
	v_fmac_f64_e32 v[136:137], v[124:125], v[130:131]
	scratch_load_b128 v[122:125], off, off offset:384
	s_wait_dscnt 0x0
	v_fmac_f64_e32 v[136:137], v[126:127], v[132:133]
	ds_load_2addr_b64 v[126:129], v2 offset0:91 offset1:92
	ds_load_2addr_b64 v[130:133], v2 offset0:93 offset1:94
	s_wait_loadcnt 0x4
	v_fmac_f64_e32 v[136:137], v[106:107], v[134:135]
	s_wait_dscnt 0x1
	s_delay_alu instid0(VALU_DEP_1) | instskip(SKIP_1) | instid1(VALU_DEP_1)
	v_fmac_f64_e32 v[136:137], v[108:109], v[126:127]
	s_wait_loadcnt 0x3
	v_fmac_f64_e32 v[136:137], v[110:111], v[128:129]
	s_wait_dscnt 0x0
	s_delay_alu instid0(VALU_DEP_1)
	v_fmac_f64_e32 v[136:137], v[112:113], v[130:131]
	ds_load_2addr_b64 v[106:109], v2 offset0:95 offset1:96
	ds_load_2addr_b64 v[110:113], v2 offset0:97 offset1:98
	s_wait_loadcnt 0x2
	v_fmac_f64_e32 v[136:137], v[114:115], v[132:133]
	s_wait_dscnt 0x1
	s_delay_alu instid0(VALU_DEP_1) | instskip(SKIP_4) | instid1(VALU_DEP_1)
	v_fmac_f64_e32 v[136:137], v[116:117], v[106:107]
	ds_load_b64 v[106:107], v2 offset:792
	s_wait_loadcnt 0x1
	v_fmac_f64_e32 v[136:137], v[118:119], v[108:109]
	s_wait_dscnt 0x1
	v_fmac_f64_e32 v[136:137], v[120:121], v[110:111]
	s_wait_loadcnt 0x0
	s_delay_alu instid0(VALU_DEP_1) | instskip(SKIP_1) | instid1(VALU_DEP_1)
	v_fmac_f64_e32 v[136:137], v[122:123], v[112:113]
	s_wait_dscnt 0x0
	v_fmac_f64_e32 v[136:137], v[124:125], v[106:107]
	s_delay_alu instid0(VALU_DEP_1)
	v_add_f64_e64 v[104:105], v[104:105], -v[136:137]
	scratch_store_b64 off, v[104:105], off offset:224
	s_wait_xcnt 0x0
	v_cmpx_lt_u32_e32 27, v0
	s_cbranch_execz .LBB113_255
; %bb.254:
	scratch_load_b64 v[104:105], off, off offset:216
	v_mov_b64_e32 v[106:107], 0
	scratch_store_b64 off, v[106:107], off offset:216
	s_wait_loadcnt 0x0
	ds_store_b64 v1, v[104:105]
.LBB113_255:
	s_wait_xcnt 0x0
	s_or_b32 exec_lo, exec_lo, s0
	s_wait_storecnt_dscnt 0x0
	s_barrier_signal -1
	s_barrier_wait -1
	s_clause 0x5
	scratch_load_b128 v[104:107], off, off offset:216
	scratch_load_b128 v[108:111], off, off offset:232
	scratch_load_b128 v[112:115], off, off offset:248
	scratch_load_b128 v[116:119], off, off offset:264
	scratch_load_b128 v[120:123], off, off offset:280
	scratch_load_b128 v[124:127], off, off offset:296
	ds_load_b128 v[128:131], v2 offset:624
	ds_load_b128 v[132:135], v2 offset:640
	scratch_load_b128 v[136:139], off, off offset:312
	s_mov_b32 s0, exec_lo
	s_wait_loadcnt_dscnt 0x601
	v_fma_f64 v[140:141], v[106:107], v[128:129], 0
	s_wait_loadcnt 0x5
	s_delay_alu instid0(VALU_DEP_1) | instskip(SKIP_4) | instid1(VALU_DEP_1)
	v_fmac_f64_e32 v[140:141], v[108:109], v[130:131]
	scratch_load_b128 v[106:109], off, off offset:328
	s_wait_dscnt 0x0
	v_fmac_f64_e32 v[140:141], v[110:111], v[132:133]
	s_wait_loadcnt 0x5
	v_fmac_f64_e32 v[140:141], v[112:113], v[134:135]
	ds_load_b128 v[110:113], v2 offset:656
	ds_load_b128 v[128:131], v2 offset:672
	s_wait_dscnt 0x1
	v_fmac_f64_e32 v[140:141], v[114:115], v[110:111]
	s_wait_loadcnt 0x4
	s_delay_alu instid0(VALU_DEP_1)
	v_fmac_f64_e32 v[140:141], v[116:117], v[112:113]
	s_clause 0x1
	scratch_load_b128 v[110:113], off, off offset:344
	scratch_load_b128 v[114:117], off, off offset:360
	s_wait_dscnt 0x0
	v_fmac_f64_e32 v[140:141], v[118:119], v[128:129]
	s_wait_loadcnt 0x5
	s_delay_alu instid0(VALU_DEP_1)
	v_fmac_f64_e32 v[140:141], v[120:121], v[130:131]
	ds_load_b128 v[118:121], v2 offset:688
	ds_load_b128 v[128:131], v2 offset:704
	s_wait_dscnt 0x1
	v_fmac_f64_e32 v[140:141], v[122:123], v[118:119]
	s_wait_loadcnt 0x4
	s_delay_alu instid0(VALU_DEP_1) | instskip(SKIP_4) | instid1(VALU_DEP_1)
	v_fmac_f64_e32 v[140:141], v[124:125], v[120:121]
	scratch_load_b128 v[118:121], off, off offset:376
	s_wait_dscnt 0x0
	v_fmac_f64_e32 v[140:141], v[126:127], v[128:129]
	s_wait_loadcnt 0x4
	v_fmac_f64_e32 v[140:141], v[136:137], v[130:131]
	scratch_load_b64 v[130:131], off, off offset:392
	ds_load_b128 v[122:125], v2 offset:720
	ds_load_b128 v[126:129], v2 offset:736
	s_wait_dscnt 0x1
	v_fmac_f64_e32 v[140:141], v[138:139], v[122:123]
	s_wait_loadcnt 0x4
	s_delay_alu instid0(VALU_DEP_1) | instskip(SKIP_1) | instid1(VALU_DEP_1)
	v_fmac_f64_e32 v[140:141], v[106:107], v[124:125]
	s_wait_dscnt 0x0
	v_fmac_f64_e32 v[140:141], v[108:109], v[126:127]
	ds_load_b128 v[106:109], v2 offset:752
	ds_load_b128 v[122:125], v2 offset:768
	s_wait_loadcnt 0x3
	v_fmac_f64_e32 v[140:141], v[110:111], v[128:129]
	s_wait_dscnt 0x1
	s_delay_alu instid0(VALU_DEP_1) | instskip(SKIP_1) | instid1(VALU_DEP_1)
	v_fmac_f64_e32 v[140:141], v[112:113], v[106:107]
	s_wait_loadcnt 0x2
	v_fmac_f64_e32 v[140:141], v[114:115], v[108:109]
	ds_load_b128 v[106:109], v2 offset:784
	s_wait_dscnt 0x1
	v_fmac_f64_e32 v[140:141], v[116:117], v[122:123]
	s_wait_loadcnt 0x1
	s_delay_alu instid0(VALU_DEP_1) | instskip(SKIP_1) | instid1(VALU_DEP_1)
	v_fmac_f64_e32 v[140:141], v[118:119], v[124:125]
	s_wait_dscnt 0x0
	v_fmac_f64_e32 v[140:141], v[120:121], v[106:107]
	s_wait_loadcnt 0x0
	s_delay_alu instid0(VALU_DEP_1) | instskip(NEXT) | instid1(VALU_DEP_1)
	v_fmac_f64_e32 v[140:141], v[130:131], v[108:109]
	v_add_f64_e64 v[2:3], v[104:105], -v[140:141]
	scratch_store_b64 off, v[2:3], off offset:216
	s_wait_xcnt 0x0
	v_cmpx_lt_u32_e32 26, v0
	s_cbranch_execz .LBB113_257
; %bb.256:
	scratch_load_b64 v[2:3], off, off offset:208
	v_mov_b64_e32 v[104:105], 0
	scratch_store_b64 off, v[104:105], off offset:208
	s_wait_loadcnt 0x0
	ds_store_b64 v1, v[2:3]
.LBB113_257:
	s_wait_xcnt 0x0
	s_or_b32 exec_lo, exec_lo, s0
	s_wait_storecnt_dscnt 0x0
	s_barrier_signal -1
	s_barrier_wait -1
	s_clause 0x5
	scratch_load_b128 v[104:107], off, off offset:208
	scratch_load_b128 v[108:111], off, off offset:224
	;; [unrolled: 1-line block ×6, first 2 shown]
	v_mov_b32_e32 v2, 0
	ds_load_2addr_b64 v[128:131], v2 offset0:77 offset1:78
	ds_load_2addr_b64 v[132:135], v2 offset0:79 offset1:80
	scratch_load_b128 v[136:139], off, off offset:304
	s_mov_b32 s0, exec_lo
	s_wait_loadcnt_dscnt 0x601
	v_fma_f64 v[140:141], v[106:107], v[128:129], 0
	s_wait_loadcnt 0x5
	s_delay_alu instid0(VALU_DEP_1) | instskip(SKIP_4) | instid1(VALU_DEP_1)
	v_fmac_f64_e32 v[140:141], v[108:109], v[130:131]
	scratch_load_b128 v[106:109], off, off offset:320
	s_wait_dscnt 0x0
	v_fmac_f64_e32 v[140:141], v[110:111], v[132:133]
	s_wait_loadcnt 0x5
	v_fmac_f64_e32 v[140:141], v[112:113], v[134:135]
	ds_load_2addr_b64 v[110:113], v2 offset0:81 offset1:82
	ds_load_2addr_b64 v[128:131], v2 offset0:83 offset1:84
	s_wait_dscnt 0x1
	v_fmac_f64_e32 v[140:141], v[114:115], v[110:111]
	s_wait_loadcnt 0x4
	s_delay_alu instid0(VALU_DEP_1)
	v_fmac_f64_e32 v[140:141], v[116:117], v[112:113]
	s_clause 0x1
	scratch_load_b128 v[110:113], off, off offset:336
	scratch_load_b128 v[114:117], off, off offset:352
	s_wait_dscnt 0x0
	v_fmac_f64_e32 v[140:141], v[118:119], v[128:129]
	s_wait_loadcnt 0x5
	s_delay_alu instid0(VALU_DEP_1)
	v_fmac_f64_e32 v[140:141], v[120:121], v[130:131]
	ds_load_2addr_b64 v[118:121], v2 offset0:85 offset1:86
	ds_load_2addr_b64 v[128:131], v2 offset0:87 offset1:88
	s_wait_dscnt 0x1
	v_fmac_f64_e32 v[140:141], v[122:123], v[118:119]
	s_wait_loadcnt 0x4
	s_delay_alu instid0(VALU_DEP_1)
	v_fmac_f64_e32 v[140:141], v[124:125], v[120:121]
	s_clause 0x1
	scratch_load_b128 v[118:121], off, off offset:368
	scratch_load_b128 v[122:125], off, off offset:384
	s_wait_dscnt 0x0
	v_fmac_f64_e32 v[140:141], v[126:127], v[128:129]
	s_wait_loadcnt 0x5
	s_delay_alu instid0(VALU_DEP_1)
	v_fmac_f64_e32 v[140:141], v[136:137], v[130:131]
	ds_load_2addr_b64 v[126:129], v2 offset0:89 offset1:90
	ds_load_2addr_b64 v[130:133], v2 offset0:91 offset1:92
	s_wait_dscnt 0x1
	v_fmac_f64_e32 v[140:141], v[138:139], v[126:127]
	s_wait_loadcnt 0x4
	s_delay_alu instid0(VALU_DEP_1) | instskip(SKIP_1) | instid1(VALU_DEP_1)
	v_fmac_f64_e32 v[140:141], v[106:107], v[128:129]
	s_wait_dscnt 0x0
	v_fmac_f64_e32 v[140:141], v[108:109], v[130:131]
	ds_load_2addr_b64 v[106:109], v2 offset0:93 offset1:94
	ds_load_2addr_b64 v[126:129], v2 offset0:95 offset1:96
	s_wait_loadcnt 0x3
	v_fmac_f64_e32 v[140:141], v[110:111], v[132:133]
	s_wait_dscnt 0x1
	s_delay_alu instid0(VALU_DEP_1) | instskip(SKIP_1) | instid1(VALU_DEP_1)
	v_fmac_f64_e32 v[140:141], v[112:113], v[106:107]
	s_wait_loadcnt 0x2
	v_fmac_f64_e32 v[140:141], v[114:115], v[108:109]
	ds_load_2addr_b64 v[106:109], v2 offset0:97 offset1:98
	ds_load_b64 v[110:111], v2 offset:792
	s_wait_dscnt 0x2
	v_fmac_f64_e32 v[140:141], v[116:117], v[126:127]
	s_wait_loadcnt 0x1
	s_delay_alu instid0(VALU_DEP_1) | instskip(SKIP_1) | instid1(VALU_DEP_1)
	v_fmac_f64_e32 v[140:141], v[118:119], v[128:129]
	s_wait_dscnt 0x1
	v_fmac_f64_e32 v[140:141], v[120:121], v[106:107]
	s_wait_loadcnt 0x0
	s_delay_alu instid0(VALU_DEP_1) | instskip(SKIP_1) | instid1(VALU_DEP_1)
	v_fmac_f64_e32 v[140:141], v[122:123], v[108:109]
	s_wait_dscnt 0x0
	v_fmac_f64_e32 v[140:141], v[124:125], v[110:111]
	s_delay_alu instid0(VALU_DEP_1)
	v_add_f64_e64 v[104:105], v[104:105], -v[140:141]
	scratch_store_b64 off, v[104:105], off offset:208
	s_wait_xcnt 0x0
	v_cmpx_lt_u32_e32 25, v0
	s_cbranch_execz .LBB113_259
; %bb.258:
	scratch_load_b64 v[104:105], off, off offset:200
	v_mov_b64_e32 v[106:107], 0
	scratch_store_b64 off, v[106:107], off offset:200
	s_wait_loadcnt 0x0
	ds_store_b64 v1, v[104:105]
.LBB113_259:
	s_wait_xcnt 0x0
	s_or_b32 exec_lo, exec_lo, s0
	s_wait_storecnt_dscnt 0x0
	s_barrier_signal -1
	s_barrier_wait -1
	s_clause 0x5
	scratch_load_b128 v[104:107], off, off offset:200
	scratch_load_b128 v[108:111], off, off offset:216
	;; [unrolled: 1-line block ×6, first 2 shown]
	ds_load_b128 v[128:131], v2 offset:608
	ds_load_b128 v[132:135], v2 offset:624
	scratch_load_b128 v[136:139], off, off offset:296
	s_mov_b32 s0, exec_lo
	s_wait_loadcnt_dscnt 0x601
	v_fma_f64 v[140:141], v[106:107], v[128:129], 0
	s_wait_loadcnt 0x5
	s_delay_alu instid0(VALU_DEP_1) | instskip(SKIP_4) | instid1(VALU_DEP_1)
	v_fmac_f64_e32 v[140:141], v[108:109], v[130:131]
	scratch_load_b128 v[106:109], off, off offset:312
	s_wait_dscnt 0x0
	v_fmac_f64_e32 v[140:141], v[110:111], v[132:133]
	s_wait_loadcnt 0x5
	v_fmac_f64_e32 v[140:141], v[112:113], v[134:135]
	ds_load_b128 v[110:113], v2 offset:640
	ds_load_b128 v[128:131], v2 offset:656
	s_wait_dscnt 0x1
	v_fmac_f64_e32 v[140:141], v[114:115], v[110:111]
	s_wait_loadcnt 0x4
	s_delay_alu instid0(VALU_DEP_1)
	v_fmac_f64_e32 v[140:141], v[116:117], v[112:113]
	s_clause 0x1
	scratch_load_b128 v[110:113], off, off offset:328
	scratch_load_b128 v[114:117], off, off offset:344
	s_wait_dscnt 0x0
	v_fmac_f64_e32 v[140:141], v[118:119], v[128:129]
	s_wait_loadcnt 0x5
	s_delay_alu instid0(VALU_DEP_1)
	v_fmac_f64_e32 v[140:141], v[120:121], v[130:131]
	ds_load_b128 v[118:121], v2 offset:672
	ds_load_b128 v[128:131], v2 offset:688
	s_wait_dscnt 0x1
	v_fmac_f64_e32 v[140:141], v[122:123], v[118:119]
	s_wait_loadcnt 0x4
	s_delay_alu instid0(VALU_DEP_1)
	v_fmac_f64_e32 v[140:141], v[124:125], v[120:121]
	s_clause 0x1
	scratch_load_b128 v[118:121], off, off offset:360
	scratch_load_b128 v[122:125], off, off offset:376
	s_wait_dscnt 0x0
	v_fmac_f64_e32 v[140:141], v[126:127], v[128:129]
	s_wait_loadcnt 0x5
	s_delay_alu instid0(VALU_DEP_1)
	v_fmac_f64_e32 v[140:141], v[136:137], v[130:131]
	ds_load_b128 v[126:129], v2 offset:704
	ds_load_b128 v[130:133], v2 offset:720
	scratch_load_b64 v[134:135], off, off offset:392
	s_wait_dscnt 0x1
	v_fmac_f64_e32 v[140:141], v[138:139], v[126:127]
	s_wait_loadcnt 0x5
	s_delay_alu instid0(VALU_DEP_1) | instskip(SKIP_1) | instid1(VALU_DEP_1)
	v_fmac_f64_e32 v[140:141], v[106:107], v[128:129]
	s_wait_dscnt 0x0
	v_fmac_f64_e32 v[140:141], v[108:109], v[130:131]
	ds_load_b128 v[106:109], v2 offset:736
	ds_load_b128 v[126:129], v2 offset:752
	s_wait_loadcnt 0x4
	v_fmac_f64_e32 v[140:141], v[110:111], v[132:133]
	s_wait_dscnt 0x1
	s_delay_alu instid0(VALU_DEP_1) | instskip(SKIP_1) | instid1(VALU_DEP_1)
	v_fmac_f64_e32 v[140:141], v[112:113], v[106:107]
	s_wait_loadcnt 0x3
	v_fmac_f64_e32 v[140:141], v[114:115], v[108:109]
	ds_load_b128 v[106:109], v2 offset:768
	ds_load_b128 v[110:113], v2 offset:784
	s_wait_dscnt 0x2
	v_fmac_f64_e32 v[140:141], v[116:117], v[126:127]
	s_wait_loadcnt 0x2
	s_delay_alu instid0(VALU_DEP_1) | instskip(SKIP_1) | instid1(VALU_DEP_1)
	v_fmac_f64_e32 v[140:141], v[118:119], v[128:129]
	s_wait_dscnt 0x1
	v_fmac_f64_e32 v[140:141], v[120:121], v[106:107]
	s_wait_loadcnt 0x1
	s_delay_alu instid0(VALU_DEP_1) | instskip(SKIP_1) | instid1(VALU_DEP_1)
	v_fmac_f64_e32 v[140:141], v[122:123], v[108:109]
	s_wait_dscnt 0x0
	v_fmac_f64_e32 v[140:141], v[124:125], v[110:111]
	s_wait_loadcnt 0x0
	s_delay_alu instid0(VALU_DEP_1) | instskip(NEXT) | instid1(VALU_DEP_1)
	v_fmac_f64_e32 v[140:141], v[134:135], v[112:113]
	v_add_f64_e64 v[2:3], v[104:105], -v[140:141]
	scratch_store_b64 off, v[2:3], off offset:200
	s_wait_xcnt 0x0
	v_cmpx_lt_u32_e32 24, v0
	s_cbranch_execz .LBB113_261
; %bb.260:
	scratch_load_b64 v[2:3], off, off offset:192
	v_mov_b64_e32 v[104:105], 0
	scratch_store_b64 off, v[104:105], off offset:192
	s_wait_loadcnt 0x0
	ds_store_b64 v1, v[2:3]
.LBB113_261:
	s_wait_xcnt 0x0
	s_or_b32 exec_lo, exec_lo, s0
	s_wait_storecnt_dscnt 0x0
	s_barrier_signal -1
	s_barrier_wait -1
	s_clause 0x5
	scratch_load_b128 v[104:107], off, off offset:192
	scratch_load_b128 v[108:111], off, off offset:208
	;; [unrolled: 1-line block ×6, first 2 shown]
	v_mov_b32_e32 v2, 0
	ds_load_2addr_b64 v[128:131], v2 offset0:75 offset1:76
	ds_load_2addr_b64 v[132:135], v2 offset0:77 offset1:78
	scratch_load_b128 v[136:139], off, off offset:288
	s_mov_b32 s0, exec_lo
	s_wait_loadcnt_dscnt 0x601
	v_fma_f64 v[140:141], v[106:107], v[128:129], 0
	s_wait_loadcnt 0x5
	s_delay_alu instid0(VALU_DEP_1) | instskip(SKIP_4) | instid1(VALU_DEP_1)
	v_fmac_f64_e32 v[140:141], v[108:109], v[130:131]
	scratch_load_b128 v[106:109], off, off offset:304
	s_wait_dscnt 0x0
	v_fmac_f64_e32 v[140:141], v[110:111], v[132:133]
	s_wait_loadcnt 0x5
	v_fmac_f64_e32 v[140:141], v[112:113], v[134:135]
	ds_load_2addr_b64 v[110:113], v2 offset0:79 offset1:80
	ds_load_2addr_b64 v[128:131], v2 offset0:81 offset1:82
	s_wait_dscnt 0x1
	v_fmac_f64_e32 v[140:141], v[114:115], v[110:111]
	s_wait_loadcnt 0x4
	s_delay_alu instid0(VALU_DEP_1)
	v_fmac_f64_e32 v[140:141], v[116:117], v[112:113]
	s_clause 0x1
	scratch_load_b128 v[110:113], off, off offset:320
	scratch_load_b128 v[114:117], off, off offset:336
	s_wait_dscnt 0x0
	v_fmac_f64_e32 v[140:141], v[118:119], v[128:129]
	s_wait_loadcnt 0x5
	s_delay_alu instid0(VALU_DEP_1)
	v_fmac_f64_e32 v[140:141], v[120:121], v[130:131]
	ds_load_2addr_b64 v[118:121], v2 offset0:83 offset1:84
	ds_load_2addr_b64 v[128:131], v2 offset0:85 offset1:86
	s_wait_dscnt 0x1
	v_fmac_f64_e32 v[140:141], v[122:123], v[118:119]
	s_wait_loadcnt 0x4
	s_delay_alu instid0(VALU_DEP_1)
	v_fmac_f64_e32 v[140:141], v[124:125], v[120:121]
	s_clause 0x1
	scratch_load_b128 v[118:121], off, off offset:352
	scratch_load_b128 v[122:125], off, off offset:368
	s_wait_dscnt 0x0
	v_fmac_f64_e32 v[140:141], v[126:127], v[128:129]
	s_wait_loadcnt 0x5
	s_delay_alu instid0(VALU_DEP_1)
	v_fmac_f64_e32 v[140:141], v[136:137], v[130:131]
	ds_load_2addr_b64 v[126:129], v2 offset0:87 offset1:88
	ds_load_2addr_b64 v[130:133], v2 offset0:89 offset1:90
	s_wait_dscnt 0x1
	v_fmac_f64_e32 v[140:141], v[138:139], v[126:127]
	s_wait_loadcnt 0x4
	s_delay_alu instid0(VALU_DEP_1) | instskip(SKIP_4) | instid1(VALU_DEP_1)
	v_fmac_f64_e32 v[140:141], v[106:107], v[128:129]
	scratch_load_b128 v[126:129], off, off offset:384
	s_wait_dscnt 0x0
	v_fmac_f64_e32 v[140:141], v[108:109], v[130:131]
	s_wait_loadcnt 0x4
	v_fmac_f64_e32 v[140:141], v[110:111], v[132:133]
	ds_load_2addr_b64 v[106:109], v2 offset0:91 offset1:92
	ds_load_2addr_b64 v[130:133], v2 offset0:93 offset1:94
	s_wait_dscnt 0x1
	v_fmac_f64_e32 v[140:141], v[112:113], v[106:107]
	s_wait_loadcnt 0x3
	s_delay_alu instid0(VALU_DEP_1)
	v_fmac_f64_e32 v[140:141], v[114:115], v[108:109]
	ds_load_2addr_b64 v[106:109], v2 offset0:95 offset1:96
	ds_load_2addr_b64 v[110:113], v2 offset0:97 offset1:98
	s_wait_dscnt 0x2
	v_fmac_f64_e32 v[140:141], v[116:117], v[130:131]
	s_wait_loadcnt 0x2
	s_delay_alu instid0(VALU_DEP_1) | instskip(SKIP_1) | instid1(VALU_DEP_1)
	v_fmac_f64_e32 v[140:141], v[118:119], v[132:133]
	s_wait_dscnt 0x1
	v_fmac_f64_e32 v[140:141], v[120:121], v[106:107]
	ds_load_b64 v[106:107], v2 offset:792
	s_wait_loadcnt 0x1
	v_fmac_f64_e32 v[140:141], v[122:123], v[108:109]
	s_wait_dscnt 0x1
	s_delay_alu instid0(VALU_DEP_1) | instskip(SKIP_1) | instid1(VALU_DEP_1)
	v_fmac_f64_e32 v[140:141], v[124:125], v[110:111]
	s_wait_loadcnt 0x0
	v_fmac_f64_e32 v[140:141], v[126:127], v[112:113]
	s_wait_dscnt 0x0
	s_delay_alu instid0(VALU_DEP_1) | instskip(NEXT) | instid1(VALU_DEP_1)
	v_fmac_f64_e32 v[140:141], v[128:129], v[106:107]
	v_add_f64_e64 v[104:105], v[104:105], -v[140:141]
	scratch_store_b64 off, v[104:105], off offset:192
	s_wait_xcnt 0x0
	v_cmpx_lt_u32_e32 23, v0
	s_cbranch_execz .LBB113_263
; %bb.262:
	scratch_load_b64 v[104:105], off, off offset:184
	v_mov_b64_e32 v[106:107], 0
	scratch_store_b64 off, v[106:107], off offset:184
	s_wait_loadcnt 0x0
	ds_store_b64 v1, v[104:105]
.LBB113_263:
	s_wait_xcnt 0x0
	s_or_b32 exec_lo, exec_lo, s0
	s_wait_storecnt_dscnt 0x0
	s_barrier_signal -1
	s_barrier_wait -1
	s_clause 0x5
	scratch_load_b128 v[104:107], off, off offset:184
	scratch_load_b128 v[108:111], off, off offset:200
	;; [unrolled: 1-line block ×6, first 2 shown]
	ds_load_b128 v[128:131], v2 offset:592
	ds_load_b128 v[132:135], v2 offset:608
	scratch_load_b128 v[136:139], off, off offset:280
	s_mov_b32 s0, exec_lo
	s_wait_loadcnt_dscnt 0x601
	v_fma_f64 v[140:141], v[106:107], v[128:129], 0
	s_wait_loadcnt 0x5
	s_delay_alu instid0(VALU_DEP_1) | instskip(SKIP_4) | instid1(VALU_DEP_1)
	v_fmac_f64_e32 v[140:141], v[108:109], v[130:131]
	scratch_load_b128 v[106:109], off, off offset:296
	s_wait_dscnt 0x0
	v_fmac_f64_e32 v[140:141], v[110:111], v[132:133]
	s_wait_loadcnt 0x5
	v_fmac_f64_e32 v[140:141], v[112:113], v[134:135]
	ds_load_b128 v[110:113], v2 offset:624
	ds_load_b128 v[128:131], v2 offset:640
	scratch_load_b128 v[132:135], off, off offset:312
	s_wait_dscnt 0x1
	v_fmac_f64_e32 v[140:141], v[114:115], v[110:111]
	s_wait_loadcnt 0x5
	s_delay_alu instid0(VALU_DEP_1) | instskip(SKIP_4) | instid1(VALU_DEP_1)
	v_fmac_f64_e32 v[140:141], v[116:117], v[112:113]
	scratch_load_b128 v[110:113], off, off offset:328
	s_wait_dscnt 0x0
	v_fmac_f64_e32 v[140:141], v[118:119], v[128:129]
	s_wait_loadcnt 0x5
	v_fmac_f64_e32 v[140:141], v[120:121], v[130:131]
	ds_load_b128 v[114:117], v2 offset:656
	ds_load_b128 v[118:121], v2 offset:672
	s_wait_dscnt 0x1
	v_fmac_f64_e32 v[140:141], v[122:123], v[114:115]
	s_wait_loadcnt 0x4
	s_delay_alu instid0(VALU_DEP_1) | instskip(SKIP_4) | instid1(VALU_DEP_1)
	v_fmac_f64_e32 v[140:141], v[124:125], v[116:117]
	scratch_load_b128 v[114:117], off, off offset:344
	s_wait_dscnt 0x0
	v_fmac_f64_e32 v[140:141], v[126:127], v[118:119]
	s_wait_loadcnt 0x4
	v_fmac_f64_e32 v[140:141], v[136:137], v[120:121]
	scratch_load_b128 v[118:121], off, off offset:360
	ds_load_b128 v[122:125], v2 offset:688
	ds_load_b128 v[126:129], v2 offset:704
	scratch_load_b64 v[130:131], off, off offset:392
	s_wait_dscnt 0x1
	v_fmac_f64_e32 v[140:141], v[138:139], v[122:123]
	s_wait_loadcnt 0x5
	s_delay_alu instid0(VALU_DEP_1) | instskip(SKIP_4) | instid1(VALU_DEP_1)
	v_fmac_f64_e32 v[140:141], v[106:107], v[124:125]
	scratch_load_b128 v[122:125], off, off offset:376
	s_wait_dscnt 0x0
	v_fmac_f64_e32 v[140:141], v[108:109], v[126:127]
	s_wait_loadcnt 0x5
	v_fmac_f64_e32 v[140:141], v[132:133], v[128:129]
	ds_load_b128 v[106:109], v2 offset:720
	ds_load_b128 v[126:129], v2 offset:736
	s_wait_dscnt 0x1
	v_fmac_f64_e32 v[140:141], v[134:135], v[106:107]
	s_wait_loadcnt 0x4
	s_delay_alu instid0(VALU_DEP_1) | instskip(SKIP_1) | instid1(VALU_DEP_1)
	v_fmac_f64_e32 v[140:141], v[110:111], v[108:109]
	s_wait_dscnt 0x0
	v_fmac_f64_e32 v[140:141], v[112:113], v[126:127]
	ds_load_b128 v[106:109], v2 offset:752
	ds_load_b128 v[110:113], v2 offset:768
	s_wait_loadcnt 0x3
	v_fmac_f64_e32 v[140:141], v[114:115], v[128:129]
	s_wait_dscnt 0x1
	s_delay_alu instid0(VALU_DEP_1) | instskip(SKIP_1) | instid1(VALU_DEP_1)
	v_fmac_f64_e32 v[140:141], v[116:117], v[106:107]
	s_wait_loadcnt 0x2
	v_fmac_f64_e32 v[140:141], v[118:119], v[108:109]
	ds_load_b128 v[106:109], v2 offset:784
	s_wait_dscnt 0x1
	v_fmac_f64_e32 v[140:141], v[120:121], v[110:111]
	s_wait_loadcnt 0x0
	s_delay_alu instid0(VALU_DEP_1) | instskip(SKIP_1) | instid1(VALU_DEP_1)
	v_fmac_f64_e32 v[140:141], v[122:123], v[112:113]
	s_wait_dscnt 0x0
	v_fmac_f64_e32 v[140:141], v[124:125], v[106:107]
	s_delay_alu instid0(VALU_DEP_1) | instskip(NEXT) | instid1(VALU_DEP_1)
	v_fmac_f64_e32 v[140:141], v[130:131], v[108:109]
	v_add_f64_e64 v[2:3], v[104:105], -v[140:141]
	scratch_store_b64 off, v[2:3], off offset:184
	s_wait_xcnt 0x0
	v_cmpx_lt_u32_e32 22, v0
	s_cbranch_execz .LBB113_265
; %bb.264:
	scratch_load_b64 v[2:3], off, off offset:176
	v_mov_b64_e32 v[104:105], 0
	scratch_store_b64 off, v[104:105], off offset:176
	s_wait_loadcnt 0x0
	ds_store_b64 v1, v[2:3]
.LBB113_265:
	s_wait_xcnt 0x0
	s_or_b32 exec_lo, exec_lo, s0
	s_wait_storecnt_dscnt 0x0
	s_barrier_signal -1
	s_barrier_wait -1
	s_clause 0x5
	scratch_load_b128 v[104:107], off, off offset:176
	scratch_load_b128 v[108:111], off, off offset:192
	;; [unrolled: 1-line block ×6, first 2 shown]
	v_mov_b32_e32 v2, 0
	ds_load_2addr_b64 v[128:131], v2 offset0:73 offset1:74
	ds_load_2addr_b64 v[132:135], v2 offset0:75 offset1:76
	scratch_load_b128 v[136:139], off, off offset:272
	s_mov_b32 s0, exec_lo
	s_wait_loadcnt_dscnt 0x601
	v_fma_f64 v[140:141], v[106:107], v[128:129], 0
	s_wait_loadcnt 0x5
	s_delay_alu instid0(VALU_DEP_1) | instskip(SKIP_4) | instid1(VALU_DEP_1)
	v_fmac_f64_e32 v[140:141], v[108:109], v[130:131]
	scratch_load_b128 v[106:109], off, off offset:288
	s_wait_dscnt 0x0
	v_fmac_f64_e32 v[140:141], v[110:111], v[132:133]
	s_wait_loadcnt 0x5
	v_fmac_f64_e32 v[140:141], v[112:113], v[134:135]
	ds_load_2addr_b64 v[110:113], v2 offset0:77 offset1:78
	ds_load_2addr_b64 v[128:131], v2 offset0:79 offset1:80
	scratch_load_b128 v[132:135], off, off offset:304
	s_wait_dscnt 0x1
	v_fmac_f64_e32 v[140:141], v[114:115], v[110:111]
	s_wait_loadcnt 0x5
	s_delay_alu instid0(VALU_DEP_1) | instskip(SKIP_4) | instid1(VALU_DEP_1)
	v_fmac_f64_e32 v[140:141], v[116:117], v[112:113]
	scratch_load_b128 v[110:113], off, off offset:320
	s_wait_dscnt 0x0
	v_fmac_f64_e32 v[140:141], v[118:119], v[128:129]
	s_wait_loadcnt 0x5
	v_fmac_f64_e32 v[140:141], v[120:121], v[130:131]
	ds_load_2addr_b64 v[114:117], v2 offset0:81 offset1:82
	ds_load_2addr_b64 v[118:121], v2 offset0:83 offset1:84
	s_wait_dscnt 0x1
	v_fmac_f64_e32 v[140:141], v[122:123], v[114:115]
	s_wait_loadcnt 0x4
	s_delay_alu instid0(VALU_DEP_1) | instskip(SKIP_4) | instid1(VALU_DEP_1)
	v_fmac_f64_e32 v[140:141], v[124:125], v[116:117]
	scratch_load_b128 v[114:117], off, off offset:336
	s_wait_dscnt 0x0
	v_fmac_f64_e32 v[140:141], v[126:127], v[118:119]
	s_wait_loadcnt 0x4
	v_fmac_f64_e32 v[140:141], v[136:137], v[120:121]
	scratch_load_b128 v[118:121], off, off offset:352
	ds_load_2addr_b64 v[122:125], v2 offset0:85 offset1:86
	ds_load_2addr_b64 v[126:129], v2 offset0:87 offset1:88
	s_wait_dscnt 0x1
	v_fmac_f64_e32 v[140:141], v[138:139], v[122:123]
	s_wait_loadcnt 0x4
	s_delay_alu instid0(VALU_DEP_1)
	v_fmac_f64_e32 v[140:141], v[106:107], v[124:125]
	scratch_load_b128 v[122:125], off, off offset:368
	s_wait_dscnt 0x0
	v_fmac_f64_e32 v[140:141], v[108:109], v[126:127]
	scratch_load_b128 v[106:109], off, off offset:384
	s_wait_loadcnt 0x5
	v_fmac_f64_e32 v[140:141], v[132:133], v[128:129]
	ds_load_2addr_b64 v[126:129], v2 offset0:89 offset1:90
	ds_load_2addr_b64 v[130:133], v2 offset0:91 offset1:92
	s_wait_dscnt 0x1
	v_fmac_f64_e32 v[140:141], v[134:135], v[126:127]
	s_wait_loadcnt 0x4
	s_delay_alu instid0(VALU_DEP_1) | instskip(SKIP_1) | instid1(VALU_DEP_1)
	v_fmac_f64_e32 v[140:141], v[110:111], v[128:129]
	s_wait_dscnt 0x0
	v_fmac_f64_e32 v[140:141], v[112:113], v[130:131]
	ds_load_2addr_b64 v[110:113], v2 offset0:93 offset1:94
	ds_load_2addr_b64 v[126:129], v2 offset0:95 offset1:96
	s_wait_loadcnt 0x3
	v_fmac_f64_e32 v[140:141], v[114:115], v[132:133]
	s_wait_dscnt 0x1
	s_delay_alu instid0(VALU_DEP_1) | instskip(SKIP_1) | instid1(VALU_DEP_1)
	v_fmac_f64_e32 v[140:141], v[116:117], v[110:111]
	s_wait_loadcnt 0x2
	v_fmac_f64_e32 v[140:141], v[118:119], v[112:113]
	ds_load_2addr_b64 v[110:113], v2 offset0:97 offset1:98
	ds_load_b64 v[114:115], v2 offset:792
	s_wait_dscnt 0x2
	v_fmac_f64_e32 v[140:141], v[120:121], v[126:127]
	s_wait_loadcnt 0x1
	s_delay_alu instid0(VALU_DEP_1) | instskip(SKIP_1) | instid1(VALU_DEP_1)
	v_fmac_f64_e32 v[140:141], v[122:123], v[128:129]
	s_wait_dscnt 0x1
	v_fmac_f64_e32 v[140:141], v[124:125], v[110:111]
	s_wait_loadcnt 0x0
	s_delay_alu instid0(VALU_DEP_1) | instskip(SKIP_1) | instid1(VALU_DEP_1)
	v_fmac_f64_e32 v[140:141], v[106:107], v[112:113]
	s_wait_dscnt 0x0
	v_fmac_f64_e32 v[140:141], v[108:109], v[114:115]
	s_delay_alu instid0(VALU_DEP_1)
	v_add_f64_e64 v[104:105], v[104:105], -v[140:141]
	scratch_store_b64 off, v[104:105], off offset:176
	s_wait_xcnt 0x0
	v_cmpx_lt_u32_e32 21, v0
	s_cbranch_execz .LBB113_267
; %bb.266:
	scratch_load_b64 v[104:105], off, off offset:168
	v_mov_b64_e32 v[106:107], 0
	scratch_store_b64 off, v[106:107], off offset:168
	s_wait_loadcnt 0x0
	ds_store_b64 v1, v[104:105]
.LBB113_267:
	s_wait_xcnt 0x0
	s_or_b32 exec_lo, exec_lo, s0
	s_wait_storecnt_dscnt 0x0
	s_barrier_signal -1
	s_barrier_wait -1
	s_clause 0x5
	scratch_load_b128 v[104:107], off, off offset:168
	scratch_load_b128 v[108:111], off, off offset:184
	;; [unrolled: 1-line block ×6, first 2 shown]
	ds_load_b128 v[128:131], v2 offset:576
	ds_load_b128 v[132:135], v2 offset:592
	scratch_load_b128 v[136:139], off, off offset:264
	s_mov_b32 s0, exec_lo
	s_wait_loadcnt_dscnt 0x601
	v_fma_f64 v[140:141], v[106:107], v[128:129], 0
	s_wait_loadcnt 0x5
	s_delay_alu instid0(VALU_DEP_1) | instskip(SKIP_4) | instid1(VALU_DEP_1)
	v_fmac_f64_e32 v[140:141], v[108:109], v[130:131]
	scratch_load_b128 v[106:109], off, off offset:280
	s_wait_dscnt 0x0
	v_fmac_f64_e32 v[140:141], v[110:111], v[132:133]
	s_wait_loadcnt 0x5
	v_fmac_f64_e32 v[140:141], v[112:113], v[134:135]
	ds_load_b128 v[110:113], v2 offset:608
	ds_load_b128 v[128:131], v2 offset:624
	scratch_load_b128 v[132:135], off, off offset:296
	s_wait_dscnt 0x1
	v_fmac_f64_e32 v[140:141], v[114:115], v[110:111]
	s_wait_loadcnt 0x5
	s_delay_alu instid0(VALU_DEP_1) | instskip(SKIP_4) | instid1(VALU_DEP_1)
	v_fmac_f64_e32 v[140:141], v[116:117], v[112:113]
	scratch_load_b128 v[110:113], off, off offset:312
	s_wait_dscnt 0x0
	v_fmac_f64_e32 v[140:141], v[118:119], v[128:129]
	s_wait_loadcnt 0x5
	v_fmac_f64_e32 v[140:141], v[120:121], v[130:131]
	ds_load_b128 v[114:117], v2 offset:640
	ds_load_b128 v[118:121], v2 offset:656
	s_wait_dscnt 0x1
	v_fmac_f64_e32 v[140:141], v[122:123], v[114:115]
	s_wait_loadcnt 0x4
	s_delay_alu instid0(VALU_DEP_1) | instskip(SKIP_4) | instid1(VALU_DEP_1)
	v_fmac_f64_e32 v[140:141], v[124:125], v[116:117]
	scratch_load_b128 v[114:117], off, off offset:328
	s_wait_dscnt 0x0
	v_fmac_f64_e32 v[140:141], v[126:127], v[118:119]
	s_wait_loadcnt 0x4
	v_fmac_f64_e32 v[140:141], v[136:137], v[120:121]
	scratch_load_b128 v[118:121], off, off offset:344
	ds_load_b128 v[122:125], v2 offset:672
	ds_load_b128 v[126:129], v2 offset:688
	s_wait_dscnt 0x1
	v_fmac_f64_e32 v[140:141], v[138:139], v[122:123]
	s_wait_loadcnt 0x4
	s_delay_alu instid0(VALU_DEP_1)
	v_fmac_f64_e32 v[140:141], v[106:107], v[124:125]
	scratch_load_b128 v[122:125], off, off offset:360
	s_wait_dscnt 0x0
	v_fmac_f64_e32 v[140:141], v[108:109], v[126:127]
	scratch_load_b128 v[106:109], off, off offset:376
	s_wait_loadcnt 0x5
	v_fmac_f64_e32 v[140:141], v[132:133], v[128:129]
	ds_load_b128 v[126:129], v2 offset:704
	ds_load_b128 v[130:133], v2 offset:720
	s_wait_dscnt 0x1
	v_fmac_f64_e32 v[140:141], v[134:135], v[126:127]
	scratch_load_b64 v[134:135], off, off offset:392
	s_wait_loadcnt 0x5
	v_fmac_f64_e32 v[140:141], v[110:111], v[128:129]
	s_wait_dscnt 0x0
	s_delay_alu instid0(VALU_DEP_1)
	v_fmac_f64_e32 v[140:141], v[112:113], v[130:131]
	ds_load_b128 v[110:113], v2 offset:736
	ds_load_b128 v[126:129], v2 offset:752
	s_wait_loadcnt 0x4
	v_fmac_f64_e32 v[140:141], v[114:115], v[132:133]
	s_wait_dscnt 0x1
	s_delay_alu instid0(VALU_DEP_1) | instskip(SKIP_1) | instid1(VALU_DEP_1)
	v_fmac_f64_e32 v[140:141], v[116:117], v[110:111]
	s_wait_loadcnt 0x3
	v_fmac_f64_e32 v[140:141], v[118:119], v[112:113]
	ds_load_b128 v[110:113], v2 offset:768
	ds_load_b128 v[114:117], v2 offset:784
	s_wait_dscnt 0x2
	v_fmac_f64_e32 v[140:141], v[120:121], v[126:127]
	s_wait_loadcnt 0x2
	s_delay_alu instid0(VALU_DEP_1) | instskip(SKIP_1) | instid1(VALU_DEP_1)
	v_fmac_f64_e32 v[140:141], v[122:123], v[128:129]
	s_wait_dscnt 0x1
	v_fmac_f64_e32 v[140:141], v[124:125], v[110:111]
	s_wait_loadcnt 0x1
	s_delay_alu instid0(VALU_DEP_1) | instskip(SKIP_1) | instid1(VALU_DEP_1)
	v_fmac_f64_e32 v[140:141], v[106:107], v[112:113]
	s_wait_dscnt 0x0
	v_fmac_f64_e32 v[140:141], v[108:109], v[114:115]
	s_wait_loadcnt 0x0
	s_delay_alu instid0(VALU_DEP_1) | instskip(NEXT) | instid1(VALU_DEP_1)
	v_fmac_f64_e32 v[140:141], v[134:135], v[116:117]
	v_add_f64_e64 v[2:3], v[104:105], -v[140:141]
	scratch_store_b64 off, v[2:3], off offset:168
	s_wait_xcnt 0x0
	v_cmpx_lt_u32_e32 20, v0
	s_cbranch_execz .LBB113_269
; %bb.268:
	scratch_load_b64 v[2:3], off, off offset:160
	v_mov_b64_e32 v[104:105], 0
	scratch_store_b64 off, v[104:105], off offset:160
	s_wait_loadcnt 0x0
	ds_store_b64 v1, v[2:3]
.LBB113_269:
	s_wait_xcnt 0x0
	s_or_b32 exec_lo, exec_lo, s0
	s_wait_storecnt_dscnt 0x0
	s_barrier_signal -1
	s_barrier_wait -1
	s_clause 0x5
	scratch_load_b128 v[104:107], off, off offset:160
	scratch_load_b128 v[108:111], off, off offset:176
	scratch_load_b128 v[112:115], off, off offset:192
	scratch_load_b128 v[116:119], off, off offset:208
	scratch_load_b128 v[120:123], off, off offset:224
	scratch_load_b128 v[124:127], off, off offset:240
	v_mov_b32_e32 v2, 0
	ds_load_2addr_b64 v[128:131], v2 offset0:71 offset1:72
	ds_load_2addr_b64 v[132:135], v2 offset0:73 offset1:74
	scratch_load_b128 v[136:139], off, off offset:256
	s_mov_b32 s0, exec_lo
	s_wait_loadcnt_dscnt 0x601
	v_fma_f64 v[140:141], v[106:107], v[128:129], 0
	s_wait_loadcnt 0x5
	s_delay_alu instid0(VALU_DEP_1) | instskip(SKIP_4) | instid1(VALU_DEP_1)
	v_fmac_f64_e32 v[140:141], v[108:109], v[130:131]
	scratch_load_b128 v[106:109], off, off offset:272
	s_wait_dscnt 0x0
	v_fmac_f64_e32 v[140:141], v[110:111], v[132:133]
	s_wait_loadcnt 0x5
	v_fmac_f64_e32 v[140:141], v[112:113], v[134:135]
	ds_load_2addr_b64 v[110:113], v2 offset0:75 offset1:76
	ds_load_2addr_b64 v[128:131], v2 offset0:77 offset1:78
	scratch_load_b128 v[132:135], off, off offset:288
	s_wait_dscnt 0x1
	v_fmac_f64_e32 v[140:141], v[114:115], v[110:111]
	s_wait_loadcnt 0x5
	s_delay_alu instid0(VALU_DEP_1) | instskip(SKIP_4) | instid1(VALU_DEP_1)
	v_fmac_f64_e32 v[140:141], v[116:117], v[112:113]
	scratch_load_b128 v[110:113], off, off offset:304
	s_wait_dscnt 0x0
	v_fmac_f64_e32 v[140:141], v[118:119], v[128:129]
	s_wait_loadcnt 0x5
	v_fmac_f64_e32 v[140:141], v[120:121], v[130:131]
	ds_load_2addr_b64 v[114:117], v2 offset0:79 offset1:80
	ds_load_2addr_b64 v[118:121], v2 offset0:81 offset1:82
	s_wait_dscnt 0x1
	v_fmac_f64_e32 v[140:141], v[122:123], v[114:115]
	s_wait_loadcnt 0x4
	s_delay_alu instid0(VALU_DEP_1) | instskip(SKIP_4) | instid1(VALU_DEP_1)
	v_fmac_f64_e32 v[140:141], v[124:125], v[116:117]
	scratch_load_b128 v[114:117], off, off offset:320
	s_wait_dscnt 0x0
	v_fmac_f64_e32 v[140:141], v[126:127], v[118:119]
	s_wait_loadcnt 0x4
	v_fmac_f64_e32 v[140:141], v[136:137], v[120:121]
	scratch_load_b128 v[118:121], off, off offset:336
	ds_load_2addr_b64 v[122:125], v2 offset0:83 offset1:84
	ds_load_2addr_b64 v[126:129], v2 offset0:85 offset1:86
	s_wait_dscnt 0x1
	v_fmac_f64_e32 v[140:141], v[138:139], v[122:123]
	s_wait_loadcnt 0x4
	s_delay_alu instid0(VALU_DEP_1)
	v_fmac_f64_e32 v[140:141], v[106:107], v[124:125]
	scratch_load_b128 v[122:125], off, off offset:352
	s_wait_dscnt 0x0
	v_fmac_f64_e32 v[140:141], v[108:109], v[126:127]
	scratch_load_b128 v[106:109], off, off offset:368
	s_wait_loadcnt 0x5
	v_fmac_f64_e32 v[140:141], v[132:133], v[128:129]
	ds_load_2addr_b64 v[126:129], v2 offset0:87 offset1:88
	ds_load_2addr_b64 v[130:133], v2 offset0:89 offset1:90
	s_wait_dscnt 0x1
	v_fmac_f64_e32 v[140:141], v[134:135], v[126:127]
	s_wait_loadcnt 0x4
	s_delay_alu instid0(VALU_DEP_1) | instskip(SKIP_4) | instid1(VALU_DEP_1)
	v_fmac_f64_e32 v[140:141], v[110:111], v[128:129]
	scratch_load_b128 v[126:129], off, off offset:384
	s_wait_dscnt 0x0
	v_fmac_f64_e32 v[140:141], v[112:113], v[130:131]
	s_wait_loadcnt 0x4
	v_fmac_f64_e32 v[140:141], v[114:115], v[132:133]
	ds_load_2addr_b64 v[110:113], v2 offset0:91 offset1:92
	ds_load_2addr_b64 v[130:133], v2 offset0:93 offset1:94
	s_wait_dscnt 0x1
	v_fmac_f64_e32 v[140:141], v[116:117], v[110:111]
	s_wait_loadcnt 0x3
	s_delay_alu instid0(VALU_DEP_1)
	v_fmac_f64_e32 v[140:141], v[118:119], v[112:113]
	ds_load_2addr_b64 v[110:113], v2 offset0:95 offset1:96
	ds_load_2addr_b64 v[114:117], v2 offset0:97 offset1:98
	s_wait_dscnt 0x2
	v_fmac_f64_e32 v[140:141], v[120:121], v[130:131]
	s_wait_loadcnt 0x2
	s_delay_alu instid0(VALU_DEP_1) | instskip(SKIP_1) | instid1(VALU_DEP_1)
	v_fmac_f64_e32 v[140:141], v[122:123], v[132:133]
	s_wait_dscnt 0x1
	v_fmac_f64_e32 v[140:141], v[124:125], v[110:111]
	s_wait_loadcnt 0x1
	s_delay_alu instid0(VALU_DEP_1) | instskip(SKIP_4) | instid1(VALU_DEP_1)
	v_fmac_f64_e32 v[140:141], v[106:107], v[112:113]
	ds_load_b64 v[106:107], v2 offset:792
	s_wait_dscnt 0x1
	v_fmac_f64_e32 v[140:141], v[108:109], v[114:115]
	s_wait_loadcnt 0x0
	v_fmac_f64_e32 v[140:141], v[126:127], v[116:117]
	s_wait_dscnt 0x0
	s_delay_alu instid0(VALU_DEP_1) | instskip(NEXT) | instid1(VALU_DEP_1)
	v_fmac_f64_e32 v[140:141], v[128:129], v[106:107]
	v_add_f64_e64 v[104:105], v[104:105], -v[140:141]
	scratch_store_b64 off, v[104:105], off offset:160
	s_wait_xcnt 0x0
	v_cmpx_lt_u32_e32 19, v0
	s_cbranch_execz .LBB113_271
; %bb.270:
	scratch_load_b64 v[104:105], off, off offset:152
	v_mov_b64_e32 v[106:107], 0
	scratch_store_b64 off, v[106:107], off offset:152
	s_wait_loadcnt 0x0
	ds_store_b64 v1, v[104:105]
.LBB113_271:
	s_wait_xcnt 0x0
	s_or_b32 exec_lo, exec_lo, s0
	s_wait_storecnt_dscnt 0x0
	s_barrier_signal -1
	s_barrier_wait -1
	s_clause 0x5
	scratch_load_b128 v[104:107], off, off offset:152
	scratch_load_b128 v[108:111], off, off offset:168
	;; [unrolled: 1-line block ×6, first 2 shown]
	ds_load_b128 v[128:131], v2 offset:560
	ds_load_b128 v[132:135], v2 offset:576
	scratch_load_b128 v[136:139], off, off offset:248
	s_mov_b32 s0, exec_lo
	s_wait_loadcnt_dscnt 0x601
	v_fma_f64 v[140:141], v[106:107], v[128:129], 0
	s_wait_loadcnt 0x5
	s_delay_alu instid0(VALU_DEP_1) | instskip(SKIP_4) | instid1(VALU_DEP_1)
	v_fmac_f64_e32 v[140:141], v[108:109], v[130:131]
	scratch_load_b128 v[106:109], off, off offset:264
	s_wait_dscnt 0x0
	v_fmac_f64_e32 v[140:141], v[110:111], v[132:133]
	s_wait_loadcnt 0x5
	v_fmac_f64_e32 v[140:141], v[112:113], v[134:135]
	ds_load_b128 v[110:113], v2 offset:592
	ds_load_b128 v[128:131], v2 offset:608
	scratch_load_b128 v[132:135], off, off offset:280
	s_wait_dscnt 0x1
	v_fmac_f64_e32 v[140:141], v[114:115], v[110:111]
	s_wait_loadcnt 0x5
	s_delay_alu instid0(VALU_DEP_1) | instskip(SKIP_4) | instid1(VALU_DEP_1)
	v_fmac_f64_e32 v[140:141], v[116:117], v[112:113]
	scratch_load_b128 v[110:113], off, off offset:296
	s_wait_dscnt 0x0
	v_fmac_f64_e32 v[140:141], v[118:119], v[128:129]
	s_wait_loadcnt 0x5
	v_fmac_f64_e32 v[140:141], v[120:121], v[130:131]
	ds_load_b128 v[114:117], v2 offset:624
	ds_load_b128 v[118:121], v2 offset:640
	scratch_load_b128 v[128:131], off, off offset:312
	s_wait_dscnt 0x1
	v_fmac_f64_e32 v[140:141], v[122:123], v[114:115]
	s_wait_loadcnt 0x5
	s_delay_alu instid0(VALU_DEP_1) | instskip(SKIP_4) | instid1(VALU_DEP_1)
	v_fmac_f64_e32 v[140:141], v[124:125], v[116:117]
	scratch_load_b128 v[114:117], off, off offset:328
	s_wait_dscnt 0x0
	v_fmac_f64_e32 v[140:141], v[126:127], v[118:119]
	s_wait_loadcnt 0x5
	v_fmac_f64_e32 v[140:141], v[136:137], v[120:121]
	ds_load_b128 v[118:121], v2 offset:656
	ds_load_b128 v[122:125], v2 offset:672
	s_wait_dscnt 0x1
	v_fmac_f64_e32 v[140:141], v[138:139], v[118:119]
	s_wait_loadcnt 0x4
	s_delay_alu instid0(VALU_DEP_1)
	v_fmac_f64_e32 v[140:141], v[106:107], v[120:121]
	scratch_load_b128 v[118:121], off, off offset:344
	s_wait_dscnt 0x0
	v_fmac_f64_e32 v[140:141], v[108:109], v[122:123]
	scratch_load_b128 v[106:109], off, off offset:360
	s_wait_loadcnt 0x5
	v_fmac_f64_e32 v[140:141], v[132:133], v[124:125]
	ds_load_b128 v[122:125], v2 offset:688
	ds_load_b128 v[136:139], v2 offset:704
	scratch_load_b64 v[132:133], off, off offset:392
	s_wait_dscnt 0x1
	v_fmac_f64_e32 v[140:141], v[134:135], v[122:123]
	s_wait_loadcnt 0x5
	s_delay_alu instid0(VALU_DEP_1) | instskip(SKIP_4) | instid1(VALU_DEP_1)
	v_fmac_f64_e32 v[140:141], v[110:111], v[124:125]
	scratch_load_b128 v[122:125], off, off offset:376
	s_wait_dscnt 0x0
	v_fmac_f64_e32 v[140:141], v[112:113], v[136:137]
	s_wait_loadcnt 0x5
	v_fmac_f64_e32 v[140:141], v[128:129], v[138:139]
	ds_load_b128 v[110:113], v2 offset:720
	ds_load_b128 v[126:129], v2 offset:736
	s_wait_dscnt 0x1
	v_fmac_f64_e32 v[140:141], v[130:131], v[110:111]
	s_wait_loadcnt 0x4
	s_delay_alu instid0(VALU_DEP_1) | instskip(SKIP_1) | instid1(VALU_DEP_1)
	v_fmac_f64_e32 v[140:141], v[114:115], v[112:113]
	s_wait_dscnt 0x0
	v_fmac_f64_e32 v[140:141], v[116:117], v[126:127]
	ds_load_b128 v[110:113], v2 offset:752
	ds_load_b128 v[114:117], v2 offset:768
	s_wait_loadcnt 0x3
	v_fmac_f64_e32 v[140:141], v[118:119], v[128:129]
	s_wait_dscnt 0x1
	s_delay_alu instid0(VALU_DEP_1) | instskip(SKIP_1) | instid1(VALU_DEP_1)
	v_fmac_f64_e32 v[140:141], v[120:121], v[110:111]
	s_wait_loadcnt 0x2
	v_fmac_f64_e32 v[140:141], v[106:107], v[112:113]
	s_wait_dscnt 0x0
	s_delay_alu instid0(VALU_DEP_1) | instskip(SKIP_4) | instid1(VALU_DEP_1)
	v_fmac_f64_e32 v[140:141], v[108:109], v[114:115]
	ds_load_b128 v[106:109], v2 offset:784
	s_wait_loadcnt 0x0
	v_fmac_f64_e32 v[140:141], v[122:123], v[116:117]
	s_wait_dscnt 0x0
	v_fmac_f64_e32 v[140:141], v[124:125], v[106:107]
	s_delay_alu instid0(VALU_DEP_1) | instskip(NEXT) | instid1(VALU_DEP_1)
	v_fmac_f64_e32 v[140:141], v[132:133], v[108:109]
	v_add_f64_e64 v[2:3], v[104:105], -v[140:141]
	scratch_store_b64 off, v[2:3], off offset:152
	s_wait_xcnt 0x0
	v_cmpx_lt_u32_e32 18, v0
	s_cbranch_execz .LBB113_273
; %bb.272:
	scratch_load_b64 v[2:3], off, off offset:144
	v_mov_b64_e32 v[104:105], 0
	scratch_store_b64 off, v[104:105], off offset:144
	s_wait_loadcnt 0x0
	ds_store_b64 v1, v[2:3]
.LBB113_273:
	s_wait_xcnt 0x0
	s_or_b32 exec_lo, exec_lo, s0
	s_wait_storecnt_dscnt 0x0
	s_barrier_signal -1
	s_barrier_wait -1
	s_clause 0x5
	scratch_load_b128 v[104:107], off, off offset:144
	scratch_load_b128 v[108:111], off, off offset:160
	;; [unrolled: 1-line block ×6, first 2 shown]
	v_mov_b32_e32 v2, 0
	ds_load_2addr_b64 v[128:131], v2 offset0:69 offset1:70
	ds_load_2addr_b64 v[132:135], v2 offset0:71 offset1:72
	scratch_load_b128 v[136:139], off, off offset:240
	s_mov_b32 s0, exec_lo
	s_wait_loadcnt_dscnt 0x601
	v_fma_f64 v[140:141], v[106:107], v[128:129], 0
	s_wait_loadcnt 0x5
	s_delay_alu instid0(VALU_DEP_1) | instskip(SKIP_4) | instid1(VALU_DEP_1)
	v_fmac_f64_e32 v[140:141], v[108:109], v[130:131]
	scratch_load_b128 v[106:109], off, off offset:256
	s_wait_dscnt 0x0
	v_fmac_f64_e32 v[140:141], v[110:111], v[132:133]
	s_wait_loadcnt 0x5
	v_fmac_f64_e32 v[140:141], v[112:113], v[134:135]
	ds_load_2addr_b64 v[110:113], v2 offset0:73 offset1:74
	ds_load_2addr_b64 v[128:131], v2 offset0:75 offset1:76
	scratch_load_b128 v[132:135], off, off offset:272
	s_wait_dscnt 0x1
	v_fmac_f64_e32 v[140:141], v[114:115], v[110:111]
	s_wait_loadcnt 0x5
	s_delay_alu instid0(VALU_DEP_1) | instskip(SKIP_4) | instid1(VALU_DEP_1)
	v_fmac_f64_e32 v[140:141], v[116:117], v[112:113]
	scratch_load_b128 v[110:113], off, off offset:288
	s_wait_dscnt 0x0
	v_fmac_f64_e32 v[140:141], v[118:119], v[128:129]
	s_wait_loadcnt 0x5
	v_fmac_f64_e32 v[140:141], v[120:121], v[130:131]
	ds_load_2addr_b64 v[114:117], v2 offset0:77 offset1:78
	ds_load_2addr_b64 v[118:121], v2 offset0:79 offset1:80
	scratch_load_b128 v[128:131], off, off offset:304
	s_wait_dscnt 0x1
	v_fmac_f64_e32 v[140:141], v[122:123], v[114:115]
	s_wait_loadcnt 0x5
	s_delay_alu instid0(VALU_DEP_1) | instskip(SKIP_4) | instid1(VALU_DEP_1)
	v_fmac_f64_e32 v[140:141], v[124:125], v[116:117]
	scratch_load_b128 v[114:117], off, off offset:320
	s_wait_dscnt 0x0
	v_fmac_f64_e32 v[140:141], v[126:127], v[118:119]
	s_wait_loadcnt 0x5
	v_fmac_f64_e32 v[140:141], v[136:137], v[120:121]
	ds_load_2addr_b64 v[118:121], v2 offset0:81 offset1:82
	ds_load_2addr_b64 v[122:125], v2 offset0:83 offset1:84
	s_wait_dscnt 0x1
	v_fmac_f64_e32 v[140:141], v[138:139], v[118:119]
	s_wait_loadcnt 0x4
	s_delay_alu instid0(VALU_DEP_1)
	v_fmac_f64_e32 v[140:141], v[106:107], v[120:121]
	scratch_load_b128 v[118:121], off, off offset:336
	s_wait_dscnt 0x0
	v_fmac_f64_e32 v[140:141], v[108:109], v[122:123]
	scratch_load_b128 v[106:109], off, off offset:352
	s_wait_loadcnt 0x5
	v_fmac_f64_e32 v[140:141], v[132:133], v[124:125]
	ds_load_2addr_b64 v[122:125], v2 offset0:85 offset1:86
	ds_load_2addr_b64 v[136:139], v2 offset0:87 offset1:88
	s_wait_dscnt 0x1
	v_fmac_f64_e32 v[140:141], v[134:135], v[122:123]
	s_wait_loadcnt 0x4
	s_delay_alu instid0(VALU_DEP_1)
	v_fmac_f64_e32 v[140:141], v[110:111], v[124:125]
	scratch_load_b128 v[122:125], off, off offset:368
	s_wait_dscnt 0x0
	v_fmac_f64_e32 v[140:141], v[112:113], v[136:137]
	scratch_load_b128 v[110:113], off, off offset:384
	s_wait_loadcnt 0x5
	v_fmac_f64_e32 v[140:141], v[128:129], v[138:139]
	ds_load_2addr_b64 v[126:129], v2 offset0:89 offset1:90
	ds_load_2addr_b64 v[132:135], v2 offset0:91 offset1:92
	s_wait_dscnt 0x1
	v_fmac_f64_e32 v[140:141], v[130:131], v[126:127]
	s_wait_loadcnt 0x4
	s_delay_alu instid0(VALU_DEP_1) | instskip(SKIP_1) | instid1(VALU_DEP_1)
	v_fmac_f64_e32 v[140:141], v[114:115], v[128:129]
	s_wait_dscnt 0x0
	v_fmac_f64_e32 v[140:141], v[116:117], v[132:133]
	ds_load_2addr_b64 v[114:117], v2 offset0:93 offset1:94
	ds_load_2addr_b64 v[126:129], v2 offset0:95 offset1:96
	s_wait_loadcnt 0x3
	v_fmac_f64_e32 v[140:141], v[118:119], v[134:135]
	s_wait_dscnt 0x1
	s_delay_alu instid0(VALU_DEP_1) | instskip(SKIP_1) | instid1(VALU_DEP_1)
	v_fmac_f64_e32 v[140:141], v[120:121], v[114:115]
	s_wait_loadcnt 0x2
	v_fmac_f64_e32 v[140:141], v[106:107], v[116:117]
	s_wait_dscnt 0x0
	s_delay_alu instid0(VALU_DEP_1)
	v_fmac_f64_e32 v[140:141], v[108:109], v[126:127]
	ds_load_2addr_b64 v[106:109], v2 offset0:97 offset1:98
	ds_load_b64 v[114:115], v2 offset:792
	s_wait_loadcnt 0x1
	v_fmac_f64_e32 v[140:141], v[122:123], v[128:129]
	s_wait_dscnt 0x1
	s_delay_alu instid0(VALU_DEP_1) | instskip(SKIP_1) | instid1(VALU_DEP_1)
	v_fmac_f64_e32 v[140:141], v[124:125], v[106:107]
	s_wait_loadcnt 0x0
	v_fmac_f64_e32 v[140:141], v[110:111], v[108:109]
	s_wait_dscnt 0x0
	s_delay_alu instid0(VALU_DEP_1) | instskip(NEXT) | instid1(VALU_DEP_1)
	v_fmac_f64_e32 v[140:141], v[112:113], v[114:115]
	v_add_f64_e64 v[104:105], v[104:105], -v[140:141]
	scratch_store_b64 off, v[104:105], off offset:144
	s_wait_xcnt 0x0
	v_cmpx_lt_u32_e32 17, v0
	s_cbranch_execz .LBB113_275
; %bb.274:
	scratch_load_b64 v[104:105], off, off offset:136
	v_mov_b64_e32 v[106:107], 0
	scratch_store_b64 off, v[106:107], off offset:136
	s_wait_loadcnt 0x0
	ds_store_b64 v1, v[104:105]
.LBB113_275:
	s_wait_xcnt 0x0
	s_or_b32 exec_lo, exec_lo, s0
	s_wait_storecnt_dscnt 0x0
	s_barrier_signal -1
	s_barrier_wait -1
	s_clause 0x5
	scratch_load_b128 v[104:107], off, off offset:136
	scratch_load_b128 v[108:111], off, off offset:152
	;; [unrolled: 1-line block ×6, first 2 shown]
	ds_load_b128 v[128:131], v2 offset:544
	ds_load_b128 v[132:135], v2 offset:560
	scratch_load_b128 v[136:139], off, off offset:232
	s_mov_b32 s0, exec_lo
	s_wait_loadcnt_dscnt 0x601
	v_fma_f64 v[140:141], v[106:107], v[128:129], 0
	s_wait_loadcnt 0x5
	s_delay_alu instid0(VALU_DEP_1) | instskip(SKIP_4) | instid1(VALU_DEP_1)
	v_fmac_f64_e32 v[140:141], v[108:109], v[130:131]
	scratch_load_b128 v[106:109], off, off offset:248
	s_wait_dscnt 0x0
	v_fmac_f64_e32 v[140:141], v[110:111], v[132:133]
	s_wait_loadcnt 0x5
	v_fmac_f64_e32 v[140:141], v[112:113], v[134:135]
	ds_load_b128 v[110:113], v2 offset:576
	ds_load_b128 v[128:131], v2 offset:592
	scratch_load_b128 v[132:135], off, off offset:264
	s_wait_dscnt 0x1
	v_fmac_f64_e32 v[140:141], v[114:115], v[110:111]
	s_wait_loadcnt 0x5
	s_delay_alu instid0(VALU_DEP_1) | instskip(SKIP_4) | instid1(VALU_DEP_1)
	v_fmac_f64_e32 v[140:141], v[116:117], v[112:113]
	scratch_load_b128 v[110:113], off, off offset:280
	s_wait_dscnt 0x0
	v_fmac_f64_e32 v[140:141], v[118:119], v[128:129]
	s_wait_loadcnt 0x5
	v_fmac_f64_e32 v[140:141], v[120:121], v[130:131]
	ds_load_b128 v[114:117], v2 offset:608
	ds_load_b128 v[118:121], v2 offset:624
	scratch_load_b128 v[128:131], off, off offset:296
	s_wait_dscnt 0x1
	v_fmac_f64_e32 v[140:141], v[122:123], v[114:115]
	s_wait_loadcnt 0x5
	s_delay_alu instid0(VALU_DEP_1) | instskip(SKIP_4) | instid1(VALU_DEP_1)
	v_fmac_f64_e32 v[140:141], v[124:125], v[116:117]
	scratch_load_b128 v[114:117], off, off offset:312
	s_wait_dscnt 0x0
	v_fmac_f64_e32 v[140:141], v[126:127], v[118:119]
	s_wait_loadcnt 0x5
	v_fmac_f64_e32 v[140:141], v[136:137], v[120:121]
	ds_load_b128 v[118:121], v2 offset:640
	ds_load_b128 v[122:125], v2 offset:656
	s_wait_dscnt 0x1
	v_fmac_f64_e32 v[140:141], v[138:139], v[118:119]
	s_wait_loadcnt 0x4
	s_delay_alu instid0(VALU_DEP_1)
	v_fmac_f64_e32 v[140:141], v[106:107], v[120:121]
	scratch_load_b128 v[118:121], off, off offset:328
	s_wait_dscnt 0x0
	v_fmac_f64_e32 v[140:141], v[108:109], v[122:123]
	scratch_load_b128 v[106:109], off, off offset:344
	s_wait_loadcnt 0x5
	v_fmac_f64_e32 v[140:141], v[132:133], v[124:125]
	ds_load_b128 v[122:125], v2 offset:672
	ds_load_b128 v[136:139], v2 offset:688
	s_wait_dscnt 0x1
	v_fmac_f64_e32 v[140:141], v[134:135], v[122:123]
	s_wait_loadcnt 0x4
	s_delay_alu instid0(VALU_DEP_1)
	v_fmac_f64_e32 v[140:141], v[110:111], v[124:125]
	scratch_load_b128 v[122:125], off, off offset:360
	s_wait_dscnt 0x0
	v_fmac_f64_e32 v[140:141], v[112:113], v[136:137]
	scratch_load_b128 v[110:113], off, off offset:376
	s_wait_loadcnt 0x5
	v_fmac_f64_e32 v[140:141], v[128:129], v[138:139]
	ds_load_b128 v[126:129], v2 offset:704
	ds_load_b128 v[132:135], v2 offset:720
	s_wait_dscnt 0x1
	v_fmac_f64_e32 v[140:141], v[130:131], v[126:127]
	scratch_load_b64 v[130:131], off, off offset:392
	s_wait_loadcnt 0x5
	v_fmac_f64_e32 v[140:141], v[114:115], v[128:129]
	s_wait_dscnt 0x0
	s_delay_alu instid0(VALU_DEP_1)
	v_fmac_f64_e32 v[140:141], v[116:117], v[132:133]
	ds_load_b128 v[114:117], v2 offset:736
	ds_load_b128 v[126:129], v2 offset:752
	s_wait_loadcnt 0x4
	v_fmac_f64_e32 v[140:141], v[118:119], v[134:135]
	s_wait_dscnt 0x1
	s_delay_alu instid0(VALU_DEP_1) | instskip(SKIP_1) | instid1(VALU_DEP_1)
	v_fmac_f64_e32 v[140:141], v[120:121], v[114:115]
	s_wait_loadcnt 0x3
	v_fmac_f64_e32 v[140:141], v[106:107], v[116:117]
	s_wait_dscnt 0x0
	s_delay_alu instid0(VALU_DEP_1)
	v_fmac_f64_e32 v[140:141], v[108:109], v[126:127]
	ds_load_b128 v[106:109], v2 offset:768
	ds_load_b128 v[114:117], v2 offset:784
	s_wait_loadcnt 0x2
	v_fmac_f64_e32 v[140:141], v[122:123], v[128:129]
	s_wait_dscnt 0x1
	s_delay_alu instid0(VALU_DEP_1) | instskip(SKIP_1) | instid1(VALU_DEP_1)
	v_fmac_f64_e32 v[140:141], v[124:125], v[106:107]
	s_wait_loadcnt 0x1
	v_fmac_f64_e32 v[140:141], v[110:111], v[108:109]
	s_wait_dscnt 0x0
	s_delay_alu instid0(VALU_DEP_1) | instskip(SKIP_1) | instid1(VALU_DEP_1)
	v_fmac_f64_e32 v[140:141], v[112:113], v[114:115]
	s_wait_loadcnt 0x0
	v_fmac_f64_e32 v[140:141], v[130:131], v[116:117]
	s_delay_alu instid0(VALU_DEP_1)
	v_add_f64_e64 v[2:3], v[104:105], -v[140:141]
	scratch_store_b64 off, v[2:3], off offset:136
	s_wait_xcnt 0x0
	v_cmpx_lt_u32_e32 16, v0
	s_cbranch_execz .LBB113_277
; %bb.276:
	scratch_load_b64 v[2:3], off, off offset:128
	v_mov_b64_e32 v[104:105], 0
	scratch_store_b64 off, v[104:105], off offset:128
	s_wait_loadcnt 0x0
	ds_store_b64 v1, v[2:3]
.LBB113_277:
	s_wait_xcnt 0x0
	s_or_b32 exec_lo, exec_lo, s0
	s_wait_storecnt_dscnt 0x0
	s_barrier_signal -1
	s_barrier_wait -1
	s_clause 0x5
	scratch_load_b128 v[104:107], off, off offset:128
	scratch_load_b128 v[108:111], off, off offset:144
	;; [unrolled: 1-line block ×6, first 2 shown]
	v_mov_b32_e32 v2, 0
	ds_load_2addr_b64 v[128:131], v2 offset0:67 offset1:68
	ds_load_2addr_b64 v[132:135], v2 offset0:69 offset1:70
	scratch_load_b128 v[136:139], off, off offset:224
	s_mov_b32 s0, exec_lo
	s_wait_loadcnt_dscnt 0x601
	v_fma_f64 v[140:141], v[106:107], v[128:129], 0
	s_wait_loadcnt 0x5
	s_delay_alu instid0(VALU_DEP_1) | instskip(SKIP_4) | instid1(VALU_DEP_1)
	v_fmac_f64_e32 v[140:141], v[108:109], v[130:131]
	scratch_load_b128 v[106:109], off, off offset:240
	s_wait_dscnt 0x0
	v_fmac_f64_e32 v[140:141], v[110:111], v[132:133]
	s_wait_loadcnt 0x5
	v_fmac_f64_e32 v[140:141], v[112:113], v[134:135]
	ds_load_2addr_b64 v[110:113], v2 offset0:71 offset1:72
	ds_load_2addr_b64 v[128:131], v2 offset0:73 offset1:74
	scratch_load_b128 v[132:135], off, off offset:256
	s_wait_dscnt 0x1
	v_fmac_f64_e32 v[140:141], v[114:115], v[110:111]
	s_wait_loadcnt 0x5
	s_delay_alu instid0(VALU_DEP_1) | instskip(SKIP_4) | instid1(VALU_DEP_1)
	v_fmac_f64_e32 v[140:141], v[116:117], v[112:113]
	scratch_load_b128 v[110:113], off, off offset:272
	s_wait_dscnt 0x0
	v_fmac_f64_e32 v[140:141], v[118:119], v[128:129]
	s_wait_loadcnt 0x5
	v_fmac_f64_e32 v[140:141], v[120:121], v[130:131]
	ds_load_2addr_b64 v[114:117], v2 offset0:75 offset1:76
	ds_load_2addr_b64 v[118:121], v2 offset0:77 offset1:78
	scratch_load_b128 v[128:131], off, off offset:288
	s_wait_dscnt 0x1
	v_fmac_f64_e32 v[140:141], v[122:123], v[114:115]
	s_wait_loadcnt 0x5
	s_delay_alu instid0(VALU_DEP_1) | instskip(SKIP_4) | instid1(VALU_DEP_1)
	v_fmac_f64_e32 v[140:141], v[124:125], v[116:117]
	scratch_load_b128 v[114:117], off, off offset:304
	s_wait_dscnt 0x0
	v_fmac_f64_e32 v[140:141], v[126:127], v[118:119]
	s_wait_loadcnt 0x5
	v_fmac_f64_e32 v[140:141], v[136:137], v[120:121]
	ds_load_2addr_b64 v[118:121], v2 offset0:79 offset1:80
	ds_load_2addr_b64 v[122:125], v2 offset0:81 offset1:82
	s_wait_dscnt 0x1
	v_fmac_f64_e32 v[140:141], v[138:139], v[118:119]
	s_wait_loadcnt 0x4
	s_delay_alu instid0(VALU_DEP_1)
	v_fmac_f64_e32 v[140:141], v[106:107], v[120:121]
	scratch_load_b128 v[118:121], off, off offset:320
	s_wait_dscnt 0x0
	v_fmac_f64_e32 v[140:141], v[108:109], v[122:123]
	scratch_load_b128 v[106:109], off, off offset:336
	s_wait_loadcnt 0x5
	v_fmac_f64_e32 v[140:141], v[132:133], v[124:125]
	ds_load_2addr_b64 v[122:125], v2 offset0:83 offset1:84
	ds_load_2addr_b64 v[136:139], v2 offset0:85 offset1:86
	s_wait_dscnt 0x1
	v_fmac_f64_e32 v[140:141], v[134:135], v[122:123]
	s_wait_loadcnt 0x4
	s_delay_alu instid0(VALU_DEP_1)
	v_fmac_f64_e32 v[140:141], v[110:111], v[124:125]
	scratch_load_b128 v[122:125], off, off offset:352
	s_wait_dscnt 0x0
	v_fmac_f64_e32 v[140:141], v[112:113], v[136:137]
	scratch_load_b128 v[110:113], off, off offset:368
	s_wait_loadcnt 0x5
	v_fmac_f64_e32 v[140:141], v[128:129], v[138:139]
	ds_load_2addr_b64 v[126:129], v2 offset0:87 offset1:88
	ds_load_2addr_b64 v[132:135], v2 offset0:89 offset1:90
	s_wait_dscnt 0x1
	v_fmac_f64_e32 v[140:141], v[130:131], v[126:127]
	s_wait_loadcnt 0x4
	s_delay_alu instid0(VALU_DEP_1)
	v_fmac_f64_e32 v[140:141], v[114:115], v[128:129]
	scratch_load_b128 v[126:129], off, off offset:384
	s_wait_dscnt 0x0
	v_fmac_f64_e32 v[140:141], v[116:117], v[132:133]
	ds_load_2addr_b64 v[114:117], v2 offset0:91 offset1:92
	ds_load_2addr_b64 v[130:133], v2 offset0:93 offset1:94
	s_wait_loadcnt 0x4
	v_fmac_f64_e32 v[140:141], v[118:119], v[134:135]
	s_wait_dscnt 0x1
	s_delay_alu instid0(VALU_DEP_1) | instskip(SKIP_1) | instid1(VALU_DEP_1)
	v_fmac_f64_e32 v[140:141], v[120:121], v[114:115]
	s_wait_loadcnt 0x3
	v_fmac_f64_e32 v[140:141], v[106:107], v[116:117]
	s_wait_dscnt 0x0
	s_delay_alu instid0(VALU_DEP_1)
	v_fmac_f64_e32 v[140:141], v[108:109], v[130:131]
	ds_load_2addr_b64 v[106:109], v2 offset0:95 offset1:96
	ds_load_2addr_b64 v[114:117], v2 offset0:97 offset1:98
	s_wait_loadcnt 0x2
	v_fmac_f64_e32 v[140:141], v[122:123], v[132:133]
	s_wait_dscnt 0x1
	s_delay_alu instid0(VALU_DEP_1) | instskip(SKIP_4) | instid1(VALU_DEP_1)
	v_fmac_f64_e32 v[140:141], v[124:125], v[106:107]
	ds_load_b64 v[106:107], v2 offset:792
	s_wait_loadcnt 0x1
	v_fmac_f64_e32 v[140:141], v[110:111], v[108:109]
	s_wait_dscnt 0x1
	v_fmac_f64_e32 v[140:141], v[112:113], v[114:115]
	s_wait_loadcnt 0x0
	s_delay_alu instid0(VALU_DEP_1) | instskip(SKIP_1) | instid1(VALU_DEP_1)
	v_fmac_f64_e32 v[140:141], v[126:127], v[116:117]
	s_wait_dscnt 0x0
	v_fmac_f64_e32 v[140:141], v[128:129], v[106:107]
	s_delay_alu instid0(VALU_DEP_1)
	v_add_f64_e64 v[104:105], v[104:105], -v[140:141]
	scratch_store_b64 off, v[104:105], off offset:128
	s_wait_xcnt 0x0
	v_cmpx_lt_u32_e32 15, v0
	s_cbranch_execz .LBB113_279
; %bb.278:
	scratch_load_b64 v[104:105], off, off offset:120
	v_mov_b64_e32 v[106:107], 0
	scratch_store_b64 off, v[106:107], off offset:120
	s_wait_loadcnt 0x0
	ds_store_b64 v1, v[104:105]
.LBB113_279:
	s_wait_xcnt 0x0
	s_or_b32 exec_lo, exec_lo, s0
	s_wait_storecnt_dscnt 0x0
	s_barrier_signal -1
	s_barrier_wait -1
	s_clause 0x5
	scratch_load_b128 v[104:107], off, off offset:120
	scratch_load_b128 v[108:111], off, off offset:136
	;; [unrolled: 1-line block ×6, first 2 shown]
	ds_load_b128 v[128:131], v2 offset:528
	ds_load_b128 v[132:135], v2 offset:544
	scratch_load_b128 v[136:139], off, off offset:216
	s_mov_b32 s0, exec_lo
	s_wait_loadcnt_dscnt 0x601
	v_fma_f64 v[140:141], v[106:107], v[128:129], 0
	s_wait_loadcnt 0x5
	s_delay_alu instid0(VALU_DEP_1) | instskip(SKIP_4) | instid1(VALU_DEP_1)
	v_fmac_f64_e32 v[140:141], v[108:109], v[130:131]
	scratch_load_b128 v[106:109], off, off offset:232
	s_wait_dscnt 0x0
	v_fmac_f64_e32 v[140:141], v[110:111], v[132:133]
	s_wait_loadcnt 0x5
	v_fmac_f64_e32 v[140:141], v[112:113], v[134:135]
	ds_load_b128 v[110:113], v2 offset:560
	ds_load_b128 v[128:131], v2 offset:576
	scratch_load_b128 v[132:135], off, off offset:248
	s_wait_dscnt 0x1
	v_fmac_f64_e32 v[140:141], v[114:115], v[110:111]
	s_wait_loadcnt 0x5
	s_delay_alu instid0(VALU_DEP_1) | instskip(SKIP_4) | instid1(VALU_DEP_1)
	v_fmac_f64_e32 v[140:141], v[116:117], v[112:113]
	scratch_load_b128 v[110:113], off, off offset:264
	s_wait_dscnt 0x0
	v_fmac_f64_e32 v[140:141], v[118:119], v[128:129]
	s_wait_loadcnt 0x5
	v_fmac_f64_e32 v[140:141], v[120:121], v[130:131]
	ds_load_b128 v[114:117], v2 offset:592
	ds_load_b128 v[118:121], v2 offset:608
	scratch_load_b128 v[128:131], off, off offset:280
	s_wait_dscnt 0x1
	v_fmac_f64_e32 v[140:141], v[122:123], v[114:115]
	s_wait_loadcnt 0x5
	s_delay_alu instid0(VALU_DEP_1) | instskip(SKIP_4) | instid1(VALU_DEP_1)
	v_fmac_f64_e32 v[140:141], v[124:125], v[116:117]
	scratch_load_b128 v[114:117], off, off offset:296
	s_wait_dscnt 0x0
	v_fmac_f64_e32 v[140:141], v[126:127], v[118:119]
	s_wait_loadcnt 0x5
	v_fmac_f64_e32 v[140:141], v[136:137], v[120:121]
	ds_load_b128 v[118:121], v2 offset:624
	ds_load_b128 v[122:125], v2 offset:640
	s_wait_dscnt 0x1
	v_fmac_f64_e32 v[140:141], v[138:139], v[118:119]
	scratch_load_b128 v[136:139], off, off offset:312
	s_wait_loadcnt 0x5
	v_fmac_f64_e32 v[140:141], v[106:107], v[120:121]
	s_wait_dscnt 0x0
	s_delay_alu instid0(VALU_DEP_1)
	v_fmac_f64_e32 v[140:141], v[108:109], v[122:123]
	scratch_load_b128 v[106:109], off, off offset:328
	s_wait_loadcnt 0x5
	v_fmac_f64_e32 v[140:141], v[132:133], v[124:125]
	ds_load_b128 v[118:121], v2 offset:656
	ds_load_b128 v[122:125], v2 offset:672
	s_wait_dscnt 0x1
	v_fmac_f64_e32 v[140:141], v[134:135], v[118:119]
	s_wait_loadcnt 0x4
	s_delay_alu instid0(VALU_DEP_1)
	v_fmac_f64_e32 v[140:141], v[110:111], v[120:121]
	scratch_load_b128 v[118:121], off, off offset:344
	s_wait_dscnt 0x0
	v_fmac_f64_e32 v[140:141], v[112:113], v[122:123]
	scratch_load_b128 v[110:113], off, off offset:360
	s_wait_loadcnt 0x5
	v_fmac_f64_e32 v[140:141], v[128:129], v[124:125]
	ds_load_b128 v[122:125], v2 offset:688
	ds_load_b128 v[126:129], v2 offset:704
	s_wait_dscnt 0x1
	v_fmac_f64_e32 v[140:141], v[130:131], v[122:123]
	scratch_load_b64 v[130:131], off, off offset:392
	s_wait_loadcnt 0x5
	v_fmac_f64_e32 v[140:141], v[114:115], v[124:125]
	scratch_load_b128 v[122:125], off, off offset:376
	s_wait_dscnt 0x0
	v_fmac_f64_e32 v[140:141], v[116:117], v[126:127]
	s_wait_loadcnt 0x5
	s_delay_alu instid0(VALU_DEP_1)
	v_fmac_f64_e32 v[140:141], v[136:137], v[128:129]
	ds_load_b128 v[114:117], v2 offset:720
	ds_load_b128 v[126:129], v2 offset:736
	s_wait_dscnt 0x1
	v_fmac_f64_e32 v[140:141], v[138:139], v[114:115]
	s_wait_loadcnt 0x4
	s_delay_alu instid0(VALU_DEP_1) | instskip(SKIP_1) | instid1(VALU_DEP_1)
	v_fmac_f64_e32 v[140:141], v[106:107], v[116:117]
	s_wait_dscnt 0x0
	v_fmac_f64_e32 v[140:141], v[108:109], v[126:127]
	ds_load_b128 v[106:109], v2 offset:752
	ds_load_b128 v[114:117], v2 offset:768
	s_wait_loadcnt 0x3
	v_fmac_f64_e32 v[140:141], v[118:119], v[128:129]
	s_wait_dscnt 0x1
	s_delay_alu instid0(VALU_DEP_1) | instskip(SKIP_1) | instid1(VALU_DEP_1)
	v_fmac_f64_e32 v[140:141], v[120:121], v[106:107]
	s_wait_loadcnt 0x2
	v_fmac_f64_e32 v[140:141], v[110:111], v[108:109]
	ds_load_b128 v[106:109], v2 offset:784
	s_wait_dscnt 0x1
	v_fmac_f64_e32 v[140:141], v[112:113], v[114:115]
	s_wait_loadcnt 0x0
	s_delay_alu instid0(VALU_DEP_1) | instskip(SKIP_1) | instid1(VALU_DEP_1)
	v_fmac_f64_e32 v[140:141], v[122:123], v[116:117]
	s_wait_dscnt 0x0
	v_fmac_f64_e32 v[140:141], v[124:125], v[106:107]
	s_delay_alu instid0(VALU_DEP_1) | instskip(NEXT) | instid1(VALU_DEP_1)
	v_fmac_f64_e32 v[140:141], v[130:131], v[108:109]
	v_add_f64_e64 v[2:3], v[104:105], -v[140:141]
	scratch_store_b64 off, v[2:3], off offset:120
	s_wait_xcnt 0x0
	v_cmpx_lt_u32_e32 14, v0
	s_cbranch_execz .LBB113_281
; %bb.280:
	scratch_load_b64 v[2:3], off, off offset:112
	v_mov_b64_e32 v[104:105], 0
	scratch_store_b64 off, v[104:105], off offset:112
	s_wait_loadcnt 0x0
	ds_store_b64 v1, v[2:3]
.LBB113_281:
	s_wait_xcnt 0x0
	s_or_b32 exec_lo, exec_lo, s0
	s_wait_storecnt_dscnt 0x0
	s_barrier_signal -1
	s_barrier_wait -1
	s_clause 0x5
	scratch_load_b128 v[104:107], off, off offset:112
	scratch_load_b128 v[108:111], off, off offset:128
	;; [unrolled: 1-line block ×6, first 2 shown]
	v_mov_b32_e32 v2, 0
	ds_load_2addr_b64 v[128:131], v2 offset0:65 offset1:66
	ds_load_2addr_b64 v[132:135], v2 offset0:67 offset1:68
	scratch_load_b128 v[136:139], off, off offset:208
	s_mov_b32 s0, exec_lo
	s_wait_loadcnt_dscnt 0x601
	v_fma_f64 v[140:141], v[106:107], v[128:129], 0
	s_wait_loadcnt 0x5
	s_delay_alu instid0(VALU_DEP_1) | instskip(SKIP_4) | instid1(VALU_DEP_1)
	v_fmac_f64_e32 v[140:141], v[108:109], v[130:131]
	scratch_load_b128 v[106:109], off, off offset:224
	s_wait_dscnt 0x0
	v_fmac_f64_e32 v[140:141], v[110:111], v[132:133]
	s_wait_loadcnt 0x5
	v_fmac_f64_e32 v[140:141], v[112:113], v[134:135]
	ds_load_2addr_b64 v[110:113], v2 offset0:69 offset1:70
	ds_load_2addr_b64 v[128:131], v2 offset0:71 offset1:72
	scratch_load_b128 v[132:135], off, off offset:240
	s_wait_dscnt 0x1
	v_fmac_f64_e32 v[140:141], v[114:115], v[110:111]
	s_wait_loadcnt 0x5
	s_delay_alu instid0(VALU_DEP_1) | instskip(SKIP_4) | instid1(VALU_DEP_1)
	v_fmac_f64_e32 v[140:141], v[116:117], v[112:113]
	scratch_load_b128 v[110:113], off, off offset:256
	s_wait_dscnt 0x0
	v_fmac_f64_e32 v[140:141], v[118:119], v[128:129]
	s_wait_loadcnt 0x5
	v_fmac_f64_e32 v[140:141], v[120:121], v[130:131]
	ds_load_2addr_b64 v[114:117], v2 offset0:73 offset1:74
	ds_load_2addr_b64 v[118:121], v2 offset0:75 offset1:76
	scratch_load_b128 v[128:131], off, off offset:272
	s_wait_dscnt 0x1
	v_fmac_f64_e32 v[140:141], v[122:123], v[114:115]
	s_wait_loadcnt 0x5
	s_delay_alu instid0(VALU_DEP_1) | instskip(SKIP_4) | instid1(VALU_DEP_1)
	v_fmac_f64_e32 v[140:141], v[124:125], v[116:117]
	scratch_load_b128 v[114:117], off, off offset:288
	s_wait_dscnt 0x0
	v_fmac_f64_e32 v[140:141], v[126:127], v[118:119]
	s_wait_loadcnt 0x5
	v_fmac_f64_e32 v[140:141], v[136:137], v[120:121]
	ds_load_2addr_b64 v[118:121], v2 offset0:77 offset1:78
	ds_load_2addr_b64 v[122:125], v2 offset0:79 offset1:80
	s_wait_dscnt 0x1
	v_fmac_f64_e32 v[140:141], v[138:139], v[118:119]
	scratch_load_b128 v[136:139], off, off offset:304
	s_wait_loadcnt 0x5
	v_fmac_f64_e32 v[140:141], v[106:107], v[120:121]
	s_wait_dscnt 0x0
	s_delay_alu instid0(VALU_DEP_1)
	v_fmac_f64_e32 v[140:141], v[108:109], v[122:123]
	scratch_load_b128 v[106:109], off, off offset:320
	s_wait_loadcnt 0x5
	v_fmac_f64_e32 v[140:141], v[132:133], v[124:125]
	ds_load_2addr_b64 v[118:121], v2 offset0:81 offset1:82
	ds_load_2addr_b64 v[122:125], v2 offset0:83 offset1:84
	s_wait_dscnt 0x1
	v_fmac_f64_e32 v[140:141], v[134:135], v[118:119]
	s_wait_loadcnt 0x4
	s_delay_alu instid0(VALU_DEP_1)
	v_fmac_f64_e32 v[140:141], v[110:111], v[120:121]
	scratch_load_b128 v[118:121], off, off offset:336
	s_wait_dscnt 0x0
	v_fmac_f64_e32 v[140:141], v[112:113], v[122:123]
	scratch_load_b128 v[110:113], off, off offset:352
	s_wait_loadcnt 0x5
	v_fmac_f64_e32 v[140:141], v[128:129], v[124:125]
	ds_load_2addr_b64 v[122:125], v2 offset0:85 offset1:86
	ds_load_2addr_b64 v[126:129], v2 offset0:87 offset1:88
	s_wait_dscnt 0x1
	v_fmac_f64_e32 v[140:141], v[130:131], v[122:123]
	s_wait_loadcnt 0x4
	s_delay_alu instid0(VALU_DEP_1)
	v_fmac_f64_e32 v[140:141], v[114:115], v[124:125]
	scratch_load_b128 v[122:125], off, off offset:368
	s_wait_dscnt 0x0
	v_fmac_f64_e32 v[140:141], v[116:117], v[126:127]
	scratch_load_b128 v[114:117], off, off offset:384
	s_wait_loadcnt 0x5
	v_fmac_f64_e32 v[140:141], v[136:137], v[128:129]
	ds_load_2addr_b64 v[126:129], v2 offset0:89 offset1:90
	ds_load_2addr_b64 v[130:133], v2 offset0:91 offset1:92
	s_wait_dscnt 0x1
	v_fmac_f64_e32 v[140:141], v[138:139], v[126:127]
	s_wait_loadcnt 0x4
	s_delay_alu instid0(VALU_DEP_1) | instskip(SKIP_1) | instid1(VALU_DEP_1)
	v_fmac_f64_e32 v[140:141], v[106:107], v[128:129]
	s_wait_dscnt 0x0
	v_fmac_f64_e32 v[140:141], v[108:109], v[130:131]
	ds_load_2addr_b64 v[106:109], v2 offset0:93 offset1:94
	ds_load_2addr_b64 v[126:129], v2 offset0:95 offset1:96
	s_wait_loadcnt 0x3
	v_fmac_f64_e32 v[140:141], v[118:119], v[132:133]
	s_wait_dscnt 0x1
	s_delay_alu instid0(VALU_DEP_1) | instskip(SKIP_1) | instid1(VALU_DEP_1)
	v_fmac_f64_e32 v[140:141], v[120:121], v[106:107]
	s_wait_loadcnt 0x2
	v_fmac_f64_e32 v[140:141], v[110:111], v[108:109]
	ds_load_2addr_b64 v[106:109], v2 offset0:97 offset1:98
	ds_load_b64 v[110:111], v2 offset:792
	s_wait_dscnt 0x2
	v_fmac_f64_e32 v[140:141], v[112:113], v[126:127]
	s_wait_loadcnt 0x1
	s_delay_alu instid0(VALU_DEP_1) | instskip(SKIP_1) | instid1(VALU_DEP_1)
	v_fmac_f64_e32 v[140:141], v[122:123], v[128:129]
	s_wait_dscnt 0x1
	v_fmac_f64_e32 v[140:141], v[124:125], v[106:107]
	s_wait_loadcnt 0x0
	s_delay_alu instid0(VALU_DEP_1) | instskip(SKIP_1) | instid1(VALU_DEP_1)
	v_fmac_f64_e32 v[140:141], v[114:115], v[108:109]
	s_wait_dscnt 0x0
	v_fmac_f64_e32 v[140:141], v[116:117], v[110:111]
	s_delay_alu instid0(VALU_DEP_1)
	v_add_f64_e64 v[104:105], v[104:105], -v[140:141]
	scratch_store_b64 off, v[104:105], off offset:112
	s_wait_xcnt 0x0
	v_cmpx_lt_u32_e32 13, v0
	s_cbranch_execz .LBB113_283
; %bb.282:
	scratch_load_b64 v[104:105], off, off offset:104
	v_mov_b64_e32 v[106:107], 0
	scratch_store_b64 off, v[106:107], off offset:104
	s_wait_loadcnt 0x0
	ds_store_b64 v1, v[104:105]
.LBB113_283:
	s_wait_xcnt 0x0
	s_or_b32 exec_lo, exec_lo, s0
	s_wait_storecnt_dscnt 0x0
	s_barrier_signal -1
	s_barrier_wait -1
	s_clause 0x5
	scratch_load_b128 v[104:107], off, off offset:104
	scratch_load_b128 v[108:111], off, off offset:120
	;; [unrolled: 1-line block ×6, first 2 shown]
	ds_load_b128 v[128:131], v2 offset:512
	ds_load_b128 v[132:135], v2 offset:528
	scratch_load_b128 v[136:139], off, off offset:200
	s_mov_b32 s0, exec_lo
	s_wait_loadcnt_dscnt 0x601
	v_fma_f64 v[140:141], v[106:107], v[128:129], 0
	s_wait_loadcnt 0x5
	s_delay_alu instid0(VALU_DEP_1) | instskip(SKIP_4) | instid1(VALU_DEP_1)
	v_fmac_f64_e32 v[140:141], v[108:109], v[130:131]
	scratch_load_b128 v[106:109], off, off offset:216
	s_wait_dscnt 0x0
	v_fmac_f64_e32 v[140:141], v[110:111], v[132:133]
	s_wait_loadcnt 0x5
	v_fmac_f64_e32 v[140:141], v[112:113], v[134:135]
	ds_load_b128 v[110:113], v2 offset:544
	ds_load_b128 v[128:131], v2 offset:560
	scratch_load_b128 v[132:135], off, off offset:232
	s_wait_dscnt 0x1
	v_fmac_f64_e32 v[140:141], v[114:115], v[110:111]
	s_wait_loadcnt 0x5
	s_delay_alu instid0(VALU_DEP_1) | instskip(SKIP_4) | instid1(VALU_DEP_1)
	v_fmac_f64_e32 v[140:141], v[116:117], v[112:113]
	scratch_load_b128 v[110:113], off, off offset:248
	s_wait_dscnt 0x0
	v_fmac_f64_e32 v[140:141], v[118:119], v[128:129]
	s_wait_loadcnt 0x5
	v_fmac_f64_e32 v[140:141], v[120:121], v[130:131]
	ds_load_b128 v[114:117], v2 offset:576
	ds_load_b128 v[118:121], v2 offset:592
	scratch_load_b128 v[128:131], off, off offset:264
	s_wait_dscnt 0x1
	v_fmac_f64_e32 v[140:141], v[122:123], v[114:115]
	s_wait_loadcnt 0x5
	s_delay_alu instid0(VALU_DEP_1) | instskip(SKIP_4) | instid1(VALU_DEP_1)
	v_fmac_f64_e32 v[140:141], v[124:125], v[116:117]
	scratch_load_b128 v[114:117], off, off offset:280
	s_wait_dscnt 0x0
	v_fmac_f64_e32 v[140:141], v[126:127], v[118:119]
	s_wait_loadcnt 0x5
	v_fmac_f64_e32 v[140:141], v[136:137], v[120:121]
	ds_load_b128 v[118:121], v2 offset:608
	ds_load_b128 v[122:125], v2 offset:624
	s_wait_dscnt 0x1
	v_fmac_f64_e32 v[140:141], v[138:139], v[118:119]
	scratch_load_b128 v[136:139], off, off offset:296
	s_wait_loadcnt 0x5
	v_fmac_f64_e32 v[140:141], v[106:107], v[120:121]
	s_wait_dscnt 0x0
	s_delay_alu instid0(VALU_DEP_1)
	v_fmac_f64_e32 v[140:141], v[108:109], v[122:123]
	scratch_load_b128 v[106:109], off, off offset:312
	s_wait_loadcnt 0x5
	v_fmac_f64_e32 v[140:141], v[132:133], v[124:125]
	ds_load_b128 v[118:121], v2 offset:640
	ds_load_b128 v[122:125], v2 offset:656
	s_wait_dscnt 0x1
	v_fmac_f64_e32 v[140:141], v[134:135], v[118:119]
	s_wait_loadcnt 0x4
	s_delay_alu instid0(VALU_DEP_1)
	v_fmac_f64_e32 v[140:141], v[110:111], v[120:121]
	scratch_load_b128 v[118:121], off, off offset:328
	s_wait_dscnt 0x0
	v_fmac_f64_e32 v[140:141], v[112:113], v[122:123]
	scratch_load_b128 v[110:113], off, off offset:344
	s_wait_loadcnt 0x5
	v_fmac_f64_e32 v[140:141], v[128:129], v[124:125]
	ds_load_b128 v[122:125], v2 offset:672
	ds_load_b128 v[126:129], v2 offset:688
	s_wait_dscnt 0x1
	v_fmac_f64_e32 v[140:141], v[130:131], v[122:123]
	s_wait_loadcnt 0x4
	s_delay_alu instid0(VALU_DEP_1)
	v_fmac_f64_e32 v[140:141], v[114:115], v[124:125]
	scratch_load_b128 v[122:125], off, off offset:360
	s_wait_dscnt 0x0
	v_fmac_f64_e32 v[140:141], v[116:117], v[126:127]
	scratch_load_b128 v[114:117], off, off offset:376
	s_wait_loadcnt 0x5
	v_fmac_f64_e32 v[140:141], v[136:137], v[128:129]
	ds_load_b128 v[126:129], v2 offset:704
	ds_load_b128 v[130:133], v2 offset:720
	scratch_load_b64 v[134:135], off, off offset:392
	s_wait_dscnt 0x1
	v_fmac_f64_e32 v[140:141], v[138:139], v[126:127]
	s_wait_loadcnt 0x5
	s_delay_alu instid0(VALU_DEP_1) | instskip(SKIP_1) | instid1(VALU_DEP_1)
	v_fmac_f64_e32 v[140:141], v[106:107], v[128:129]
	s_wait_dscnt 0x0
	v_fmac_f64_e32 v[140:141], v[108:109], v[130:131]
	ds_load_b128 v[106:109], v2 offset:736
	ds_load_b128 v[126:129], v2 offset:752
	s_wait_loadcnt 0x4
	v_fmac_f64_e32 v[140:141], v[118:119], v[132:133]
	s_wait_dscnt 0x1
	s_delay_alu instid0(VALU_DEP_1) | instskip(SKIP_1) | instid1(VALU_DEP_1)
	v_fmac_f64_e32 v[140:141], v[120:121], v[106:107]
	s_wait_loadcnt 0x3
	v_fmac_f64_e32 v[140:141], v[110:111], v[108:109]
	s_wait_dscnt 0x0
	s_delay_alu instid0(VALU_DEP_1)
	v_fmac_f64_e32 v[140:141], v[112:113], v[126:127]
	ds_load_b128 v[106:109], v2 offset:768
	ds_load_b128 v[110:113], v2 offset:784
	s_wait_loadcnt 0x2
	v_fmac_f64_e32 v[140:141], v[122:123], v[128:129]
	s_wait_dscnt 0x1
	s_delay_alu instid0(VALU_DEP_1) | instskip(SKIP_1) | instid1(VALU_DEP_1)
	v_fmac_f64_e32 v[140:141], v[124:125], v[106:107]
	s_wait_loadcnt 0x1
	v_fmac_f64_e32 v[140:141], v[114:115], v[108:109]
	s_wait_dscnt 0x0
	s_delay_alu instid0(VALU_DEP_1) | instskip(SKIP_1) | instid1(VALU_DEP_1)
	v_fmac_f64_e32 v[140:141], v[116:117], v[110:111]
	s_wait_loadcnt 0x0
	v_fmac_f64_e32 v[140:141], v[134:135], v[112:113]
	s_delay_alu instid0(VALU_DEP_1)
	v_add_f64_e64 v[2:3], v[104:105], -v[140:141]
	scratch_store_b64 off, v[2:3], off offset:104
	s_wait_xcnt 0x0
	v_cmpx_lt_u32_e32 12, v0
	s_cbranch_execz .LBB113_285
; %bb.284:
	scratch_load_b64 v[2:3], off, off offset:96
	v_mov_b64_e32 v[104:105], 0
	scratch_store_b64 off, v[104:105], off offset:96
	s_wait_loadcnt 0x0
	ds_store_b64 v1, v[2:3]
.LBB113_285:
	s_wait_xcnt 0x0
	s_or_b32 exec_lo, exec_lo, s0
	s_wait_storecnt_dscnt 0x0
	s_barrier_signal -1
	s_barrier_wait -1
	s_clause 0x5
	scratch_load_b128 v[104:107], off, off offset:96
	scratch_load_b128 v[108:111], off, off offset:112
	;; [unrolled: 1-line block ×6, first 2 shown]
	v_mov_b32_e32 v2, 0
	ds_load_2addr_b64 v[128:131], v2 offset0:63 offset1:64
	ds_load_2addr_b64 v[132:135], v2 offset0:65 offset1:66
	scratch_load_b128 v[136:139], off, off offset:192
	s_mov_b32 s0, exec_lo
	s_wait_loadcnt_dscnt 0x601
	v_fma_f64 v[140:141], v[106:107], v[128:129], 0
	s_wait_loadcnt 0x5
	s_delay_alu instid0(VALU_DEP_1) | instskip(SKIP_4) | instid1(VALU_DEP_1)
	v_fmac_f64_e32 v[140:141], v[108:109], v[130:131]
	scratch_load_b128 v[106:109], off, off offset:208
	s_wait_dscnt 0x0
	v_fmac_f64_e32 v[140:141], v[110:111], v[132:133]
	s_wait_loadcnt 0x5
	v_fmac_f64_e32 v[140:141], v[112:113], v[134:135]
	ds_load_2addr_b64 v[110:113], v2 offset0:67 offset1:68
	ds_load_2addr_b64 v[128:131], v2 offset0:69 offset1:70
	scratch_load_b128 v[132:135], off, off offset:224
	s_wait_dscnt 0x1
	v_fmac_f64_e32 v[140:141], v[114:115], v[110:111]
	s_wait_loadcnt 0x5
	s_delay_alu instid0(VALU_DEP_1) | instskip(SKIP_4) | instid1(VALU_DEP_1)
	v_fmac_f64_e32 v[140:141], v[116:117], v[112:113]
	scratch_load_b128 v[110:113], off, off offset:240
	s_wait_dscnt 0x0
	v_fmac_f64_e32 v[140:141], v[118:119], v[128:129]
	s_wait_loadcnt 0x5
	v_fmac_f64_e32 v[140:141], v[120:121], v[130:131]
	ds_load_2addr_b64 v[114:117], v2 offset0:71 offset1:72
	ds_load_2addr_b64 v[118:121], v2 offset0:73 offset1:74
	scratch_load_b128 v[128:131], off, off offset:256
	s_wait_dscnt 0x1
	v_fmac_f64_e32 v[140:141], v[122:123], v[114:115]
	s_wait_loadcnt 0x5
	s_delay_alu instid0(VALU_DEP_1) | instskip(SKIP_4) | instid1(VALU_DEP_1)
	v_fmac_f64_e32 v[140:141], v[124:125], v[116:117]
	scratch_load_b128 v[114:117], off, off offset:272
	s_wait_dscnt 0x0
	v_fmac_f64_e32 v[140:141], v[126:127], v[118:119]
	s_wait_loadcnt 0x5
	v_fmac_f64_e32 v[140:141], v[136:137], v[120:121]
	ds_load_2addr_b64 v[118:121], v2 offset0:75 offset1:76
	ds_load_2addr_b64 v[122:125], v2 offset0:77 offset1:78
	s_wait_dscnt 0x1
	v_fmac_f64_e32 v[140:141], v[138:139], v[118:119]
	scratch_load_b128 v[136:139], off, off offset:288
	s_wait_loadcnt 0x5
	v_fmac_f64_e32 v[140:141], v[106:107], v[120:121]
	s_wait_dscnt 0x0
	s_delay_alu instid0(VALU_DEP_1)
	v_fmac_f64_e32 v[140:141], v[108:109], v[122:123]
	scratch_load_b128 v[106:109], off, off offset:304
	s_wait_loadcnt 0x5
	v_fmac_f64_e32 v[140:141], v[132:133], v[124:125]
	ds_load_2addr_b64 v[118:121], v2 offset0:79 offset1:80
	ds_load_2addr_b64 v[122:125], v2 offset0:81 offset1:82
	s_wait_dscnt 0x1
	v_fmac_f64_e32 v[140:141], v[134:135], v[118:119]
	s_wait_loadcnt 0x4
	s_delay_alu instid0(VALU_DEP_1)
	v_fmac_f64_e32 v[140:141], v[110:111], v[120:121]
	scratch_load_b128 v[118:121], off, off offset:320
	s_wait_dscnt 0x0
	v_fmac_f64_e32 v[140:141], v[112:113], v[122:123]
	scratch_load_b128 v[110:113], off, off offset:336
	s_wait_loadcnt 0x5
	v_fmac_f64_e32 v[140:141], v[128:129], v[124:125]
	ds_load_2addr_b64 v[122:125], v2 offset0:83 offset1:84
	ds_load_2addr_b64 v[126:129], v2 offset0:85 offset1:86
	s_wait_dscnt 0x1
	v_fmac_f64_e32 v[140:141], v[130:131], v[122:123]
	s_wait_loadcnt 0x4
	s_delay_alu instid0(VALU_DEP_1)
	v_fmac_f64_e32 v[140:141], v[114:115], v[124:125]
	scratch_load_b128 v[122:125], off, off offset:352
	s_wait_dscnt 0x0
	v_fmac_f64_e32 v[140:141], v[116:117], v[126:127]
	scratch_load_b128 v[114:117], off, off offset:368
	s_wait_loadcnt 0x5
	v_fmac_f64_e32 v[140:141], v[136:137], v[128:129]
	ds_load_2addr_b64 v[126:129], v2 offset0:87 offset1:88
	ds_load_2addr_b64 v[130:133], v2 offset0:89 offset1:90
	s_wait_dscnt 0x1
	v_fmac_f64_e32 v[140:141], v[138:139], v[126:127]
	s_wait_loadcnt 0x4
	s_delay_alu instid0(VALU_DEP_1) | instskip(SKIP_4) | instid1(VALU_DEP_1)
	v_fmac_f64_e32 v[140:141], v[106:107], v[128:129]
	scratch_load_b128 v[126:129], off, off offset:384
	s_wait_dscnt 0x0
	v_fmac_f64_e32 v[140:141], v[108:109], v[130:131]
	s_wait_loadcnt 0x4
	v_fmac_f64_e32 v[140:141], v[118:119], v[132:133]
	ds_load_2addr_b64 v[106:109], v2 offset0:91 offset1:92
	ds_load_2addr_b64 v[130:133], v2 offset0:93 offset1:94
	s_wait_dscnt 0x1
	v_fmac_f64_e32 v[140:141], v[120:121], v[106:107]
	s_wait_loadcnt 0x3
	s_delay_alu instid0(VALU_DEP_1) | instskip(SKIP_1) | instid1(VALU_DEP_1)
	v_fmac_f64_e32 v[140:141], v[110:111], v[108:109]
	s_wait_dscnt 0x0
	v_fmac_f64_e32 v[140:141], v[112:113], v[130:131]
	ds_load_2addr_b64 v[106:109], v2 offset0:95 offset1:96
	ds_load_2addr_b64 v[110:113], v2 offset0:97 offset1:98
	s_wait_loadcnt 0x2
	v_fmac_f64_e32 v[140:141], v[122:123], v[132:133]
	s_wait_dscnt 0x1
	s_delay_alu instid0(VALU_DEP_1) | instskip(SKIP_4) | instid1(VALU_DEP_1)
	v_fmac_f64_e32 v[140:141], v[124:125], v[106:107]
	ds_load_b64 v[106:107], v2 offset:792
	s_wait_loadcnt 0x1
	v_fmac_f64_e32 v[140:141], v[114:115], v[108:109]
	s_wait_dscnt 0x1
	v_fmac_f64_e32 v[140:141], v[116:117], v[110:111]
	s_wait_loadcnt 0x0
	s_delay_alu instid0(VALU_DEP_1) | instskip(SKIP_1) | instid1(VALU_DEP_1)
	v_fmac_f64_e32 v[140:141], v[126:127], v[112:113]
	s_wait_dscnt 0x0
	v_fmac_f64_e32 v[140:141], v[128:129], v[106:107]
	s_delay_alu instid0(VALU_DEP_1)
	v_add_f64_e64 v[104:105], v[104:105], -v[140:141]
	scratch_store_b64 off, v[104:105], off offset:96
	s_wait_xcnt 0x0
	v_cmpx_lt_u32_e32 11, v0
	s_cbranch_execz .LBB113_287
; %bb.286:
	scratch_load_b64 v[104:105], off, off offset:88
	v_mov_b64_e32 v[106:107], 0
	scratch_store_b64 off, v[106:107], off offset:88
	s_wait_loadcnt 0x0
	ds_store_b64 v1, v[104:105]
.LBB113_287:
	s_wait_xcnt 0x0
	s_or_b32 exec_lo, exec_lo, s0
	s_wait_storecnt_dscnt 0x0
	s_barrier_signal -1
	s_barrier_wait -1
	s_clause 0x5
	scratch_load_b128 v[104:107], off, off offset:88
	scratch_load_b128 v[108:111], off, off offset:104
	;; [unrolled: 1-line block ×6, first 2 shown]
	ds_load_b128 v[128:131], v2 offset:496
	ds_load_b128 v[132:135], v2 offset:512
	scratch_load_b128 v[136:139], off, off offset:184
	s_mov_b32 s0, exec_lo
	s_wait_loadcnt_dscnt 0x601
	v_fma_f64 v[140:141], v[106:107], v[128:129], 0
	s_wait_loadcnt 0x5
	s_delay_alu instid0(VALU_DEP_1) | instskip(SKIP_4) | instid1(VALU_DEP_1)
	v_fmac_f64_e32 v[140:141], v[108:109], v[130:131]
	scratch_load_b128 v[106:109], off, off offset:200
	s_wait_dscnt 0x0
	v_fmac_f64_e32 v[140:141], v[110:111], v[132:133]
	s_wait_loadcnt 0x5
	v_fmac_f64_e32 v[140:141], v[112:113], v[134:135]
	ds_load_b128 v[110:113], v2 offset:528
	ds_load_b128 v[128:131], v2 offset:544
	scratch_load_b128 v[132:135], off, off offset:216
	s_wait_dscnt 0x1
	v_fmac_f64_e32 v[140:141], v[114:115], v[110:111]
	s_wait_loadcnt 0x5
	s_delay_alu instid0(VALU_DEP_1) | instskip(SKIP_4) | instid1(VALU_DEP_1)
	v_fmac_f64_e32 v[140:141], v[116:117], v[112:113]
	scratch_load_b128 v[110:113], off, off offset:232
	s_wait_dscnt 0x0
	v_fmac_f64_e32 v[140:141], v[118:119], v[128:129]
	s_wait_loadcnt 0x5
	v_fmac_f64_e32 v[140:141], v[120:121], v[130:131]
	ds_load_b128 v[114:117], v2 offset:560
	ds_load_b128 v[118:121], v2 offset:576
	scratch_load_b128 v[128:131], off, off offset:248
	s_wait_dscnt 0x1
	v_fmac_f64_e32 v[140:141], v[122:123], v[114:115]
	s_wait_loadcnt 0x5
	s_delay_alu instid0(VALU_DEP_1) | instskip(SKIP_4) | instid1(VALU_DEP_1)
	v_fmac_f64_e32 v[140:141], v[124:125], v[116:117]
	scratch_load_b128 v[114:117], off, off offset:264
	s_wait_dscnt 0x0
	v_fmac_f64_e32 v[140:141], v[126:127], v[118:119]
	s_wait_loadcnt 0x5
	v_fmac_f64_e32 v[140:141], v[136:137], v[120:121]
	ds_load_b128 v[118:121], v2 offset:592
	ds_load_b128 v[122:125], v2 offset:608
	s_wait_dscnt 0x1
	v_fmac_f64_e32 v[140:141], v[138:139], v[118:119]
	scratch_load_b128 v[136:139], off, off offset:280
	s_wait_loadcnt 0x5
	v_fmac_f64_e32 v[140:141], v[106:107], v[120:121]
	s_wait_dscnt 0x0
	s_delay_alu instid0(VALU_DEP_1)
	v_fmac_f64_e32 v[140:141], v[108:109], v[122:123]
	scratch_load_b128 v[106:109], off, off offset:296
	s_wait_loadcnt 0x5
	v_fmac_f64_e32 v[140:141], v[132:133], v[124:125]
	ds_load_b128 v[118:121], v2 offset:624
	ds_load_b128 v[122:125], v2 offset:640
	s_wait_dscnt 0x1
	v_fmac_f64_e32 v[140:141], v[134:135], v[118:119]
	scratch_load_b128 v[132:135], off, off offset:312
	s_wait_loadcnt 0x5
	v_fmac_f64_e32 v[140:141], v[110:111], v[120:121]
	s_wait_dscnt 0x0
	s_delay_alu instid0(VALU_DEP_1)
	v_fmac_f64_e32 v[140:141], v[112:113], v[122:123]
	scratch_load_b128 v[110:113], off, off offset:328
	s_wait_loadcnt 0x5
	v_fmac_f64_e32 v[140:141], v[128:129], v[124:125]
	ds_load_b128 v[118:121], v2 offset:656
	ds_load_b128 v[122:125], v2 offset:672
	s_wait_dscnt 0x1
	v_fmac_f64_e32 v[140:141], v[130:131], v[118:119]
	s_wait_loadcnt 0x4
	s_delay_alu instid0(VALU_DEP_1)
	v_fmac_f64_e32 v[140:141], v[114:115], v[120:121]
	scratch_load_b128 v[118:121], off, off offset:344
	s_wait_dscnt 0x0
	v_fmac_f64_e32 v[140:141], v[116:117], v[122:123]
	scratch_load_b128 v[114:117], off, off offset:360
	s_wait_loadcnt 0x5
	v_fmac_f64_e32 v[140:141], v[136:137], v[124:125]
	ds_load_b128 v[122:125], v2 offset:688
	ds_load_b128 v[126:129], v2 offset:704
	scratch_load_b64 v[130:131], off, off offset:392
	s_wait_dscnt 0x1
	v_fmac_f64_e32 v[140:141], v[138:139], v[122:123]
	s_wait_loadcnt 0x5
	s_delay_alu instid0(VALU_DEP_1) | instskip(SKIP_4) | instid1(VALU_DEP_1)
	v_fmac_f64_e32 v[140:141], v[106:107], v[124:125]
	scratch_load_b128 v[122:125], off, off offset:376
	s_wait_dscnt 0x0
	v_fmac_f64_e32 v[140:141], v[108:109], v[126:127]
	s_wait_loadcnt 0x5
	v_fmac_f64_e32 v[140:141], v[132:133], v[128:129]
	ds_load_b128 v[106:109], v2 offset:720
	ds_load_b128 v[126:129], v2 offset:736
	s_wait_dscnt 0x1
	v_fmac_f64_e32 v[140:141], v[134:135], v[106:107]
	s_wait_loadcnt 0x4
	s_delay_alu instid0(VALU_DEP_1) | instskip(SKIP_1) | instid1(VALU_DEP_1)
	v_fmac_f64_e32 v[140:141], v[110:111], v[108:109]
	s_wait_dscnt 0x0
	v_fmac_f64_e32 v[140:141], v[112:113], v[126:127]
	ds_load_b128 v[106:109], v2 offset:752
	ds_load_b128 v[110:113], v2 offset:768
	s_wait_loadcnt 0x3
	v_fmac_f64_e32 v[140:141], v[118:119], v[128:129]
	s_wait_dscnt 0x1
	s_delay_alu instid0(VALU_DEP_1) | instskip(SKIP_1) | instid1(VALU_DEP_1)
	v_fmac_f64_e32 v[140:141], v[120:121], v[106:107]
	s_wait_loadcnt 0x2
	v_fmac_f64_e32 v[140:141], v[114:115], v[108:109]
	ds_load_b128 v[106:109], v2 offset:784
	s_wait_dscnt 0x1
	v_fmac_f64_e32 v[140:141], v[116:117], v[110:111]
	s_wait_loadcnt 0x0
	s_delay_alu instid0(VALU_DEP_1) | instskip(SKIP_1) | instid1(VALU_DEP_1)
	v_fmac_f64_e32 v[140:141], v[122:123], v[112:113]
	s_wait_dscnt 0x0
	v_fmac_f64_e32 v[140:141], v[124:125], v[106:107]
	s_delay_alu instid0(VALU_DEP_1) | instskip(NEXT) | instid1(VALU_DEP_1)
	v_fmac_f64_e32 v[140:141], v[130:131], v[108:109]
	v_add_f64_e64 v[2:3], v[104:105], -v[140:141]
	scratch_store_b64 off, v[2:3], off offset:88
	s_wait_xcnt 0x0
	v_cmpx_lt_u32_e32 10, v0
	s_cbranch_execz .LBB113_289
; %bb.288:
	scratch_load_b64 v[2:3], off, off offset:80
	v_mov_b64_e32 v[104:105], 0
	scratch_store_b64 off, v[104:105], off offset:80
	s_wait_loadcnt 0x0
	ds_store_b64 v1, v[2:3]
.LBB113_289:
	s_wait_xcnt 0x0
	s_or_b32 exec_lo, exec_lo, s0
	s_wait_storecnt_dscnt 0x0
	s_barrier_signal -1
	s_barrier_wait -1
	s_clause 0x5
	scratch_load_b128 v[104:107], off, off offset:80
	scratch_load_b128 v[108:111], off, off offset:96
	scratch_load_b128 v[112:115], off, off offset:112
	scratch_load_b128 v[116:119], off, off offset:128
	scratch_load_b128 v[120:123], off, off offset:144
	scratch_load_b128 v[124:127], off, off offset:160
	v_mov_b32_e32 v2, 0
	ds_load_2addr_b64 v[128:131], v2 offset0:61 offset1:62
	ds_load_2addr_b64 v[132:135], v2 offset0:63 offset1:64
	scratch_load_b128 v[136:139], off, off offset:176
	s_mov_b32 s0, exec_lo
	s_wait_loadcnt_dscnt 0x601
	v_fma_f64 v[140:141], v[106:107], v[128:129], 0
	s_wait_loadcnt 0x5
	s_delay_alu instid0(VALU_DEP_1) | instskip(SKIP_4) | instid1(VALU_DEP_1)
	v_fmac_f64_e32 v[140:141], v[108:109], v[130:131]
	scratch_load_b128 v[106:109], off, off offset:192
	s_wait_dscnt 0x0
	v_fmac_f64_e32 v[140:141], v[110:111], v[132:133]
	s_wait_loadcnt 0x5
	v_fmac_f64_e32 v[140:141], v[112:113], v[134:135]
	ds_load_2addr_b64 v[110:113], v2 offset0:65 offset1:66
	ds_load_2addr_b64 v[128:131], v2 offset0:67 offset1:68
	scratch_load_b128 v[132:135], off, off offset:208
	s_wait_dscnt 0x1
	v_fmac_f64_e32 v[140:141], v[114:115], v[110:111]
	s_wait_loadcnt 0x5
	s_delay_alu instid0(VALU_DEP_1) | instskip(SKIP_4) | instid1(VALU_DEP_1)
	v_fmac_f64_e32 v[140:141], v[116:117], v[112:113]
	scratch_load_b128 v[110:113], off, off offset:224
	s_wait_dscnt 0x0
	v_fmac_f64_e32 v[140:141], v[118:119], v[128:129]
	s_wait_loadcnt 0x5
	v_fmac_f64_e32 v[140:141], v[120:121], v[130:131]
	ds_load_2addr_b64 v[114:117], v2 offset0:69 offset1:70
	ds_load_2addr_b64 v[118:121], v2 offset0:71 offset1:72
	scratch_load_b128 v[128:131], off, off offset:240
	s_wait_dscnt 0x1
	v_fmac_f64_e32 v[140:141], v[122:123], v[114:115]
	s_wait_loadcnt 0x5
	s_delay_alu instid0(VALU_DEP_1) | instskip(SKIP_4) | instid1(VALU_DEP_1)
	v_fmac_f64_e32 v[140:141], v[124:125], v[116:117]
	scratch_load_b128 v[114:117], off, off offset:256
	s_wait_dscnt 0x0
	v_fmac_f64_e32 v[140:141], v[126:127], v[118:119]
	s_wait_loadcnt 0x5
	v_fmac_f64_e32 v[140:141], v[136:137], v[120:121]
	ds_load_2addr_b64 v[118:121], v2 offset0:73 offset1:74
	ds_load_2addr_b64 v[122:125], v2 offset0:75 offset1:76
	s_wait_dscnt 0x1
	v_fmac_f64_e32 v[140:141], v[138:139], v[118:119]
	scratch_load_b128 v[136:139], off, off offset:272
	s_wait_loadcnt 0x5
	v_fmac_f64_e32 v[140:141], v[106:107], v[120:121]
	s_wait_dscnt 0x0
	s_delay_alu instid0(VALU_DEP_1)
	v_fmac_f64_e32 v[140:141], v[108:109], v[122:123]
	scratch_load_b128 v[106:109], off, off offset:288
	s_wait_loadcnt 0x5
	v_fmac_f64_e32 v[140:141], v[132:133], v[124:125]
	ds_load_2addr_b64 v[118:121], v2 offset0:77 offset1:78
	ds_load_2addr_b64 v[122:125], v2 offset0:79 offset1:80
	s_wait_dscnt 0x1
	v_fmac_f64_e32 v[140:141], v[134:135], v[118:119]
	scratch_load_b128 v[132:135], off, off offset:304
	s_wait_loadcnt 0x5
	v_fmac_f64_e32 v[140:141], v[110:111], v[120:121]
	s_wait_dscnt 0x0
	s_delay_alu instid0(VALU_DEP_1)
	v_fmac_f64_e32 v[140:141], v[112:113], v[122:123]
	scratch_load_b128 v[110:113], off, off offset:320
	s_wait_loadcnt 0x5
	v_fmac_f64_e32 v[140:141], v[128:129], v[124:125]
	ds_load_2addr_b64 v[118:121], v2 offset0:81 offset1:82
	ds_load_2addr_b64 v[122:125], v2 offset0:83 offset1:84
	s_wait_dscnt 0x1
	v_fmac_f64_e32 v[140:141], v[130:131], v[118:119]
	s_wait_loadcnt 0x4
	s_delay_alu instid0(VALU_DEP_1)
	v_fmac_f64_e32 v[140:141], v[114:115], v[120:121]
	scratch_load_b128 v[118:121], off, off offset:336
	s_wait_dscnt 0x0
	v_fmac_f64_e32 v[140:141], v[116:117], v[122:123]
	scratch_load_b128 v[114:117], off, off offset:352
	s_wait_loadcnt 0x5
	v_fmac_f64_e32 v[140:141], v[136:137], v[124:125]
	ds_load_2addr_b64 v[122:125], v2 offset0:85 offset1:86
	ds_load_2addr_b64 v[126:129], v2 offset0:87 offset1:88
	s_wait_dscnt 0x1
	v_fmac_f64_e32 v[140:141], v[138:139], v[122:123]
	s_wait_loadcnt 0x4
	s_delay_alu instid0(VALU_DEP_1)
	v_fmac_f64_e32 v[140:141], v[106:107], v[124:125]
	scratch_load_b128 v[122:125], off, off offset:368
	s_wait_dscnt 0x0
	v_fmac_f64_e32 v[140:141], v[108:109], v[126:127]
	scratch_load_b128 v[106:109], off, off offset:384
	s_wait_loadcnt 0x5
	v_fmac_f64_e32 v[140:141], v[132:133], v[128:129]
	ds_load_2addr_b64 v[126:129], v2 offset0:89 offset1:90
	ds_load_2addr_b64 v[130:133], v2 offset0:91 offset1:92
	s_wait_dscnt 0x1
	v_fmac_f64_e32 v[140:141], v[134:135], v[126:127]
	s_wait_loadcnt 0x4
	s_delay_alu instid0(VALU_DEP_1) | instskip(SKIP_1) | instid1(VALU_DEP_1)
	v_fmac_f64_e32 v[140:141], v[110:111], v[128:129]
	s_wait_dscnt 0x0
	v_fmac_f64_e32 v[140:141], v[112:113], v[130:131]
	ds_load_2addr_b64 v[110:113], v2 offset0:93 offset1:94
	ds_load_2addr_b64 v[126:129], v2 offset0:95 offset1:96
	s_wait_loadcnt 0x3
	v_fmac_f64_e32 v[140:141], v[118:119], v[132:133]
	s_wait_dscnt 0x1
	s_delay_alu instid0(VALU_DEP_1) | instskip(SKIP_1) | instid1(VALU_DEP_1)
	v_fmac_f64_e32 v[140:141], v[120:121], v[110:111]
	s_wait_loadcnt 0x2
	v_fmac_f64_e32 v[140:141], v[114:115], v[112:113]
	ds_load_2addr_b64 v[110:113], v2 offset0:97 offset1:98
	ds_load_b64 v[114:115], v2 offset:792
	s_wait_dscnt 0x2
	v_fmac_f64_e32 v[140:141], v[116:117], v[126:127]
	s_wait_loadcnt 0x1
	s_delay_alu instid0(VALU_DEP_1) | instskip(SKIP_1) | instid1(VALU_DEP_1)
	v_fmac_f64_e32 v[140:141], v[122:123], v[128:129]
	s_wait_dscnt 0x1
	v_fmac_f64_e32 v[140:141], v[124:125], v[110:111]
	s_wait_loadcnt 0x0
	s_delay_alu instid0(VALU_DEP_1) | instskip(SKIP_1) | instid1(VALU_DEP_1)
	v_fmac_f64_e32 v[140:141], v[106:107], v[112:113]
	s_wait_dscnt 0x0
	v_fmac_f64_e32 v[140:141], v[108:109], v[114:115]
	s_delay_alu instid0(VALU_DEP_1)
	v_add_f64_e64 v[104:105], v[104:105], -v[140:141]
	scratch_store_b64 off, v[104:105], off offset:80
	s_wait_xcnt 0x0
	v_cmpx_lt_u32_e32 9, v0
	s_cbranch_execz .LBB113_291
; %bb.290:
	scratch_load_b64 v[104:105], off, off offset:72
	v_mov_b64_e32 v[106:107], 0
	scratch_store_b64 off, v[106:107], off offset:72
	s_wait_loadcnt 0x0
	ds_store_b64 v1, v[104:105]
.LBB113_291:
	s_wait_xcnt 0x0
	s_or_b32 exec_lo, exec_lo, s0
	s_wait_storecnt_dscnt 0x0
	s_barrier_signal -1
	s_barrier_wait -1
	s_clause 0x5
	scratch_load_b128 v[104:107], off, off offset:72
	scratch_load_b128 v[108:111], off, off offset:88
	scratch_load_b128 v[112:115], off, off offset:104
	scratch_load_b128 v[116:119], off, off offset:120
	scratch_load_b128 v[120:123], off, off offset:136
	scratch_load_b128 v[124:127], off, off offset:152
	ds_load_b128 v[128:131], v2 offset:480
	ds_load_b128 v[132:135], v2 offset:496
	scratch_load_b128 v[136:139], off, off offset:168
	s_mov_b32 s0, exec_lo
	s_wait_loadcnt_dscnt 0x601
	v_fma_f64 v[140:141], v[106:107], v[128:129], 0
	s_wait_loadcnt 0x5
	s_delay_alu instid0(VALU_DEP_1) | instskip(SKIP_4) | instid1(VALU_DEP_1)
	v_fmac_f64_e32 v[140:141], v[108:109], v[130:131]
	scratch_load_b128 v[106:109], off, off offset:184
	s_wait_dscnt 0x0
	v_fmac_f64_e32 v[140:141], v[110:111], v[132:133]
	s_wait_loadcnt 0x5
	v_fmac_f64_e32 v[140:141], v[112:113], v[134:135]
	ds_load_b128 v[110:113], v2 offset:512
	ds_load_b128 v[128:131], v2 offset:528
	scratch_load_b128 v[132:135], off, off offset:200
	s_wait_dscnt 0x1
	v_fmac_f64_e32 v[140:141], v[114:115], v[110:111]
	s_wait_loadcnt 0x5
	s_delay_alu instid0(VALU_DEP_1) | instskip(SKIP_4) | instid1(VALU_DEP_1)
	v_fmac_f64_e32 v[140:141], v[116:117], v[112:113]
	scratch_load_b128 v[110:113], off, off offset:216
	s_wait_dscnt 0x0
	v_fmac_f64_e32 v[140:141], v[118:119], v[128:129]
	s_wait_loadcnt 0x5
	v_fmac_f64_e32 v[140:141], v[120:121], v[130:131]
	ds_load_b128 v[114:117], v2 offset:544
	ds_load_b128 v[118:121], v2 offset:560
	scratch_load_b128 v[128:131], off, off offset:232
	s_wait_dscnt 0x1
	v_fmac_f64_e32 v[140:141], v[122:123], v[114:115]
	s_wait_loadcnt 0x5
	s_delay_alu instid0(VALU_DEP_1) | instskip(SKIP_4) | instid1(VALU_DEP_1)
	v_fmac_f64_e32 v[140:141], v[124:125], v[116:117]
	scratch_load_b128 v[114:117], off, off offset:248
	s_wait_dscnt 0x0
	v_fmac_f64_e32 v[140:141], v[126:127], v[118:119]
	s_wait_loadcnt 0x5
	v_fmac_f64_e32 v[140:141], v[136:137], v[120:121]
	ds_load_b128 v[118:121], v2 offset:576
	ds_load_b128 v[122:125], v2 offset:592
	s_wait_dscnt 0x1
	v_fmac_f64_e32 v[140:141], v[138:139], v[118:119]
	scratch_load_b128 v[136:139], off, off offset:264
	s_wait_loadcnt 0x5
	v_fmac_f64_e32 v[140:141], v[106:107], v[120:121]
	s_wait_dscnt 0x0
	s_delay_alu instid0(VALU_DEP_1)
	v_fmac_f64_e32 v[140:141], v[108:109], v[122:123]
	scratch_load_b128 v[106:109], off, off offset:280
	s_wait_loadcnt 0x5
	v_fmac_f64_e32 v[140:141], v[132:133], v[124:125]
	ds_load_b128 v[118:121], v2 offset:608
	ds_load_b128 v[122:125], v2 offset:624
	s_wait_dscnt 0x1
	v_fmac_f64_e32 v[140:141], v[134:135], v[118:119]
	scratch_load_b128 v[132:135], off, off offset:296
	s_wait_loadcnt 0x5
	v_fmac_f64_e32 v[140:141], v[110:111], v[120:121]
	s_wait_dscnt 0x0
	s_delay_alu instid0(VALU_DEP_1)
	v_fmac_f64_e32 v[140:141], v[112:113], v[122:123]
	scratch_load_b128 v[110:113], off, off offset:312
	s_wait_loadcnt 0x5
	v_fmac_f64_e32 v[140:141], v[128:129], v[124:125]
	ds_load_b128 v[118:121], v2 offset:640
	ds_load_b128 v[122:125], v2 offset:656
	s_wait_dscnt 0x1
	v_fmac_f64_e32 v[140:141], v[130:131], v[118:119]
	s_wait_loadcnt 0x4
	s_delay_alu instid0(VALU_DEP_1)
	v_fmac_f64_e32 v[140:141], v[114:115], v[120:121]
	scratch_load_b128 v[118:121], off, off offset:328
	s_wait_dscnt 0x0
	v_fmac_f64_e32 v[140:141], v[116:117], v[122:123]
	scratch_load_b128 v[114:117], off, off offset:344
	s_wait_loadcnt 0x5
	v_fmac_f64_e32 v[140:141], v[136:137], v[124:125]
	ds_load_b128 v[122:125], v2 offset:672
	ds_load_b128 v[126:129], v2 offset:688
	s_wait_dscnt 0x1
	v_fmac_f64_e32 v[140:141], v[138:139], v[122:123]
	s_wait_loadcnt 0x4
	s_delay_alu instid0(VALU_DEP_1)
	v_fmac_f64_e32 v[140:141], v[106:107], v[124:125]
	scratch_load_b128 v[122:125], off, off offset:360
	s_wait_dscnt 0x0
	v_fmac_f64_e32 v[140:141], v[108:109], v[126:127]
	scratch_load_b128 v[106:109], off, off offset:376
	s_wait_loadcnt 0x5
	v_fmac_f64_e32 v[140:141], v[132:133], v[128:129]
	ds_load_b128 v[126:129], v2 offset:704
	ds_load_b128 v[130:133], v2 offset:720
	s_wait_dscnt 0x1
	v_fmac_f64_e32 v[140:141], v[134:135], v[126:127]
	scratch_load_b64 v[134:135], off, off offset:392
	s_wait_loadcnt 0x5
	v_fmac_f64_e32 v[140:141], v[110:111], v[128:129]
	s_wait_dscnt 0x0
	s_delay_alu instid0(VALU_DEP_1)
	v_fmac_f64_e32 v[140:141], v[112:113], v[130:131]
	ds_load_b128 v[110:113], v2 offset:736
	ds_load_b128 v[126:129], v2 offset:752
	s_wait_loadcnt 0x4
	v_fmac_f64_e32 v[140:141], v[118:119], v[132:133]
	s_wait_dscnt 0x1
	s_delay_alu instid0(VALU_DEP_1) | instskip(SKIP_1) | instid1(VALU_DEP_1)
	v_fmac_f64_e32 v[140:141], v[120:121], v[110:111]
	s_wait_loadcnt 0x3
	v_fmac_f64_e32 v[140:141], v[114:115], v[112:113]
	s_wait_dscnt 0x0
	s_delay_alu instid0(VALU_DEP_1)
	v_fmac_f64_e32 v[140:141], v[116:117], v[126:127]
	ds_load_b128 v[110:113], v2 offset:768
	ds_load_b128 v[114:117], v2 offset:784
	s_wait_loadcnt 0x2
	v_fmac_f64_e32 v[140:141], v[122:123], v[128:129]
	s_wait_dscnt 0x1
	s_delay_alu instid0(VALU_DEP_1) | instskip(SKIP_1) | instid1(VALU_DEP_1)
	v_fmac_f64_e32 v[140:141], v[124:125], v[110:111]
	s_wait_loadcnt 0x1
	v_fmac_f64_e32 v[140:141], v[106:107], v[112:113]
	s_wait_dscnt 0x0
	s_delay_alu instid0(VALU_DEP_1) | instskip(SKIP_1) | instid1(VALU_DEP_1)
	v_fmac_f64_e32 v[140:141], v[108:109], v[114:115]
	s_wait_loadcnt 0x0
	v_fmac_f64_e32 v[140:141], v[134:135], v[116:117]
	s_delay_alu instid0(VALU_DEP_1)
	v_add_f64_e64 v[2:3], v[104:105], -v[140:141]
	scratch_store_b64 off, v[2:3], off offset:72
	s_wait_xcnt 0x0
	v_cmpx_lt_u32_e32 8, v0
	s_cbranch_execz .LBB113_293
; %bb.292:
	scratch_load_b64 v[2:3], off, off offset:64
	v_mov_b64_e32 v[104:105], 0
	scratch_store_b64 off, v[104:105], off offset:64
	s_wait_loadcnt 0x0
	ds_store_b64 v1, v[2:3]
.LBB113_293:
	s_wait_xcnt 0x0
	s_or_b32 exec_lo, exec_lo, s0
	s_wait_storecnt_dscnt 0x0
	s_barrier_signal -1
	s_barrier_wait -1
	s_clause 0x5
	scratch_load_b128 v[104:107], off, off offset:64
	scratch_load_b128 v[108:111], off, off offset:80
	;; [unrolled: 1-line block ×6, first 2 shown]
	v_mov_b32_e32 v2, 0
	ds_load_2addr_b64 v[128:131], v2 offset0:59 offset1:60
	ds_load_2addr_b64 v[132:135], v2 offset0:61 offset1:62
	scratch_load_b128 v[136:139], off, off offset:160
	s_mov_b32 s0, exec_lo
	s_wait_loadcnt_dscnt 0x601
	v_fma_f64 v[140:141], v[106:107], v[128:129], 0
	s_wait_loadcnt 0x5
	s_delay_alu instid0(VALU_DEP_1) | instskip(SKIP_4) | instid1(VALU_DEP_1)
	v_fmac_f64_e32 v[140:141], v[108:109], v[130:131]
	scratch_load_b128 v[106:109], off, off offset:176
	s_wait_dscnt 0x0
	v_fmac_f64_e32 v[140:141], v[110:111], v[132:133]
	s_wait_loadcnt 0x5
	v_fmac_f64_e32 v[140:141], v[112:113], v[134:135]
	ds_load_2addr_b64 v[110:113], v2 offset0:63 offset1:64
	ds_load_2addr_b64 v[128:131], v2 offset0:65 offset1:66
	scratch_load_b128 v[132:135], off, off offset:192
	s_wait_dscnt 0x1
	v_fmac_f64_e32 v[140:141], v[114:115], v[110:111]
	s_wait_loadcnt 0x5
	s_delay_alu instid0(VALU_DEP_1) | instskip(SKIP_4) | instid1(VALU_DEP_1)
	v_fmac_f64_e32 v[140:141], v[116:117], v[112:113]
	scratch_load_b128 v[110:113], off, off offset:208
	s_wait_dscnt 0x0
	v_fmac_f64_e32 v[140:141], v[118:119], v[128:129]
	s_wait_loadcnt 0x5
	v_fmac_f64_e32 v[140:141], v[120:121], v[130:131]
	ds_load_2addr_b64 v[114:117], v2 offset0:67 offset1:68
	ds_load_2addr_b64 v[118:121], v2 offset0:69 offset1:70
	scratch_load_b128 v[128:131], off, off offset:224
	s_wait_dscnt 0x1
	v_fmac_f64_e32 v[140:141], v[122:123], v[114:115]
	s_wait_loadcnt 0x5
	s_delay_alu instid0(VALU_DEP_1) | instskip(SKIP_4) | instid1(VALU_DEP_1)
	v_fmac_f64_e32 v[140:141], v[124:125], v[116:117]
	scratch_load_b128 v[114:117], off, off offset:240
	s_wait_dscnt 0x0
	v_fmac_f64_e32 v[140:141], v[126:127], v[118:119]
	s_wait_loadcnt 0x5
	v_fmac_f64_e32 v[140:141], v[136:137], v[120:121]
	ds_load_2addr_b64 v[118:121], v2 offset0:71 offset1:72
	ds_load_2addr_b64 v[122:125], v2 offset0:73 offset1:74
	s_wait_dscnt 0x1
	v_fmac_f64_e32 v[140:141], v[138:139], v[118:119]
	scratch_load_b128 v[136:139], off, off offset:256
	s_wait_loadcnt 0x5
	v_fmac_f64_e32 v[140:141], v[106:107], v[120:121]
	s_wait_dscnt 0x0
	s_delay_alu instid0(VALU_DEP_1)
	v_fmac_f64_e32 v[140:141], v[108:109], v[122:123]
	scratch_load_b128 v[106:109], off, off offset:272
	s_wait_loadcnt 0x5
	v_fmac_f64_e32 v[140:141], v[132:133], v[124:125]
	ds_load_2addr_b64 v[118:121], v2 offset0:75 offset1:76
	ds_load_2addr_b64 v[122:125], v2 offset0:77 offset1:78
	s_wait_dscnt 0x1
	v_fmac_f64_e32 v[140:141], v[134:135], v[118:119]
	scratch_load_b128 v[132:135], off, off offset:288
	s_wait_loadcnt 0x5
	v_fmac_f64_e32 v[140:141], v[110:111], v[120:121]
	s_wait_dscnt 0x0
	s_delay_alu instid0(VALU_DEP_1)
	v_fmac_f64_e32 v[140:141], v[112:113], v[122:123]
	scratch_load_b128 v[110:113], off, off offset:304
	s_wait_loadcnt 0x5
	v_fmac_f64_e32 v[140:141], v[128:129], v[124:125]
	ds_load_2addr_b64 v[118:121], v2 offset0:79 offset1:80
	ds_load_2addr_b64 v[122:125], v2 offset0:81 offset1:82
	s_wait_dscnt 0x1
	v_fmac_f64_e32 v[140:141], v[130:131], v[118:119]
	s_wait_loadcnt 0x4
	s_delay_alu instid0(VALU_DEP_1)
	v_fmac_f64_e32 v[140:141], v[114:115], v[120:121]
	scratch_load_b128 v[118:121], off, off offset:320
	s_wait_dscnt 0x0
	v_fmac_f64_e32 v[140:141], v[116:117], v[122:123]
	scratch_load_b128 v[114:117], off, off offset:336
	s_wait_loadcnt 0x5
	v_fmac_f64_e32 v[140:141], v[136:137], v[124:125]
	ds_load_2addr_b64 v[122:125], v2 offset0:83 offset1:84
	ds_load_2addr_b64 v[126:129], v2 offset0:85 offset1:86
	s_wait_dscnt 0x1
	v_fmac_f64_e32 v[140:141], v[138:139], v[122:123]
	s_wait_loadcnt 0x4
	s_delay_alu instid0(VALU_DEP_1)
	v_fmac_f64_e32 v[140:141], v[106:107], v[124:125]
	scratch_load_b128 v[122:125], off, off offset:352
	s_wait_dscnt 0x0
	v_fmac_f64_e32 v[140:141], v[108:109], v[126:127]
	scratch_load_b128 v[106:109], off, off offset:368
	s_wait_loadcnt 0x5
	v_fmac_f64_e32 v[140:141], v[132:133], v[128:129]
	ds_load_2addr_b64 v[126:129], v2 offset0:87 offset1:88
	ds_load_2addr_b64 v[130:133], v2 offset0:89 offset1:90
	s_wait_dscnt 0x1
	v_fmac_f64_e32 v[140:141], v[134:135], v[126:127]
	s_wait_loadcnt 0x4
	s_delay_alu instid0(VALU_DEP_1) | instskip(SKIP_4) | instid1(VALU_DEP_1)
	v_fmac_f64_e32 v[140:141], v[110:111], v[128:129]
	scratch_load_b128 v[126:129], off, off offset:384
	s_wait_dscnt 0x0
	v_fmac_f64_e32 v[140:141], v[112:113], v[130:131]
	s_wait_loadcnt 0x4
	v_fmac_f64_e32 v[140:141], v[118:119], v[132:133]
	ds_load_2addr_b64 v[110:113], v2 offset0:91 offset1:92
	ds_load_2addr_b64 v[130:133], v2 offset0:93 offset1:94
	s_wait_dscnt 0x1
	v_fmac_f64_e32 v[140:141], v[120:121], v[110:111]
	s_wait_loadcnt 0x3
	s_delay_alu instid0(VALU_DEP_1) | instskip(SKIP_1) | instid1(VALU_DEP_1)
	v_fmac_f64_e32 v[140:141], v[114:115], v[112:113]
	s_wait_dscnt 0x0
	v_fmac_f64_e32 v[140:141], v[116:117], v[130:131]
	ds_load_2addr_b64 v[110:113], v2 offset0:95 offset1:96
	ds_load_2addr_b64 v[114:117], v2 offset0:97 offset1:98
	s_wait_loadcnt 0x2
	v_fmac_f64_e32 v[140:141], v[122:123], v[132:133]
	s_wait_dscnt 0x1
	s_delay_alu instid0(VALU_DEP_1) | instskip(SKIP_1) | instid1(VALU_DEP_1)
	v_fmac_f64_e32 v[140:141], v[124:125], v[110:111]
	s_wait_loadcnt 0x1
	v_fmac_f64_e32 v[140:141], v[106:107], v[112:113]
	ds_load_b64 v[106:107], v2 offset:792
	s_wait_dscnt 0x1
	v_fmac_f64_e32 v[140:141], v[108:109], v[114:115]
	s_wait_loadcnt 0x0
	s_delay_alu instid0(VALU_DEP_1) | instskip(SKIP_1) | instid1(VALU_DEP_1)
	v_fmac_f64_e32 v[140:141], v[126:127], v[116:117]
	s_wait_dscnt 0x0
	v_fmac_f64_e32 v[140:141], v[128:129], v[106:107]
	s_delay_alu instid0(VALU_DEP_1)
	v_add_f64_e64 v[104:105], v[104:105], -v[140:141]
	scratch_store_b64 off, v[104:105], off offset:64
	s_wait_xcnt 0x0
	v_cmpx_lt_u32_e32 7, v0
	s_cbranch_execz .LBB113_295
; %bb.294:
	scratch_load_b64 v[104:105], off, off offset:56
	v_mov_b64_e32 v[106:107], 0
	scratch_store_b64 off, v[106:107], off offset:56
	s_wait_loadcnt 0x0
	ds_store_b64 v1, v[104:105]
.LBB113_295:
	s_wait_xcnt 0x0
	s_or_b32 exec_lo, exec_lo, s0
	s_wait_storecnt_dscnt 0x0
	s_barrier_signal -1
	s_barrier_wait -1
	s_clause 0x5
	scratch_load_b128 v[104:107], off, off offset:56
	scratch_load_b128 v[108:111], off, off offset:72
	;; [unrolled: 1-line block ×6, first 2 shown]
	ds_load_b128 v[128:131], v2 offset:464
	ds_load_b128 v[132:135], v2 offset:480
	scratch_load_b128 v[136:139], off, off offset:152
	s_mov_b32 s0, exec_lo
	s_wait_loadcnt_dscnt 0x601
	v_fma_f64 v[140:141], v[106:107], v[128:129], 0
	s_wait_loadcnt 0x5
	s_delay_alu instid0(VALU_DEP_1) | instskip(SKIP_4) | instid1(VALU_DEP_1)
	v_fmac_f64_e32 v[140:141], v[108:109], v[130:131]
	scratch_load_b128 v[106:109], off, off offset:168
	s_wait_dscnt 0x0
	v_fmac_f64_e32 v[140:141], v[110:111], v[132:133]
	s_wait_loadcnt 0x5
	v_fmac_f64_e32 v[140:141], v[112:113], v[134:135]
	ds_load_b128 v[110:113], v2 offset:496
	ds_load_b128 v[128:131], v2 offset:512
	scratch_load_b128 v[132:135], off, off offset:184
	s_wait_dscnt 0x1
	v_fmac_f64_e32 v[140:141], v[114:115], v[110:111]
	s_wait_loadcnt 0x5
	s_delay_alu instid0(VALU_DEP_1) | instskip(SKIP_4) | instid1(VALU_DEP_1)
	v_fmac_f64_e32 v[140:141], v[116:117], v[112:113]
	scratch_load_b128 v[110:113], off, off offset:200
	s_wait_dscnt 0x0
	v_fmac_f64_e32 v[140:141], v[118:119], v[128:129]
	s_wait_loadcnt 0x5
	v_fmac_f64_e32 v[140:141], v[120:121], v[130:131]
	ds_load_b128 v[114:117], v2 offset:528
	ds_load_b128 v[118:121], v2 offset:544
	scratch_load_b128 v[128:131], off, off offset:216
	s_wait_dscnt 0x1
	v_fmac_f64_e32 v[140:141], v[122:123], v[114:115]
	s_wait_loadcnt 0x5
	s_delay_alu instid0(VALU_DEP_1) | instskip(SKIP_4) | instid1(VALU_DEP_1)
	v_fmac_f64_e32 v[140:141], v[124:125], v[116:117]
	scratch_load_b128 v[114:117], off, off offset:232
	s_wait_dscnt 0x0
	v_fmac_f64_e32 v[140:141], v[126:127], v[118:119]
	s_wait_loadcnt 0x5
	v_fmac_f64_e32 v[140:141], v[136:137], v[120:121]
	ds_load_b128 v[118:121], v2 offset:560
	ds_load_b128 v[122:125], v2 offset:576
	s_wait_dscnt 0x1
	v_fmac_f64_e32 v[140:141], v[138:139], v[118:119]
	scratch_load_b128 v[136:139], off, off offset:248
	s_wait_loadcnt 0x5
	v_fmac_f64_e32 v[140:141], v[106:107], v[120:121]
	s_wait_dscnt 0x0
	s_delay_alu instid0(VALU_DEP_1)
	v_fmac_f64_e32 v[140:141], v[108:109], v[122:123]
	scratch_load_b128 v[106:109], off, off offset:264
	s_wait_loadcnt 0x5
	v_fmac_f64_e32 v[140:141], v[132:133], v[124:125]
	ds_load_b128 v[118:121], v2 offset:592
	ds_load_b128 v[122:125], v2 offset:608
	s_wait_dscnt 0x1
	v_fmac_f64_e32 v[140:141], v[134:135], v[118:119]
	scratch_load_b128 v[132:135], off, off offset:280
	s_wait_loadcnt 0x5
	v_fmac_f64_e32 v[140:141], v[110:111], v[120:121]
	s_wait_dscnt 0x0
	s_delay_alu instid0(VALU_DEP_1)
	v_fmac_f64_e32 v[140:141], v[112:113], v[122:123]
	scratch_load_b128 v[110:113], off, off offset:296
	s_wait_loadcnt 0x5
	v_fmac_f64_e32 v[140:141], v[128:129], v[124:125]
	ds_load_b128 v[118:121], v2 offset:624
	ds_load_b128 v[122:125], v2 offset:640
	scratch_load_b128 v[126:129], off, off offset:312
	s_wait_dscnt 0x1
	v_fmac_f64_e32 v[140:141], v[130:131], v[118:119]
	s_wait_loadcnt 0x5
	s_delay_alu instid0(VALU_DEP_1) | instskip(SKIP_1) | instid1(VALU_DEP_1)
	v_fmac_f64_e32 v[140:141], v[114:115], v[120:121]
	s_wait_dscnt 0x0
	v_fmac_f64_e32 v[140:141], v[116:117], v[122:123]
	scratch_load_b128 v[114:117], off, off offset:328
	s_wait_loadcnt 0x5
	v_fmac_f64_e32 v[140:141], v[136:137], v[124:125]
	ds_load_b128 v[118:121], v2 offset:656
	ds_load_b128 v[122:125], v2 offset:672
	s_wait_dscnt 0x1
	v_fmac_f64_e32 v[140:141], v[138:139], v[118:119]
	s_wait_loadcnt 0x4
	s_delay_alu instid0(VALU_DEP_1)
	v_fmac_f64_e32 v[140:141], v[106:107], v[120:121]
	scratch_load_b128 v[118:121], off, off offset:344
	s_wait_dscnt 0x0
	v_fmac_f64_e32 v[140:141], v[108:109], v[122:123]
	scratch_load_b128 v[106:109], off, off offset:360
	s_wait_loadcnt 0x5
	v_fmac_f64_e32 v[140:141], v[132:133], v[124:125]
	ds_load_b128 v[122:125], v2 offset:688
	ds_load_b128 v[130:133], v2 offset:704
	s_wait_dscnt 0x1
	v_fmac_f64_e32 v[140:141], v[134:135], v[122:123]
	s_wait_loadcnt 0x4
	s_delay_alu instid0(VALU_DEP_1) | instskip(SKIP_4) | instid1(VALU_DEP_1)
	v_fmac_f64_e32 v[140:141], v[110:111], v[124:125]
	scratch_load_b128 v[122:125], off, off offset:376
	s_wait_dscnt 0x0
	v_fmac_f64_e32 v[140:141], v[112:113], v[130:131]
	s_wait_loadcnt 0x4
	v_fmac_f64_e32 v[140:141], v[126:127], v[132:133]
	scratch_load_b64 v[126:127], off, off offset:392
	ds_load_b128 v[110:113], v2 offset:720
	ds_load_b128 v[130:133], v2 offset:736
	s_wait_dscnt 0x1
	v_fmac_f64_e32 v[140:141], v[128:129], v[110:111]
	s_wait_loadcnt 0x4
	s_delay_alu instid0(VALU_DEP_1) | instskip(SKIP_1) | instid1(VALU_DEP_1)
	v_fmac_f64_e32 v[140:141], v[114:115], v[112:113]
	s_wait_dscnt 0x0
	v_fmac_f64_e32 v[140:141], v[116:117], v[130:131]
	ds_load_b128 v[110:113], v2 offset:752
	ds_load_b128 v[114:117], v2 offset:768
	s_wait_loadcnt 0x3
	v_fmac_f64_e32 v[140:141], v[118:119], v[132:133]
	s_wait_dscnt 0x1
	s_delay_alu instid0(VALU_DEP_1) | instskip(SKIP_1) | instid1(VALU_DEP_1)
	v_fmac_f64_e32 v[140:141], v[120:121], v[110:111]
	s_wait_loadcnt 0x2
	v_fmac_f64_e32 v[140:141], v[106:107], v[112:113]
	s_wait_dscnt 0x0
	s_delay_alu instid0(VALU_DEP_1) | instskip(SKIP_4) | instid1(VALU_DEP_1)
	v_fmac_f64_e32 v[140:141], v[108:109], v[114:115]
	ds_load_b128 v[106:109], v2 offset:784
	s_wait_loadcnt 0x1
	v_fmac_f64_e32 v[140:141], v[122:123], v[116:117]
	s_wait_dscnt 0x0
	v_fmac_f64_e32 v[140:141], v[124:125], v[106:107]
	s_wait_loadcnt 0x0
	s_delay_alu instid0(VALU_DEP_1) | instskip(NEXT) | instid1(VALU_DEP_1)
	v_fmac_f64_e32 v[140:141], v[126:127], v[108:109]
	v_add_f64_e64 v[2:3], v[104:105], -v[140:141]
	scratch_store_b64 off, v[2:3], off offset:56
	s_wait_xcnt 0x0
	v_cmpx_lt_u32_e32 6, v0
	s_cbranch_execz .LBB113_297
; %bb.296:
	scratch_load_b64 v[2:3], off, off offset:48
	v_mov_b64_e32 v[104:105], 0
	scratch_store_b64 off, v[104:105], off offset:48
	s_wait_loadcnt 0x0
	ds_store_b64 v1, v[2:3]
.LBB113_297:
	s_wait_xcnt 0x0
	s_or_b32 exec_lo, exec_lo, s0
	s_wait_storecnt_dscnt 0x0
	s_barrier_signal -1
	s_barrier_wait -1
	s_clause 0x5
	scratch_load_b128 v[104:107], off, off offset:48
	scratch_load_b128 v[108:111], off, off offset:64
	scratch_load_b128 v[112:115], off, off offset:80
	scratch_load_b128 v[116:119], off, off offset:96
	scratch_load_b128 v[120:123], off, off offset:112
	scratch_load_b128 v[124:127], off, off offset:128
	v_mov_b32_e32 v2, 0
	ds_load_2addr_b64 v[128:131], v2 offset0:57 offset1:58
	ds_load_2addr_b64 v[132:135], v2 offset0:59 offset1:60
	scratch_load_b128 v[136:139], off, off offset:144
	s_mov_b32 s0, exec_lo
	s_wait_loadcnt_dscnt 0x601
	v_fma_f64 v[140:141], v[106:107], v[128:129], 0
	s_wait_loadcnt 0x5
	s_delay_alu instid0(VALU_DEP_1) | instskip(SKIP_4) | instid1(VALU_DEP_1)
	v_fmac_f64_e32 v[140:141], v[108:109], v[130:131]
	scratch_load_b128 v[106:109], off, off offset:160
	s_wait_dscnt 0x0
	v_fmac_f64_e32 v[140:141], v[110:111], v[132:133]
	s_wait_loadcnt 0x5
	v_fmac_f64_e32 v[140:141], v[112:113], v[134:135]
	ds_load_2addr_b64 v[110:113], v2 offset0:61 offset1:62
	ds_load_2addr_b64 v[128:131], v2 offset0:63 offset1:64
	scratch_load_b128 v[132:135], off, off offset:176
	s_wait_dscnt 0x1
	v_fmac_f64_e32 v[140:141], v[114:115], v[110:111]
	s_wait_loadcnt 0x5
	s_delay_alu instid0(VALU_DEP_1) | instskip(SKIP_4) | instid1(VALU_DEP_1)
	v_fmac_f64_e32 v[140:141], v[116:117], v[112:113]
	scratch_load_b128 v[110:113], off, off offset:192
	s_wait_dscnt 0x0
	v_fmac_f64_e32 v[140:141], v[118:119], v[128:129]
	s_wait_loadcnt 0x5
	v_fmac_f64_e32 v[140:141], v[120:121], v[130:131]
	ds_load_2addr_b64 v[114:117], v2 offset0:65 offset1:66
	ds_load_2addr_b64 v[118:121], v2 offset0:67 offset1:68
	scratch_load_b128 v[128:131], off, off offset:208
	s_wait_dscnt 0x1
	v_fmac_f64_e32 v[140:141], v[122:123], v[114:115]
	s_wait_loadcnt 0x5
	s_delay_alu instid0(VALU_DEP_1) | instskip(SKIP_4) | instid1(VALU_DEP_1)
	v_fmac_f64_e32 v[140:141], v[124:125], v[116:117]
	scratch_load_b128 v[114:117], off, off offset:224
	s_wait_dscnt 0x0
	v_fmac_f64_e32 v[140:141], v[126:127], v[118:119]
	s_wait_loadcnt 0x5
	v_fmac_f64_e32 v[140:141], v[136:137], v[120:121]
	ds_load_2addr_b64 v[118:121], v2 offset0:69 offset1:70
	ds_load_2addr_b64 v[122:125], v2 offset0:71 offset1:72
	s_wait_dscnt 0x1
	v_fmac_f64_e32 v[140:141], v[138:139], v[118:119]
	scratch_load_b128 v[136:139], off, off offset:240
	s_wait_loadcnt 0x5
	v_fmac_f64_e32 v[140:141], v[106:107], v[120:121]
	s_wait_dscnt 0x0
	s_delay_alu instid0(VALU_DEP_1)
	v_fmac_f64_e32 v[140:141], v[108:109], v[122:123]
	scratch_load_b128 v[106:109], off, off offset:256
	s_wait_loadcnt 0x5
	v_fmac_f64_e32 v[140:141], v[132:133], v[124:125]
	ds_load_2addr_b64 v[118:121], v2 offset0:73 offset1:74
	ds_load_2addr_b64 v[122:125], v2 offset0:75 offset1:76
	s_wait_dscnt 0x1
	v_fmac_f64_e32 v[140:141], v[134:135], v[118:119]
	scratch_load_b128 v[132:135], off, off offset:272
	s_wait_loadcnt 0x5
	v_fmac_f64_e32 v[140:141], v[110:111], v[120:121]
	s_wait_dscnt 0x0
	s_delay_alu instid0(VALU_DEP_1)
	v_fmac_f64_e32 v[140:141], v[112:113], v[122:123]
	scratch_load_b128 v[110:113], off, off offset:288
	s_wait_loadcnt 0x5
	v_fmac_f64_e32 v[140:141], v[128:129], v[124:125]
	ds_load_2addr_b64 v[118:121], v2 offset0:77 offset1:78
	ds_load_2addr_b64 v[122:125], v2 offset0:79 offset1:80
	scratch_load_b128 v[126:129], off, off offset:304
	s_wait_dscnt 0x1
	v_fmac_f64_e32 v[140:141], v[130:131], v[118:119]
	s_wait_loadcnt 0x5
	s_delay_alu instid0(VALU_DEP_1) | instskip(SKIP_1) | instid1(VALU_DEP_1)
	v_fmac_f64_e32 v[140:141], v[114:115], v[120:121]
	s_wait_dscnt 0x0
	v_fmac_f64_e32 v[140:141], v[116:117], v[122:123]
	scratch_load_b128 v[114:117], off, off offset:320
	s_wait_loadcnt 0x5
	v_fmac_f64_e32 v[140:141], v[136:137], v[124:125]
	ds_load_2addr_b64 v[118:121], v2 offset0:81 offset1:82
	ds_load_2addr_b64 v[122:125], v2 offset0:83 offset1:84
	s_wait_dscnt 0x1
	v_fmac_f64_e32 v[140:141], v[138:139], v[118:119]
	s_wait_loadcnt 0x4
	s_delay_alu instid0(VALU_DEP_1)
	v_fmac_f64_e32 v[140:141], v[106:107], v[120:121]
	scratch_load_b128 v[118:121], off, off offset:336
	s_wait_dscnt 0x0
	v_fmac_f64_e32 v[140:141], v[108:109], v[122:123]
	scratch_load_b128 v[106:109], off, off offset:352
	s_wait_loadcnt 0x5
	v_fmac_f64_e32 v[140:141], v[132:133], v[124:125]
	ds_load_2addr_b64 v[122:125], v2 offset0:85 offset1:86
	ds_load_2addr_b64 v[130:133], v2 offset0:87 offset1:88
	s_wait_dscnt 0x1
	v_fmac_f64_e32 v[140:141], v[134:135], v[122:123]
	s_wait_loadcnt 0x4
	s_delay_alu instid0(VALU_DEP_1)
	v_fmac_f64_e32 v[140:141], v[110:111], v[124:125]
	scratch_load_b128 v[122:125], off, off offset:368
	s_wait_dscnt 0x0
	v_fmac_f64_e32 v[140:141], v[112:113], v[130:131]
	scratch_load_b128 v[110:113], off, off offset:384
	s_wait_loadcnt 0x5
	v_fmac_f64_e32 v[140:141], v[126:127], v[132:133]
	ds_load_2addr_b64 v[130:133], v2 offset0:89 offset1:90
	ds_load_2addr_b64 v[134:137], v2 offset0:91 offset1:92
	s_wait_dscnt 0x1
	v_fmac_f64_e32 v[140:141], v[128:129], v[130:131]
	s_wait_loadcnt 0x4
	s_delay_alu instid0(VALU_DEP_1) | instskip(SKIP_1) | instid1(VALU_DEP_1)
	v_fmac_f64_e32 v[140:141], v[114:115], v[132:133]
	s_wait_dscnt 0x0
	v_fmac_f64_e32 v[140:141], v[116:117], v[134:135]
	ds_load_2addr_b64 v[114:117], v2 offset0:93 offset1:94
	ds_load_2addr_b64 v[126:129], v2 offset0:95 offset1:96
	s_wait_loadcnt 0x3
	v_fmac_f64_e32 v[140:141], v[118:119], v[136:137]
	s_wait_dscnt 0x1
	s_delay_alu instid0(VALU_DEP_1) | instskip(SKIP_1) | instid1(VALU_DEP_1)
	v_fmac_f64_e32 v[140:141], v[120:121], v[114:115]
	s_wait_loadcnt 0x2
	v_fmac_f64_e32 v[140:141], v[106:107], v[116:117]
	s_wait_dscnt 0x0
	s_delay_alu instid0(VALU_DEP_1)
	v_fmac_f64_e32 v[140:141], v[108:109], v[126:127]
	ds_load_2addr_b64 v[106:109], v2 offset0:97 offset1:98
	ds_load_b64 v[114:115], v2 offset:792
	s_wait_loadcnt 0x1
	v_fmac_f64_e32 v[140:141], v[122:123], v[128:129]
	s_wait_dscnt 0x1
	s_delay_alu instid0(VALU_DEP_1) | instskip(SKIP_1) | instid1(VALU_DEP_1)
	v_fmac_f64_e32 v[140:141], v[124:125], v[106:107]
	s_wait_loadcnt 0x0
	v_fmac_f64_e32 v[140:141], v[110:111], v[108:109]
	s_wait_dscnt 0x0
	s_delay_alu instid0(VALU_DEP_1) | instskip(NEXT) | instid1(VALU_DEP_1)
	v_fmac_f64_e32 v[140:141], v[112:113], v[114:115]
	v_add_f64_e64 v[104:105], v[104:105], -v[140:141]
	scratch_store_b64 off, v[104:105], off offset:48
	s_wait_xcnt 0x0
	v_cmpx_lt_u32_e32 5, v0
	s_cbranch_execz .LBB113_299
; %bb.298:
	scratch_load_b64 v[104:105], off, off offset:40
	v_mov_b64_e32 v[106:107], 0
	scratch_store_b64 off, v[106:107], off offset:40
	s_wait_loadcnt 0x0
	ds_store_b64 v1, v[104:105]
.LBB113_299:
	s_wait_xcnt 0x0
	s_or_b32 exec_lo, exec_lo, s0
	s_wait_storecnt_dscnt 0x0
	s_barrier_signal -1
	s_barrier_wait -1
	s_clause 0x5
	scratch_load_b128 v[104:107], off, off offset:40
	scratch_load_b128 v[108:111], off, off offset:56
	;; [unrolled: 1-line block ×6, first 2 shown]
	ds_load_b128 v[128:131], v2 offset:448
	ds_load_b128 v[132:135], v2 offset:464
	scratch_load_b128 v[136:139], off, off offset:136
	s_mov_b32 s0, exec_lo
	s_wait_loadcnt_dscnt 0x601
	v_fma_f64 v[140:141], v[106:107], v[128:129], 0
	s_wait_loadcnt 0x5
	s_delay_alu instid0(VALU_DEP_1) | instskip(SKIP_4) | instid1(VALU_DEP_1)
	v_fmac_f64_e32 v[140:141], v[108:109], v[130:131]
	scratch_load_b128 v[106:109], off, off offset:152
	s_wait_dscnt 0x0
	v_fmac_f64_e32 v[140:141], v[110:111], v[132:133]
	s_wait_loadcnt 0x5
	v_fmac_f64_e32 v[140:141], v[112:113], v[134:135]
	ds_load_b128 v[110:113], v2 offset:480
	ds_load_b128 v[128:131], v2 offset:496
	scratch_load_b128 v[132:135], off, off offset:168
	s_wait_dscnt 0x1
	v_fmac_f64_e32 v[140:141], v[114:115], v[110:111]
	s_wait_loadcnt 0x5
	s_delay_alu instid0(VALU_DEP_1) | instskip(SKIP_4) | instid1(VALU_DEP_1)
	v_fmac_f64_e32 v[140:141], v[116:117], v[112:113]
	scratch_load_b128 v[110:113], off, off offset:184
	s_wait_dscnt 0x0
	v_fmac_f64_e32 v[140:141], v[118:119], v[128:129]
	s_wait_loadcnt 0x5
	v_fmac_f64_e32 v[140:141], v[120:121], v[130:131]
	ds_load_b128 v[114:117], v2 offset:512
	ds_load_b128 v[118:121], v2 offset:528
	scratch_load_b128 v[128:131], off, off offset:200
	s_wait_dscnt 0x1
	v_fmac_f64_e32 v[140:141], v[122:123], v[114:115]
	s_wait_loadcnt 0x5
	s_delay_alu instid0(VALU_DEP_1) | instskip(SKIP_4) | instid1(VALU_DEP_1)
	v_fmac_f64_e32 v[140:141], v[124:125], v[116:117]
	scratch_load_b128 v[114:117], off, off offset:216
	s_wait_dscnt 0x0
	v_fmac_f64_e32 v[140:141], v[126:127], v[118:119]
	s_wait_loadcnt 0x5
	v_fmac_f64_e32 v[140:141], v[136:137], v[120:121]
	ds_load_b128 v[118:121], v2 offset:544
	ds_load_b128 v[122:125], v2 offset:560
	s_wait_dscnt 0x1
	v_fmac_f64_e32 v[140:141], v[138:139], v[118:119]
	scratch_load_b128 v[136:139], off, off offset:232
	s_wait_loadcnt 0x5
	v_fmac_f64_e32 v[140:141], v[106:107], v[120:121]
	s_wait_dscnt 0x0
	s_delay_alu instid0(VALU_DEP_1)
	v_fmac_f64_e32 v[140:141], v[108:109], v[122:123]
	scratch_load_b128 v[106:109], off, off offset:248
	s_wait_loadcnt 0x5
	v_fmac_f64_e32 v[140:141], v[132:133], v[124:125]
	ds_load_b128 v[118:121], v2 offset:576
	ds_load_b128 v[122:125], v2 offset:592
	s_wait_dscnt 0x1
	v_fmac_f64_e32 v[140:141], v[134:135], v[118:119]
	scratch_load_b128 v[132:135], off, off offset:264
	s_wait_loadcnt 0x5
	v_fmac_f64_e32 v[140:141], v[110:111], v[120:121]
	s_wait_dscnt 0x0
	s_delay_alu instid0(VALU_DEP_1)
	v_fmac_f64_e32 v[140:141], v[112:113], v[122:123]
	scratch_load_b128 v[110:113], off, off offset:280
	s_wait_loadcnt 0x5
	v_fmac_f64_e32 v[140:141], v[128:129], v[124:125]
	ds_load_b128 v[118:121], v2 offset:608
	ds_load_b128 v[122:125], v2 offset:624
	scratch_load_b128 v[126:129], off, off offset:296
	s_wait_dscnt 0x1
	v_fmac_f64_e32 v[140:141], v[130:131], v[118:119]
	s_wait_loadcnt 0x5
	s_delay_alu instid0(VALU_DEP_1) | instskip(SKIP_1) | instid1(VALU_DEP_1)
	v_fmac_f64_e32 v[140:141], v[114:115], v[120:121]
	s_wait_dscnt 0x0
	v_fmac_f64_e32 v[140:141], v[116:117], v[122:123]
	scratch_load_b128 v[114:117], off, off offset:312
	s_wait_loadcnt 0x5
	v_fmac_f64_e32 v[140:141], v[136:137], v[124:125]
	ds_load_b128 v[118:121], v2 offset:640
	ds_load_b128 v[122:125], v2 offset:656
	s_wait_dscnt 0x1
	v_fmac_f64_e32 v[140:141], v[138:139], v[118:119]
	s_wait_loadcnt 0x4
	s_delay_alu instid0(VALU_DEP_1)
	v_fmac_f64_e32 v[140:141], v[106:107], v[120:121]
	scratch_load_b128 v[118:121], off, off offset:328
	s_wait_dscnt 0x0
	v_fmac_f64_e32 v[140:141], v[108:109], v[122:123]
	scratch_load_b128 v[106:109], off, off offset:344
	s_wait_loadcnt 0x5
	v_fmac_f64_e32 v[140:141], v[132:133], v[124:125]
	ds_load_b128 v[122:125], v2 offset:672
	ds_load_b128 v[130:133], v2 offset:688
	s_wait_dscnt 0x1
	v_fmac_f64_e32 v[140:141], v[134:135], v[122:123]
	s_wait_loadcnt 0x4
	s_delay_alu instid0(VALU_DEP_1)
	v_fmac_f64_e32 v[140:141], v[110:111], v[124:125]
	scratch_load_b128 v[122:125], off, off offset:360
	s_wait_dscnt 0x0
	v_fmac_f64_e32 v[140:141], v[112:113], v[130:131]
	scratch_load_b128 v[110:113], off, off offset:376
	s_wait_loadcnt 0x5
	v_fmac_f64_e32 v[140:141], v[126:127], v[132:133]
	ds_load_b128 v[130:133], v2 offset:704
	ds_load_b128 v[134:137], v2 offset:720
	s_wait_dscnt 0x1
	v_fmac_f64_e32 v[140:141], v[128:129], v[130:131]
	scratch_load_b64 v[130:131], off, off offset:392
	s_wait_loadcnt 0x5
	v_fmac_f64_e32 v[140:141], v[114:115], v[132:133]
	s_wait_dscnt 0x0
	s_delay_alu instid0(VALU_DEP_1)
	v_fmac_f64_e32 v[140:141], v[116:117], v[134:135]
	ds_load_b128 v[114:117], v2 offset:736
	ds_load_b128 v[126:129], v2 offset:752
	s_wait_loadcnt 0x4
	v_fmac_f64_e32 v[140:141], v[118:119], v[136:137]
	s_wait_dscnt 0x1
	s_delay_alu instid0(VALU_DEP_1) | instskip(SKIP_1) | instid1(VALU_DEP_1)
	v_fmac_f64_e32 v[140:141], v[120:121], v[114:115]
	s_wait_loadcnt 0x3
	v_fmac_f64_e32 v[140:141], v[106:107], v[116:117]
	s_wait_dscnt 0x0
	s_delay_alu instid0(VALU_DEP_1)
	v_fmac_f64_e32 v[140:141], v[108:109], v[126:127]
	ds_load_b128 v[106:109], v2 offset:768
	ds_load_b128 v[114:117], v2 offset:784
	s_wait_loadcnt 0x2
	v_fmac_f64_e32 v[140:141], v[122:123], v[128:129]
	s_wait_dscnt 0x1
	s_delay_alu instid0(VALU_DEP_1) | instskip(SKIP_1) | instid1(VALU_DEP_1)
	v_fmac_f64_e32 v[140:141], v[124:125], v[106:107]
	s_wait_loadcnt 0x1
	v_fmac_f64_e32 v[140:141], v[110:111], v[108:109]
	s_wait_dscnt 0x0
	s_delay_alu instid0(VALU_DEP_1) | instskip(SKIP_1) | instid1(VALU_DEP_1)
	v_fmac_f64_e32 v[140:141], v[112:113], v[114:115]
	s_wait_loadcnt 0x0
	v_fmac_f64_e32 v[140:141], v[130:131], v[116:117]
	s_delay_alu instid0(VALU_DEP_1)
	v_add_f64_e64 v[2:3], v[104:105], -v[140:141]
	scratch_store_b64 off, v[2:3], off offset:40
	s_wait_xcnt 0x0
	v_cmpx_lt_u32_e32 4, v0
	s_cbranch_execz .LBB113_301
; %bb.300:
	scratch_load_b64 v[2:3], off, off offset:32
	v_mov_b64_e32 v[104:105], 0
	scratch_store_b64 off, v[104:105], off offset:32
	s_wait_loadcnt 0x0
	ds_store_b64 v1, v[2:3]
.LBB113_301:
	s_wait_xcnt 0x0
	s_or_b32 exec_lo, exec_lo, s0
	s_wait_storecnt_dscnt 0x0
	s_barrier_signal -1
	s_barrier_wait -1
	s_clause 0x5
	scratch_load_b128 v[104:107], off, off offset:32
	scratch_load_b128 v[108:111], off, off offset:48
	;; [unrolled: 1-line block ×6, first 2 shown]
	v_mov_b32_e32 v2, 0
	ds_load_2addr_b64 v[128:131], v2 offset0:55 offset1:56
	ds_load_2addr_b64 v[132:135], v2 offset0:57 offset1:58
	scratch_load_b128 v[136:139], off, off offset:128
	s_mov_b32 s0, exec_lo
	s_wait_loadcnt_dscnt 0x601
	v_fma_f64 v[140:141], v[106:107], v[128:129], 0
	s_wait_loadcnt 0x5
	s_delay_alu instid0(VALU_DEP_1) | instskip(SKIP_4) | instid1(VALU_DEP_1)
	v_fmac_f64_e32 v[140:141], v[108:109], v[130:131]
	scratch_load_b128 v[106:109], off, off offset:144
	s_wait_dscnt 0x0
	v_fmac_f64_e32 v[140:141], v[110:111], v[132:133]
	s_wait_loadcnt 0x5
	v_fmac_f64_e32 v[140:141], v[112:113], v[134:135]
	ds_load_2addr_b64 v[110:113], v2 offset0:59 offset1:60
	ds_load_2addr_b64 v[128:131], v2 offset0:61 offset1:62
	scratch_load_b128 v[132:135], off, off offset:160
	s_wait_dscnt 0x1
	v_fmac_f64_e32 v[140:141], v[114:115], v[110:111]
	s_wait_loadcnt 0x5
	s_delay_alu instid0(VALU_DEP_1) | instskip(SKIP_4) | instid1(VALU_DEP_1)
	v_fmac_f64_e32 v[140:141], v[116:117], v[112:113]
	scratch_load_b128 v[110:113], off, off offset:176
	s_wait_dscnt 0x0
	v_fmac_f64_e32 v[140:141], v[118:119], v[128:129]
	s_wait_loadcnt 0x5
	v_fmac_f64_e32 v[140:141], v[120:121], v[130:131]
	ds_load_2addr_b64 v[114:117], v2 offset0:63 offset1:64
	ds_load_2addr_b64 v[118:121], v2 offset0:65 offset1:66
	scratch_load_b128 v[128:131], off, off offset:192
	s_wait_dscnt 0x1
	v_fmac_f64_e32 v[140:141], v[122:123], v[114:115]
	s_wait_loadcnt 0x5
	s_delay_alu instid0(VALU_DEP_1) | instskip(SKIP_4) | instid1(VALU_DEP_1)
	v_fmac_f64_e32 v[140:141], v[124:125], v[116:117]
	scratch_load_b128 v[114:117], off, off offset:208
	s_wait_dscnt 0x0
	v_fmac_f64_e32 v[140:141], v[126:127], v[118:119]
	s_wait_loadcnt 0x5
	v_fmac_f64_e32 v[140:141], v[136:137], v[120:121]
	ds_load_2addr_b64 v[118:121], v2 offset0:67 offset1:68
	ds_load_2addr_b64 v[122:125], v2 offset0:69 offset1:70
	s_wait_dscnt 0x1
	v_fmac_f64_e32 v[140:141], v[138:139], v[118:119]
	scratch_load_b128 v[136:139], off, off offset:224
	s_wait_loadcnt 0x5
	v_fmac_f64_e32 v[140:141], v[106:107], v[120:121]
	s_wait_dscnt 0x0
	s_delay_alu instid0(VALU_DEP_1)
	v_fmac_f64_e32 v[140:141], v[108:109], v[122:123]
	scratch_load_b128 v[106:109], off, off offset:240
	s_wait_loadcnt 0x5
	v_fmac_f64_e32 v[140:141], v[132:133], v[124:125]
	ds_load_2addr_b64 v[118:121], v2 offset0:71 offset1:72
	ds_load_2addr_b64 v[122:125], v2 offset0:73 offset1:74
	s_wait_dscnt 0x1
	v_fmac_f64_e32 v[140:141], v[134:135], v[118:119]
	scratch_load_b128 v[132:135], off, off offset:256
	s_wait_loadcnt 0x5
	v_fmac_f64_e32 v[140:141], v[110:111], v[120:121]
	s_wait_dscnt 0x0
	s_delay_alu instid0(VALU_DEP_1)
	v_fmac_f64_e32 v[140:141], v[112:113], v[122:123]
	scratch_load_b128 v[110:113], off, off offset:272
	s_wait_loadcnt 0x5
	v_fmac_f64_e32 v[140:141], v[128:129], v[124:125]
	ds_load_2addr_b64 v[118:121], v2 offset0:75 offset1:76
	ds_load_2addr_b64 v[122:125], v2 offset0:77 offset1:78
	scratch_load_b128 v[126:129], off, off offset:288
	s_wait_dscnt 0x1
	v_fmac_f64_e32 v[140:141], v[130:131], v[118:119]
	s_wait_loadcnt 0x5
	s_delay_alu instid0(VALU_DEP_1) | instskip(SKIP_1) | instid1(VALU_DEP_1)
	v_fmac_f64_e32 v[140:141], v[114:115], v[120:121]
	s_wait_dscnt 0x0
	v_fmac_f64_e32 v[140:141], v[116:117], v[122:123]
	scratch_load_b128 v[114:117], off, off offset:304
	s_wait_loadcnt 0x5
	v_fmac_f64_e32 v[140:141], v[136:137], v[124:125]
	ds_load_2addr_b64 v[118:121], v2 offset0:79 offset1:80
	ds_load_2addr_b64 v[122:125], v2 offset0:81 offset1:82
	s_wait_dscnt 0x1
	v_fmac_f64_e32 v[140:141], v[138:139], v[118:119]
	s_wait_loadcnt 0x4
	s_delay_alu instid0(VALU_DEP_1)
	v_fmac_f64_e32 v[140:141], v[106:107], v[120:121]
	scratch_load_b128 v[118:121], off, off offset:320
	s_wait_dscnt 0x0
	v_fmac_f64_e32 v[140:141], v[108:109], v[122:123]
	scratch_load_b128 v[106:109], off, off offset:336
	s_wait_loadcnt 0x5
	v_fmac_f64_e32 v[140:141], v[132:133], v[124:125]
	ds_load_2addr_b64 v[122:125], v2 offset0:83 offset1:84
	ds_load_2addr_b64 v[130:133], v2 offset0:85 offset1:86
	s_wait_dscnt 0x1
	v_fmac_f64_e32 v[140:141], v[134:135], v[122:123]
	s_wait_loadcnt 0x4
	s_delay_alu instid0(VALU_DEP_1)
	v_fmac_f64_e32 v[140:141], v[110:111], v[124:125]
	scratch_load_b128 v[122:125], off, off offset:352
	s_wait_dscnt 0x0
	v_fmac_f64_e32 v[140:141], v[112:113], v[130:131]
	scratch_load_b128 v[110:113], off, off offset:368
	s_wait_loadcnt 0x5
	v_fmac_f64_e32 v[140:141], v[126:127], v[132:133]
	ds_load_2addr_b64 v[130:133], v2 offset0:87 offset1:88
	ds_load_2addr_b64 v[134:137], v2 offset0:89 offset1:90
	s_wait_dscnt 0x1
	v_fmac_f64_e32 v[140:141], v[128:129], v[130:131]
	scratch_load_b128 v[126:129], off, off offset:384
	s_wait_loadcnt 0x5
	v_fmac_f64_e32 v[140:141], v[114:115], v[132:133]
	s_wait_dscnt 0x0
	s_delay_alu instid0(VALU_DEP_1)
	v_fmac_f64_e32 v[140:141], v[116:117], v[134:135]
	ds_load_2addr_b64 v[114:117], v2 offset0:91 offset1:92
	ds_load_2addr_b64 v[130:133], v2 offset0:93 offset1:94
	s_wait_loadcnt 0x4
	v_fmac_f64_e32 v[140:141], v[118:119], v[136:137]
	s_wait_dscnt 0x1
	s_delay_alu instid0(VALU_DEP_1) | instskip(SKIP_1) | instid1(VALU_DEP_1)
	v_fmac_f64_e32 v[140:141], v[120:121], v[114:115]
	s_wait_loadcnt 0x3
	v_fmac_f64_e32 v[140:141], v[106:107], v[116:117]
	s_wait_dscnt 0x0
	s_delay_alu instid0(VALU_DEP_1)
	v_fmac_f64_e32 v[140:141], v[108:109], v[130:131]
	ds_load_2addr_b64 v[106:109], v2 offset0:95 offset1:96
	ds_load_2addr_b64 v[114:117], v2 offset0:97 offset1:98
	s_wait_loadcnt 0x2
	v_fmac_f64_e32 v[140:141], v[122:123], v[132:133]
	s_wait_dscnt 0x1
	s_delay_alu instid0(VALU_DEP_1) | instskip(SKIP_4) | instid1(VALU_DEP_1)
	v_fmac_f64_e32 v[140:141], v[124:125], v[106:107]
	ds_load_b64 v[106:107], v2 offset:792
	s_wait_loadcnt 0x1
	v_fmac_f64_e32 v[140:141], v[110:111], v[108:109]
	s_wait_dscnt 0x1
	v_fmac_f64_e32 v[140:141], v[112:113], v[114:115]
	s_wait_loadcnt 0x0
	s_delay_alu instid0(VALU_DEP_1) | instskip(SKIP_1) | instid1(VALU_DEP_1)
	v_fmac_f64_e32 v[140:141], v[126:127], v[116:117]
	s_wait_dscnt 0x0
	v_fmac_f64_e32 v[140:141], v[128:129], v[106:107]
	s_delay_alu instid0(VALU_DEP_1)
	v_add_f64_e64 v[104:105], v[104:105], -v[140:141]
	scratch_store_b64 off, v[104:105], off offset:32
	s_wait_xcnt 0x0
	v_cmpx_lt_u32_e32 3, v0
	s_cbranch_execz .LBB113_303
; %bb.302:
	scratch_load_b64 v[104:105], off, off offset:24
	v_mov_b64_e32 v[106:107], 0
	scratch_store_b64 off, v[106:107], off offset:24
	s_wait_loadcnt 0x0
	ds_store_b64 v1, v[104:105]
.LBB113_303:
	s_wait_xcnt 0x0
	s_or_b32 exec_lo, exec_lo, s0
	s_wait_storecnt_dscnt 0x0
	s_barrier_signal -1
	s_barrier_wait -1
	s_clause 0x5
	scratch_load_b128 v[104:107], off, off offset:24
	scratch_load_b128 v[108:111], off, off offset:40
	;; [unrolled: 1-line block ×6, first 2 shown]
	ds_load_b128 v[128:131], v2 offset:432
	ds_load_b128 v[132:135], v2 offset:448
	scratch_load_b128 v[136:139], off, off offset:120
	s_mov_b32 s0, exec_lo
	s_wait_loadcnt_dscnt 0x601
	v_fma_f64 v[140:141], v[106:107], v[128:129], 0
	s_wait_loadcnt 0x5
	s_delay_alu instid0(VALU_DEP_1) | instskip(SKIP_4) | instid1(VALU_DEP_1)
	v_fmac_f64_e32 v[140:141], v[108:109], v[130:131]
	scratch_load_b128 v[106:109], off, off offset:136
	s_wait_dscnt 0x0
	v_fmac_f64_e32 v[140:141], v[110:111], v[132:133]
	s_wait_loadcnt 0x5
	v_fmac_f64_e32 v[140:141], v[112:113], v[134:135]
	ds_load_b128 v[110:113], v2 offset:464
	ds_load_b128 v[128:131], v2 offset:480
	scratch_load_b128 v[132:135], off, off offset:152
	s_wait_dscnt 0x1
	v_fmac_f64_e32 v[140:141], v[114:115], v[110:111]
	s_wait_loadcnt 0x5
	s_delay_alu instid0(VALU_DEP_1) | instskip(SKIP_4) | instid1(VALU_DEP_1)
	v_fmac_f64_e32 v[140:141], v[116:117], v[112:113]
	scratch_load_b128 v[110:113], off, off offset:168
	s_wait_dscnt 0x0
	v_fmac_f64_e32 v[140:141], v[118:119], v[128:129]
	s_wait_loadcnt 0x5
	v_fmac_f64_e32 v[140:141], v[120:121], v[130:131]
	ds_load_b128 v[114:117], v2 offset:496
	ds_load_b128 v[118:121], v2 offset:512
	scratch_load_b128 v[128:131], off, off offset:184
	s_wait_dscnt 0x1
	v_fmac_f64_e32 v[140:141], v[122:123], v[114:115]
	s_wait_loadcnt 0x5
	s_delay_alu instid0(VALU_DEP_1) | instskip(SKIP_4) | instid1(VALU_DEP_1)
	v_fmac_f64_e32 v[140:141], v[124:125], v[116:117]
	scratch_load_b128 v[114:117], off, off offset:200
	s_wait_dscnt 0x0
	v_fmac_f64_e32 v[140:141], v[126:127], v[118:119]
	s_wait_loadcnt 0x5
	v_fmac_f64_e32 v[140:141], v[136:137], v[120:121]
	ds_load_b128 v[118:121], v2 offset:528
	ds_load_b128 v[122:125], v2 offset:544
	s_wait_dscnt 0x1
	v_fmac_f64_e32 v[140:141], v[138:139], v[118:119]
	scratch_load_b128 v[136:139], off, off offset:216
	s_wait_loadcnt 0x5
	v_fmac_f64_e32 v[140:141], v[106:107], v[120:121]
	s_wait_dscnt 0x0
	s_delay_alu instid0(VALU_DEP_1)
	v_fmac_f64_e32 v[140:141], v[108:109], v[122:123]
	scratch_load_b128 v[106:109], off, off offset:232
	s_wait_loadcnt 0x5
	v_fmac_f64_e32 v[140:141], v[132:133], v[124:125]
	ds_load_b128 v[118:121], v2 offset:560
	ds_load_b128 v[122:125], v2 offset:576
	s_wait_dscnt 0x1
	v_fmac_f64_e32 v[140:141], v[134:135], v[118:119]
	scratch_load_b128 v[132:135], off, off offset:248
	s_wait_loadcnt 0x5
	v_fmac_f64_e32 v[140:141], v[110:111], v[120:121]
	s_wait_dscnt 0x0
	s_delay_alu instid0(VALU_DEP_1)
	v_fmac_f64_e32 v[140:141], v[112:113], v[122:123]
	scratch_load_b128 v[110:113], off, off offset:264
	s_wait_loadcnt 0x5
	v_fmac_f64_e32 v[140:141], v[128:129], v[124:125]
	ds_load_b128 v[118:121], v2 offset:592
	ds_load_b128 v[122:125], v2 offset:608
	scratch_load_b128 v[126:129], off, off offset:280
	s_wait_dscnt 0x1
	v_fmac_f64_e32 v[140:141], v[130:131], v[118:119]
	s_wait_loadcnt 0x5
	s_delay_alu instid0(VALU_DEP_1) | instskip(SKIP_1) | instid1(VALU_DEP_1)
	v_fmac_f64_e32 v[140:141], v[114:115], v[120:121]
	s_wait_dscnt 0x0
	v_fmac_f64_e32 v[140:141], v[116:117], v[122:123]
	scratch_load_b128 v[114:117], off, off offset:296
	s_wait_loadcnt 0x5
	v_fmac_f64_e32 v[140:141], v[136:137], v[124:125]
	ds_load_b128 v[118:121], v2 offset:624
	ds_load_b128 v[122:125], v2 offset:640
	s_wait_dscnt 0x1
	v_fmac_f64_e32 v[140:141], v[138:139], v[118:119]
	scratch_load_b128 v[136:139], off, off offset:312
	s_wait_loadcnt 0x5
	v_fmac_f64_e32 v[140:141], v[106:107], v[120:121]
	s_wait_dscnt 0x0
	s_delay_alu instid0(VALU_DEP_1)
	v_fmac_f64_e32 v[140:141], v[108:109], v[122:123]
	scratch_load_b128 v[106:109], off, off offset:328
	s_wait_loadcnt 0x5
	v_fmac_f64_e32 v[140:141], v[132:133], v[124:125]
	ds_load_b128 v[118:121], v2 offset:656
	ds_load_b128 v[122:125], v2 offset:672
	s_wait_dscnt 0x1
	v_fmac_f64_e32 v[140:141], v[134:135], v[118:119]
	s_wait_loadcnt 0x4
	s_delay_alu instid0(VALU_DEP_1)
	v_fmac_f64_e32 v[140:141], v[110:111], v[120:121]
	scratch_load_b128 v[118:121], off, off offset:344
	s_wait_dscnt 0x0
	v_fmac_f64_e32 v[140:141], v[112:113], v[122:123]
	scratch_load_b128 v[110:113], off, off offset:360
	s_wait_loadcnt 0x5
	v_fmac_f64_e32 v[140:141], v[126:127], v[124:125]
	ds_load_b128 v[122:125], v2 offset:688
	ds_load_b128 v[130:133], v2 offset:704
	s_wait_dscnt 0x1
	v_fmac_f64_e32 v[140:141], v[128:129], v[122:123]
	s_wait_loadcnt 0x4
	s_delay_alu instid0(VALU_DEP_1)
	v_fmac_f64_e32 v[140:141], v[114:115], v[124:125]
	scratch_load_b128 v[122:125], off, off offset:376
	s_wait_dscnt 0x0
	v_fmac_f64_e32 v[140:141], v[116:117], v[130:131]
	scratch_load_b64 v[130:131], off, off offset:392
	ds_load_b128 v[114:117], v2 offset:720
	ds_load_b128 v[126:129], v2 offset:736
	s_wait_loadcnt 0x5
	v_fmac_f64_e32 v[140:141], v[136:137], v[132:133]
	s_wait_dscnt 0x1
	s_delay_alu instid0(VALU_DEP_1) | instskip(SKIP_1) | instid1(VALU_DEP_1)
	v_fmac_f64_e32 v[140:141], v[138:139], v[114:115]
	s_wait_loadcnt 0x4
	v_fmac_f64_e32 v[140:141], v[106:107], v[116:117]
	s_wait_dscnt 0x0
	s_delay_alu instid0(VALU_DEP_1)
	v_fmac_f64_e32 v[140:141], v[108:109], v[126:127]
	ds_load_b128 v[106:109], v2 offset:752
	ds_load_b128 v[114:117], v2 offset:768
	s_wait_loadcnt 0x3
	v_fmac_f64_e32 v[140:141], v[118:119], v[128:129]
	s_wait_dscnt 0x1
	s_delay_alu instid0(VALU_DEP_1) | instskip(SKIP_1) | instid1(VALU_DEP_1)
	v_fmac_f64_e32 v[140:141], v[120:121], v[106:107]
	s_wait_loadcnt 0x2
	v_fmac_f64_e32 v[140:141], v[110:111], v[108:109]
	ds_load_b128 v[106:109], v2 offset:784
	s_wait_dscnt 0x1
	v_fmac_f64_e32 v[140:141], v[112:113], v[114:115]
	s_wait_loadcnt 0x1
	s_delay_alu instid0(VALU_DEP_1) | instskip(SKIP_1) | instid1(VALU_DEP_1)
	v_fmac_f64_e32 v[140:141], v[122:123], v[116:117]
	s_wait_dscnt 0x0
	v_fmac_f64_e32 v[140:141], v[124:125], v[106:107]
	s_wait_loadcnt 0x0
	s_delay_alu instid0(VALU_DEP_1) | instskip(NEXT) | instid1(VALU_DEP_1)
	v_fmac_f64_e32 v[140:141], v[130:131], v[108:109]
	v_add_f64_e64 v[2:3], v[104:105], -v[140:141]
	scratch_store_b64 off, v[2:3], off offset:24
	s_wait_xcnt 0x0
	v_cmpx_lt_u32_e32 2, v0
	s_cbranch_execz .LBB113_305
; %bb.304:
	scratch_load_b64 v[2:3], off, off offset:16
	v_mov_b64_e32 v[104:105], 0
	scratch_store_b64 off, v[104:105], off offset:16
	s_wait_loadcnt 0x0
	ds_store_b64 v1, v[2:3]
.LBB113_305:
	s_wait_xcnt 0x0
	s_or_b32 exec_lo, exec_lo, s0
	s_wait_storecnt_dscnt 0x0
	s_barrier_signal -1
	s_barrier_wait -1
	s_clause 0x5
	scratch_load_b128 v[104:107], off, off offset:16
	scratch_load_b128 v[108:111], off, off offset:32
	;; [unrolled: 1-line block ×6, first 2 shown]
	v_mov_b32_e32 v2, 0
	ds_load_2addr_b64 v[128:131], v2 offset0:53 offset1:54
	ds_load_2addr_b64 v[132:135], v2 offset0:55 offset1:56
	scratch_load_b128 v[136:139], off, off offset:112
	s_mov_b32 s0, exec_lo
	s_wait_loadcnt_dscnt 0x601
	v_fma_f64 v[140:141], v[106:107], v[128:129], 0
	s_wait_loadcnt 0x5
	s_delay_alu instid0(VALU_DEP_1) | instskip(SKIP_4) | instid1(VALU_DEP_1)
	v_fmac_f64_e32 v[140:141], v[108:109], v[130:131]
	scratch_load_b128 v[106:109], off, off offset:128
	s_wait_dscnt 0x0
	v_fmac_f64_e32 v[140:141], v[110:111], v[132:133]
	s_wait_loadcnt 0x5
	v_fmac_f64_e32 v[140:141], v[112:113], v[134:135]
	ds_load_2addr_b64 v[110:113], v2 offset0:57 offset1:58
	ds_load_2addr_b64 v[128:131], v2 offset0:59 offset1:60
	scratch_load_b128 v[132:135], off, off offset:144
	s_wait_dscnt 0x1
	v_fmac_f64_e32 v[140:141], v[114:115], v[110:111]
	s_wait_loadcnt 0x5
	s_delay_alu instid0(VALU_DEP_1) | instskip(SKIP_4) | instid1(VALU_DEP_1)
	v_fmac_f64_e32 v[140:141], v[116:117], v[112:113]
	scratch_load_b128 v[110:113], off, off offset:160
	s_wait_dscnt 0x0
	v_fmac_f64_e32 v[140:141], v[118:119], v[128:129]
	s_wait_loadcnt 0x5
	v_fmac_f64_e32 v[140:141], v[120:121], v[130:131]
	ds_load_2addr_b64 v[114:117], v2 offset0:61 offset1:62
	ds_load_2addr_b64 v[118:121], v2 offset0:63 offset1:64
	scratch_load_b128 v[128:131], off, off offset:176
	s_wait_dscnt 0x1
	v_fmac_f64_e32 v[140:141], v[122:123], v[114:115]
	s_wait_loadcnt 0x5
	s_delay_alu instid0(VALU_DEP_1) | instskip(SKIP_4) | instid1(VALU_DEP_1)
	v_fmac_f64_e32 v[140:141], v[124:125], v[116:117]
	scratch_load_b128 v[114:117], off, off offset:192
	s_wait_dscnt 0x0
	v_fmac_f64_e32 v[140:141], v[126:127], v[118:119]
	s_wait_loadcnt 0x5
	v_fmac_f64_e32 v[140:141], v[136:137], v[120:121]
	ds_load_2addr_b64 v[118:121], v2 offset0:65 offset1:66
	ds_load_2addr_b64 v[122:125], v2 offset0:67 offset1:68
	s_wait_dscnt 0x1
	v_fmac_f64_e32 v[140:141], v[138:139], v[118:119]
	scratch_load_b128 v[136:139], off, off offset:208
	s_wait_loadcnt 0x5
	v_fmac_f64_e32 v[140:141], v[106:107], v[120:121]
	s_wait_dscnt 0x0
	s_delay_alu instid0(VALU_DEP_1)
	v_fmac_f64_e32 v[140:141], v[108:109], v[122:123]
	scratch_load_b128 v[106:109], off, off offset:224
	s_wait_loadcnt 0x5
	v_fmac_f64_e32 v[140:141], v[132:133], v[124:125]
	ds_load_2addr_b64 v[118:121], v2 offset0:69 offset1:70
	ds_load_2addr_b64 v[122:125], v2 offset0:71 offset1:72
	s_wait_dscnt 0x1
	v_fmac_f64_e32 v[140:141], v[134:135], v[118:119]
	scratch_load_b128 v[132:135], off, off offset:240
	s_wait_loadcnt 0x5
	v_fmac_f64_e32 v[140:141], v[110:111], v[120:121]
	s_wait_dscnt 0x0
	s_delay_alu instid0(VALU_DEP_1)
	v_fmac_f64_e32 v[140:141], v[112:113], v[122:123]
	scratch_load_b128 v[110:113], off, off offset:256
	s_wait_loadcnt 0x5
	v_fmac_f64_e32 v[140:141], v[128:129], v[124:125]
	ds_load_2addr_b64 v[118:121], v2 offset0:73 offset1:74
	ds_load_2addr_b64 v[122:125], v2 offset0:75 offset1:76
	scratch_load_b128 v[126:129], off, off offset:272
	s_wait_dscnt 0x1
	v_fmac_f64_e32 v[140:141], v[130:131], v[118:119]
	s_wait_loadcnt 0x5
	s_delay_alu instid0(VALU_DEP_1) | instskip(SKIP_1) | instid1(VALU_DEP_1)
	v_fmac_f64_e32 v[140:141], v[114:115], v[120:121]
	s_wait_dscnt 0x0
	v_fmac_f64_e32 v[140:141], v[116:117], v[122:123]
	scratch_load_b128 v[114:117], off, off offset:288
	s_wait_loadcnt 0x5
	v_fmac_f64_e32 v[140:141], v[136:137], v[124:125]
	ds_load_2addr_b64 v[118:121], v2 offset0:77 offset1:78
	ds_load_2addr_b64 v[122:125], v2 offset0:79 offset1:80
	s_wait_dscnt 0x1
	v_fmac_f64_e32 v[140:141], v[138:139], v[118:119]
	scratch_load_b128 v[136:139], off, off offset:304
	s_wait_loadcnt 0x5
	v_fmac_f64_e32 v[140:141], v[106:107], v[120:121]
	s_wait_dscnt 0x0
	s_delay_alu instid0(VALU_DEP_1)
	v_fmac_f64_e32 v[140:141], v[108:109], v[122:123]
	scratch_load_b128 v[106:109], off, off offset:320
	s_wait_loadcnt 0x5
	v_fmac_f64_e32 v[140:141], v[132:133], v[124:125]
	ds_load_2addr_b64 v[118:121], v2 offset0:81 offset1:82
	ds_load_2addr_b64 v[122:125], v2 offset0:83 offset1:84
	s_wait_dscnt 0x1
	v_fmac_f64_e32 v[140:141], v[134:135], v[118:119]
	s_wait_loadcnt 0x4
	s_delay_alu instid0(VALU_DEP_1)
	v_fmac_f64_e32 v[140:141], v[110:111], v[120:121]
	scratch_load_b128 v[118:121], off, off offset:336
	s_wait_dscnt 0x0
	v_fmac_f64_e32 v[140:141], v[112:113], v[122:123]
	scratch_load_b128 v[110:113], off, off offset:352
	s_wait_loadcnt 0x5
	v_fmac_f64_e32 v[140:141], v[126:127], v[124:125]
	ds_load_2addr_b64 v[122:125], v2 offset0:85 offset1:86
	ds_load_2addr_b64 v[130:133], v2 offset0:87 offset1:88
	s_wait_dscnt 0x1
	v_fmac_f64_e32 v[140:141], v[128:129], v[122:123]
	s_wait_loadcnt 0x4
	s_delay_alu instid0(VALU_DEP_1)
	v_fmac_f64_e32 v[140:141], v[114:115], v[124:125]
	scratch_load_b128 v[122:125], off, off offset:368
	s_wait_dscnt 0x0
	v_fmac_f64_e32 v[140:141], v[116:117], v[130:131]
	scratch_load_b128 v[114:117], off, off offset:384
	s_wait_loadcnt 0x5
	v_fmac_f64_e32 v[140:141], v[136:137], v[132:133]
	ds_load_2addr_b64 v[126:129], v2 offset0:89 offset1:90
	ds_load_2addr_b64 v[130:133], v2 offset0:91 offset1:92
	s_wait_dscnt 0x1
	v_fmac_f64_e32 v[140:141], v[138:139], v[126:127]
	s_wait_loadcnt 0x4
	s_delay_alu instid0(VALU_DEP_1) | instskip(SKIP_1) | instid1(VALU_DEP_1)
	v_fmac_f64_e32 v[140:141], v[106:107], v[128:129]
	s_wait_dscnt 0x0
	v_fmac_f64_e32 v[140:141], v[108:109], v[130:131]
	ds_load_2addr_b64 v[106:109], v2 offset0:93 offset1:94
	ds_load_2addr_b64 v[126:129], v2 offset0:95 offset1:96
	s_wait_loadcnt 0x3
	v_fmac_f64_e32 v[140:141], v[118:119], v[132:133]
	s_wait_dscnt 0x1
	s_delay_alu instid0(VALU_DEP_1) | instskip(SKIP_1) | instid1(VALU_DEP_1)
	v_fmac_f64_e32 v[140:141], v[120:121], v[106:107]
	s_wait_loadcnt 0x2
	v_fmac_f64_e32 v[140:141], v[110:111], v[108:109]
	ds_load_2addr_b64 v[106:109], v2 offset0:97 offset1:98
	ds_load_b64 v[110:111], v2 offset:792
	s_wait_dscnt 0x2
	v_fmac_f64_e32 v[140:141], v[112:113], v[126:127]
	s_wait_loadcnt 0x1
	s_delay_alu instid0(VALU_DEP_1) | instskip(SKIP_1) | instid1(VALU_DEP_1)
	v_fmac_f64_e32 v[140:141], v[122:123], v[128:129]
	s_wait_dscnt 0x1
	v_fmac_f64_e32 v[140:141], v[124:125], v[106:107]
	s_wait_loadcnt 0x0
	s_delay_alu instid0(VALU_DEP_1) | instskip(SKIP_1) | instid1(VALU_DEP_1)
	v_fmac_f64_e32 v[140:141], v[114:115], v[108:109]
	s_wait_dscnt 0x0
	v_fmac_f64_e32 v[140:141], v[116:117], v[110:111]
	s_delay_alu instid0(VALU_DEP_1)
	v_add_f64_e64 v[104:105], v[104:105], -v[140:141]
	scratch_store_b64 off, v[104:105], off offset:16
	s_wait_xcnt 0x0
	v_cmpx_lt_u32_e32 1, v0
	s_cbranch_execz .LBB113_307
; %bb.306:
	scratch_load_b64 v[104:105], off, off offset:8
	v_mov_b64_e32 v[106:107], 0
	scratch_store_b64 off, v[106:107], off offset:8
	s_wait_loadcnt 0x0
	ds_store_b64 v1, v[104:105]
.LBB113_307:
	s_wait_xcnt 0x0
	s_or_b32 exec_lo, exec_lo, s0
	s_wait_storecnt_dscnt 0x0
	s_barrier_signal -1
	s_barrier_wait -1
	s_clause 0x5
	scratch_load_b128 v[104:107], off, off offset:8
	scratch_load_b128 v[108:111], off, off offset:24
	;; [unrolled: 1-line block ×6, first 2 shown]
	ds_load_b128 v[128:131], v2 offset:416
	ds_load_b128 v[132:135], v2 offset:432
	scratch_load_b128 v[136:139], off, off offset:104
	v_dual_ashrrev_i32 v9, 31, v8 :: v_dual_ashrrev_i32 v11, 31, v10
	v_dual_ashrrev_i32 v13, 31, v12 :: v_dual_ashrrev_i32 v15, 31, v14
	;; [unrolled: 1-line block ×23, first 2 shown]
	v_ashrrev_i32_e32 v101, 31, v100
	s_mov_b32 s0, exec_lo
	v_ashrrev_i32_e32 v55, 31, v54
	s_wait_loadcnt_dscnt 0x601
	v_fma_f64 v[140:141], v[106:107], v[128:129], 0
	s_wait_loadcnt 0x5
	s_delay_alu instid0(VALU_DEP_1) | instskip(SKIP_4) | instid1(VALU_DEP_1)
	v_fmac_f64_e32 v[140:141], v[108:109], v[130:131]
	scratch_load_b128 v[106:109], off, off offset:120
	s_wait_dscnt 0x0
	v_fmac_f64_e32 v[140:141], v[110:111], v[132:133]
	s_wait_loadcnt 0x5
	v_fmac_f64_e32 v[140:141], v[112:113], v[134:135]
	ds_load_b128 v[110:113], v2 offset:448
	ds_load_b128 v[128:131], v2 offset:464
	scratch_load_b128 v[132:135], off, off offset:136
	s_wait_dscnt 0x1
	v_fmac_f64_e32 v[140:141], v[114:115], v[110:111]
	s_wait_loadcnt 0x5
	s_delay_alu instid0(VALU_DEP_1) | instskip(SKIP_4) | instid1(VALU_DEP_1)
	v_fmac_f64_e32 v[140:141], v[116:117], v[112:113]
	scratch_load_b128 v[110:113], off, off offset:152
	s_wait_dscnt 0x0
	v_fmac_f64_e32 v[140:141], v[118:119], v[128:129]
	s_wait_loadcnt 0x5
	v_fmac_f64_e32 v[140:141], v[120:121], v[130:131]
	ds_load_b128 v[114:117], v2 offset:480
	ds_load_b128 v[118:121], v2 offset:496
	scratch_load_b128 v[128:131], off, off offset:168
	s_wait_dscnt 0x1
	v_fmac_f64_e32 v[140:141], v[122:123], v[114:115]
	s_wait_loadcnt 0x5
	s_delay_alu instid0(VALU_DEP_1) | instskip(SKIP_4) | instid1(VALU_DEP_1)
	v_fmac_f64_e32 v[140:141], v[124:125], v[116:117]
	scratch_load_b128 v[114:117], off, off offset:184
	s_wait_dscnt 0x0
	v_fmac_f64_e32 v[140:141], v[126:127], v[118:119]
	s_wait_loadcnt 0x5
	v_fmac_f64_e32 v[140:141], v[136:137], v[120:121]
	ds_load_b128 v[118:121], v2 offset:512
	ds_load_b128 v[122:125], v2 offset:528
	s_wait_dscnt 0x1
	v_fmac_f64_e32 v[140:141], v[138:139], v[118:119]
	scratch_load_b128 v[136:139], off, off offset:200
	s_wait_loadcnt 0x5
	v_fmac_f64_e32 v[140:141], v[106:107], v[120:121]
	s_wait_dscnt 0x0
	s_delay_alu instid0(VALU_DEP_1)
	v_fmac_f64_e32 v[140:141], v[108:109], v[122:123]
	scratch_load_b128 v[106:109], off, off offset:216
	s_wait_loadcnt 0x5
	v_fmac_f64_e32 v[140:141], v[132:133], v[124:125]
	ds_load_b128 v[118:121], v2 offset:544
	ds_load_b128 v[122:125], v2 offset:560
	s_wait_dscnt 0x1
	v_fmac_f64_e32 v[140:141], v[134:135], v[118:119]
	scratch_load_b128 v[132:135], off, off offset:232
	s_wait_loadcnt 0x5
	v_fmac_f64_e32 v[140:141], v[110:111], v[120:121]
	s_wait_dscnt 0x0
	s_delay_alu instid0(VALU_DEP_1)
	v_fmac_f64_e32 v[140:141], v[112:113], v[122:123]
	scratch_load_b128 v[110:113], off, off offset:248
	s_wait_loadcnt 0x5
	v_fmac_f64_e32 v[140:141], v[128:129], v[124:125]
	ds_load_b128 v[118:121], v2 offset:576
	ds_load_b128 v[122:125], v2 offset:592
	scratch_load_b128 v[126:129], off, off offset:264
	s_wait_dscnt 0x1
	v_fmac_f64_e32 v[140:141], v[130:131], v[118:119]
	s_wait_loadcnt 0x5
	s_delay_alu instid0(VALU_DEP_1) | instskip(SKIP_1) | instid1(VALU_DEP_1)
	v_fmac_f64_e32 v[140:141], v[114:115], v[120:121]
	s_wait_dscnt 0x0
	v_fmac_f64_e32 v[140:141], v[116:117], v[122:123]
	scratch_load_b128 v[114:117], off, off offset:280
	s_wait_loadcnt 0x5
	v_fmac_f64_e32 v[140:141], v[136:137], v[124:125]
	ds_load_b128 v[118:121], v2 offset:608
	ds_load_b128 v[122:125], v2 offset:624
	s_wait_dscnt 0x1
	v_fmac_f64_e32 v[140:141], v[138:139], v[118:119]
	scratch_load_b128 v[136:139], off, off offset:296
	s_wait_loadcnt 0x5
	v_fmac_f64_e32 v[140:141], v[106:107], v[120:121]
	s_wait_dscnt 0x0
	s_delay_alu instid0(VALU_DEP_1)
	v_fmac_f64_e32 v[140:141], v[108:109], v[122:123]
	scratch_load_b128 v[106:109], off, off offset:312
	s_wait_loadcnt 0x5
	v_fmac_f64_e32 v[140:141], v[132:133], v[124:125]
	ds_load_b128 v[118:121], v2 offset:640
	ds_load_b128 v[122:125], v2 offset:656
	s_wait_dscnt 0x1
	v_fmac_f64_e32 v[140:141], v[134:135], v[118:119]
	s_wait_loadcnt 0x4
	s_delay_alu instid0(VALU_DEP_1)
	v_fmac_f64_e32 v[140:141], v[110:111], v[120:121]
	scratch_load_b128 v[118:121], off, off offset:328
	s_wait_dscnt 0x0
	v_fmac_f64_e32 v[140:141], v[112:113], v[122:123]
	scratch_load_b128 v[110:113], off, off offset:344
	s_wait_loadcnt 0x5
	v_fmac_f64_e32 v[140:141], v[126:127], v[124:125]
	ds_load_b128 v[122:125], v2 offset:672
	ds_load_b128 v[130:133], v2 offset:688
	s_wait_dscnt 0x1
	v_fmac_f64_e32 v[140:141], v[128:129], v[122:123]
	s_wait_loadcnt 0x4
	s_delay_alu instid0(VALU_DEP_1)
	v_fmac_f64_e32 v[140:141], v[114:115], v[124:125]
	scratch_load_b128 v[122:125], off, off offset:360
	s_wait_dscnt 0x0
	v_fmac_f64_e32 v[140:141], v[116:117], v[130:131]
	scratch_load_b128 v[114:117], off, off offset:376
	s_wait_loadcnt 0x5
	v_fmac_f64_e32 v[140:141], v[136:137], v[132:133]
	ds_load_b128 v[126:129], v2 offset:704
	ds_load_b128 v[130:133], v2 offset:720
	scratch_load_b64 v[134:135], off, off offset:392
	s_wait_dscnt 0x1
	v_fmac_f64_e32 v[140:141], v[138:139], v[126:127]
	s_wait_loadcnt 0x5
	s_delay_alu instid0(VALU_DEP_1) | instskip(SKIP_1) | instid1(VALU_DEP_1)
	v_fmac_f64_e32 v[140:141], v[106:107], v[128:129]
	s_wait_dscnt 0x0
	v_fmac_f64_e32 v[140:141], v[108:109], v[130:131]
	ds_load_b128 v[106:109], v2 offset:736
	ds_load_b128 v[126:129], v2 offset:752
	s_wait_loadcnt 0x4
	v_fmac_f64_e32 v[140:141], v[118:119], v[132:133]
	s_wait_dscnt 0x1
	s_delay_alu instid0(VALU_DEP_1) | instskip(SKIP_1) | instid1(VALU_DEP_1)
	v_fmac_f64_e32 v[140:141], v[120:121], v[106:107]
	s_wait_loadcnt 0x3
	v_fmac_f64_e32 v[140:141], v[110:111], v[108:109]
	s_wait_dscnt 0x0
	s_delay_alu instid0(VALU_DEP_1)
	v_fmac_f64_e32 v[140:141], v[112:113], v[126:127]
	ds_load_b128 v[106:109], v2 offset:768
	ds_load_b128 v[110:113], v2 offset:784
	s_wait_loadcnt 0x2
	v_fmac_f64_e32 v[140:141], v[122:123], v[128:129]
	s_wait_dscnt 0x1
	s_delay_alu instid0(VALU_DEP_1) | instskip(SKIP_1) | instid1(VALU_DEP_1)
	v_fmac_f64_e32 v[140:141], v[124:125], v[106:107]
	s_wait_loadcnt 0x1
	v_fmac_f64_e32 v[140:141], v[114:115], v[108:109]
	s_wait_dscnt 0x0
	s_delay_alu instid0(VALU_DEP_1) | instskip(SKIP_1) | instid1(VALU_DEP_1)
	v_fmac_f64_e32 v[140:141], v[116:117], v[110:111]
	s_wait_loadcnt 0x0
	v_fmac_f64_e32 v[140:141], v[134:135], v[112:113]
	s_delay_alu instid0(VALU_DEP_1)
	v_add_f64_e64 v[2:3], v[104:105], -v[140:141]
	scratch_store_b64 off, v[2:3], off offset:8
	s_wait_xcnt 0x0
	v_cmpx_ne_u32_e32 0, v0
	s_cbranch_execz .LBB113_309
; %bb.308:
	scratch_load_b64 v[2:3], off, off
	v_mov_b64_e32 v[104:105], 0
	scratch_store_b64 off, v[104:105], off
	s_wait_loadcnt 0x0
	ds_store_b64 v1, v[2:3]
.LBB113_309:
	s_wait_xcnt 0x0
	s_or_b32 exec_lo, exec_lo, s0
	s_wait_storecnt_dscnt 0x0
	s_barrier_signal -1
	s_barrier_wait -1
	s_clause 0x5
	scratch_load_b128 v[108:111], off, off
	scratch_load_b128 v[0:3], off, off offset:16
	scratch_load_b128 v[112:115], off, off offset:32
	;; [unrolled: 1-line block ×5, first 2 shown]
	v_mov_b32_e32 v106, 0
	scratch_load_b128 v[132:135], off, off offset:96
	s_and_b32 vcc_lo, exec_lo, s12
	ds_load_2addr_b64 v[128:131], v106 offset0:51 offset1:52
	s_wait_loadcnt_dscnt 0x600
	v_fma_f64 v[104:105], v[110:111], v[128:129], 0
	s_wait_loadcnt 0x5
	s_delay_alu instid0(VALU_DEP_1)
	v_fmac_f64_e32 v[104:105], v[0:1], v[130:131]
	ds_load_2addr_b64 v[128:131], v106 offset0:53 offset1:54
	s_wait_dscnt 0x0
	v_fmac_f64_e32 v[104:105], v[2:3], v[128:129]
	scratch_load_b128 v[0:3], off, off offset:112
	s_wait_loadcnt 0x5
	v_fmac_f64_e32 v[104:105], v[112:113], v[130:131]
	ds_load_2addr_b64 v[110:113], v106 offset0:55 offset1:56
	scratch_load_b128 v[128:131], off, off offset:128
	s_wait_dscnt 0x0
	v_fmac_f64_e32 v[104:105], v[114:115], v[110:111]
	s_wait_loadcnt 0x5
	s_delay_alu instid0(VALU_DEP_1)
	v_fmac_f64_e32 v[104:105], v[116:117], v[112:113]
	ds_load_2addr_b64 v[110:113], v106 offset0:57 offset1:58
	scratch_load_b128 v[114:117], off, off offset:144
	s_wait_dscnt 0x0
	v_fmac_f64_e32 v[104:105], v[118:119], v[110:111]
	s_wait_loadcnt 0x5
	s_delay_alu instid0(VALU_DEP_1)
	;; [unrolled: 7-line block ×4, first 2 shown]
	v_fmac_f64_e32 v[104:105], v[132:133], v[112:113]
	ds_load_2addr_b64 v[110:113], v106 offset0:63 offset1:64
	s_wait_dscnt 0x0
	v_fmac_f64_e32 v[104:105], v[134:135], v[110:111]
	scratch_load_b128 v[132:135], off, off offset:192
	s_wait_loadcnt 0x5
	v_fmac_f64_e32 v[104:105], v[0:1], v[112:113]
	ds_load_2addr_b64 v[110:113], v106 offset0:65 offset1:66
	s_wait_dscnt 0x0
	v_fmac_f64_e32 v[104:105], v[2:3], v[110:111]
	scratch_load_b128 v[0:3], off, off offset:208
	s_wait_loadcnt 0x5
	v_fmac_f64_e32 v[104:105], v[128:129], v[112:113]
	ds_load_2addr_b64 v[110:113], v106 offset0:67 offset1:68
	scratch_load_b128 v[126:129], off, off offset:224
	s_wait_dscnt 0x0
	v_fmac_f64_e32 v[104:105], v[130:131], v[110:111]
	s_wait_loadcnt 0x5
	s_delay_alu instid0(VALU_DEP_1)
	v_fmac_f64_e32 v[104:105], v[114:115], v[112:113]
	ds_load_2addr_b64 v[110:113], v106 offset0:69 offset1:70
	s_wait_dscnt 0x0
	v_fmac_f64_e32 v[104:105], v[116:117], v[110:111]
	scratch_load_b128 v[114:117], off, off offset:240
	s_wait_loadcnt 0x5
	v_fmac_f64_e32 v[104:105], v[118:119], v[112:113]
	ds_load_2addr_b64 v[110:113], v106 offset0:71 offset1:72
	s_wait_dscnt 0x0
	v_fmac_f64_e32 v[104:105], v[120:121], v[110:111]
	scratch_load_b128 v[118:121], off, off offset:256
	s_wait_loadcnt 0x5
	;; [unrolled: 6-line block ×3, first 2 shown]
	v_fmac_f64_e32 v[104:105], v[132:133], v[112:113]
	ds_load_2addr_b64 v[110:113], v106 offset0:75 offset1:76
	scratch_load_b128 v[130:133], off, off offset:288
	s_wait_dscnt 0x0
	v_fmac_f64_e32 v[104:105], v[134:135], v[110:111]
	scratch_load_b128 v[134:137], off, off offset:304
	s_wait_loadcnt 0x6
	v_fmac_f64_e32 v[104:105], v[0:1], v[112:113]
	ds_load_2addr_b64 v[110:113], v106 offset0:77 offset1:78
	s_wait_dscnt 0x0
	v_fmac_f64_e32 v[104:105], v[2:3], v[110:111]
	ds_load_2addr_b64 v[0:3], v106 offset0:79 offset1:80
	s_wait_loadcnt 0x5
	v_fmac_f64_e32 v[104:105], v[126:127], v[112:113]
	scratch_load_b128 v[110:113], off, off offset:320
	s_wait_dscnt 0x0
	v_fmac_f64_e32 v[104:105], v[128:129], v[0:1]
	ds_load_2addr_b64 v[126:129], v106 offset0:87 offset1:88
	s_wait_loadcnt 0x5
	v_fmac_f64_e32 v[104:105], v[114:115], v[2:3]
	ds_load_2addr_b64 v[0:3], v106 offset0:81 offset1:82
	s_wait_dscnt 0x0
	v_fmac_f64_e32 v[104:105], v[116:117], v[0:1]
	scratch_load_b128 v[114:117], off, off offset:336
	s_wait_loadcnt 0x5
	v_fmac_f64_e32 v[104:105], v[118:119], v[2:3]
	ds_load_2addr_b64 v[0:3], v106 offset0:83 offset1:84
	s_wait_dscnt 0x0
	v_fmac_f64_e32 v[104:105], v[120:121], v[0:1]
	scratch_load_b128 v[118:121], off, off offset:352
	;; [unrolled: 6-line block ×3, first 2 shown]
	s_wait_loadcnt 0x5
	v_fmac_f64_e32 v[104:105], v[130:131], v[2:3]
	scratch_load_b128 v[0:3], off, off offset:384
	v_fmac_f64_e32 v[104:105], v[132:133], v[126:127]
	s_wait_loadcnt 0x5
	s_delay_alu instid0(VALU_DEP_1) | instskip(SKIP_4) | instid1(VALU_DEP_1)
	v_fmac_f64_e32 v[104:105], v[134:135], v[128:129]
	ds_load_2addr_b64 v[126:129], v106 offset0:89 offset1:90
	s_wait_dscnt 0x0
	v_fmac_f64_e32 v[104:105], v[136:137], v[126:127]
	s_wait_loadcnt 0x4
	v_fmac_f64_e32 v[104:105], v[110:111], v[128:129]
	ds_load_2addr_b64 v[126:129], v106 offset0:91 offset1:92
	s_wait_dscnt 0x0
	v_fmac_f64_e32 v[104:105], v[112:113], v[126:127]
	ds_load_2addr_b64 v[110:113], v106 offset0:93 offset1:94
	s_wait_loadcnt 0x3
	v_fmac_f64_e32 v[104:105], v[114:115], v[128:129]
	s_wait_dscnt 0x0
	s_delay_alu instid0(VALU_DEP_1) | instskip(SKIP_1) | instid1(VALU_DEP_1)
	v_fmac_f64_e32 v[104:105], v[116:117], v[110:111]
	s_wait_loadcnt 0x2
	v_fmac_f64_e32 v[104:105], v[118:119], v[112:113]
	ds_load_2addr_b64 v[110:113], v106 offset0:95 offset1:96
	s_wait_dscnt 0x0
	v_fmac_f64_e32 v[104:105], v[120:121], v[110:111]
	s_wait_loadcnt 0x1
	s_delay_alu instid0(VALU_DEP_1)
	v_fmac_f64_e32 v[104:105], v[122:123], v[112:113]
	ds_load_2addr_b64 v[110:113], v106 offset0:97 offset1:98
	s_wait_dscnt 0x0
	v_fmac_f64_e32 v[104:105], v[124:125], v[110:111]
	ds_load_b64 v[110:111], v106 offset:792
	s_wait_loadcnt 0x0
	v_fmac_f64_e32 v[104:105], v[0:1], v[112:113]
	s_wait_dscnt 0x0
	s_delay_alu instid0(VALU_DEP_1) | instskip(NEXT) | instid1(VALU_DEP_1)
	v_fmac_f64_e32 v[104:105], v[2:3], v[110:111]
	v_add_f64_e64 v[104:105], v[108:109], -v[104:105]
	scratch_store_b64 off, v[104:105], off
	s_cbranch_vccz .LBB113_408
; %bb.310:
	global_load_b32 v2, v106, s[8:9] offset:192
	s_wait_loadcnt 0x0
	v_cmp_ne_u32_e32 vcc_lo, 49, v2
	s_cbranch_vccz .LBB113_312
; %bb.311:
	v_lshlrev_b32_e32 v2, 3, v2
	s_wait_xcnt 0x1
	s_delay_alu instid0(VALU_DEP_1)
	v_mov_b32_e32 v104, v2
	scratch_load_b64 v[2:3], v104, off offset:-8
	s_wait_loadcnt 0x0
	scratch_store_b64 off, v[2:3], off offset:384
	scratch_store_b64 v104, v[0:1], off offset:-8
.LBB113_312:
	s_wait_xcnt 0x0
	v_mov_b32_e32 v0, 0
	global_load_b32 v1, v0, s[8:9] offset:188
	s_wait_loadcnt 0x0
	v_cmp_eq_u32_e32 vcc_lo, 48, v1
	s_cbranch_vccnz .LBB113_314
; %bb.313:
	v_lshlrev_b32_e32 v1, 3, v1
	scratch_load_b64 v[2:3], v1, off offset:-8
	scratch_load_b64 v[104:105], off, off offset:376
	s_wait_loadcnt 0x1
	scratch_store_b64 off, v[2:3], off offset:376
	s_wait_loadcnt 0x0
	scratch_store_b64 v1, v[104:105], off offset:-8
.LBB113_314:
	global_load_b32 v0, v0, s[8:9] offset:184
	s_wait_loadcnt 0x0
	v_cmp_eq_u32_e32 vcc_lo, 47, v0
	s_cbranch_vccnz .LBB113_316
; %bb.315:
	s_wait_xcnt 0x0
	v_lshlrev_b32_e32 v0, 3, v0
	s_delay_alu instid0(VALU_DEP_1)
	v_mov_b32_e32 v104, v0
	scratch_load_b64 v[0:1], v104, off offset:-8
	scratch_load_b64 v[2:3], off, off offset:368
	s_wait_loadcnt 0x1
	scratch_store_b64 off, v[0:1], off offset:368
	s_wait_loadcnt 0x0
	scratch_store_b64 v104, v[2:3], off offset:-8
.LBB113_316:
	s_wait_xcnt 0x0
	v_mov_b32_e32 v0, 0
	global_load_b32 v1, v0, s[8:9] offset:180
	s_wait_loadcnt 0x0
	v_cmp_eq_u32_e32 vcc_lo, 46, v1
	s_cbranch_vccnz .LBB113_318
; %bb.317:
	v_lshlrev_b32_e32 v1, 3, v1
	scratch_load_b64 v[2:3], v1, off offset:-8
	scratch_load_b64 v[104:105], off, off offset:360
	s_wait_loadcnt 0x1
	scratch_store_b64 off, v[2:3], off offset:360
	s_wait_loadcnt 0x0
	scratch_store_b64 v1, v[104:105], off offset:-8
.LBB113_318:
	global_load_b32 v0, v0, s[8:9] offset:176
	s_wait_loadcnt 0x0
	v_cmp_eq_u32_e32 vcc_lo, 45, v0
	s_cbranch_vccnz .LBB113_320
; %bb.319:
	s_wait_xcnt 0x0
	v_lshlrev_b32_e32 v0, 3, v0
	s_delay_alu instid0(VALU_DEP_1)
	v_mov_b32_e32 v104, v0
	scratch_load_b64 v[0:1], v104, off offset:-8
	scratch_load_b64 v[2:3], off, off offset:352
	s_wait_loadcnt 0x1
	scratch_store_b64 off, v[0:1], off offset:352
	s_wait_loadcnt 0x0
	scratch_store_b64 v104, v[2:3], off offset:-8
.LBB113_320:
	;; [unrolled: 31-line block ×23, first 2 shown]
	s_wait_xcnt 0x0
	v_mov_b32_e32 v0, 0
	global_load_b32 v1, v0, s[8:9] offset:4
	s_wait_loadcnt 0x0
	v_cmp_eq_u32_e32 vcc_lo, 2, v1
	s_cbranch_vccnz .LBB113_406
; %bb.405:
	v_lshlrev_b32_e32 v1, 3, v1
	scratch_load_b64 v[2:3], v1, off offset:-8
	scratch_load_b64 v[104:105], off, off offset:8
	s_wait_loadcnt 0x1
	scratch_store_b64 off, v[2:3], off offset:8
	s_wait_loadcnt 0x0
	scratch_store_b64 v1, v[104:105], off offset:-8
.LBB113_406:
	global_load_b32 v0, v0, s[8:9]
	scratch_load_b64 v[104:105], off, off
	s_wait_loadcnt 0x1
	v_cmp_eq_u32_e32 vcc_lo, 1, v0
	s_cbranch_vccnz .LBB113_408
; %bb.407:
	s_wait_xcnt 0x1
	v_lshlrev_b32_e32 v0, 3, v0
	s_delay_alu instid0(VALU_DEP_1)
	v_mov_b32_e32 v2, v0
	scratch_load_b64 v[0:1], v2, off offset:-8
	s_wait_loadcnt 0x0
	scratch_store_b64 off, v[0:1], off
	scratch_store_b64 v2, v[104:105], off offset:-8
	scratch_load_b64 v[104:105], off, off
.LBB113_408:
	s_wait_loadcnt 0x0
	flat_store_b64 v[4:5], v[104:105]
	scratch_load_b64 v[4:5], off, off offset:8
	v_lshl_add_u64 v[150:151], v[8:9], 3, s[2:3]
	v_lshl_add_u64 v[148:149], v[10:11], 3, s[2:3]
	;; [unrolled: 1-line block ×48, first 2 shown]
	s_wait_loadcnt 0x0
	flat_store_b64 v[6:7], v[4:5]
	scratch_load_b64 v[4:5], off, off offset:16
	s_wait_loadcnt 0x0
	flat_store_b64 v[150:151], v[4:5]
	scratch_load_b64 v[4:5], off, off offset:24
	s_wait_loadcnt 0x0
	flat_store_b64 v[148:149], v[4:5]
	scratch_load_b64 v[4:5], off, off offset:32
	s_wait_loadcnt 0x0
	flat_store_b64 v[146:147], v[4:5]
	scratch_load_b64 v[4:5], off, off offset:40
	s_wait_loadcnt 0x0
	flat_store_b64 v[144:145], v[4:5]
	scratch_load_b64 v[4:5], off, off offset:48
	s_wait_loadcnt 0x0
	flat_store_b64 v[142:143], v[4:5]
	scratch_load_b64 v[4:5], off, off offset:56
	s_wait_loadcnt 0x0
	flat_store_b64 v[140:141], v[4:5]
	scratch_load_b64 v[4:5], off, off offset:64
	s_wait_loadcnt 0x0
	flat_store_b64 v[138:139], v[4:5]
	scratch_load_b64 v[4:5], off, off offset:72
	s_wait_loadcnt 0x0
	flat_store_b64 v[136:137], v[4:5]
	scratch_load_b64 v[4:5], off, off offset:80
	s_wait_loadcnt 0x0
	flat_store_b64 v[134:135], v[4:5]
	scratch_load_b64 v[4:5], off, off offset:88
	s_wait_loadcnt 0x0
	flat_store_b64 v[132:133], v[4:5]
	scratch_load_b64 v[4:5], off, off offset:96
	s_wait_loadcnt 0x0
	flat_store_b64 v[130:131], v[4:5]
	scratch_load_b64 v[4:5], off, off offset:104
	s_wait_loadcnt 0x0
	flat_store_b64 v[128:129], v[4:5]
	scratch_load_b64 v[4:5], off, off offset:112
	s_wait_loadcnt 0x0
	flat_store_b64 v[126:127], v[4:5]
	scratch_load_b64 v[4:5], off, off offset:120
	s_wait_loadcnt 0x0
	flat_store_b64 v[124:125], v[4:5]
	scratch_load_b64 v[4:5], off, off offset:128
	s_wait_loadcnt 0x0
	flat_store_b64 v[122:123], v[4:5]
	scratch_load_b64 v[4:5], off, off offset:136
	s_wait_loadcnt 0x0
	flat_store_b64 v[120:121], v[4:5]
	scratch_load_b64 v[4:5], off, off offset:144
	s_wait_loadcnt 0x0
	flat_store_b64 v[118:119], v[4:5]
	scratch_load_b64 v[4:5], off, off offset:152
	s_wait_loadcnt 0x0
	flat_store_b64 v[116:117], v[4:5]
	scratch_load_b64 v[4:5], off, off offset:160
	s_wait_loadcnt 0x0
	flat_store_b64 v[114:115], v[4:5]
	scratch_load_b64 v[4:5], off, off offset:168
	s_wait_loadcnt 0x0
	flat_store_b64 v[112:113], v[4:5]
	scratch_load_b64 v[4:5], off, off offset:176
	s_wait_loadcnt 0x0
	flat_store_b64 v[110:111], v[4:5]
	scratch_load_b64 v[4:5], off, off offset:184
	s_wait_loadcnt 0x0
	flat_store_b64 v[108:109], v[4:5]
	scratch_load_b64 v[4:5], off, off offset:192
	s_wait_loadcnt 0x0
	flat_store_b64 v[106:107], v[4:5]
	scratch_load_b64 v[4:5], off, off offset:200
	s_wait_loadcnt 0x0
	flat_store_b64 v[52:53], v[4:5]
	scratch_load_b64 v[4:5], off, off offset:208
	s_wait_loadcnt 0x0
	flat_store_b64 v[50:51], v[4:5]
	scratch_load_b64 v[4:5], off, off offset:216
	s_wait_loadcnt 0x0
	flat_store_b64 v[48:49], v[4:5]
	scratch_load_b64 v[4:5], off, off offset:224
	s_wait_loadcnt 0x0
	flat_store_b64 v[46:47], v[4:5]
	scratch_load_b64 v[4:5], off, off offset:232
	s_wait_loadcnt 0x0
	flat_store_b64 v[44:45], v[4:5]
	scratch_load_b64 v[4:5], off, off offset:240
	s_wait_loadcnt 0x0
	flat_store_b64 v[42:43], v[4:5]
	scratch_load_b64 v[4:5], off, off offset:248
	s_wait_loadcnt 0x0
	flat_store_b64 v[40:41], v[4:5]
	scratch_load_b64 v[4:5], off, off offset:256
	s_wait_loadcnt 0x0
	flat_store_b64 v[38:39], v[4:5]
	scratch_load_b64 v[4:5], off, off offset:264
	s_wait_loadcnt 0x0
	flat_store_b64 v[36:37], v[4:5]
	scratch_load_b64 v[4:5], off, off offset:272
	s_wait_loadcnt 0x0
	flat_store_b64 v[34:35], v[4:5]
	scratch_load_b64 v[4:5], off, off offset:280
	s_wait_loadcnt 0x0
	flat_store_b64 v[32:33], v[4:5]
	scratch_load_b64 v[4:5], off, off offset:288
	s_wait_loadcnt 0x0
	flat_store_b64 v[30:31], v[4:5]
	scratch_load_b64 v[4:5], off, off offset:296
	s_wait_loadcnt 0x0
	flat_store_b64 v[28:29], v[4:5]
	scratch_load_b64 v[4:5], off, off offset:304
	s_wait_loadcnt 0x0
	flat_store_b64 v[26:27], v[4:5]
	scratch_load_b64 v[4:5], off, off offset:312
	s_wait_loadcnt 0x0
	flat_store_b64 v[24:25], v[4:5]
	scratch_load_b64 v[4:5], off, off offset:320
	s_wait_loadcnt 0x0
	flat_store_b64 v[22:23], v[4:5]
	scratch_load_b64 v[4:5], off, off offset:328
	s_wait_loadcnt 0x0
	flat_store_b64 v[20:21], v[4:5]
	scratch_load_b64 v[4:5], off, off offset:336
	s_wait_loadcnt 0x0
	flat_store_b64 v[18:19], v[4:5]
	scratch_load_b64 v[4:5], off, off offset:344
	s_wait_loadcnt 0x0
	flat_store_b64 v[16:17], v[4:5]
	scratch_load_b64 v[4:5], off, off offset:352
	s_wait_loadcnt 0x0
	flat_store_b64 v[14:15], v[4:5]
	scratch_load_b64 v[4:5], off, off offset:360
	s_wait_loadcnt 0x0
	flat_store_b64 v[12:13], v[4:5]
	scratch_load_b64 v[4:5], off, off offset:368
	s_wait_loadcnt 0x0
	flat_store_b64 v[10:11], v[4:5]
	scratch_load_b64 v[4:5], off, off offset:376
	s_wait_loadcnt 0x0
	flat_store_b64 v[8:9], v[4:5]
	scratch_load_b64 v[4:5], off, off offset:384
	s_wait_loadcnt 0x0
	flat_store_b64 v[2:3], v[4:5]
	scratch_load_b64 v[2:3], off, off offset:392
	s_wait_loadcnt 0x0
	flat_store_b64 v[0:1], v[2:3]
	s_sendmsg sendmsg(MSG_DEALLOC_VGPRS)
	s_endpgm
	.section	.rodata,"a",@progbits
	.p2align	6, 0x0
	.amdhsa_kernel _ZN9rocsolver6v33100L18getri_kernel_smallILi50EdPKPdEEvT1_iilPiilS6_bb
		.amdhsa_group_segment_fixed_size 808
		.amdhsa_private_segment_fixed_size 416
		.amdhsa_kernarg_size 60
		.amdhsa_user_sgpr_count 2
		.amdhsa_user_sgpr_dispatch_ptr 0
		.amdhsa_user_sgpr_queue_ptr 0
		.amdhsa_user_sgpr_kernarg_segment_ptr 1
		.amdhsa_user_sgpr_dispatch_id 0
		.amdhsa_user_sgpr_kernarg_preload_length 0
		.amdhsa_user_sgpr_kernarg_preload_offset 0
		.amdhsa_user_sgpr_private_segment_size 0
		.amdhsa_wavefront_size32 1
		.amdhsa_uses_dynamic_stack 0
		.amdhsa_enable_private_segment 1
		.amdhsa_system_sgpr_workgroup_id_x 1
		.amdhsa_system_sgpr_workgroup_id_y 0
		.amdhsa_system_sgpr_workgroup_id_z 0
		.amdhsa_system_sgpr_workgroup_info 0
		.amdhsa_system_vgpr_workitem_id 0
		.amdhsa_next_free_vgpr 152
		.amdhsa_next_free_sgpr 19
		.amdhsa_named_barrier_count 0
		.amdhsa_reserve_vcc 1
		.amdhsa_float_round_mode_32 0
		.amdhsa_float_round_mode_16_64 0
		.amdhsa_float_denorm_mode_32 3
		.amdhsa_float_denorm_mode_16_64 3
		.amdhsa_fp16_overflow 0
		.amdhsa_memory_ordered 1
		.amdhsa_forward_progress 1
		.amdhsa_inst_pref_size 255
		.amdhsa_round_robin_scheduling 0
		.amdhsa_exception_fp_ieee_invalid_op 0
		.amdhsa_exception_fp_denorm_src 0
		.amdhsa_exception_fp_ieee_div_zero 0
		.amdhsa_exception_fp_ieee_overflow 0
		.amdhsa_exception_fp_ieee_underflow 0
		.amdhsa_exception_fp_ieee_inexact 0
		.amdhsa_exception_int_div_zero 0
	.end_amdhsa_kernel
	.section	.text._ZN9rocsolver6v33100L18getri_kernel_smallILi50EdPKPdEEvT1_iilPiilS6_bb,"axG",@progbits,_ZN9rocsolver6v33100L18getri_kernel_smallILi50EdPKPdEEvT1_iilPiilS6_bb,comdat
.Lfunc_end113:
	.size	_ZN9rocsolver6v33100L18getri_kernel_smallILi50EdPKPdEEvT1_iilPiilS6_bb, .Lfunc_end113-_ZN9rocsolver6v33100L18getri_kernel_smallILi50EdPKPdEEvT1_iilPiilS6_bb
                                        ; -- End function
	.set _ZN9rocsolver6v33100L18getri_kernel_smallILi50EdPKPdEEvT1_iilPiilS6_bb.num_vgpr, 152
	.set _ZN9rocsolver6v33100L18getri_kernel_smallILi50EdPKPdEEvT1_iilPiilS6_bb.num_agpr, 0
	.set _ZN9rocsolver6v33100L18getri_kernel_smallILi50EdPKPdEEvT1_iilPiilS6_bb.numbered_sgpr, 19
	.set _ZN9rocsolver6v33100L18getri_kernel_smallILi50EdPKPdEEvT1_iilPiilS6_bb.num_named_barrier, 0
	.set _ZN9rocsolver6v33100L18getri_kernel_smallILi50EdPKPdEEvT1_iilPiilS6_bb.private_seg_size, 416
	.set _ZN9rocsolver6v33100L18getri_kernel_smallILi50EdPKPdEEvT1_iilPiilS6_bb.uses_vcc, 1
	.set _ZN9rocsolver6v33100L18getri_kernel_smallILi50EdPKPdEEvT1_iilPiilS6_bb.uses_flat_scratch, 1
	.set _ZN9rocsolver6v33100L18getri_kernel_smallILi50EdPKPdEEvT1_iilPiilS6_bb.has_dyn_sized_stack, 0
	.set _ZN9rocsolver6v33100L18getri_kernel_smallILi50EdPKPdEEvT1_iilPiilS6_bb.has_recursion, 0
	.set _ZN9rocsolver6v33100L18getri_kernel_smallILi50EdPKPdEEvT1_iilPiilS6_bb.has_indirect_call, 0
	.section	.AMDGPU.csdata,"",@progbits
; Kernel info:
; codeLenInByte = 48340
; TotalNumSgprs: 21
; NumVgprs: 152
; ScratchSize: 416
; MemoryBound: 0
; FloatMode: 240
; IeeeMode: 1
; LDSByteSize: 808 bytes/workgroup (compile time only)
; SGPRBlocks: 0
; VGPRBlocks: 9
; NumSGPRsForWavesPerEU: 21
; NumVGPRsForWavesPerEU: 152
; NamedBarCnt: 0
; Occupancy: 6
; WaveLimiterHint : 1
; COMPUTE_PGM_RSRC2:SCRATCH_EN: 1
; COMPUTE_PGM_RSRC2:USER_SGPR: 2
; COMPUTE_PGM_RSRC2:TRAP_HANDLER: 0
; COMPUTE_PGM_RSRC2:TGID_X_EN: 1
; COMPUTE_PGM_RSRC2:TGID_Y_EN: 0
; COMPUTE_PGM_RSRC2:TGID_Z_EN: 0
; COMPUTE_PGM_RSRC2:TIDIG_COMP_CNT: 0
	.section	.text._ZN9rocsolver6v33100L18getri_kernel_smallILi51EdPKPdEEvT1_iilPiilS6_bb,"axG",@progbits,_ZN9rocsolver6v33100L18getri_kernel_smallILi51EdPKPdEEvT1_iilPiilS6_bb,comdat
	.globl	_ZN9rocsolver6v33100L18getri_kernel_smallILi51EdPKPdEEvT1_iilPiilS6_bb ; -- Begin function _ZN9rocsolver6v33100L18getri_kernel_smallILi51EdPKPdEEvT1_iilPiilS6_bb
	.p2align	8
	.type	_ZN9rocsolver6v33100L18getri_kernel_smallILi51EdPKPdEEvT1_iilPiilS6_bb,@function
_ZN9rocsolver6v33100L18getri_kernel_smallILi51EdPKPdEEvT1_iilPiilS6_bb: ; @_ZN9rocsolver6v33100L18getri_kernel_smallILi51EdPKPdEEvT1_iilPiilS6_bb
; %bb.0:
	s_mov_b32 s2, exec_lo
	v_cmpx_gt_u32_e32 51, v0
	s_cbranch_execz .LBB114_214
; %bb.1:
	s_clause 0x1
	s_load_b32 s13, s[0:1], 0x38
	s_load_b64 s[2:3], s[0:1], 0x0
	s_getreg_b32 s6, hwreg(HW_REG_IB_STS2, 6, 4)
	s_wait_kmcnt 0x0
	s_bitcmp1_b32 s13, 8
	s_cselect_b32 s12, -1, 0
	s_bfe_u32 s4, ttmp6, 0x4000c
	s_and_b32 s5, ttmp6, 15
	s_add_co_i32 s4, s4, 1
	s_delay_alu instid0(SALU_CYCLE_1) | instskip(NEXT) | instid1(SALU_CYCLE_1)
	s_mul_i32 s4, ttmp9, s4
	s_add_co_i32 s5, s5, s4
	s_cmp_eq_u32 s6, 0
	s_cselect_b32 s10, ttmp9, s5
	s_load_b128 s[4:7], s[0:1], 0x28
	s_ashr_i32 s11, s10, 31
	s_delay_alu instid0(SALU_CYCLE_1) | instskip(NEXT) | instid1(SALU_CYCLE_1)
	s_lshl_b64 s[8:9], s[10:11], 3
	s_add_nc_u64 s[2:3], s[2:3], s[8:9]
	s_bfe_u32 s8, s13, 0x10008
	s_load_b64 s[2:3], s[2:3], 0x0
	s_cmp_eq_u32 s8, 0
                                        ; implicit-def: $sgpr8_sgpr9
	s_cbranch_scc1 .LBB114_3
; %bb.2:
	s_load_b96 s[16:18], s[0:1], 0x18
	s_wait_kmcnt 0x0
	s_mul_u64 s[4:5], s[4:5], s[10:11]
	s_delay_alu instid0(SALU_CYCLE_1) | instskip(SKIP_4) | instid1(SALU_CYCLE_1)
	s_lshl_b64 s[4:5], s[4:5], 2
	s_ashr_i32 s9, s18, 31
	s_mov_b32 s8, s18
	s_add_nc_u64 s[4:5], s[16:17], s[4:5]
	s_lshl_b64 s[8:9], s[8:9], 2
	s_add_nc_u64 s[8:9], s[4:5], s[8:9]
.LBB114_3:
	s_wait_kmcnt 0x0
	s_clause 0x1
	s_load_b64 s[4:5], s[0:1], 0x8
	s_load_b32 s13, s[0:1], 0x38
	v_dual_mov_b32 v3, 0 :: v_dual_lshlrev_b32 v2, 3, v0
	s_wait_kmcnt 0x0
	s_ashr_i32 s1, s4, 31
	s_mov_b32 s0, s4
	s_delay_alu instid0(SALU_CYCLE_1) | instskip(NEXT) | instid1(SALU_CYCLE_1)
	s_lshl_b64 s[0:1], s[0:1], 3
	s_add_nc_u64 s[2:3], s[2:3], s[0:1]
	s_ashr_i32 s1, s5, 31
	flat_load_b64 v[8:9], v0, s[2:3] scale_offset
	v_add_nc_u64_e32 v[4:5], s[2:3], v[2:3]
	s_mov_b32 s0, s5
	s_bitcmp0_b32 s13, 0
	s_delay_alu instid0(VALU_DEP_1)
	v_lshl_add_u64 v[6:7], s[0:1], 3, v[4:5]
	s_mov_b32 s1, -1
	s_wait_loadcnt_dscnt 0x0
	scratch_store_b64 off, v[8:9], off
	flat_load_b64 v[10:11], v[6:7]
	s_wait_xcnt 0x1
	v_add3_u32 v8, s5, s5, v0
	s_wait_loadcnt_dscnt 0x0
	scratch_store_b64 off, v[10:11], off offset:8
	flat_load_b64 v[12:13], v8, s[2:3] scale_offset
	s_wait_xcnt 0x1
	v_add_nc_u32_e32 v10, s5, v8
	s_wait_loadcnt_dscnt 0x0
	scratch_store_b64 off, v[12:13], off offset:16
	flat_load_b64 v[14:15], v10, s[2:3] scale_offset
	s_wait_xcnt 0x1
	v_add_nc_u32_e32 v12, s5, v10
	;; [unrolled: 5-line block ×48, first 2 shown]
	s_wait_loadcnt_dscnt 0x0
	scratch_store_b64 off, v[106:107], off offset:392
	flat_load_b64 v[106:107], v104, s[2:3] scale_offset
	s_wait_loadcnt_dscnt 0x0
	scratch_store_b64 off, v[106:107], off offset:400
	s_cbranch_scc1 .LBB114_212
; %bb.4:
	v_cmp_eq_u32_e64 s0, 0, v0
	s_wait_xcnt 0x0
	s_and_saveexec_b32 s1, s0
; %bb.5:
	v_mov_b32_e32 v1, 0
	ds_store_b32 v1, v1 offset:408
; %bb.6:
	s_or_b32 exec_lo, exec_lo, s1
	s_wait_storecnt_dscnt 0x0
	s_barrier_signal -1
	s_barrier_wait -1
	scratch_load_b64 v[106:107], v0, off scale_offset
	s_mov_b32 s4, exec_lo
	s_wait_loadcnt 0x0
	v_cmpx_eq_f64_e32 0, v[106:107]
	s_cbranch_execz .LBB114_10
; %bb.7:
	v_mov_b32_e32 v1, 0
	s_mov_b32 s5, 0
	ds_load_b32 v3, v1 offset:408
	s_wait_dscnt 0x0
	v_readfirstlane_b32 s1, v3
	v_add_nc_u32_e32 v3, 1, v0
	s_cmp_eq_u32 s1, 0
	s_delay_alu instid0(VALU_DEP_1) | instskip(SKIP_1) | instid1(SALU_CYCLE_1)
	v_cmp_gt_i32_e32 vcc_lo, s1, v3
	s_cselect_b32 s13, -1, 0
	s_or_b32 s13, s13, vcc_lo
	s_delay_alu instid0(SALU_CYCLE_1)
	s_and_b32 exec_lo, exec_lo, s13
	s_cbranch_execz .LBB114_10
; %bb.8:
	v_mov_b32_e32 v9, s1
.LBB114_9:                              ; =>This Inner Loop Header: Depth=1
	ds_cmpstore_rtn_b32 v9, v1, v3, v9 offset:408
	s_wait_dscnt 0x0
	v_cmp_ne_u32_e32 vcc_lo, 0, v9
	v_cmp_le_i32_e64 s1, v9, v3
	s_and_b32 s1, vcc_lo, s1
	s_delay_alu instid0(SALU_CYCLE_1) | instskip(NEXT) | instid1(SALU_CYCLE_1)
	s_and_b32 s1, exec_lo, s1
	s_or_b32 s5, s1, s5
	s_delay_alu instid0(SALU_CYCLE_1)
	s_and_not1_b32 exec_lo, exec_lo, s5
	s_cbranch_execnz .LBB114_9
.LBB114_10:
	s_or_b32 exec_lo, exec_lo, s4
	v_mov_b32_e32 v1, 0
	s_barrier_signal -1
	s_barrier_wait -1
	ds_load_b32 v3, v1 offset:408
	s_and_saveexec_b32 s1, s0
	s_cbranch_execz .LBB114_12
; %bb.11:
	s_lshl_b64 s[4:5], s[10:11], 2
	s_delay_alu instid0(SALU_CYCLE_1)
	s_add_nc_u64 s[4:5], s[6:7], s[4:5]
	s_wait_dscnt 0x0
	global_store_b32 v1, v3, s[4:5]
.LBB114_12:
	s_wait_xcnt 0x0
	s_or_b32 exec_lo, exec_lo, s1
	s_wait_dscnt 0x0
	v_cmp_ne_u32_e32 vcc_lo, 0, v3
	s_mov_b32 s1, 0
	s_cbranch_vccnz .LBB114_212
; %bb.13:
	v_lshl_add_u32 v3, v0, 3, 0
	v_add_nc_u32_e32 v1, 0x1a0, v2
	scratch_load_b64 v[106:107], v3, off
	s_wait_loadcnt 0x0
	v_div_scale_f64 v[108:109], null, v[106:107], v[106:107], 1.0
	v_div_scale_f64 v[114:115], vcc_lo, 1.0, v[106:107], 1.0
	s_delay_alu instid0(VALU_DEP_2) | instskip(SKIP_1) | instid1(TRANS32_DEP_1)
	v_rcp_f64_e32 v[110:111], v[108:109]
	v_nop
	v_fma_f64 v[112:113], -v[108:109], v[110:111], 1.0
	s_delay_alu instid0(VALU_DEP_1) | instskip(NEXT) | instid1(VALU_DEP_1)
	v_fmac_f64_e32 v[110:111], v[110:111], v[112:113]
	v_fma_f64 v[112:113], -v[108:109], v[110:111], 1.0
	s_delay_alu instid0(VALU_DEP_1) | instskip(NEXT) | instid1(VALU_DEP_1)
	v_fmac_f64_e32 v[110:111], v[110:111], v[112:113]
	v_mul_f64_e32 v[112:113], v[114:115], v[110:111]
	s_delay_alu instid0(VALU_DEP_1) | instskip(NEXT) | instid1(VALU_DEP_1)
	v_fma_f64 v[108:109], -v[108:109], v[112:113], v[114:115]
	v_div_fmas_f64 v[108:109], v[108:109], v[110:111], v[112:113]
	s_delay_alu instid0(VALU_DEP_1)
	v_div_fixup_f64 v[106:107], v[108:109], v[106:107], 1.0
	scratch_store_b64 v3, v[106:107], off
	scratch_load_b64 v[108:109], off, off offset:8
	s_wait_xcnt 0x1
	v_xor_b32_e32 v107, 0x80000000, v107
	s_wait_loadcnt 0x0
	ds_store_2addr_b64 v2, v[106:107], v[108:109] offset1:52
	s_wait_storecnt_dscnt 0x0
	s_barrier_signal -1
	s_barrier_wait -1
	s_wait_xcnt 0x0
	s_and_saveexec_b32 s1, s0
	s_cbranch_execz .LBB114_15
; %bb.14:
	scratch_load_b64 v[106:107], v3, off
	ds_load_b64 v[108:109], v1
	s_wait_loadcnt_dscnt 0x0
	v_fma_f64 v[106:107], v[106:107], v[108:109], 0
	v_mov_b32_e32 v9, 0
	ds_load_b64 v[110:111], v9 offset:8
	s_wait_dscnt 0x0
	v_mul_f64_e32 v[106:107], v[106:107], v[110:111]
	scratch_store_b64 off, v[106:107], off offset:8
.LBB114_15:
	s_wait_xcnt 0x0
	s_or_b32 exec_lo, exec_lo, s1
	s_wait_storecnt 0x0
	s_barrier_signal -1
	s_barrier_wait -1
	scratch_load_b64 v[106:107], off, off offset:16
	s_mov_b32 s1, exec_lo
	s_wait_loadcnt 0x0
	ds_store_b64 v1, v[106:107]
	s_wait_dscnt 0x0
	s_barrier_signal -1
	s_barrier_wait -1
	v_cmpx_gt_u32_e32 2, v0
	s_cbranch_execz .LBB114_19
; %bb.16:
	scratch_load_b64 v[106:107], v3, off
	ds_load_b64 v[108:109], v1
	s_wait_loadcnt_dscnt 0x0
	v_fma_f64 v[106:107], v[106:107], v[108:109], 0
	s_and_saveexec_b32 s4, s0
	s_cbranch_execz .LBB114_18
; %bb.17:
	scratch_load_b64 v[108:109], off, off offset:8
	v_mov_b32_e32 v3, 0
	ds_load_b64 v[110:111], v3 offset:424
	s_wait_loadcnt_dscnt 0x0
	v_fmac_f64_e32 v[106:107], v[108:109], v[110:111]
.LBB114_18:
	s_or_b32 exec_lo, exec_lo, s4
	v_mov_b32_e32 v3, 0
	ds_load_b64 v[108:109], v3 offset:16
	s_wait_dscnt 0x0
	v_mul_f64_e32 v[106:107], v[106:107], v[108:109]
	scratch_store_b64 off, v[106:107], off offset:16
.LBB114_19:
	s_wait_xcnt 0x0
	s_or_b32 exec_lo, exec_lo, s1
	s_wait_storecnt 0x0
	s_barrier_signal -1
	s_barrier_wait -1
	scratch_load_b64 v[106:107], off, off offset:24
	v_add_nc_u32_e32 v3, -1, v0
	s_mov_b32 s0, exec_lo
	s_wait_loadcnt 0x0
	ds_store_b64 v1, v[106:107]
	s_wait_dscnt 0x0
	s_barrier_signal -1
	s_barrier_wait -1
	v_cmpx_gt_u32_e32 3, v0
	s_cbranch_execz .LBB114_23
; %bb.20:
	v_mov_b64_e32 v[106:107], 0
	v_dual_add_nc_u32 v9, -1, v0 :: v_dual_mov_b32 v13, v2
	v_add_nc_u32_e32 v11, 0x1a0, v2
	s_mov_b32 s1, 0
.LBB114_21:                             ; =>This Inner Loop Header: Depth=1
	scratch_load_b64 v[108:109], v13, off
	ds_load_b64 v[110:111], v11
	v_dual_add_nc_u32 v9, 1, v9 :: v_dual_add_nc_u32 v11, 8, v11
	s_wait_xcnt 0x0
	v_add_nc_u32_e32 v13, 8, v13
	s_delay_alu instid0(VALU_DEP_2)
	v_cmp_lt_u32_e32 vcc_lo, 1, v9
	s_or_b32 s1, vcc_lo, s1
	s_wait_loadcnt_dscnt 0x0
	v_fmac_f64_e32 v[106:107], v[108:109], v[110:111]
	s_and_not1_b32 exec_lo, exec_lo, s1
	s_cbranch_execnz .LBB114_21
; %bb.22:
	s_or_b32 exec_lo, exec_lo, s1
	v_mov_b32_e32 v9, 0
	ds_load_b64 v[108:109], v9 offset:24
	s_wait_dscnt 0x0
	v_mul_f64_e32 v[106:107], v[106:107], v[108:109]
	scratch_store_b64 off, v[106:107], off offset:24
.LBB114_23:
	s_wait_xcnt 0x0
	s_or_b32 exec_lo, exec_lo, s0
	s_wait_storecnt 0x0
	s_barrier_signal -1
	s_barrier_wait -1
	scratch_load_b64 v[106:107], off, off offset:32
	s_mov_b32 s0, exec_lo
	s_wait_loadcnt 0x0
	ds_store_b64 v1, v[106:107]
	s_wait_dscnt 0x0
	s_barrier_signal -1
	s_barrier_wait -1
	v_cmpx_gt_u32_e32 4, v0
	s_cbranch_execz .LBB114_27
; %bb.24:
	v_mov_b64_e32 v[106:107], 0
	v_dual_add_nc_u32 v9, -1, v0 :: v_dual_mov_b32 v13, v2
	v_add_nc_u32_e32 v11, 0x1a0, v2
	s_mov_b32 s1, 0
.LBB114_25:                             ; =>This Inner Loop Header: Depth=1
	scratch_load_b64 v[108:109], v13, off
	ds_load_b64 v[110:111], v11
	v_dual_add_nc_u32 v9, 1, v9 :: v_dual_add_nc_u32 v11, 8, v11
	s_wait_xcnt 0x0
	v_add_nc_u32_e32 v13, 8, v13
	s_delay_alu instid0(VALU_DEP_2)
	v_cmp_lt_u32_e32 vcc_lo, 2, v9
	s_or_b32 s1, vcc_lo, s1
	s_wait_loadcnt_dscnt 0x0
	v_fmac_f64_e32 v[106:107], v[108:109], v[110:111]
	s_and_not1_b32 exec_lo, exec_lo, s1
	s_cbranch_execnz .LBB114_25
; %bb.26:
	s_or_b32 exec_lo, exec_lo, s1
	v_mov_b32_e32 v9, 0
	ds_load_b64 v[108:109], v9 offset:32
	s_wait_dscnt 0x0
	v_mul_f64_e32 v[106:107], v[106:107], v[108:109]
	scratch_store_b64 off, v[106:107], off offset:32
.LBB114_27:
	s_wait_xcnt 0x0
	s_or_b32 exec_lo, exec_lo, s0
	s_wait_storecnt 0x0
	s_barrier_signal -1
	s_barrier_wait -1
	scratch_load_b64 v[106:107], off, off offset:40
	;; [unrolled: 40-line block ×20, first 2 shown]
	s_mov_b32 s0, exec_lo
	s_wait_loadcnt 0x0
	ds_store_b64 v1, v[106:107]
	s_wait_dscnt 0x0
	s_barrier_signal -1
	s_barrier_wait -1
	v_cmpx_gt_u32_e32 23, v0
	s_cbranch_execz .LBB114_103
; %bb.100:
	v_mov_b64_e32 v[106:107], 0
	v_dual_add_nc_u32 v9, -1, v0 :: v_dual_mov_b32 v13, v2
	v_add_nc_u32_e32 v11, 0x1a0, v2
	s_mov_b32 s1, 0
.LBB114_101:                            ; =>This Inner Loop Header: Depth=1
	scratch_load_b64 v[108:109], v13, off
	ds_load_b64 v[110:111], v11
	v_dual_add_nc_u32 v9, 1, v9 :: v_dual_add_nc_u32 v11, 8, v11
	s_wait_xcnt 0x0
	v_add_nc_u32_e32 v13, 8, v13
	s_delay_alu instid0(VALU_DEP_2)
	v_cmp_lt_u32_e32 vcc_lo, 21, v9
	s_or_b32 s1, vcc_lo, s1
	s_wait_loadcnt_dscnt 0x0
	v_fmac_f64_e32 v[106:107], v[108:109], v[110:111]
	s_and_not1_b32 exec_lo, exec_lo, s1
	s_cbranch_execnz .LBB114_101
; %bb.102:
	s_or_b32 exec_lo, exec_lo, s1
	v_mov_b32_e32 v9, 0
	ds_load_b64 v[108:109], v9 offset:184
	s_wait_dscnt 0x0
	v_mul_f64_e32 v[106:107], v[106:107], v[108:109]
	scratch_store_b64 off, v[106:107], off offset:184
.LBB114_103:
	s_wait_xcnt 0x0
	s_or_b32 exec_lo, exec_lo, s0
	s_wait_storecnt 0x0
	s_barrier_signal -1
	s_barrier_wait -1
	scratch_load_b64 v[106:107], off, off offset:192
	s_mov_b32 s0, exec_lo
	s_wait_loadcnt 0x0
	ds_store_b64 v1, v[106:107]
	s_wait_dscnt 0x0
	s_barrier_signal -1
	s_barrier_wait -1
	v_cmpx_gt_u32_e32 24, v0
	s_cbranch_execz .LBB114_107
; %bb.104:
	v_mov_b64_e32 v[106:107], 0
	v_dual_add_nc_u32 v9, -1, v0 :: v_dual_mov_b32 v13, v2
	v_add_nc_u32_e32 v11, 0x1a0, v2
	s_mov_b32 s1, 0
.LBB114_105:                            ; =>This Inner Loop Header: Depth=1
	scratch_load_b64 v[108:109], v13, off
	ds_load_b64 v[110:111], v11
	v_dual_add_nc_u32 v9, 1, v9 :: v_dual_add_nc_u32 v11, 8, v11
	s_wait_xcnt 0x0
	v_add_nc_u32_e32 v13, 8, v13
	s_delay_alu instid0(VALU_DEP_2)
	v_cmp_lt_u32_e32 vcc_lo, 22, v9
	s_or_b32 s1, vcc_lo, s1
	s_wait_loadcnt_dscnt 0x0
	v_fmac_f64_e32 v[106:107], v[108:109], v[110:111]
	s_and_not1_b32 exec_lo, exec_lo, s1
	s_cbranch_execnz .LBB114_105
; %bb.106:
	s_or_b32 exec_lo, exec_lo, s1
	v_mov_b32_e32 v9, 0
	ds_load_b64 v[108:109], v9 offset:192
	s_wait_dscnt 0x0
	v_mul_f64_e32 v[106:107], v[106:107], v[108:109]
	scratch_store_b64 off, v[106:107], off offset:192
.LBB114_107:
	s_wait_xcnt 0x0
	s_or_b32 exec_lo, exec_lo, s0
	s_wait_storecnt 0x0
	s_barrier_signal -1
	s_barrier_wait -1
	scratch_load_b64 v[106:107], off, off offset:200
	;; [unrolled: 40-line block ×27, first 2 shown]
	s_mov_b32 s0, exec_lo
	s_wait_loadcnt 0x0
	ds_store_b64 v1, v[106:107]
	s_wait_dscnt 0x0
	s_barrier_signal -1
	s_barrier_wait -1
	v_cmpx_ne_u32_e32 50, v0
	s_cbranch_execz .LBB114_211
; %bb.208:
	v_mov_b64_e32 v[106:107], 0
	s_mov_b32 s1, 0
.LBB114_209:                            ; =>This Inner Loop Header: Depth=1
	scratch_load_b64 v[108:109], v2, off
	ds_load_b64 v[110:111], v1
	v_dual_add_nc_u32 v3, 1, v3 :: v_dual_add_nc_u32 v1, 8, v1
	s_wait_xcnt 0x0
	v_add_nc_u32_e32 v2, 8, v2
	s_delay_alu instid0(VALU_DEP_2)
	v_cmp_lt_u32_e32 vcc_lo, 48, v3
	s_or_b32 s1, vcc_lo, s1
	s_wait_loadcnt_dscnt 0x0
	v_fmac_f64_e32 v[106:107], v[108:109], v[110:111]
	s_and_not1_b32 exec_lo, exec_lo, s1
	s_cbranch_execnz .LBB114_209
; %bb.210:
	s_or_b32 exec_lo, exec_lo, s1
	v_mov_b32_e32 v1, 0
	ds_load_b64 v[2:3], v1 offset:400
	s_wait_dscnt 0x0
	v_mul_f64_e32 v[2:3], v[106:107], v[2:3]
	scratch_store_b64 off, v[2:3], off offset:400
.LBB114_211:
	s_wait_xcnt 0x0
	s_or_b32 exec_lo, exec_lo, s0
	s_mov_b32 s1, -1
	s_wait_storecnt 0x0
	s_barrier_signal -1
	s_barrier_wait -1
.LBB114_212:
	s_and_b32 vcc_lo, exec_lo, s1
	s_cbranch_vccz .LBB114_214
; %bb.213:
	v_mov_b32_e32 v1, 0
	s_lshl_b64 s[0:1], s[10:11], 2
	s_delay_alu instid0(SALU_CYCLE_1)
	s_add_nc_u64 s[0:1], s[6:7], s[0:1]
	global_load_b32 v1, v1, s[0:1]
	s_wait_loadcnt 0x0
	v_cmp_ne_u32_e32 vcc_lo, 0, v1
	s_cbranch_vccz .LBB114_215
.LBB114_214:
	s_sendmsg sendmsg(MSG_DEALLOC_VGPRS)
	s_endpgm
.LBB114_215:
	s_wait_xcnt 0x0
	v_lshl_add_u32 v1, v0, 3, 0x1a0
	s_mov_b32 s0, exec_lo
	v_cmpx_eq_u32_e32 50, v0
	s_cbranch_execz .LBB114_217
; %bb.216:
	scratch_load_b64 v[2:3], off, off offset:392
	v_mov_b64_e32 v[106:107], 0
	scratch_store_b64 off, v[106:107], off offset:392
	s_wait_loadcnt 0x0
	ds_store_b64 v1, v[2:3]
.LBB114_217:
	s_wait_xcnt 0x0
	s_or_b32 exec_lo, exec_lo, s0
	s_wait_storecnt_dscnt 0x0
	s_barrier_signal -1
	s_barrier_wait -1
	scratch_load_b128 v[106:109], off, off offset:392
	v_mov_b32_e32 v2, 0
	s_mov_b32 s0, exec_lo
	ds_load_b64 v[110:111], v2 offset:816
	s_wait_loadcnt_dscnt 0x0
	v_fma_f64 v[108:109], v[108:109], v[110:111], 0
	s_delay_alu instid0(VALU_DEP_1)
	v_add_f64_e64 v[106:107], v[106:107], -v[108:109]
	scratch_store_b64 off, v[106:107], off offset:392
	s_wait_xcnt 0x0
	v_cmpx_lt_u32_e32 48, v0
	s_cbranch_execz .LBB114_219
; %bb.218:
	scratch_load_b64 v[106:107], off, off offset:384
	v_mov_b64_e32 v[108:109], 0
	scratch_store_b64 off, v[108:109], off offset:384
	s_wait_loadcnt 0x0
	ds_store_b64 v1, v[106:107]
.LBB114_219:
	s_wait_xcnt 0x0
	s_or_b32 exec_lo, exec_lo, s0
	s_wait_storecnt_dscnt 0x0
	s_barrier_signal -1
	s_barrier_wait -1
	s_clause 0x1
	scratch_load_b128 v[106:109], off, off offset:384
	scratch_load_b64 v[114:115], off, off offset:400
	ds_load_2addr_b64 v[110:113], v2 offset0:101 offset1:102
	s_mov_b32 s0, exec_lo
	s_wait_loadcnt_dscnt 0x100
	v_fma_f64 v[2:3], v[108:109], v[110:111], 0
	s_wait_loadcnt 0x0
	s_delay_alu instid0(VALU_DEP_1) | instskip(NEXT) | instid1(VALU_DEP_1)
	v_fmac_f64_e32 v[2:3], v[114:115], v[112:113]
	v_add_f64_e64 v[2:3], v[106:107], -v[2:3]
	scratch_store_b64 off, v[2:3], off offset:384
	s_wait_xcnt 0x0
	v_cmpx_lt_u32_e32 47, v0
	s_cbranch_execz .LBB114_221
; %bb.220:
	scratch_load_b64 v[2:3], off, off offset:376
	v_mov_b64_e32 v[106:107], 0
	scratch_store_b64 off, v[106:107], off offset:376
	s_wait_loadcnt 0x0
	ds_store_b64 v1, v[2:3]
.LBB114_221:
	s_wait_xcnt 0x0
	s_or_b32 exec_lo, exec_lo, s0
	s_wait_storecnt_dscnt 0x0
	s_barrier_signal -1
	s_barrier_wait -1
	s_clause 0x1
	scratch_load_b128 v[106:109], off, off offset:376
	scratch_load_b128 v[110:113], off, off offset:392
	v_mov_b32_e32 v2, 0
	ds_load_b128 v[114:117], v2 offset:800
	ds_load_b64 v[118:119], v2 offset:816
	s_mov_b32 s0, exec_lo
	s_wait_loadcnt_dscnt 0x101
	v_fma_f64 v[108:109], v[108:109], v[114:115], 0
	s_wait_loadcnt 0x0
	s_delay_alu instid0(VALU_DEP_1) | instskip(SKIP_1) | instid1(VALU_DEP_1)
	v_fmac_f64_e32 v[108:109], v[110:111], v[116:117]
	s_wait_dscnt 0x0
	v_fmac_f64_e32 v[108:109], v[112:113], v[118:119]
	s_delay_alu instid0(VALU_DEP_1)
	v_add_f64_e64 v[106:107], v[106:107], -v[108:109]
	scratch_store_b64 off, v[106:107], off offset:376
	s_wait_xcnt 0x0
	v_cmpx_lt_u32_e32 46, v0
	s_cbranch_execz .LBB114_223
; %bb.222:
	scratch_load_b64 v[106:107], off, off offset:368
	v_mov_b64_e32 v[108:109], 0
	scratch_store_b64 off, v[108:109], off offset:368
	s_wait_loadcnt 0x0
	ds_store_b64 v1, v[106:107]
.LBB114_223:
	s_wait_xcnt 0x0
	s_or_b32 exec_lo, exec_lo, s0
	s_wait_storecnt_dscnt 0x0
	s_barrier_signal -1
	s_barrier_wait -1
	s_clause 0x2
	scratch_load_b128 v[106:109], off, off offset:368
	scratch_load_b128 v[110:113], off, off offset:384
	scratch_load_b64 v[122:123], off, off offset:400
	ds_load_2addr_b64 v[114:117], v2 offset0:99 offset1:100
	ds_load_2addr_b64 v[118:121], v2 offset0:101 offset1:102
	s_mov_b32 s0, exec_lo
	s_wait_loadcnt_dscnt 0x201
	v_fma_f64 v[2:3], v[108:109], v[114:115], 0
	s_wait_loadcnt 0x1
	s_delay_alu instid0(VALU_DEP_1) | instskip(SKIP_1) | instid1(VALU_DEP_1)
	v_fmac_f64_e32 v[2:3], v[110:111], v[116:117]
	s_wait_dscnt 0x0
	v_fmac_f64_e32 v[2:3], v[112:113], v[118:119]
	s_wait_loadcnt 0x0
	s_delay_alu instid0(VALU_DEP_1) | instskip(NEXT) | instid1(VALU_DEP_1)
	v_fmac_f64_e32 v[2:3], v[122:123], v[120:121]
	v_add_f64_e64 v[2:3], v[106:107], -v[2:3]
	scratch_store_b64 off, v[2:3], off offset:368
	s_wait_xcnt 0x0
	v_cmpx_lt_u32_e32 45, v0
	s_cbranch_execz .LBB114_225
; %bb.224:
	scratch_load_b64 v[2:3], off, off offset:360
	v_mov_b64_e32 v[106:107], 0
	scratch_store_b64 off, v[106:107], off offset:360
	s_wait_loadcnt 0x0
	ds_store_b64 v1, v[2:3]
.LBB114_225:
	s_wait_xcnt 0x0
	s_or_b32 exec_lo, exec_lo, s0
	s_wait_storecnt_dscnt 0x0
	s_barrier_signal -1
	s_barrier_wait -1
	s_clause 0x2
	scratch_load_b128 v[106:109], off, off offset:360
	scratch_load_b128 v[110:113], off, off offset:376
	;; [unrolled: 1-line block ×3, first 2 shown]
	v_mov_b32_e32 v2, 0
	ds_load_b128 v[118:121], v2 offset:784
	ds_load_b128 v[122:125], v2 offset:800
	s_mov_b32 s0, exec_lo
	s_wait_loadcnt_dscnt 0x201
	v_fma_f64 v[108:109], v[108:109], v[118:119], 0
	s_wait_loadcnt 0x1
	s_delay_alu instid0(VALU_DEP_1) | instskip(SKIP_4) | instid1(VALU_DEP_1)
	v_fmac_f64_e32 v[108:109], v[110:111], v[120:121]
	ds_load_b64 v[110:111], v2 offset:816
	s_wait_dscnt 0x1
	v_fmac_f64_e32 v[108:109], v[112:113], v[122:123]
	s_wait_loadcnt 0x0
	v_fmac_f64_e32 v[108:109], v[114:115], v[124:125]
	s_wait_dscnt 0x0
	s_delay_alu instid0(VALU_DEP_1) | instskip(NEXT) | instid1(VALU_DEP_1)
	v_fmac_f64_e32 v[108:109], v[116:117], v[110:111]
	v_add_f64_e64 v[106:107], v[106:107], -v[108:109]
	scratch_store_b64 off, v[106:107], off offset:360
	s_wait_xcnt 0x0
	v_cmpx_lt_u32_e32 44, v0
	s_cbranch_execz .LBB114_227
; %bb.226:
	scratch_load_b64 v[106:107], off, off offset:352
	v_mov_b64_e32 v[108:109], 0
	scratch_store_b64 off, v[108:109], off offset:352
	s_wait_loadcnt 0x0
	ds_store_b64 v1, v[106:107]
.LBB114_227:
	s_wait_xcnt 0x0
	s_or_b32 exec_lo, exec_lo, s0
	s_wait_storecnt_dscnt 0x0
	s_barrier_signal -1
	s_barrier_wait -1
	s_clause 0x3
	scratch_load_b128 v[106:109], off, off offset:352
	scratch_load_b128 v[110:113], off, off offset:368
	;; [unrolled: 1-line block ×3, first 2 shown]
	scratch_load_b64 v[126:127], off, off offset:400
	ds_load_2addr_b64 v[118:121], v2 offset0:97 offset1:98
	ds_load_2addr_b64 v[122:125], v2 offset0:99 offset1:100
	s_mov_b32 s0, exec_lo
	s_wait_loadcnt_dscnt 0x301
	v_fma_f64 v[118:119], v[108:109], v[118:119], 0
	s_wait_loadcnt 0x2
	s_delay_alu instid0(VALU_DEP_1) | instskip(SKIP_4) | instid1(VALU_DEP_1)
	v_fmac_f64_e32 v[118:119], v[110:111], v[120:121]
	ds_load_2addr_b64 v[108:111], v2 offset0:101 offset1:102
	s_wait_dscnt 0x1
	v_fmac_f64_e32 v[118:119], v[112:113], v[122:123]
	s_wait_loadcnt 0x1
	v_fmac_f64_e32 v[118:119], v[114:115], v[124:125]
	s_wait_dscnt 0x0
	s_delay_alu instid0(VALU_DEP_1) | instskip(SKIP_1) | instid1(VALU_DEP_1)
	v_fmac_f64_e32 v[118:119], v[116:117], v[108:109]
	s_wait_loadcnt 0x0
	v_fmac_f64_e32 v[118:119], v[126:127], v[110:111]
	s_delay_alu instid0(VALU_DEP_1)
	v_add_f64_e64 v[2:3], v[106:107], -v[118:119]
	scratch_store_b64 off, v[2:3], off offset:352
	s_wait_xcnt 0x0
	v_cmpx_lt_u32_e32 43, v0
	s_cbranch_execz .LBB114_229
; %bb.228:
	scratch_load_b64 v[2:3], off, off offset:344
	v_mov_b64_e32 v[106:107], 0
	scratch_store_b64 off, v[106:107], off offset:344
	s_wait_loadcnt 0x0
	ds_store_b64 v1, v[2:3]
.LBB114_229:
	s_wait_xcnt 0x0
	s_or_b32 exec_lo, exec_lo, s0
	s_wait_storecnt_dscnt 0x0
	s_barrier_signal -1
	s_barrier_wait -1
	s_clause 0x3
	scratch_load_b128 v[106:109], off, off offset:344
	scratch_load_b128 v[110:113], off, off offset:360
	;; [unrolled: 1-line block ×4, first 2 shown]
	v_mov_b32_e32 v2, 0
	ds_load_b128 v[122:125], v2 offset:768
	ds_load_b128 v[126:129], v2 offset:784
	s_mov_b32 s0, exec_lo
	s_wait_loadcnt_dscnt 0x301
	v_fma_f64 v[122:123], v[108:109], v[122:123], 0
	s_wait_loadcnt 0x2
	s_delay_alu instid0(VALU_DEP_1) | instskip(SKIP_1) | instid1(VALU_DEP_1)
	v_fmac_f64_e32 v[122:123], v[110:111], v[124:125]
	s_wait_dscnt 0x0
	v_fmac_f64_e32 v[122:123], v[112:113], v[126:127]
	ds_load_b128 v[108:111], v2 offset:800
	ds_load_b64 v[112:113], v2 offset:816
	s_wait_loadcnt 0x1
	v_fmac_f64_e32 v[122:123], v[114:115], v[128:129]
	s_wait_dscnt 0x1
	s_delay_alu instid0(VALU_DEP_1) | instskip(SKIP_1) | instid1(VALU_DEP_1)
	v_fmac_f64_e32 v[122:123], v[116:117], v[108:109]
	s_wait_loadcnt 0x0
	v_fmac_f64_e32 v[122:123], v[118:119], v[110:111]
	s_wait_dscnt 0x0
	s_delay_alu instid0(VALU_DEP_1) | instskip(NEXT) | instid1(VALU_DEP_1)
	v_fmac_f64_e32 v[122:123], v[120:121], v[112:113]
	v_add_f64_e64 v[106:107], v[106:107], -v[122:123]
	scratch_store_b64 off, v[106:107], off offset:344
	s_wait_xcnt 0x0
	v_cmpx_lt_u32_e32 42, v0
	s_cbranch_execz .LBB114_231
; %bb.230:
	scratch_load_b64 v[106:107], off, off offset:336
	v_mov_b64_e32 v[108:109], 0
	scratch_store_b64 off, v[108:109], off offset:336
	s_wait_loadcnt 0x0
	ds_store_b64 v1, v[106:107]
.LBB114_231:
	s_wait_xcnt 0x0
	s_or_b32 exec_lo, exec_lo, s0
	s_wait_storecnt_dscnt 0x0
	s_barrier_signal -1
	s_barrier_wait -1
	s_clause 0x4
	scratch_load_b128 v[106:109], off, off offset:336
	scratch_load_b128 v[110:113], off, off offset:352
	;; [unrolled: 1-line block ×4, first 2 shown]
	scratch_load_b64 v[130:131], off, off offset:400
	ds_load_2addr_b64 v[122:125], v2 offset0:95 offset1:96
	ds_load_2addr_b64 v[126:129], v2 offset0:97 offset1:98
	s_mov_b32 s0, exec_lo
	s_wait_loadcnt_dscnt 0x401
	v_fma_f64 v[122:123], v[108:109], v[122:123], 0
	s_wait_loadcnt 0x3
	s_delay_alu instid0(VALU_DEP_1) | instskip(SKIP_1) | instid1(VALU_DEP_1)
	v_fmac_f64_e32 v[122:123], v[110:111], v[124:125]
	s_wait_dscnt 0x0
	v_fmac_f64_e32 v[122:123], v[112:113], v[126:127]
	s_wait_loadcnt 0x2
	s_delay_alu instid0(VALU_DEP_1)
	v_fmac_f64_e32 v[122:123], v[114:115], v[128:129]
	ds_load_2addr_b64 v[108:111], v2 offset0:99 offset1:100
	ds_load_2addr_b64 v[112:115], v2 offset0:101 offset1:102
	s_wait_dscnt 0x1
	v_fmac_f64_e32 v[122:123], v[116:117], v[108:109]
	s_wait_loadcnt 0x1
	s_delay_alu instid0(VALU_DEP_1) | instskip(SKIP_1) | instid1(VALU_DEP_1)
	v_fmac_f64_e32 v[122:123], v[118:119], v[110:111]
	s_wait_dscnt 0x0
	v_fmac_f64_e32 v[122:123], v[120:121], v[112:113]
	s_wait_loadcnt 0x0
	s_delay_alu instid0(VALU_DEP_1) | instskip(NEXT) | instid1(VALU_DEP_1)
	v_fmac_f64_e32 v[122:123], v[130:131], v[114:115]
	v_add_f64_e64 v[2:3], v[106:107], -v[122:123]
	scratch_store_b64 off, v[2:3], off offset:336
	s_wait_xcnt 0x0
	v_cmpx_lt_u32_e32 41, v0
	s_cbranch_execz .LBB114_233
; %bb.232:
	scratch_load_b64 v[2:3], off, off offset:328
	v_mov_b64_e32 v[106:107], 0
	scratch_store_b64 off, v[106:107], off offset:328
	s_wait_loadcnt 0x0
	ds_store_b64 v1, v[2:3]
.LBB114_233:
	s_wait_xcnt 0x0
	s_or_b32 exec_lo, exec_lo, s0
	s_wait_storecnt_dscnt 0x0
	s_barrier_signal -1
	s_barrier_wait -1
	s_clause 0x4
	scratch_load_b128 v[106:109], off, off offset:328
	scratch_load_b128 v[110:113], off, off offset:344
	;; [unrolled: 1-line block ×5, first 2 shown]
	v_mov_b32_e32 v2, 0
	ds_load_b128 v[126:129], v2 offset:752
	ds_load_b128 v[130:133], v2 offset:768
	s_mov_b32 s0, exec_lo
	s_wait_loadcnt_dscnt 0x401
	v_fma_f64 v[126:127], v[108:109], v[126:127], 0
	s_wait_loadcnt 0x3
	s_delay_alu instid0(VALU_DEP_1) | instskip(SKIP_1) | instid1(VALU_DEP_1)
	v_fmac_f64_e32 v[126:127], v[110:111], v[128:129]
	s_wait_dscnt 0x0
	v_fmac_f64_e32 v[126:127], v[112:113], v[130:131]
	s_wait_loadcnt 0x2
	s_delay_alu instid0(VALU_DEP_1)
	v_fmac_f64_e32 v[126:127], v[114:115], v[132:133]
	ds_load_b128 v[108:111], v2 offset:784
	ds_load_b128 v[112:115], v2 offset:800
	s_wait_dscnt 0x1
	v_fmac_f64_e32 v[126:127], v[116:117], v[108:109]
	ds_load_b64 v[108:109], v2 offset:816
	s_wait_loadcnt 0x1
	v_fmac_f64_e32 v[126:127], v[118:119], v[110:111]
	s_wait_dscnt 0x1
	s_delay_alu instid0(VALU_DEP_1) | instskip(SKIP_1) | instid1(VALU_DEP_1)
	v_fmac_f64_e32 v[126:127], v[120:121], v[112:113]
	s_wait_loadcnt 0x0
	v_fmac_f64_e32 v[126:127], v[122:123], v[114:115]
	s_wait_dscnt 0x0
	s_delay_alu instid0(VALU_DEP_1) | instskip(NEXT) | instid1(VALU_DEP_1)
	v_fmac_f64_e32 v[126:127], v[124:125], v[108:109]
	v_add_f64_e64 v[106:107], v[106:107], -v[126:127]
	scratch_store_b64 off, v[106:107], off offset:328
	s_wait_xcnt 0x0
	v_cmpx_lt_u32_e32 40, v0
	s_cbranch_execz .LBB114_235
; %bb.234:
	scratch_load_b64 v[106:107], off, off offset:320
	v_mov_b64_e32 v[108:109], 0
	scratch_store_b64 off, v[108:109], off offset:320
	s_wait_loadcnt 0x0
	ds_store_b64 v1, v[106:107]
.LBB114_235:
	s_wait_xcnt 0x0
	s_or_b32 exec_lo, exec_lo, s0
	s_wait_storecnt_dscnt 0x0
	s_barrier_signal -1
	s_barrier_wait -1
	s_clause 0x5
	scratch_load_b128 v[106:109], off, off offset:320
	scratch_load_b128 v[110:113], off, off offset:336
	;; [unrolled: 1-line block ×5, first 2 shown]
	scratch_load_b64 v[134:135], off, off offset:400
	ds_load_2addr_b64 v[126:129], v2 offset0:93 offset1:94
	ds_load_2addr_b64 v[130:133], v2 offset0:95 offset1:96
	s_mov_b32 s0, exec_lo
	s_wait_loadcnt_dscnt 0x501
	v_fma_f64 v[126:127], v[108:109], v[126:127], 0
	s_wait_loadcnt 0x4
	s_delay_alu instid0(VALU_DEP_1) | instskip(SKIP_1) | instid1(VALU_DEP_1)
	v_fmac_f64_e32 v[126:127], v[110:111], v[128:129]
	s_wait_dscnt 0x0
	v_fmac_f64_e32 v[126:127], v[112:113], v[130:131]
	s_wait_loadcnt 0x3
	s_delay_alu instid0(VALU_DEP_1)
	v_fmac_f64_e32 v[126:127], v[114:115], v[132:133]
	ds_load_2addr_b64 v[108:111], v2 offset0:97 offset1:98
	ds_load_2addr_b64 v[112:115], v2 offset0:99 offset1:100
	s_wait_dscnt 0x1
	v_fmac_f64_e32 v[126:127], v[116:117], v[108:109]
	s_wait_loadcnt 0x2
	s_delay_alu instid0(VALU_DEP_1) | instskip(SKIP_4) | instid1(VALU_DEP_1)
	v_fmac_f64_e32 v[126:127], v[118:119], v[110:111]
	ds_load_2addr_b64 v[108:111], v2 offset0:101 offset1:102
	s_wait_dscnt 0x1
	v_fmac_f64_e32 v[126:127], v[120:121], v[112:113]
	s_wait_loadcnt 0x1
	v_fmac_f64_e32 v[126:127], v[122:123], v[114:115]
	s_wait_dscnt 0x0
	s_delay_alu instid0(VALU_DEP_1) | instskip(SKIP_1) | instid1(VALU_DEP_1)
	v_fmac_f64_e32 v[126:127], v[124:125], v[108:109]
	s_wait_loadcnt 0x0
	v_fmac_f64_e32 v[126:127], v[134:135], v[110:111]
	s_delay_alu instid0(VALU_DEP_1)
	v_add_f64_e64 v[2:3], v[106:107], -v[126:127]
	scratch_store_b64 off, v[2:3], off offset:320
	s_wait_xcnt 0x0
	v_cmpx_lt_u32_e32 39, v0
	s_cbranch_execz .LBB114_237
; %bb.236:
	scratch_load_b64 v[2:3], off, off offset:312
	v_mov_b64_e32 v[106:107], 0
	scratch_store_b64 off, v[106:107], off offset:312
	s_wait_loadcnt 0x0
	ds_store_b64 v1, v[2:3]
.LBB114_237:
	s_wait_xcnt 0x0
	s_or_b32 exec_lo, exec_lo, s0
	s_wait_storecnt_dscnt 0x0
	s_barrier_signal -1
	s_barrier_wait -1
	s_clause 0x5
	scratch_load_b128 v[106:109], off, off offset:312
	scratch_load_b128 v[110:113], off, off offset:328
	;; [unrolled: 1-line block ×6, first 2 shown]
	v_mov_b32_e32 v2, 0
	ds_load_b128 v[130:133], v2 offset:736
	ds_load_b128 v[134:137], v2 offset:752
	s_mov_b32 s0, exec_lo
	s_wait_loadcnt_dscnt 0x501
	v_fma_f64 v[130:131], v[108:109], v[130:131], 0
	s_wait_loadcnt 0x4
	s_delay_alu instid0(VALU_DEP_1) | instskip(SKIP_1) | instid1(VALU_DEP_1)
	v_fmac_f64_e32 v[130:131], v[110:111], v[132:133]
	s_wait_dscnt 0x0
	v_fmac_f64_e32 v[130:131], v[112:113], v[134:135]
	s_wait_loadcnt 0x3
	s_delay_alu instid0(VALU_DEP_1)
	v_fmac_f64_e32 v[130:131], v[114:115], v[136:137]
	ds_load_b128 v[108:111], v2 offset:768
	ds_load_b128 v[112:115], v2 offset:784
	s_wait_dscnt 0x1
	v_fmac_f64_e32 v[130:131], v[116:117], v[108:109]
	s_wait_loadcnt 0x2
	s_delay_alu instid0(VALU_DEP_1) | instskip(SKIP_1) | instid1(VALU_DEP_1)
	v_fmac_f64_e32 v[130:131], v[118:119], v[110:111]
	s_wait_dscnt 0x0
	v_fmac_f64_e32 v[130:131], v[120:121], v[112:113]
	ds_load_b128 v[108:111], v2 offset:800
	ds_load_b64 v[112:113], v2 offset:816
	s_wait_loadcnt 0x1
	v_fmac_f64_e32 v[130:131], v[122:123], v[114:115]
	s_wait_dscnt 0x1
	s_delay_alu instid0(VALU_DEP_1) | instskip(SKIP_1) | instid1(VALU_DEP_1)
	v_fmac_f64_e32 v[130:131], v[124:125], v[108:109]
	s_wait_loadcnt 0x0
	v_fmac_f64_e32 v[130:131], v[126:127], v[110:111]
	s_wait_dscnt 0x0
	s_delay_alu instid0(VALU_DEP_1) | instskip(NEXT) | instid1(VALU_DEP_1)
	v_fmac_f64_e32 v[130:131], v[128:129], v[112:113]
	v_add_f64_e64 v[106:107], v[106:107], -v[130:131]
	scratch_store_b64 off, v[106:107], off offset:312
	s_wait_xcnt 0x0
	v_cmpx_lt_u32_e32 38, v0
	s_cbranch_execz .LBB114_239
; %bb.238:
	scratch_load_b64 v[106:107], off, off offset:304
	v_mov_b64_e32 v[108:109], 0
	scratch_store_b64 off, v[108:109], off offset:304
	s_wait_loadcnt 0x0
	ds_store_b64 v1, v[106:107]
.LBB114_239:
	s_wait_xcnt 0x0
	s_or_b32 exec_lo, exec_lo, s0
	s_wait_storecnt_dscnt 0x0
	s_barrier_signal -1
	s_barrier_wait -1
	s_clause 0x5
	scratch_load_b128 v[106:109], off, off offset:304
	scratch_load_b128 v[110:113], off, off offset:320
	;; [unrolled: 1-line block ×6, first 2 shown]
	ds_load_2addr_b64 v[130:133], v2 offset0:91 offset1:92
	ds_load_2addr_b64 v[134:137], v2 offset0:93 offset1:94
	s_mov_b32 s0, exec_lo
	s_wait_loadcnt_dscnt 0x501
	v_fma_f64 v[130:131], v[108:109], v[130:131], 0
	s_wait_loadcnt 0x4
	s_delay_alu instid0(VALU_DEP_1) | instskip(SKIP_4) | instid1(VALU_DEP_1)
	v_fmac_f64_e32 v[130:131], v[110:111], v[132:133]
	scratch_load_b64 v[132:133], off, off offset:400
	s_wait_dscnt 0x0
	v_fmac_f64_e32 v[130:131], v[112:113], v[134:135]
	s_wait_loadcnt 0x4
	v_fmac_f64_e32 v[130:131], v[114:115], v[136:137]
	ds_load_2addr_b64 v[108:111], v2 offset0:95 offset1:96
	ds_load_2addr_b64 v[112:115], v2 offset0:97 offset1:98
	s_wait_dscnt 0x1
	v_fmac_f64_e32 v[130:131], v[116:117], v[108:109]
	s_wait_loadcnt 0x3
	s_delay_alu instid0(VALU_DEP_1) | instskip(SKIP_1) | instid1(VALU_DEP_1)
	v_fmac_f64_e32 v[130:131], v[118:119], v[110:111]
	s_wait_dscnt 0x0
	v_fmac_f64_e32 v[130:131], v[120:121], v[112:113]
	s_wait_loadcnt 0x2
	s_delay_alu instid0(VALU_DEP_1)
	v_fmac_f64_e32 v[130:131], v[122:123], v[114:115]
	ds_load_2addr_b64 v[108:111], v2 offset0:99 offset1:100
	ds_load_2addr_b64 v[112:115], v2 offset0:101 offset1:102
	s_wait_dscnt 0x1
	v_fmac_f64_e32 v[130:131], v[124:125], v[108:109]
	s_wait_loadcnt 0x1
	s_delay_alu instid0(VALU_DEP_1) | instskip(SKIP_1) | instid1(VALU_DEP_1)
	v_fmac_f64_e32 v[130:131], v[126:127], v[110:111]
	s_wait_dscnt 0x0
	v_fmac_f64_e32 v[130:131], v[128:129], v[112:113]
	s_wait_loadcnt 0x0
	s_delay_alu instid0(VALU_DEP_1) | instskip(NEXT) | instid1(VALU_DEP_1)
	v_fmac_f64_e32 v[130:131], v[132:133], v[114:115]
	v_add_f64_e64 v[2:3], v[106:107], -v[130:131]
	scratch_store_b64 off, v[2:3], off offset:304
	s_wait_xcnt 0x0
	v_cmpx_lt_u32_e32 37, v0
	s_cbranch_execz .LBB114_241
; %bb.240:
	scratch_load_b64 v[2:3], off, off offset:296
	v_mov_b64_e32 v[106:107], 0
	scratch_store_b64 off, v[106:107], off offset:296
	s_wait_loadcnt 0x0
	ds_store_b64 v1, v[2:3]
.LBB114_241:
	s_wait_xcnt 0x0
	s_or_b32 exec_lo, exec_lo, s0
	s_wait_storecnt_dscnt 0x0
	s_barrier_signal -1
	s_barrier_wait -1
	s_clause 0x5
	scratch_load_b128 v[106:109], off, off offset:296
	scratch_load_b128 v[110:113], off, off offset:312
	;; [unrolled: 1-line block ×6, first 2 shown]
	v_mov_b32_e32 v2, 0
	ds_load_b128 v[130:133], v2 offset:720
	ds_load_b128 v[134:137], v2 offset:736
	s_mov_b32 s0, exec_lo
	s_wait_loadcnt_dscnt 0x501
	v_fma_f64 v[138:139], v[108:109], v[130:131], 0
	s_wait_loadcnt 0x4
	s_delay_alu instid0(VALU_DEP_1) | instskip(SKIP_4) | instid1(VALU_DEP_1)
	v_fmac_f64_e32 v[138:139], v[110:111], v[132:133]
	scratch_load_b128 v[108:111], off, off offset:392
	s_wait_dscnt 0x0
	v_fmac_f64_e32 v[138:139], v[112:113], v[134:135]
	s_wait_loadcnt 0x4
	v_fmac_f64_e32 v[138:139], v[114:115], v[136:137]
	ds_load_b128 v[112:115], v2 offset:752
	ds_load_b128 v[130:133], v2 offset:768
	s_wait_dscnt 0x1
	v_fmac_f64_e32 v[138:139], v[116:117], v[112:113]
	s_wait_loadcnt 0x3
	s_delay_alu instid0(VALU_DEP_1)
	v_fmac_f64_e32 v[138:139], v[118:119], v[114:115]
	ds_load_b128 v[112:115], v2 offset:784
	ds_load_b128 v[116:119], v2 offset:800
	s_wait_dscnt 0x2
	v_fmac_f64_e32 v[138:139], v[120:121], v[130:131]
	s_wait_loadcnt 0x2
	s_delay_alu instid0(VALU_DEP_1) | instskip(SKIP_1) | instid1(VALU_DEP_1)
	v_fmac_f64_e32 v[138:139], v[122:123], v[132:133]
	s_wait_dscnt 0x1
	v_fmac_f64_e32 v[138:139], v[124:125], v[112:113]
	s_wait_loadcnt 0x1
	s_delay_alu instid0(VALU_DEP_1) | instskip(SKIP_1) | instid1(VALU_DEP_1)
	v_fmac_f64_e32 v[138:139], v[126:127], v[114:115]
	s_wait_dscnt 0x0
	v_fmac_f64_e32 v[138:139], v[128:129], v[116:117]
	s_wait_loadcnt 0x0
	s_delay_alu instid0(VALU_DEP_1) | instskip(SKIP_3) | instid1(VALU_DEP_1)
	v_fmac_f64_e32 v[138:139], v[108:109], v[118:119]
	ds_load_b64 v[108:109], v2 offset:816
	s_wait_dscnt 0x0
	v_fmac_f64_e32 v[138:139], v[110:111], v[108:109]
	v_add_f64_e64 v[106:107], v[106:107], -v[138:139]
	scratch_store_b64 off, v[106:107], off offset:296
	s_wait_xcnt 0x0
	v_cmpx_lt_u32_e32 36, v0
	s_cbranch_execz .LBB114_243
; %bb.242:
	scratch_load_b64 v[106:107], off, off offset:288
	v_mov_b64_e32 v[108:109], 0
	scratch_store_b64 off, v[108:109], off offset:288
	s_wait_loadcnt 0x0
	ds_store_b64 v1, v[106:107]
.LBB114_243:
	s_wait_xcnt 0x0
	s_or_b32 exec_lo, exec_lo, s0
	s_wait_storecnt_dscnt 0x0
	s_barrier_signal -1
	s_barrier_wait -1
	s_clause 0x5
	scratch_load_b128 v[106:109], off, off offset:288
	scratch_load_b128 v[110:113], off, off offset:304
	;; [unrolled: 1-line block ×6, first 2 shown]
	ds_load_2addr_b64 v[130:133], v2 offset0:89 offset1:90
	ds_load_2addr_b64 v[134:137], v2 offset0:91 offset1:92
	s_mov_b32 s0, exec_lo
	s_wait_loadcnt_dscnt 0x501
	v_fma_f64 v[138:139], v[108:109], v[130:131], 0
	s_wait_loadcnt 0x4
	s_delay_alu instid0(VALU_DEP_1)
	v_fmac_f64_e32 v[138:139], v[110:111], v[132:133]
	scratch_load_b128 v[108:111], off, off offset:384
	s_wait_dscnt 0x0
	v_fmac_f64_e32 v[138:139], v[112:113], v[134:135]
	scratch_load_b64 v[134:135], off, off offset:400
	s_wait_loadcnt 0x5
	v_fmac_f64_e32 v[138:139], v[114:115], v[136:137]
	ds_load_2addr_b64 v[112:115], v2 offset0:93 offset1:94
	ds_load_2addr_b64 v[130:133], v2 offset0:95 offset1:96
	s_wait_dscnt 0x1
	v_fmac_f64_e32 v[138:139], v[116:117], v[112:113]
	s_wait_loadcnt 0x4
	s_delay_alu instid0(VALU_DEP_1)
	v_fmac_f64_e32 v[138:139], v[118:119], v[114:115]
	ds_load_2addr_b64 v[112:115], v2 offset0:97 offset1:98
	ds_load_2addr_b64 v[116:119], v2 offset0:99 offset1:100
	s_wait_dscnt 0x2
	v_fmac_f64_e32 v[138:139], v[120:121], v[130:131]
	s_wait_loadcnt 0x3
	s_delay_alu instid0(VALU_DEP_1) | instskip(SKIP_1) | instid1(VALU_DEP_1)
	v_fmac_f64_e32 v[138:139], v[122:123], v[132:133]
	s_wait_dscnt 0x1
	v_fmac_f64_e32 v[138:139], v[124:125], v[112:113]
	s_wait_loadcnt 0x2
	s_delay_alu instid0(VALU_DEP_1) | instskip(SKIP_4) | instid1(VALU_DEP_1)
	v_fmac_f64_e32 v[138:139], v[126:127], v[114:115]
	ds_load_2addr_b64 v[112:115], v2 offset0:101 offset1:102
	s_wait_dscnt 0x1
	v_fmac_f64_e32 v[138:139], v[128:129], v[116:117]
	s_wait_loadcnt 0x1
	v_fmac_f64_e32 v[138:139], v[108:109], v[118:119]
	s_wait_dscnt 0x0
	s_delay_alu instid0(VALU_DEP_1) | instskip(SKIP_1) | instid1(VALU_DEP_1)
	v_fmac_f64_e32 v[138:139], v[110:111], v[112:113]
	s_wait_loadcnt 0x0
	v_fmac_f64_e32 v[138:139], v[134:135], v[114:115]
	s_delay_alu instid0(VALU_DEP_1)
	v_add_f64_e64 v[2:3], v[106:107], -v[138:139]
	scratch_store_b64 off, v[2:3], off offset:288
	s_wait_xcnt 0x0
	v_cmpx_lt_u32_e32 35, v0
	s_cbranch_execz .LBB114_245
; %bb.244:
	scratch_load_b64 v[2:3], off, off offset:280
	v_mov_b64_e32 v[106:107], 0
	scratch_store_b64 off, v[106:107], off offset:280
	s_wait_loadcnt 0x0
	ds_store_b64 v1, v[2:3]
.LBB114_245:
	s_wait_xcnt 0x0
	s_or_b32 exec_lo, exec_lo, s0
	s_wait_storecnt_dscnt 0x0
	s_barrier_signal -1
	s_barrier_wait -1
	s_clause 0x5
	scratch_load_b128 v[106:109], off, off offset:280
	scratch_load_b128 v[110:113], off, off offset:296
	;; [unrolled: 1-line block ×6, first 2 shown]
	v_mov_b32_e32 v2, 0
	ds_load_b128 v[130:133], v2 offset:704
	ds_load_b128 v[134:137], v2 offset:720
	s_mov_b32 s0, exec_lo
	s_wait_loadcnt_dscnt 0x501
	v_fma_f64 v[138:139], v[108:109], v[130:131], 0
	s_wait_loadcnt 0x4
	s_delay_alu instid0(VALU_DEP_1) | instskip(SKIP_4) | instid1(VALU_DEP_1)
	v_fmac_f64_e32 v[138:139], v[110:111], v[132:133]
	scratch_load_b128 v[108:111], off, off offset:376
	s_wait_dscnt 0x0
	v_fmac_f64_e32 v[138:139], v[112:113], v[134:135]
	s_wait_loadcnt 0x4
	v_fmac_f64_e32 v[138:139], v[114:115], v[136:137]
	scratch_load_b128 v[112:115], off, off offset:392
	ds_load_b128 v[130:133], v2 offset:736
	ds_load_b128 v[134:137], v2 offset:752
	s_wait_dscnt 0x1
	v_fmac_f64_e32 v[138:139], v[116:117], v[130:131]
	s_wait_loadcnt 0x4
	s_delay_alu instid0(VALU_DEP_1) | instskip(SKIP_1) | instid1(VALU_DEP_1)
	v_fmac_f64_e32 v[138:139], v[118:119], v[132:133]
	s_wait_dscnt 0x0
	v_fmac_f64_e32 v[138:139], v[120:121], v[134:135]
	s_wait_loadcnt 0x3
	s_delay_alu instid0(VALU_DEP_1)
	v_fmac_f64_e32 v[138:139], v[122:123], v[136:137]
	ds_load_b128 v[116:119], v2 offset:768
	ds_load_b128 v[120:123], v2 offset:784
	s_wait_dscnt 0x1
	v_fmac_f64_e32 v[138:139], v[124:125], v[116:117]
	s_wait_loadcnt 0x2
	s_delay_alu instid0(VALU_DEP_1) | instskip(SKIP_1) | instid1(VALU_DEP_1)
	v_fmac_f64_e32 v[138:139], v[126:127], v[118:119]
	s_wait_dscnt 0x0
	v_fmac_f64_e32 v[138:139], v[128:129], v[120:121]
	s_wait_loadcnt 0x1
	s_delay_alu instid0(VALU_DEP_1)
	v_fmac_f64_e32 v[138:139], v[108:109], v[122:123]
	ds_load_b128 v[116:119], v2 offset:800
	ds_load_b64 v[108:109], v2 offset:816
	s_wait_dscnt 0x1
	v_fmac_f64_e32 v[138:139], v[110:111], v[116:117]
	s_wait_loadcnt 0x0
	s_delay_alu instid0(VALU_DEP_1) | instskip(SKIP_1) | instid1(VALU_DEP_1)
	v_fmac_f64_e32 v[138:139], v[112:113], v[118:119]
	s_wait_dscnt 0x0
	v_fmac_f64_e32 v[138:139], v[114:115], v[108:109]
	s_delay_alu instid0(VALU_DEP_1)
	v_add_f64_e64 v[106:107], v[106:107], -v[138:139]
	scratch_store_b64 off, v[106:107], off offset:280
	s_wait_xcnt 0x0
	v_cmpx_lt_u32_e32 34, v0
	s_cbranch_execz .LBB114_247
; %bb.246:
	scratch_load_b64 v[106:107], off, off offset:272
	v_mov_b64_e32 v[108:109], 0
	scratch_store_b64 off, v[108:109], off offset:272
	s_wait_loadcnt 0x0
	ds_store_b64 v1, v[106:107]
.LBB114_247:
	s_wait_xcnt 0x0
	s_or_b32 exec_lo, exec_lo, s0
	s_wait_storecnt_dscnt 0x0
	s_barrier_signal -1
	s_barrier_wait -1
	s_clause 0x5
	scratch_load_b128 v[106:109], off, off offset:272
	scratch_load_b128 v[110:113], off, off offset:288
	scratch_load_b128 v[114:117], off, off offset:304
	scratch_load_b128 v[118:121], off, off offset:320
	scratch_load_b128 v[122:125], off, off offset:336
	scratch_load_b128 v[126:129], off, off offset:352
	ds_load_2addr_b64 v[130:133], v2 offset0:87 offset1:88
	ds_load_2addr_b64 v[134:137], v2 offset0:89 offset1:90
	s_mov_b32 s0, exec_lo
	s_wait_loadcnt_dscnt 0x501
	v_fma_f64 v[138:139], v[108:109], v[130:131], 0
	s_wait_loadcnt 0x4
	s_delay_alu instid0(VALU_DEP_1) | instskip(SKIP_4) | instid1(VALU_DEP_1)
	v_fmac_f64_e32 v[138:139], v[110:111], v[132:133]
	scratch_load_b128 v[108:111], off, off offset:368
	s_wait_dscnt 0x0
	v_fmac_f64_e32 v[138:139], v[112:113], v[134:135]
	s_wait_loadcnt 0x4
	v_fmac_f64_e32 v[138:139], v[114:115], v[136:137]
	scratch_load_b128 v[112:115], off, off offset:384
	ds_load_2addr_b64 v[130:133], v2 offset0:91 offset1:92
	ds_load_2addr_b64 v[134:137], v2 offset0:93 offset1:94
	s_wait_dscnt 0x1
	v_fmac_f64_e32 v[138:139], v[116:117], v[130:131]
	scratch_load_b64 v[130:131], off, off offset:400
	s_wait_loadcnt 0x5
	v_fmac_f64_e32 v[138:139], v[118:119], v[132:133]
	s_wait_dscnt 0x0
	s_delay_alu instid0(VALU_DEP_1) | instskip(SKIP_1) | instid1(VALU_DEP_1)
	v_fmac_f64_e32 v[138:139], v[120:121], v[134:135]
	s_wait_loadcnt 0x4
	v_fmac_f64_e32 v[138:139], v[122:123], v[136:137]
	ds_load_2addr_b64 v[116:119], v2 offset0:95 offset1:96
	ds_load_2addr_b64 v[120:123], v2 offset0:97 offset1:98
	s_wait_dscnt 0x1
	v_fmac_f64_e32 v[138:139], v[124:125], v[116:117]
	s_wait_loadcnt 0x3
	s_delay_alu instid0(VALU_DEP_1) | instskip(SKIP_1) | instid1(VALU_DEP_1)
	v_fmac_f64_e32 v[138:139], v[126:127], v[118:119]
	s_wait_dscnt 0x0
	v_fmac_f64_e32 v[138:139], v[128:129], v[120:121]
	s_wait_loadcnt 0x2
	s_delay_alu instid0(VALU_DEP_1)
	v_fmac_f64_e32 v[138:139], v[108:109], v[122:123]
	ds_load_2addr_b64 v[116:119], v2 offset0:99 offset1:100
	ds_load_2addr_b64 v[120:123], v2 offset0:101 offset1:102
	s_wait_dscnt 0x1
	v_fmac_f64_e32 v[138:139], v[110:111], v[116:117]
	s_wait_loadcnt 0x1
	s_delay_alu instid0(VALU_DEP_1) | instskip(SKIP_1) | instid1(VALU_DEP_1)
	v_fmac_f64_e32 v[138:139], v[112:113], v[118:119]
	s_wait_dscnt 0x0
	v_fmac_f64_e32 v[138:139], v[114:115], v[120:121]
	s_wait_loadcnt 0x0
	s_delay_alu instid0(VALU_DEP_1) | instskip(NEXT) | instid1(VALU_DEP_1)
	v_fmac_f64_e32 v[138:139], v[130:131], v[122:123]
	v_add_f64_e64 v[2:3], v[106:107], -v[138:139]
	scratch_store_b64 off, v[2:3], off offset:272
	s_wait_xcnt 0x0
	v_cmpx_lt_u32_e32 33, v0
	s_cbranch_execz .LBB114_249
; %bb.248:
	scratch_load_b64 v[2:3], off, off offset:264
	v_mov_b64_e32 v[106:107], 0
	scratch_store_b64 off, v[106:107], off offset:264
	s_wait_loadcnt 0x0
	ds_store_b64 v1, v[2:3]
.LBB114_249:
	s_wait_xcnt 0x0
	s_or_b32 exec_lo, exec_lo, s0
	s_wait_storecnt_dscnt 0x0
	s_barrier_signal -1
	s_barrier_wait -1
	s_clause 0x5
	scratch_load_b128 v[106:109], off, off offset:264
	scratch_load_b128 v[110:113], off, off offset:280
	;; [unrolled: 1-line block ×6, first 2 shown]
	v_mov_b32_e32 v2, 0
	ds_load_b128 v[130:133], v2 offset:688
	ds_load_b128 v[134:137], v2 offset:704
	s_mov_b32 s0, exec_lo
	s_wait_loadcnt_dscnt 0x501
	v_fma_f64 v[138:139], v[108:109], v[130:131], 0
	s_wait_loadcnt 0x4
	s_delay_alu instid0(VALU_DEP_1) | instskip(SKIP_4) | instid1(VALU_DEP_1)
	v_fmac_f64_e32 v[138:139], v[110:111], v[132:133]
	scratch_load_b128 v[108:111], off, off offset:360
	s_wait_dscnt 0x0
	v_fmac_f64_e32 v[138:139], v[112:113], v[134:135]
	s_wait_loadcnt 0x4
	v_fmac_f64_e32 v[138:139], v[114:115], v[136:137]
	scratch_load_b128 v[112:115], off, off offset:376
	ds_load_b128 v[130:133], v2 offset:720
	ds_load_b128 v[134:137], v2 offset:736
	s_wait_dscnt 0x1
	v_fmac_f64_e32 v[138:139], v[116:117], v[130:131]
	s_wait_loadcnt 0x4
	s_delay_alu instid0(VALU_DEP_1) | instskip(SKIP_4) | instid1(VALU_DEP_1)
	v_fmac_f64_e32 v[138:139], v[118:119], v[132:133]
	scratch_load_b128 v[116:119], off, off offset:392
	s_wait_dscnt 0x0
	v_fmac_f64_e32 v[138:139], v[120:121], v[134:135]
	s_wait_loadcnt 0x4
	v_fmac_f64_e32 v[138:139], v[122:123], v[136:137]
	ds_load_b128 v[120:123], v2 offset:752
	ds_load_b128 v[130:133], v2 offset:768
	s_wait_dscnt 0x1
	v_fmac_f64_e32 v[138:139], v[124:125], v[120:121]
	s_wait_loadcnt 0x3
	s_delay_alu instid0(VALU_DEP_1)
	v_fmac_f64_e32 v[138:139], v[126:127], v[122:123]
	ds_load_b128 v[120:123], v2 offset:784
	ds_load_b128 v[124:127], v2 offset:800
	s_wait_dscnt 0x2
	v_fmac_f64_e32 v[138:139], v[128:129], v[130:131]
	s_wait_loadcnt 0x2
	s_delay_alu instid0(VALU_DEP_1) | instskip(SKIP_4) | instid1(VALU_DEP_1)
	v_fmac_f64_e32 v[138:139], v[108:109], v[132:133]
	ds_load_b64 v[108:109], v2 offset:816
	s_wait_dscnt 0x2
	v_fmac_f64_e32 v[138:139], v[110:111], v[120:121]
	s_wait_loadcnt 0x1
	v_fmac_f64_e32 v[138:139], v[112:113], v[122:123]
	s_wait_dscnt 0x1
	s_delay_alu instid0(VALU_DEP_1) | instskip(SKIP_1) | instid1(VALU_DEP_1)
	v_fmac_f64_e32 v[138:139], v[114:115], v[124:125]
	s_wait_loadcnt 0x0
	v_fmac_f64_e32 v[138:139], v[116:117], v[126:127]
	s_wait_dscnt 0x0
	s_delay_alu instid0(VALU_DEP_1) | instskip(NEXT) | instid1(VALU_DEP_1)
	v_fmac_f64_e32 v[138:139], v[118:119], v[108:109]
	v_add_f64_e64 v[106:107], v[106:107], -v[138:139]
	scratch_store_b64 off, v[106:107], off offset:264
	s_wait_xcnt 0x0
	v_cmpx_lt_u32_e32 32, v0
	s_cbranch_execz .LBB114_251
; %bb.250:
	scratch_load_b64 v[106:107], off, off offset:256
	v_mov_b64_e32 v[108:109], 0
	scratch_store_b64 off, v[108:109], off offset:256
	s_wait_loadcnt 0x0
	ds_store_b64 v1, v[106:107]
.LBB114_251:
	s_wait_xcnt 0x0
	s_or_b32 exec_lo, exec_lo, s0
	s_wait_storecnt_dscnt 0x0
	s_barrier_signal -1
	s_barrier_wait -1
	s_clause 0x5
	scratch_load_b128 v[106:109], off, off offset:256
	scratch_load_b128 v[110:113], off, off offset:272
	;; [unrolled: 1-line block ×6, first 2 shown]
	ds_load_2addr_b64 v[130:133], v2 offset0:85 offset1:86
	ds_load_2addr_b64 v[134:137], v2 offset0:87 offset1:88
	s_mov_b32 s0, exec_lo
	s_wait_loadcnt_dscnt 0x501
	v_fma_f64 v[138:139], v[108:109], v[130:131], 0
	s_wait_loadcnt 0x4
	s_delay_alu instid0(VALU_DEP_1) | instskip(SKIP_4) | instid1(VALU_DEP_1)
	v_fmac_f64_e32 v[138:139], v[110:111], v[132:133]
	scratch_load_b128 v[108:111], off, off offset:352
	s_wait_dscnt 0x0
	v_fmac_f64_e32 v[138:139], v[112:113], v[134:135]
	s_wait_loadcnt 0x4
	v_fmac_f64_e32 v[138:139], v[114:115], v[136:137]
	scratch_load_b128 v[112:115], off, off offset:368
	ds_load_2addr_b64 v[130:133], v2 offset0:89 offset1:90
	ds_load_2addr_b64 v[134:137], v2 offset0:91 offset1:92
	s_wait_dscnt 0x1
	v_fmac_f64_e32 v[138:139], v[116:117], v[130:131]
	s_wait_loadcnt 0x4
	s_delay_alu instid0(VALU_DEP_1)
	v_fmac_f64_e32 v[138:139], v[118:119], v[132:133]
	scratch_load_b128 v[116:119], off, off offset:384
	s_wait_dscnt 0x0
	v_fmac_f64_e32 v[138:139], v[120:121], v[134:135]
	scratch_load_b64 v[134:135], off, off offset:400
	s_wait_loadcnt 0x5
	v_fmac_f64_e32 v[138:139], v[122:123], v[136:137]
	ds_load_2addr_b64 v[120:123], v2 offset0:93 offset1:94
	ds_load_2addr_b64 v[130:133], v2 offset0:95 offset1:96
	s_wait_dscnt 0x1
	v_fmac_f64_e32 v[138:139], v[124:125], v[120:121]
	s_wait_loadcnt 0x4
	s_delay_alu instid0(VALU_DEP_1)
	v_fmac_f64_e32 v[138:139], v[126:127], v[122:123]
	ds_load_2addr_b64 v[120:123], v2 offset0:97 offset1:98
	ds_load_2addr_b64 v[124:127], v2 offset0:99 offset1:100
	s_wait_dscnt 0x2
	v_fmac_f64_e32 v[138:139], v[128:129], v[130:131]
	s_wait_loadcnt 0x3
	s_delay_alu instid0(VALU_DEP_1) | instskip(SKIP_1) | instid1(VALU_DEP_1)
	v_fmac_f64_e32 v[138:139], v[108:109], v[132:133]
	s_wait_dscnt 0x1
	v_fmac_f64_e32 v[138:139], v[110:111], v[120:121]
	ds_load_2addr_b64 v[108:111], v2 offset0:101 offset1:102
	s_wait_loadcnt 0x2
	v_fmac_f64_e32 v[138:139], v[112:113], v[122:123]
	s_wait_dscnt 0x1
	s_delay_alu instid0(VALU_DEP_1) | instskip(SKIP_1) | instid1(VALU_DEP_1)
	v_fmac_f64_e32 v[138:139], v[114:115], v[124:125]
	s_wait_loadcnt 0x1
	v_fmac_f64_e32 v[138:139], v[116:117], v[126:127]
	s_wait_dscnt 0x0
	s_delay_alu instid0(VALU_DEP_1) | instskip(SKIP_1) | instid1(VALU_DEP_1)
	v_fmac_f64_e32 v[138:139], v[118:119], v[108:109]
	s_wait_loadcnt 0x0
	v_fmac_f64_e32 v[138:139], v[134:135], v[110:111]
	s_delay_alu instid0(VALU_DEP_1)
	v_add_f64_e64 v[2:3], v[106:107], -v[138:139]
	scratch_store_b64 off, v[2:3], off offset:256
	s_wait_xcnt 0x0
	v_cmpx_lt_u32_e32 31, v0
	s_cbranch_execz .LBB114_253
; %bb.252:
	scratch_load_b64 v[2:3], off, off offset:248
	v_mov_b64_e32 v[106:107], 0
	scratch_store_b64 off, v[106:107], off offset:248
	s_wait_loadcnt 0x0
	ds_store_b64 v1, v[2:3]
.LBB114_253:
	s_wait_xcnt 0x0
	s_or_b32 exec_lo, exec_lo, s0
	s_wait_storecnt_dscnt 0x0
	s_barrier_signal -1
	s_barrier_wait -1
	s_clause 0x5
	scratch_load_b128 v[106:109], off, off offset:248
	scratch_load_b128 v[110:113], off, off offset:264
	;; [unrolled: 1-line block ×6, first 2 shown]
	v_mov_b32_e32 v2, 0
	ds_load_b128 v[130:133], v2 offset:672
	ds_load_b128 v[134:137], v2 offset:688
	s_mov_b32 s0, exec_lo
	s_wait_loadcnt_dscnt 0x501
	v_fma_f64 v[138:139], v[108:109], v[130:131], 0
	s_wait_loadcnt 0x4
	s_delay_alu instid0(VALU_DEP_1) | instskip(SKIP_4) | instid1(VALU_DEP_1)
	v_fmac_f64_e32 v[138:139], v[110:111], v[132:133]
	scratch_load_b128 v[108:111], off, off offset:344
	s_wait_dscnt 0x0
	v_fmac_f64_e32 v[138:139], v[112:113], v[134:135]
	s_wait_loadcnt 0x4
	v_fmac_f64_e32 v[138:139], v[114:115], v[136:137]
	scratch_load_b128 v[112:115], off, off offset:360
	ds_load_b128 v[130:133], v2 offset:704
	ds_load_b128 v[134:137], v2 offset:720
	s_wait_dscnt 0x1
	v_fmac_f64_e32 v[138:139], v[116:117], v[130:131]
	s_wait_loadcnt 0x4
	s_delay_alu instid0(VALU_DEP_1) | instskip(SKIP_4) | instid1(VALU_DEP_1)
	v_fmac_f64_e32 v[138:139], v[118:119], v[132:133]
	scratch_load_b128 v[116:119], off, off offset:376
	s_wait_dscnt 0x0
	v_fmac_f64_e32 v[138:139], v[120:121], v[134:135]
	s_wait_loadcnt 0x4
	v_fmac_f64_e32 v[138:139], v[122:123], v[136:137]
	scratch_load_b128 v[120:123], off, off offset:392
	ds_load_b128 v[130:133], v2 offset:736
	ds_load_b128 v[134:137], v2 offset:752
	s_wait_dscnt 0x1
	v_fmac_f64_e32 v[138:139], v[124:125], v[130:131]
	s_wait_loadcnt 0x4
	s_delay_alu instid0(VALU_DEP_1) | instskip(SKIP_1) | instid1(VALU_DEP_1)
	v_fmac_f64_e32 v[138:139], v[126:127], v[132:133]
	s_wait_dscnt 0x0
	v_fmac_f64_e32 v[138:139], v[128:129], v[134:135]
	ds_load_b128 v[124:127], v2 offset:768
	ds_load_b128 v[128:131], v2 offset:784
	s_wait_loadcnt 0x3
	v_fmac_f64_e32 v[138:139], v[108:109], v[136:137]
	s_wait_dscnt 0x1
	s_delay_alu instid0(VALU_DEP_1) | instskip(SKIP_1) | instid1(VALU_DEP_1)
	v_fmac_f64_e32 v[138:139], v[110:111], v[124:125]
	s_wait_loadcnt 0x2
	v_fmac_f64_e32 v[138:139], v[112:113], v[126:127]
	ds_load_b128 v[108:111], v2 offset:800
	ds_load_b64 v[112:113], v2 offset:816
	s_wait_dscnt 0x2
	v_fmac_f64_e32 v[138:139], v[114:115], v[128:129]
	s_wait_loadcnt 0x1
	s_delay_alu instid0(VALU_DEP_1) | instskip(SKIP_1) | instid1(VALU_DEP_1)
	v_fmac_f64_e32 v[138:139], v[116:117], v[130:131]
	s_wait_dscnt 0x1
	v_fmac_f64_e32 v[138:139], v[118:119], v[108:109]
	s_wait_loadcnt 0x0
	s_delay_alu instid0(VALU_DEP_1) | instskip(SKIP_1) | instid1(VALU_DEP_1)
	v_fmac_f64_e32 v[138:139], v[120:121], v[110:111]
	s_wait_dscnt 0x0
	v_fmac_f64_e32 v[138:139], v[122:123], v[112:113]
	s_delay_alu instid0(VALU_DEP_1)
	v_add_f64_e64 v[106:107], v[106:107], -v[138:139]
	scratch_store_b64 off, v[106:107], off offset:248
	s_wait_xcnt 0x0
	v_cmpx_lt_u32_e32 30, v0
	s_cbranch_execz .LBB114_255
; %bb.254:
	scratch_load_b64 v[106:107], off, off offset:240
	v_mov_b64_e32 v[108:109], 0
	scratch_store_b64 off, v[108:109], off offset:240
	s_wait_loadcnt 0x0
	ds_store_b64 v1, v[106:107]
.LBB114_255:
	s_wait_xcnt 0x0
	s_or_b32 exec_lo, exec_lo, s0
	s_wait_storecnt_dscnt 0x0
	s_barrier_signal -1
	s_barrier_wait -1
	s_clause 0x5
	scratch_load_b128 v[106:109], off, off offset:240
	scratch_load_b128 v[110:113], off, off offset:256
	;; [unrolled: 1-line block ×6, first 2 shown]
	ds_load_2addr_b64 v[130:133], v2 offset0:83 offset1:84
	ds_load_2addr_b64 v[134:137], v2 offset0:85 offset1:86
	s_mov_b32 s0, exec_lo
	s_wait_loadcnt_dscnt 0x501
	v_fma_f64 v[138:139], v[108:109], v[130:131], 0
	s_wait_loadcnt 0x4
	s_delay_alu instid0(VALU_DEP_1) | instskip(SKIP_4) | instid1(VALU_DEP_1)
	v_fmac_f64_e32 v[138:139], v[110:111], v[132:133]
	scratch_load_b128 v[108:111], off, off offset:336
	s_wait_dscnt 0x0
	v_fmac_f64_e32 v[138:139], v[112:113], v[134:135]
	s_wait_loadcnt 0x4
	v_fmac_f64_e32 v[138:139], v[114:115], v[136:137]
	scratch_load_b128 v[112:115], off, off offset:352
	ds_load_2addr_b64 v[130:133], v2 offset0:87 offset1:88
	ds_load_2addr_b64 v[134:137], v2 offset0:89 offset1:90
	s_wait_dscnt 0x1
	v_fmac_f64_e32 v[138:139], v[116:117], v[130:131]
	s_wait_loadcnt 0x4
	s_delay_alu instid0(VALU_DEP_1) | instskip(SKIP_4) | instid1(VALU_DEP_1)
	v_fmac_f64_e32 v[138:139], v[118:119], v[132:133]
	scratch_load_b128 v[116:119], off, off offset:368
	s_wait_dscnt 0x0
	v_fmac_f64_e32 v[138:139], v[120:121], v[134:135]
	s_wait_loadcnt 0x4
	v_fmac_f64_e32 v[138:139], v[122:123], v[136:137]
	scratch_load_b128 v[120:123], off, off offset:384
	ds_load_2addr_b64 v[130:133], v2 offset0:91 offset1:92
	ds_load_2addr_b64 v[134:137], v2 offset0:93 offset1:94
	s_wait_dscnt 0x1
	v_fmac_f64_e32 v[138:139], v[124:125], v[130:131]
	s_wait_loadcnt 0x4
	s_delay_alu instid0(VALU_DEP_1)
	v_fmac_f64_e32 v[138:139], v[126:127], v[132:133]
	scratch_load_b64 v[132:133], off, off offset:400
	s_wait_dscnt 0x0
	v_fmac_f64_e32 v[138:139], v[128:129], v[134:135]
	ds_load_2addr_b64 v[124:127], v2 offset0:95 offset1:96
	ds_load_2addr_b64 v[128:131], v2 offset0:97 offset1:98
	s_wait_loadcnt 0x4
	v_fmac_f64_e32 v[138:139], v[108:109], v[136:137]
	s_wait_dscnt 0x1
	s_delay_alu instid0(VALU_DEP_1) | instskip(SKIP_1) | instid1(VALU_DEP_1)
	v_fmac_f64_e32 v[138:139], v[110:111], v[124:125]
	s_wait_loadcnt 0x3
	v_fmac_f64_e32 v[138:139], v[112:113], v[126:127]
	s_wait_dscnt 0x0
	s_delay_alu instid0(VALU_DEP_1)
	v_fmac_f64_e32 v[138:139], v[114:115], v[128:129]
	ds_load_2addr_b64 v[108:111], v2 offset0:99 offset1:100
	ds_load_2addr_b64 v[112:115], v2 offset0:101 offset1:102
	s_wait_loadcnt 0x2
	v_fmac_f64_e32 v[138:139], v[116:117], v[130:131]
	s_wait_dscnt 0x1
	s_delay_alu instid0(VALU_DEP_1) | instskip(SKIP_1) | instid1(VALU_DEP_1)
	v_fmac_f64_e32 v[138:139], v[118:119], v[108:109]
	s_wait_loadcnt 0x1
	v_fmac_f64_e32 v[138:139], v[120:121], v[110:111]
	s_wait_dscnt 0x0
	s_delay_alu instid0(VALU_DEP_1) | instskip(SKIP_1) | instid1(VALU_DEP_1)
	v_fmac_f64_e32 v[138:139], v[122:123], v[112:113]
	s_wait_loadcnt 0x0
	v_fmac_f64_e32 v[138:139], v[132:133], v[114:115]
	s_delay_alu instid0(VALU_DEP_1)
	v_add_f64_e64 v[2:3], v[106:107], -v[138:139]
	scratch_store_b64 off, v[2:3], off offset:240
	s_wait_xcnt 0x0
	v_cmpx_lt_u32_e32 29, v0
	s_cbranch_execz .LBB114_257
; %bb.256:
	scratch_load_b64 v[2:3], off, off offset:232
	v_mov_b64_e32 v[106:107], 0
	scratch_store_b64 off, v[106:107], off offset:232
	s_wait_loadcnt 0x0
	ds_store_b64 v1, v[2:3]
.LBB114_257:
	s_wait_xcnt 0x0
	s_or_b32 exec_lo, exec_lo, s0
	s_wait_storecnt_dscnt 0x0
	s_barrier_signal -1
	s_barrier_wait -1
	s_clause 0x5
	scratch_load_b128 v[106:109], off, off offset:232
	scratch_load_b128 v[110:113], off, off offset:248
	;; [unrolled: 1-line block ×6, first 2 shown]
	v_mov_b32_e32 v2, 0
	ds_load_b128 v[130:133], v2 offset:656
	ds_load_b128 v[134:137], v2 offset:672
	s_mov_b32 s0, exec_lo
	s_wait_loadcnt_dscnt 0x501
	v_fma_f64 v[138:139], v[108:109], v[130:131], 0
	s_wait_loadcnt 0x4
	s_delay_alu instid0(VALU_DEP_1) | instskip(SKIP_4) | instid1(VALU_DEP_1)
	v_fmac_f64_e32 v[138:139], v[110:111], v[132:133]
	scratch_load_b128 v[108:111], off, off offset:328
	s_wait_dscnt 0x0
	v_fmac_f64_e32 v[138:139], v[112:113], v[134:135]
	s_wait_loadcnt 0x4
	v_fmac_f64_e32 v[138:139], v[114:115], v[136:137]
	scratch_load_b128 v[112:115], off, off offset:344
	ds_load_b128 v[130:133], v2 offset:688
	ds_load_b128 v[134:137], v2 offset:704
	s_wait_dscnt 0x1
	v_fmac_f64_e32 v[138:139], v[116:117], v[130:131]
	s_wait_loadcnt 0x4
	s_delay_alu instid0(VALU_DEP_1) | instskip(SKIP_4) | instid1(VALU_DEP_1)
	v_fmac_f64_e32 v[138:139], v[118:119], v[132:133]
	scratch_load_b128 v[116:119], off, off offset:360
	s_wait_dscnt 0x0
	v_fmac_f64_e32 v[138:139], v[120:121], v[134:135]
	s_wait_loadcnt 0x4
	v_fmac_f64_e32 v[138:139], v[122:123], v[136:137]
	scratch_load_b128 v[120:123], off, off offset:376
	ds_load_b128 v[130:133], v2 offset:720
	ds_load_b128 v[134:137], v2 offset:736
	s_wait_dscnt 0x1
	v_fmac_f64_e32 v[138:139], v[124:125], v[130:131]
	s_wait_loadcnt 0x4
	s_delay_alu instid0(VALU_DEP_1)
	v_fmac_f64_e32 v[138:139], v[126:127], v[132:133]
	scratch_load_b128 v[124:127], off, off offset:392
	s_wait_dscnt 0x0
	v_fmac_f64_e32 v[138:139], v[128:129], v[134:135]
	ds_load_b128 v[128:131], v2 offset:752
	ds_load_b128 v[132:135], v2 offset:768
	s_wait_loadcnt 0x4
	v_fmac_f64_e32 v[138:139], v[108:109], v[136:137]
	s_wait_dscnt 0x1
	s_delay_alu instid0(VALU_DEP_1) | instskip(SKIP_1) | instid1(VALU_DEP_1)
	v_fmac_f64_e32 v[138:139], v[110:111], v[128:129]
	s_wait_loadcnt 0x3
	v_fmac_f64_e32 v[138:139], v[112:113], v[130:131]
	s_wait_dscnt 0x0
	s_delay_alu instid0(VALU_DEP_1)
	v_fmac_f64_e32 v[138:139], v[114:115], v[132:133]
	ds_load_b128 v[108:111], v2 offset:784
	ds_load_b128 v[112:115], v2 offset:800
	s_wait_loadcnt 0x2
	v_fmac_f64_e32 v[138:139], v[116:117], v[134:135]
	s_wait_dscnt 0x1
	s_delay_alu instid0(VALU_DEP_1) | instskip(SKIP_4) | instid1(VALU_DEP_1)
	v_fmac_f64_e32 v[138:139], v[118:119], v[108:109]
	ds_load_b64 v[108:109], v2 offset:816
	s_wait_loadcnt 0x1
	v_fmac_f64_e32 v[138:139], v[120:121], v[110:111]
	s_wait_dscnt 0x1
	v_fmac_f64_e32 v[138:139], v[122:123], v[112:113]
	s_wait_loadcnt 0x0
	s_delay_alu instid0(VALU_DEP_1) | instskip(SKIP_1) | instid1(VALU_DEP_1)
	v_fmac_f64_e32 v[138:139], v[124:125], v[114:115]
	s_wait_dscnt 0x0
	v_fmac_f64_e32 v[138:139], v[126:127], v[108:109]
	s_delay_alu instid0(VALU_DEP_1)
	v_add_f64_e64 v[106:107], v[106:107], -v[138:139]
	scratch_store_b64 off, v[106:107], off offset:232
	s_wait_xcnt 0x0
	v_cmpx_lt_u32_e32 28, v0
	s_cbranch_execz .LBB114_259
; %bb.258:
	scratch_load_b64 v[106:107], off, off offset:224
	v_mov_b64_e32 v[108:109], 0
	scratch_store_b64 off, v[108:109], off offset:224
	s_wait_loadcnt 0x0
	ds_store_b64 v1, v[106:107]
.LBB114_259:
	s_wait_xcnt 0x0
	s_or_b32 exec_lo, exec_lo, s0
	s_wait_storecnt_dscnt 0x0
	s_barrier_signal -1
	s_barrier_wait -1
	s_clause 0x5
	scratch_load_b128 v[106:109], off, off offset:224
	scratch_load_b128 v[110:113], off, off offset:240
	;; [unrolled: 1-line block ×6, first 2 shown]
	ds_load_2addr_b64 v[130:133], v2 offset0:81 offset1:82
	ds_load_2addr_b64 v[134:137], v2 offset0:83 offset1:84
	scratch_load_b128 v[138:141], off, off offset:320
	s_mov_b32 s0, exec_lo
	s_wait_loadcnt_dscnt 0x601
	v_fma_f64 v[142:143], v[108:109], v[130:131], 0
	s_wait_loadcnt 0x5
	s_delay_alu instid0(VALU_DEP_1) | instskip(SKIP_4) | instid1(VALU_DEP_1)
	v_fmac_f64_e32 v[142:143], v[110:111], v[132:133]
	scratch_load_b128 v[108:111], off, off offset:336
	s_wait_dscnt 0x0
	v_fmac_f64_e32 v[142:143], v[112:113], v[134:135]
	s_wait_loadcnt 0x5
	v_fmac_f64_e32 v[142:143], v[114:115], v[136:137]
	ds_load_2addr_b64 v[112:115], v2 offset0:85 offset1:86
	ds_load_2addr_b64 v[130:133], v2 offset0:87 offset1:88
	s_wait_dscnt 0x1
	v_fmac_f64_e32 v[142:143], v[116:117], v[112:113]
	s_wait_loadcnt 0x4
	s_delay_alu instid0(VALU_DEP_1)
	v_fmac_f64_e32 v[142:143], v[118:119], v[114:115]
	s_clause 0x1
	scratch_load_b128 v[112:115], off, off offset:352
	scratch_load_b128 v[116:119], off, off offset:368
	s_wait_dscnt 0x0
	v_fmac_f64_e32 v[142:143], v[120:121], v[130:131]
	s_wait_loadcnt 0x5
	s_delay_alu instid0(VALU_DEP_1)
	v_fmac_f64_e32 v[142:143], v[122:123], v[132:133]
	ds_load_2addr_b64 v[120:123], v2 offset0:89 offset1:90
	ds_load_2addr_b64 v[130:133], v2 offset0:91 offset1:92
	s_wait_dscnt 0x1
	v_fmac_f64_e32 v[142:143], v[124:125], v[120:121]
	s_wait_loadcnt 0x4
	s_delay_alu instid0(VALU_DEP_1) | instskip(SKIP_4) | instid1(VALU_DEP_1)
	v_fmac_f64_e32 v[142:143], v[126:127], v[122:123]
	scratch_load_b128 v[120:123], off, off offset:384
	s_wait_dscnt 0x0
	v_fmac_f64_e32 v[142:143], v[128:129], v[130:131]
	s_wait_loadcnt 0x4
	v_fmac_f64_e32 v[142:143], v[138:139], v[132:133]
	scratch_load_b64 v[132:133], off, off offset:400
	ds_load_2addr_b64 v[124:127], v2 offset0:93 offset1:94
	ds_load_2addr_b64 v[128:131], v2 offset0:95 offset1:96
	s_wait_dscnt 0x1
	v_fmac_f64_e32 v[142:143], v[140:141], v[124:125]
	s_wait_loadcnt 0x4
	s_delay_alu instid0(VALU_DEP_1) | instskip(SKIP_1) | instid1(VALU_DEP_1)
	v_fmac_f64_e32 v[142:143], v[108:109], v[126:127]
	s_wait_dscnt 0x0
	v_fmac_f64_e32 v[142:143], v[110:111], v[128:129]
	ds_load_2addr_b64 v[108:111], v2 offset0:97 offset1:98
	ds_load_2addr_b64 v[124:127], v2 offset0:99 offset1:100
	s_wait_loadcnt 0x3
	v_fmac_f64_e32 v[142:143], v[112:113], v[130:131]
	s_wait_dscnt 0x1
	s_delay_alu instid0(VALU_DEP_1) | instskip(SKIP_1) | instid1(VALU_DEP_1)
	v_fmac_f64_e32 v[142:143], v[114:115], v[108:109]
	s_wait_loadcnt 0x2
	v_fmac_f64_e32 v[142:143], v[116:117], v[110:111]
	ds_load_2addr_b64 v[108:111], v2 offset0:101 offset1:102
	s_wait_dscnt 0x1
	v_fmac_f64_e32 v[142:143], v[118:119], v[124:125]
	s_wait_loadcnt 0x1
	s_delay_alu instid0(VALU_DEP_1) | instskip(SKIP_1) | instid1(VALU_DEP_1)
	v_fmac_f64_e32 v[142:143], v[120:121], v[126:127]
	s_wait_dscnt 0x0
	v_fmac_f64_e32 v[142:143], v[122:123], v[108:109]
	s_wait_loadcnt 0x0
	s_delay_alu instid0(VALU_DEP_1) | instskip(NEXT) | instid1(VALU_DEP_1)
	v_fmac_f64_e32 v[142:143], v[132:133], v[110:111]
	v_add_f64_e64 v[2:3], v[106:107], -v[142:143]
	scratch_store_b64 off, v[2:3], off offset:224
	s_wait_xcnt 0x0
	v_cmpx_lt_u32_e32 27, v0
	s_cbranch_execz .LBB114_261
; %bb.260:
	scratch_load_b64 v[2:3], off, off offset:216
	v_mov_b64_e32 v[106:107], 0
	scratch_store_b64 off, v[106:107], off offset:216
	s_wait_loadcnt 0x0
	ds_store_b64 v1, v[2:3]
.LBB114_261:
	s_wait_xcnt 0x0
	s_or_b32 exec_lo, exec_lo, s0
	s_wait_storecnt_dscnt 0x0
	s_barrier_signal -1
	s_barrier_wait -1
	s_clause 0x5
	scratch_load_b128 v[106:109], off, off offset:216
	scratch_load_b128 v[110:113], off, off offset:232
	;; [unrolled: 1-line block ×6, first 2 shown]
	v_mov_b32_e32 v2, 0
	ds_load_b128 v[130:133], v2 offset:640
	ds_load_b128 v[134:137], v2 offset:656
	scratch_load_b128 v[138:141], off, off offset:312
	s_mov_b32 s0, exec_lo
	s_wait_loadcnt_dscnt 0x601
	v_fma_f64 v[142:143], v[108:109], v[130:131], 0
	s_wait_loadcnt 0x5
	s_delay_alu instid0(VALU_DEP_1) | instskip(SKIP_4) | instid1(VALU_DEP_1)
	v_fmac_f64_e32 v[142:143], v[110:111], v[132:133]
	scratch_load_b128 v[108:111], off, off offset:328
	s_wait_dscnt 0x0
	v_fmac_f64_e32 v[142:143], v[112:113], v[134:135]
	s_wait_loadcnt 0x5
	v_fmac_f64_e32 v[142:143], v[114:115], v[136:137]
	ds_load_b128 v[112:115], v2 offset:672
	ds_load_b128 v[130:133], v2 offset:688
	s_wait_dscnt 0x1
	v_fmac_f64_e32 v[142:143], v[116:117], v[112:113]
	s_wait_loadcnt 0x4
	s_delay_alu instid0(VALU_DEP_1)
	v_fmac_f64_e32 v[142:143], v[118:119], v[114:115]
	s_clause 0x1
	scratch_load_b128 v[112:115], off, off offset:344
	scratch_load_b128 v[116:119], off, off offset:360
	s_wait_dscnt 0x0
	v_fmac_f64_e32 v[142:143], v[120:121], v[130:131]
	s_wait_loadcnt 0x5
	s_delay_alu instid0(VALU_DEP_1)
	v_fmac_f64_e32 v[142:143], v[122:123], v[132:133]
	ds_load_b128 v[120:123], v2 offset:704
	ds_load_b128 v[130:133], v2 offset:720
	s_wait_dscnt 0x1
	v_fmac_f64_e32 v[142:143], v[124:125], v[120:121]
	s_wait_loadcnt 0x4
	s_delay_alu instid0(VALU_DEP_1)
	v_fmac_f64_e32 v[142:143], v[126:127], v[122:123]
	s_clause 0x1
	scratch_load_b128 v[120:123], off, off offset:376
	scratch_load_b128 v[124:127], off, off offset:392
	s_wait_dscnt 0x0
	v_fmac_f64_e32 v[142:143], v[128:129], v[130:131]
	s_wait_loadcnt 0x5
	s_delay_alu instid0(VALU_DEP_1)
	v_fmac_f64_e32 v[142:143], v[138:139], v[132:133]
	ds_load_b128 v[128:131], v2 offset:736
	ds_load_b128 v[132:135], v2 offset:752
	s_wait_dscnt 0x1
	v_fmac_f64_e32 v[142:143], v[140:141], v[128:129]
	s_wait_loadcnt 0x4
	s_delay_alu instid0(VALU_DEP_1) | instskip(SKIP_1) | instid1(VALU_DEP_1)
	v_fmac_f64_e32 v[142:143], v[108:109], v[130:131]
	s_wait_dscnt 0x0
	v_fmac_f64_e32 v[142:143], v[110:111], v[132:133]
	ds_load_b128 v[108:111], v2 offset:768
	ds_load_b128 v[128:131], v2 offset:784
	s_wait_loadcnt 0x3
	v_fmac_f64_e32 v[142:143], v[112:113], v[134:135]
	s_wait_dscnt 0x1
	s_delay_alu instid0(VALU_DEP_1) | instskip(SKIP_1) | instid1(VALU_DEP_1)
	v_fmac_f64_e32 v[142:143], v[114:115], v[108:109]
	s_wait_loadcnt 0x2
	v_fmac_f64_e32 v[142:143], v[116:117], v[110:111]
	ds_load_b128 v[108:111], v2 offset:800
	ds_load_b64 v[112:113], v2 offset:816
	s_wait_dscnt 0x2
	v_fmac_f64_e32 v[142:143], v[118:119], v[128:129]
	s_wait_loadcnt 0x1
	s_delay_alu instid0(VALU_DEP_1) | instskip(SKIP_1) | instid1(VALU_DEP_1)
	v_fmac_f64_e32 v[142:143], v[120:121], v[130:131]
	s_wait_dscnt 0x1
	v_fmac_f64_e32 v[142:143], v[122:123], v[108:109]
	s_wait_loadcnt 0x0
	s_delay_alu instid0(VALU_DEP_1) | instskip(SKIP_1) | instid1(VALU_DEP_1)
	v_fmac_f64_e32 v[142:143], v[124:125], v[110:111]
	s_wait_dscnt 0x0
	v_fmac_f64_e32 v[142:143], v[126:127], v[112:113]
	s_delay_alu instid0(VALU_DEP_1)
	v_add_f64_e64 v[106:107], v[106:107], -v[142:143]
	scratch_store_b64 off, v[106:107], off offset:216
	s_wait_xcnt 0x0
	v_cmpx_lt_u32_e32 26, v0
	s_cbranch_execz .LBB114_263
; %bb.262:
	scratch_load_b64 v[106:107], off, off offset:208
	v_mov_b64_e32 v[108:109], 0
	scratch_store_b64 off, v[108:109], off offset:208
	s_wait_loadcnt 0x0
	ds_store_b64 v1, v[106:107]
.LBB114_263:
	s_wait_xcnt 0x0
	s_or_b32 exec_lo, exec_lo, s0
	s_wait_storecnt_dscnt 0x0
	s_barrier_signal -1
	s_barrier_wait -1
	s_clause 0x5
	scratch_load_b128 v[106:109], off, off offset:208
	scratch_load_b128 v[110:113], off, off offset:224
	;; [unrolled: 1-line block ×6, first 2 shown]
	ds_load_2addr_b64 v[130:133], v2 offset0:79 offset1:80
	ds_load_2addr_b64 v[134:137], v2 offset0:81 offset1:82
	scratch_load_b128 v[138:141], off, off offset:304
	s_mov_b32 s0, exec_lo
	s_wait_loadcnt_dscnt 0x601
	v_fma_f64 v[142:143], v[108:109], v[130:131], 0
	s_wait_loadcnt 0x5
	s_delay_alu instid0(VALU_DEP_1) | instskip(SKIP_4) | instid1(VALU_DEP_1)
	v_fmac_f64_e32 v[142:143], v[110:111], v[132:133]
	scratch_load_b128 v[108:111], off, off offset:320
	s_wait_dscnt 0x0
	v_fmac_f64_e32 v[142:143], v[112:113], v[134:135]
	s_wait_loadcnt 0x5
	v_fmac_f64_e32 v[142:143], v[114:115], v[136:137]
	ds_load_2addr_b64 v[112:115], v2 offset0:83 offset1:84
	ds_load_2addr_b64 v[130:133], v2 offset0:85 offset1:86
	s_wait_dscnt 0x1
	v_fmac_f64_e32 v[142:143], v[116:117], v[112:113]
	s_wait_loadcnt 0x4
	s_delay_alu instid0(VALU_DEP_1)
	v_fmac_f64_e32 v[142:143], v[118:119], v[114:115]
	s_clause 0x1
	scratch_load_b128 v[112:115], off, off offset:336
	scratch_load_b128 v[116:119], off, off offset:352
	s_wait_dscnt 0x0
	v_fmac_f64_e32 v[142:143], v[120:121], v[130:131]
	s_wait_loadcnt 0x5
	s_delay_alu instid0(VALU_DEP_1)
	v_fmac_f64_e32 v[142:143], v[122:123], v[132:133]
	ds_load_2addr_b64 v[120:123], v2 offset0:87 offset1:88
	ds_load_2addr_b64 v[130:133], v2 offset0:89 offset1:90
	s_wait_dscnt 0x1
	v_fmac_f64_e32 v[142:143], v[124:125], v[120:121]
	s_wait_loadcnt 0x4
	s_delay_alu instid0(VALU_DEP_1)
	v_fmac_f64_e32 v[142:143], v[126:127], v[122:123]
	s_clause 0x1
	scratch_load_b128 v[120:123], off, off offset:368
	scratch_load_b128 v[124:127], off, off offset:384
	s_wait_dscnt 0x0
	v_fmac_f64_e32 v[142:143], v[128:129], v[130:131]
	s_wait_loadcnt 0x5
	s_delay_alu instid0(VALU_DEP_1)
	v_fmac_f64_e32 v[142:143], v[138:139], v[132:133]
	ds_load_2addr_b64 v[128:131], v2 offset0:91 offset1:92
	ds_load_2addr_b64 v[132:135], v2 offset0:93 offset1:94
	scratch_load_b64 v[136:137], off, off offset:400
	s_wait_dscnt 0x1
	v_fmac_f64_e32 v[142:143], v[140:141], v[128:129]
	s_wait_loadcnt 0x5
	s_delay_alu instid0(VALU_DEP_1) | instskip(SKIP_1) | instid1(VALU_DEP_1)
	v_fmac_f64_e32 v[142:143], v[108:109], v[130:131]
	s_wait_dscnt 0x0
	v_fmac_f64_e32 v[142:143], v[110:111], v[132:133]
	ds_load_2addr_b64 v[108:111], v2 offset0:95 offset1:96
	ds_load_2addr_b64 v[128:131], v2 offset0:97 offset1:98
	s_wait_loadcnt 0x4
	v_fmac_f64_e32 v[142:143], v[112:113], v[134:135]
	s_wait_dscnt 0x1
	s_delay_alu instid0(VALU_DEP_1) | instskip(SKIP_1) | instid1(VALU_DEP_1)
	v_fmac_f64_e32 v[142:143], v[114:115], v[108:109]
	s_wait_loadcnt 0x3
	v_fmac_f64_e32 v[142:143], v[116:117], v[110:111]
	ds_load_2addr_b64 v[108:111], v2 offset0:99 offset1:100
	ds_load_2addr_b64 v[112:115], v2 offset0:101 offset1:102
	s_wait_dscnt 0x2
	v_fmac_f64_e32 v[142:143], v[118:119], v[128:129]
	s_wait_loadcnt 0x2
	s_delay_alu instid0(VALU_DEP_1) | instskip(SKIP_1) | instid1(VALU_DEP_1)
	v_fmac_f64_e32 v[142:143], v[120:121], v[130:131]
	s_wait_dscnt 0x1
	v_fmac_f64_e32 v[142:143], v[122:123], v[108:109]
	s_wait_loadcnt 0x1
	s_delay_alu instid0(VALU_DEP_1) | instskip(SKIP_1) | instid1(VALU_DEP_1)
	v_fmac_f64_e32 v[142:143], v[124:125], v[110:111]
	s_wait_dscnt 0x0
	v_fmac_f64_e32 v[142:143], v[126:127], v[112:113]
	s_wait_loadcnt 0x0
	s_delay_alu instid0(VALU_DEP_1) | instskip(NEXT) | instid1(VALU_DEP_1)
	v_fmac_f64_e32 v[142:143], v[136:137], v[114:115]
	v_add_f64_e64 v[2:3], v[106:107], -v[142:143]
	scratch_store_b64 off, v[2:3], off offset:208
	s_wait_xcnt 0x0
	v_cmpx_lt_u32_e32 25, v0
	s_cbranch_execz .LBB114_265
; %bb.264:
	scratch_load_b64 v[2:3], off, off offset:200
	v_mov_b64_e32 v[106:107], 0
	scratch_store_b64 off, v[106:107], off offset:200
	s_wait_loadcnt 0x0
	ds_store_b64 v1, v[2:3]
.LBB114_265:
	s_wait_xcnt 0x0
	s_or_b32 exec_lo, exec_lo, s0
	s_wait_storecnt_dscnt 0x0
	s_barrier_signal -1
	s_barrier_wait -1
	s_clause 0x5
	scratch_load_b128 v[106:109], off, off offset:200
	scratch_load_b128 v[110:113], off, off offset:216
	scratch_load_b128 v[114:117], off, off offset:232
	scratch_load_b128 v[118:121], off, off offset:248
	scratch_load_b128 v[122:125], off, off offset:264
	scratch_load_b128 v[126:129], off, off offset:280
	v_mov_b32_e32 v2, 0
	ds_load_b128 v[130:133], v2 offset:624
	ds_load_b128 v[134:137], v2 offset:640
	scratch_load_b128 v[138:141], off, off offset:296
	s_mov_b32 s0, exec_lo
	s_wait_loadcnt_dscnt 0x601
	v_fma_f64 v[142:143], v[108:109], v[130:131], 0
	s_wait_loadcnt 0x5
	s_delay_alu instid0(VALU_DEP_1) | instskip(SKIP_4) | instid1(VALU_DEP_1)
	v_fmac_f64_e32 v[142:143], v[110:111], v[132:133]
	scratch_load_b128 v[108:111], off, off offset:312
	s_wait_dscnt 0x0
	v_fmac_f64_e32 v[142:143], v[112:113], v[134:135]
	s_wait_loadcnt 0x5
	v_fmac_f64_e32 v[142:143], v[114:115], v[136:137]
	ds_load_b128 v[112:115], v2 offset:656
	ds_load_b128 v[130:133], v2 offset:672
	s_wait_dscnt 0x1
	v_fmac_f64_e32 v[142:143], v[116:117], v[112:113]
	s_wait_loadcnt 0x4
	s_delay_alu instid0(VALU_DEP_1)
	v_fmac_f64_e32 v[142:143], v[118:119], v[114:115]
	s_clause 0x1
	scratch_load_b128 v[112:115], off, off offset:328
	scratch_load_b128 v[116:119], off, off offset:344
	s_wait_dscnt 0x0
	v_fmac_f64_e32 v[142:143], v[120:121], v[130:131]
	s_wait_loadcnt 0x5
	s_delay_alu instid0(VALU_DEP_1)
	v_fmac_f64_e32 v[142:143], v[122:123], v[132:133]
	ds_load_b128 v[120:123], v2 offset:688
	ds_load_b128 v[130:133], v2 offset:704
	s_wait_dscnt 0x1
	v_fmac_f64_e32 v[142:143], v[124:125], v[120:121]
	s_wait_loadcnt 0x4
	s_delay_alu instid0(VALU_DEP_1)
	v_fmac_f64_e32 v[142:143], v[126:127], v[122:123]
	s_clause 0x1
	scratch_load_b128 v[120:123], off, off offset:360
	scratch_load_b128 v[124:127], off, off offset:376
	s_wait_dscnt 0x0
	v_fmac_f64_e32 v[142:143], v[128:129], v[130:131]
	s_wait_loadcnt 0x5
	s_delay_alu instid0(VALU_DEP_1)
	v_fmac_f64_e32 v[142:143], v[138:139], v[132:133]
	ds_load_b128 v[128:131], v2 offset:720
	ds_load_b128 v[132:135], v2 offset:736
	s_wait_dscnt 0x1
	v_fmac_f64_e32 v[142:143], v[140:141], v[128:129]
	s_wait_loadcnt 0x4
	s_delay_alu instid0(VALU_DEP_1) | instskip(SKIP_4) | instid1(VALU_DEP_1)
	v_fmac_f64_e32 v[142:143], v[108:109], v[130:131]
	scratch_load_b128 v[128:131], off, off offset:392
	s_wait_dscnt 0x0
	v_fmac_f64_e32 v[142:143], v[110:111], v[132:133]
	s_wait_loadcnt 0x4
	v_fmac_f64_e32 v[142:143], v[112:113], v[134:135]
	ds_load_b128 v[108:111], v2 offset:752
	ds_load_b128 v[132:135], v2 offset:768
	s_wait_dscnt 0x1
	v_fmac_f64_e32 v[142:143], v[114:115], v[108:109]
	s_wait_loadcnt 0x3
	s_delay_alu instid0(VALU_DEP_1)
	v_fmac_f64_e32 v[142:143], v[116:117], v[110:111]
	ds_load_b128 v[108:111], v2 offset:784
	ds_load_b128 v[112:115], v2 offset:800
	s_wait_dscnt 0x2
	v_fmac_f64_e32 v[142:143], v[118:119], v[132:133]
	s_wait_loadcnt 0x2
	s_delay_alu instid0(VALU_DEP_1) | instskip(SKIP_1) | instid1(VALU_DEP_1)
	v_fmac_f64_e32 v[142:143], v[120:121], v[134:135]
	s_wait_dscnt 0x1
	v_fmac_f64_e32 v[142:143], v[122:123], v[108:109]
	ds_load_b64 v[108:109], v2 offset:816
	s_wait_loadcnt 0x1
	v_fmac_f64_e32 v[142:143], v[124:125], v[110:111]
	s_wait_dscnt 0x1
	s_delay_alu instid0(VALU_DEP_1) | instskip(SKIP_1) | instid1(VALU_DEP_1)
	v_fmac_f64_e32 v[142:143], v[126:127], v[112:113]
	s_wait_loadcnt 0x0
	v_fmac_f64_e32 v[142:143], v[128:129], v[114:115]
	s_wait_dscnt 0x0
	s_delay_alu instid0(VALU_DEP_1) | instskip(NEXT) | instid1(VALU_DEP_1)
	v_fmac_f64_e32 v[142:143], v[130:131], v[108:109]
	v_add_f64_e64 v[106:107], v[106:107], -v[142:143]
	scratch_store_b64 off, v[106:107], off offset:200
	s_wait_xcnt 0x0
	v_cmpx_lt_u32_e32 24, v0
	s_cbranch_execz .LBB114_267
; %bb.266:
	scratch_load_b64 v[106:107], off, off offset:192
	v_mov_b64_e32 v[108:109], 0
	scratch_store_b64 off, v[108:109], off offset:192
	s_wait_loadcnt 0x0
	ds_store_b64 v1, v[106:107]
.LBB114_267:
	s_wait_xcnt 0x0
	s_or_b32 exec_lo, exec_lo, s0
	s_wait_storecnt_dscnt 0x0
	s_barrier_signal -1
	s_barrier_wait -1
	s_clause 0x5
	scratch_load_b128 v[106:109], off, off offset:192
	scratch_load_b128 v[110:113], off, off offset:208
	;; [unrolled: 1-line block ×6, first 2 shown]
	ds_load_2addr_b64 v[130:133], v2 offset0:77 offset1:78
	ds_load_2addr_b64 v[134:137], v2 offset0:79 offset1:80
	scratch_load_b128 v[138:141], off, off offset:288
	s_mov_b32 s0, exec_lo
	s_wait_loadcnt_dscnt 0x601
	v_fma_f64 v[142:143], v[108:109], v[130:131], 0
	s_wait_loadcnt 0x5
	s_delay_alu instid0(VALU_DEP_1) | instskip(SKIP_4) | instid1(VALU_DEP_1)
	v_fmac_f64_e32 v[142:143], v[110:111], v[132:133]
	scratch_load_b128 v[108:111], off, off offset:304
	s_wait_dscnt 0x0
	v_fmac_f64_e32 v[142:143], v[112:113], v[134:135]
	s_wait_loadcnt 0x5
	v_fmac_f64_e32 v[142:143], v[114:115], v[136:137]
	ds_load_2addr_b64 v[112:115], v2 offset0:81 offset1:82
	ds_load_2addr_b64 v[130:133], v2 offset0:83 offset1:84
	scratch_load_b128 v[134:137], off, off offset:320
	s_wait_dscnt 0x1
	v_fmac_f64_e32 v[142:143], v[116:117], v[112:113]
	s_wait_loadcnt 0x5
	s_delay_alu instid0(VALU_DEP_1) | instskip(SKIP_4) | instid1(VALU_DEP_1)
	v_fmac_f64_e32 v[142:143], v[118:119], v[114:115]
	scratch_load_b128 v[112:115], off, off offset:336
	s_wait_dscnt 0x0
	v_fmac_f64_e32 v[142:143], v[120:121], v[130:131]
	s_wait_loadcnt 0x5
	v_fmac_f64_e32 v[142:143], v[122:123], v[132:133]
	ds_load_2addr_b64 v[116:119], v2 offset0:85 offset1:86
	ds_load_2addr_b64 v[120:123], v2 offset0:87 offset1:88
	s_wait_dscnt 0x1
	v_fmac_f64_e32 v[142:143], v[124:125], v[116:117]
	s_wait_loadcnt 0x4
	s_delay_alu instid0(VALU_DEP_1) | instskip(SKIP_4) | instid1(VALU_DEP_1)
	v_fmac_f64_e32 v[142:143], v[126:127], v[118:119]
	scratch_load_b128 v[116:119], off, off offset:352
	s_wait_dscnt 0x0
	v_fmac_f64_e32 v[142:143], v[128:129], v[120:121]
	s_wait_loadcnt 0x4
	v_fmac_f64_e32 v[142:143], v[138:139], v[122:123]
	scratch_load_b128 v[120:123], off, off offset:368
	ds_load_2addr_b64 v[124:127], v2 offset0:89 offset1:90
	ds_load_2addr_b64 v[128:131], v2 offset0:91 offset1:92
	scratch_load_b64 v[132:133], off, off offset:400
	s_wait_dscnt 0x1
	v_fmac_f64_e32 v[142:143], v[140:141], v[124:125]
	s_wait_loadcnt 0x5
	s_delay_alu instid0(VALU_DEP_1) | instskip(SKIP_4) | instid1(VALU_DEP_1)
	v_fmac_f64_e32 v[142:143], v[108:109], v[126:127]
	scratch_load_b128 v[124:127], off, off offset:384
	s_wait_dscnt 0x0
	v_fmac_f64_e32 v[142:143], v[110:111], v[128:129]
	s_wait_loadcnt 0x5
	v_fmac_f64_e32 v[142:143], v[134:135], v[130:131]
	ds_load_2addr_b64 v[108:111], v2 offset0:93 offset1:94
	ds_load_2addr_b64 v[128:131], v2 offset0:95 offset1:96
	s_wait_dscnt 0x1
	v_fmac_f64_e32 v[142:143], v[136:137], v[108:109]
	s_wait_loadcnt 0x4
	s_delay_alu instid0(VALU_DEP_1) | instskip(SKIP_1) | instid1(VALU_DEP_1)
	v_fmac_f64_e32 v[142:143], v[112:113], v[110:111]
	s_wait_dscnt 0x0
	v_fmac_f64_e32 v[142:143], v[114:115], v[128:129]
	ds_load_2addr_b64 v[108:111], v2 offset0:97 offset1:98
	ds_load_2addr_b64 v[112:115], v2 offset0:99 offset1:100
	s_wait_loadcnt 0x3
	v_fmac_f64_e32 v[142:143], v[116:117], v[130:131]
	s_wait_dscnt 0x1
	s_delay_alu instid0(VALU_DEP_1) | instskip(SKIP_1) | instid1(VALU_DEP_1)
	v_fmac_f64_e32 v[142:143], v[118:119], v[108:109]
	s_wait_loadcnt 0x2
	v_fmac_f64_e32 v[142:143], v[120:121], v[110:111]
	ds_load_2addr_b64 v[108:111], v2 offset0:101 offset1:102
	s_wait_dscnt 0x1
	v_fmac_f64_e32 v[142:143], v[122:123], v[112:113]
	s_wait_loadcnt 0x0
	s_delay_alu instid0(VALU_DEP_1) | instskip(SKIP_1) | instid1(VALU_DEP_1)
	v_fmac_f64_e32 v[142:143], v[124:125], v[114:115]
	s_wait_dscnt 0x0
	v_fmac_f64_e32 v[142:143], v[126:127], v[108:109]
	s_delay_alu instid0(VALU_DEP_1) | instskip(NEXT) | instid1(VALU_DEP_1)
	v_fmac_f64_e32 v[142:143], v[132:133], v[110:111]
	v_add_f64_e64 v[2:3], v[106:107], -v[142:143]
	scratch_store_b64 off, v[2:3], off offset:192
	s_wait_xcnt 0x0
	v_cmpx_lt_u32_e32 23, v0
	s_cbranch_execz .LBB114_269
; %bb.268:
	scratch_load_b64 v[2:3], off, off offset:184
	v_mov_b64_e32 v[106:107], 0
	scratch_store_b64 off, v[106:107], off offset:184
	s_wait_loadcnt 0x0
	ds_store_b64 v1, v[2:3]
.LBB114_269:
	s_wait_xcnt 0x0
	s_or_b32 exec_lo, exec_lo, s0
	s_wait_storecnt_dscnt 0x0
	s_barrier_signal -1
	s_barrier_wait -1
	s_clause 0x5
	scratch_load_b128 v[106:109], off, off offset:184
	scratch_load_b128 v[110:113], off, off offset:200
	;; [unrolled: 1-line block ×6, first 2 shown]
	v_mov_b32_e32 v2, 0
	ds_load_b128 v[130:133], v2 offset:608
	ds_load_b128 v[134:137], v2 offset:624
	scratch_load_b128 v[138:141], off, off offset:280
	s_mov_b32 s0, exec_lo
	s_wait_loadcnt_dscnt 0x601
	v_fma_f64 v[142:143], v[108:109], v[130:131], 0
	s_wait_loadcnt 0x5
	s_delay_alu instid0(VALU_DEP_1) | instskip(SKIP_4) | instid1(VALU_DEP_1)
	v_fmac_f64_e32 v[142:143], v[110:111], v[132:133]
	scratch_load_b128 v[108:111], off, off offset:296
	s_wait_dscnt 0x0
	v_fmac_f64_e32 v[142:143], v[112:113], v[134:135]
	s_wait_loadcnt 0x5
	v_fmac_f64_e32 v[142:143], v[114:115], v[136:137]
	ds_load_b128 v[112:115], v2 offset:640
	ds_load_b128 v[130:133], v2 offset:656
	scratch_load_b128 v[134:137], off, off offset:312
	s_wait_dscnt 0x1
	v_fmac_f64_e32 v[142:143], v[116:117], v[112:113]
	s_wait_loadcnt 0x5
	s_delay_alu instid0(VALU_DEP_1) | instskip(SKIP_4) | instid1(VALU_DEP_1)
	v_fmac_f64_e32 v[142:143], v[118:119], v[114:115]
	scratch_load_b128 v[112:115], off, off offset:328
	s_wait_dscnt 0x0
	v_fmac_f64_e32 v[142:143], v[120:121], v[130:131]
	s_wait_loadcnt 0x5
	v_fmac_f64_e32 v[142:143], v[122:123], v[132:133]
	ds_load_b128 v[116:119], v2 offset:672
	ds_load_b128 v[120:123], v2 offset:688
	s_wait_dscnt 0x1
	v_fmac_f64_e32 v[142:143], v[124:125], v[116:117]
	s_wait_loadcnt 0x4
	s_delay_alu instid0(VALU_DEP_1) | instskip(SKIP_4) | instid1(VALU_DEP_1)
	v_fmac_f64_e32 v[142:143], v[126:127], v[118:119]
	scratch_load_b128 v[116:119], off, off offset:344
	s_wait_dscnt 0x0
	v_fmac_f64_e32 v[142:143], v[128:129], v[120:121]
	s_wait_loadcnt 0x4
	v_fmac_f64_e32 v[142:143], v[138:139], v[122:123]
	scratch_load_b128 v[120:123], off, off offset:360
	ds_load_b128 v[124:127], v2 offset:704
	ds_load_b128 v[128:131], v2 offset:720
	s_wait_dscnt 0x1
	v_fmac_f64_e32 v[142:143], v[140:141], v[124:125]
	s_wait_loadcnt 0x4
	s_delay_alu instid0(VALU_DEP_1)
	v_fmac_f64_e32 v[142:143], v[108:109], v[126:127]
	scratch_load_b128 v[124:127], off, off offset:376
	s_wait_dscnt 0x0
	v_fmac_f64_e32 v[142:143], v[110:111], v[128:129]
	scratch_load_b128 v[108:111], off, off offset:392
	s_wait_loadcnt 0x5
	v_fmac_f64_e32 v[142:143], v[134:135], v[130:131]
	ds_load_b128 v[128:131], v2 offset:736
	ds_load_b128 v[132:135], v2 offset:752
	s_wait_dscnt 0x1
	v_fmac_f64_e32 v[142:143], v[136:137], v[128:129]
	s_wait_loadcnt 0x4
	s_delay_alu instid0(VALU_DEP_1) | instskip(SKIP_1) | instid1(VALU_DEP_1)
	v_fmac_f64_e32 v[142:143], v[112:113], v[130:131]
	s_wait_dscnt 0x0
	v_fmac_f64_e32 v[142:143], v[114:115], v[132:133]
	ds_load_b128 v[112:115], v2 offset:768
	ds_load_b128 v[128:131], v2 offset:784
	s_wait_loadcnt 0x3
	v_fmac_f64_e32 v[142:143], v[116:117], v[134:135]
	s_wait_dscnt 0x1
	s_delay_alu instid0(VALU_DEP_1) | instskip(SKIP_1) | instid1(VALU_DEP_1)
	v_fmac_f64_e32 v[142:143], v[118:119], v[112:113]
	s_wait_loadcnt 0x2
	v_fmac_f64_e32 v[142:143], v[120:121], v[114:115]
	ds_load_b128 v[112:115], v2 offset:800
	ds_load_b64 v[116:117], v2 offset:816
	s_wait_dscnt 0x2
	v_fmac_f64_e32 v[142:143], v[122:123], v[128:129]
	s_wait_loadcnt 0x1
	s_delay_alu instid0(VALU_DEP_1) | instskip(SKIP_1) | instid1(VALU_DEP_1)
	v_fmac_f64_e32 v[142:143], v[124:125], v[130:131]
	s_wait_dscnt 0x1
	v_fmac_f64_e32 v[142:143], v[126:127], v[112:113]
	s_wait_loadcnt 0x0
	s_delay_alu instid0(VALU_DEP_1) | instskip(SKIP_1) | instid1(VALU_DEP_1)
	v_fmac_f64_e32 v[142:143], v[108:109], v[114:115]
	s_wait_dscnt 0x0
	v_fmac_f64_e32 v[142:143], v[110:111], v[116:117]
	s_delay_alu instid0(VALU_DEP_1)
	v_add_f64_e64 v[106:107], v[106:107], -v[142:143]
	scratch_store_b64 off, v[106:107], off offset:184
	s_wait_xcnt 0x0
	v_cmpx_lt_u32_e32 22, v0
	s_cbranch_execz .LBB114_271
; %bb.270:
	scratch_load_b64 v[106:107], off, off offset:176
	v_mov_b64_e32 v[108:109], 0
	scratch_store_b64 off, v[108:109], off offset:176
	s_wait_loadcnt 0x0
	ds_store_b64 v1, v[106:107]
.LBB114_271:
	s_wait_xcnt 0x0
	s_or_b32 exec_lo, exec_lo, s0
	s_wait_storecnt_dscnt 0x0
	s_barrier_signal -1
	s_barrier_wait -1
	s_clause 0x5
	scratch_load_b128 v[106:109], off, off offset:176
	scratch_load_b128 v[110:113], off, off offset:192
	;; [unrolled: 1-line block ×6, first 2 shown]
	ds_load_2addr_b64 v[130:133], v2 offset0:75 offset1:76
	ds_load_2addr_b64 v[134:137], v2 offset0:77 offset1:78
	scratch_load_b128 v[138:141], off, off offset:272
	s_mov_b32 s0, exec_lo
	s_wait_loadcnt_dscnt 0x601
	v_fma_f64 v[142:143], v[108:109], v[130:131], 0
	s_wait_loadcnt 0x5
	s_delay_alu instid0(VALU_DEP_1) | instskip(SKIP_4) | instid1(VALU_DEP_1)
	v_fmac_f64_e32 v[142:143], v[110:111], v[132:133]
	scratch_load_b128 v[108:111], off, off offset:288
	s_wait_dscnt 0x0
	v_fmac_f64_e32 v[142:143], v[112:113], v[134:135]
	s_wait_loadcnt 0x5
	v_fmac_f64_e32 v[142:143], v[114:115], v[136:137]
	ds_load_2addr_b64 v[112:115], v2 offset0:79 offset1:80
	ds_load_2addr_b64 v[130:133], v2 offset0:81 offset1:82
	scratch_load_b128 v[134:137], off, off offset:304
	s_wait_dscnt 0x1
	v_fmac_f64_e32 v[142:143], v[116:117], v[112:113]
	s_wait_loadcnt 0x5
	s_delay_alu instid0(VALU_DEP_1) | instskip(SKIP_4) | instid1(VALU_DEP_1)
	v_fmac_f64_e32 v[142:143], v[118:119], v[114:115]
	scratch_load_b128 v[112:115], off, off offset:320
	s_wait_dscnt 0x0
	v_fmac_f64_e32 v[142:143], v[120:121], v[130:131]
	s_wait_loadcnt 0x5
	v_fmac_f64_e32 v[142:143], v[122:123], v[132:133]
	ds_load_2addr_b64 v[116:119], v2 offset0:83 offset1:84
	ds_load_2addr_b64 v[120:123], v2 offset0:85 offset1:86
	s_wait_dscnt 0x1
	v_fmac_f64_e32 v[142:143], v[124:125], v[116:117]
	s_wait_loadcnt 0x4
	s_delay_alu instid0(VALU_DEP_1) | instskip(SKIP_4) | instid1(VALU_DEP_1)
	v_fmac_f64_e32 v[142:143], v[126:127], v[118:119]
	scratch_load_b128 v[116:119], off, off offset:336
	s_wait_dscnt 0x0
	v_fmac_f64_e32 v[142:143], v[128:129], v[120:121]
	s_wait_loadcnt 0x4
	v_fmac_f64_e32 v[142:143], v[138:139], v[122:123]
	scratch_load_b128 v[120:123], off, off offset:352
	ds_load_2addr_b64 v[124:127], v2 offset0:87 offset1:88
	ds_load_2addr_b64 v[128:131], v2 offset0:89 offset1:90
	s_wait_dscnt 0x1
	v_fmac_f64_e32 v[142:143], v[140:141], v[124:125]
	s_wait_loadcnt 0x4
	s_delay_alu instid0(VALU_DEP_1)
	v_fmac_f64_e32 v[142:143], v[108:109], v[126:127]
	scratch_load_b128 v[124:127], off, off offset:368
	s_wait_dscnt 0x0
	v_fmac_f64_e32 v[142:143], v[110:111], v[128:129]
	scratch_load_b128 v[108:111], off, off offset:384
	s_wait_loadcnt 0x5
	v_fmac_f64_e32 v[142:143], v[134:135], v[130:131]
	ds_load_2addr_b64 v[128:131], v2 offset0:91 offset1:92
	ds_load_2addr_b64 v[132:135], v2 offset0:93 offset1:94
	s_wait_dscnt 0x1
	v_fmac_f64_e32 v[142:143], v[136:137], v[128:129]
	scratch_load_b64 v[136:137], off, off offset:400
	s_wait_loadcnt 0x5
	v_fmac_f64_e32 v[142:143], v[112:113], v[130:131]
	s_wait_dscnt 0x0
	s_delay_alu instid0(VALU_DEP_1)
	v_fmac_f64_e32 v[142:143], v[114:115], v[132:133]
	ds_load_2addr_b64 v[112:115], v2 offset0:95 offset1:96
	ds_load_2addr_b64 v[128:131], v2 offset0:97 offset1:98
	s_wait_loadcnt 0x4
	v_fmac_f64_e32 v[142:143], v[116:117], v[134:135]
	s_wait_dscnt 0x1
	s_delay_alu instid0(VALU_DEP_1) | instskip(SKIP_1) | instid1(VALU_DEP_1)
	v_fmac_f64_e32 v[142:143], v[118:119], v[112:113]
	s_wait_loadcnt 0x3
	v_fmac_f64_e32 v[142:143], v[120:121], v[114:115]
	ds_load_2addr_b64 v[112:115], v2 offset0:99 offset1:100
	ds_load_2addr_b64 v[116:119], v2 offset0:101 offset1:102
	s_wait_dscnt 0x2
	v_fmac_f64_e32 v[142:143], v[122:123], v[128:129]
	s_wait_loadcnt 0x2
	s_delay_alu instid0(VALU_DEP_1) | instskip(SKIP_1) | instid1(VALU_DEP_1)
	v_fmac_f64_e32 v[142:143], v[124:125], v[130:131]
	s_wait_dscnt 0x1
	v_fmac_f64_e32 v[142:143], v[126:127], v[112:113]
	s_wait_loadcnt 0x1
	s_delay_alu instid0(VALU_DEP_1) | instskip(SKIP_1) | instid1(VALU_DEP_1)
	v_fmac_f64_e32 v[142:143], v[108:109], v[114:115]
	s_wait_dscnt 0x0
	v_fmac_f64_e32 v[142:143], v[110:111], v[116:117]
	s_wait_loadcnt 0x0
	s_delay_alu instid0(VALU_DEP_1) | instskip(NEXT) | instid1(VALU_DEP_1)
	v_fmac_f64_e32 v[142:143], v[136:137], v[118:119]
	v_add_f64_e64 v[2:3], v[106:107], -v[142:143]
	scratch_store_b64 off, v[2:3], off offset:176
	s_wait_xcnt 0x0
	v_cmpx_lt_u32_e32 21, v0
	s_cbranch_execz .LBB114_273
; %bb.272:
	scratch_load_b64 v[2:3], off, off offset:168
	v_mov_b64_e32 v[106:107], 0
	scratch_store_b64 off, v[106:107], off offset:168
	s_wait_loadcnt 0x0
	ds_store_b64 v1, v[2:3]
.LBB114_273:
	s_wait_xcnt 0x0
	s_or_b32 exec_lo, exec_lo, s0
	s_wait_storecnt_dscnt 0x0
	s_barrier_signal -1
	s_barrier_wait -1
	s_clause 0x5
	scratch_load_b128 v[106:109], off, off offset:168
	scratch_load_b128 v[110:113], off, off offset:184
	;; [unrolled: 1-line block ×6, first 2 shown]
	v_mov_b32_e32 v2, 0
	ds_load_b128 v[130:133], v2 offset:592
	ds_load_b128 v[134:137], v2 offset:608
	scratch_load_b128 v[138:141], off, off offset:264
	s_mov_b32 s0, exec_lo
	s_wait_loadcnt_dscnt 0x601
	v_fma_f64 v[142:143], v[108:109], v[130:131], 0
	s_wait_loadcnt 0x5
	s_delay_alu instid0(VALU_DEP_1) | instskip(SKIP_4) | instid1(VALU_DEP_1)
	v_fmac_f64_e32 v[142:143], v[110:111], v[132:133]
	scratch_load_b128 v[108:111], off, off offset:280
	s_wait_dscnt 0x0
	v_fmac_f64_e32 v[142:143], v[112:113], v[134:135]
	s_wait_loadcnt 0x5
	v_fmac_f64_e32 v[142:143], v[114:115], v[136:137]
	ds_load_b128 v[112:115], v2 offset:624
	ds_load_b128 v[130:133], v2 offset:640
	scratch_load_b128 v[134:137], off, off offset:296
	s_wait_dscnt 0x1
	v_fmac_f64_e32 v[142:143], v[116:117], v[112:113]
	s_wait_loadcnt 0x5
	s_delay_alu instid0(VALU_DEP_1) | instskip(SKIP_4) | instid1(VALU_DEP_1)
	v_fmac_f64_e32 v[142:143], v[118:119], v[114:115]
	scratch_load_b128 v[112:115], off, off offset:312
	s_wait_dscnt 0x0
	v_fmac_f64_e32 v[142:143], v[120:121], v[130:131]
	s_wait_loadcnt 0x5
	v_fmac_f64_e32 v[142:143], v[122:123], v[132:133]
	ds_load_b128 v[116:119], v2 offset:656
	ds_load_b128 v[120:123], v2 offset:672
	s_wait_dscnt 0x1
	v_fmac_f64_e32 v[142:143], v[124:125], v[116:117]
	s_wait_loadcnt 0x4
	s_delay_alu instid0(VALU_DEP_1) | instskip(SKIP_4) | instid1(VALU_DEP_1)
	v_fmac_f64_e32 v[142:143], v[126:127], v[118:119]
	scratch_load_b128 v[116:119], off, off offset:328
	s_wait_dscnt 0x0
	v_fmac_f64_e32 v[142:143], v[128:129], v[120:121]
	s_wait_loadcnt 0x4
	v_fmac_f64_e32 v[142:143], v[138:139], v[122:123]
	scratch_load_b128 v[120:123], off, off offset:344
	ds_load_b128 v[124:127], v2 offset:688
	ds_load_b128 v[128:131], v2 offset:704
	s_wait_dscnt 0x1
	v_fmac_f64_e32 v[142:143], v[140:141], v[124:125]
	s_wait_loadcnt 0x4
	s_delay_alu instid0(VALU_DEP_1)
	v_fmac_f64_e32 v[142:143], v[108:109], v[126:127]
	scratch_load_b128 v[124:127], off, off offset:360
	s_wait_dscnt 0x0
	v_fmac_f64_e32 v[142:143], v[110:111], v[128:129]
	scratch_load_b128 v[108:111], off, off offset:376
	s_wait_loadcnt 0x5
	v_fmac_f64_e32 v[142:143], v[134:135], v[130:131]
	ds_load_b128 v[128:131], v2 offset:720
	ds_load_b128 v[132:135], v2 offset:736
	s_wait_dscnt 0x1
	v_fmac_f64_e32 v[142:143], v[136:137], v[128:129]
	s_wait_loadcnt 0x4
	s_delay_alu instid0(VALU_DEP_1) | instskip(SKIP_4) | instid1(VALU_DEP_1)
	v_fmac_f64_e32 v[142:143], v[112:113], v[130:131]
	scratch_load_b128 v[128:131], off, off offset:392
	s_wait_dscnt 0x0
	v_fmac_f64_e32 v[142:143], v[114:115], v[132:133]
	s_wait_loadcnt 0x4
	v_fmac_f64_e32 v[142:143], v[116:117], v[134:135]
	ds_load_b128 v[112:115], v2 offset:752
	ds_load_b128 v[132:135], v2 offset:768
	s_wait_dscnt 0x1
	v_fmac_f64_e32 v[142:143], v[118:119], v[112:113]
	s_wait_loadcnt 0x3
	s_delay_alu instid0(VALU_DEP_1)
	v_fmac_f64_e32 v[142:143], v[120:121], v[114:115]
	ds_load_b128 v[112:115], v2 offset:784
	ds_load_b128 v[116:119], v2 offset:800
	s_wait_dscnt 0x2
	v_fmac_f64_e32 v[142:143], v[122:123], v[132:133]
	s_wait_loadcnt 0x2
	s_delay_alu instid0(VALU_DEP_1) | instskip(SKIP_1) | instid1(VALU_DEP_1)
	v_fmac_f64_e32 v[142:143], v[124:125], v[134:135]
	s_wait_dscnt 0x1
	v_fmac_f64_e32 v[142:143], v[126:127], v[112:113]
	s_wait_loadcnt 0x1
	s_delay_alu instid0(VALU_DEP_1) | instskip(SKIP_4) | instid1(VALU_DEP_1)
	v_fmac_f64_e32 v[142:143], v[108:109], v[114:115]
	ds_load_b64 v[108:109], v2 offset:816
	s_wait_dscnt 0x1
	v_fmac_f64_e32 v[142:143], v[110:111], v[116:117]
	s_wait_loadcnt 0x0
	v_fmac_f64_e32 v[142:143], v[128:129], v[118:119]
	s_wait_dscnt 0x0
	s_delay_alu instid0(VALU_DEP_1) | instskip(NEXT) | instid1(VALU_DEP_1)
	v_fmac_f64_e32 v[142:143], v[130:131], v[108:109]
	v_add_f64_e64 v[106:107], v[106:107], -v[142:143]
	scratch_store_b64 off, v[106:107], off offset:168
	s_wait_xcnt 0x0
	v_cmpx_lt_u32_e32 20, v0
	s_cbranch_execz .LBB114_275
; %bb.274:
	scratch_load_b64 v[106:107], off, off offset:160
	v_mov_b64_e32 v[108:109], 0
	scratch_store_b64 off, v[108:109], off offset:160
	s_wait_loadcnt 0x0
	ds_store_b64 v1, v[106:107]
.LBB114_275:
	s_wait_xcnt 0x0
	s_or_b32 exec_lo, exec_lo, s0
	s_wait_storecnt_dscnt 0x0
	s_barrier_signal -1
	s_barrier_wait -1
	s_clause 0x5
	scratch_load_b128 v[106:109], off, off offset:160
	scratch_load_b128 v[110:113], off, off offset:176
	;; [unrolled: 1-line block ×6, first 2 shown]
	ds_load_2addr_b64 v[130:133], v2 offset0:73 offset1:74
	ds_load_2addr_b64 v[134:137], v2 offset0:75 offset1:76
	scratch_load_b128 v[138:141], off, off offset:256
	s_mov_b32 s0, exec_lo
	s_wait_loadcnt_dscnt 0x601
	v_fma_f64 v[142:143], v[108:109], v[130:131], 0
	s_wait_loadcnt 0x5
	s_delay_alu instid0(VALU_DEP_1) | instskip(SKIP_4) | instid1(VALU_DEP_1)
	v_fmac_f64_e32 v[142:143], v[110:111], v[132:133]
	scratch_load_b128 v[108:111], off, off offset:272
	s_wait_dscnt 0x0
	v_fmac_f64_e32 v[142:143], v[112:113], v[134:135]
	s_wait_loadcnt 0x5
	v_fmac_f64_e32 v[142:143], v[114:115], v[136:137]
	ds_load_2addr_b64 v[112:115], v2 offset0:77 offset1:78
	ds_load_2addr_b64 v[130:133], v2 offset0:79 offset1:80
	scratch_load_b128 v[134:137], off, off offset:288
	s_wait_dscnt 0x1
	v_fmac_f64_e32 v[142:143], v[116:117], v[112:113]
	s_wait_loadcnt 0x5
	s_delay_alu instid0(VALU_DEP_1) | instskip(SKIP_4) | instid1(VALU_DEP_1)
	v_fmac_f64_e32 v[142:143], v[118:119], v[114:115]
	scratch_load_b128 v[112:115], off, off offset:304
	s_wait_dscnt 0x0
	v_fmac_f64_e32 v[142:143], v[120:121], v[130:131]
	s_wait_loadcnt 0x5
	v_fmac_f64_e32 v[142:143], v[122:123], v[132:133]
	ds_load_2addr_b64 v[116:119], v2 offset0:81 offset1:82
	ds_load_2addr_b64 v[120:123], v2 offset0:83 offset1:84
	scratch_load_b128 v[130:133], off, off offset:320
	s_wait_dscnt 0x1
	v_fmac_f64_e32 v[142:143], v[124:125], v[116:117]
	s_wait_loadcnt 0x5
	s_delay_alu instid0(VALU_DEP_1) | instskip(SKIP_4) | instid1(VALU_DEP_1)
	v_fmac_f64_e32 v[142:143], v[126:127], v[118:119]
	scratch_load_b128 v[116:119], off, off offset:336
	s_wait_dscnt 0x0
	v_fmac_f64_e32 v[142:143], v[128:129], v[120:121]
	s_wait_loadcnt 0x5
	v_fmac_f64_e32 v[142:143], v[138:139], v[122:123]
	ds_load_2addr_b64 v[120:123], v2 offset0:85 offset1:86
	ds_load_2addr_b64 v[124:127], v2 offset0:87 offset1:88
	s_wait_dscnt 0x1
	v_fmac_f64_e32 v[142:143], v[140:141], v[120:121]
	s_wait_loadcnt 0x4
	s_delay_alu instid0(VALU_DEP_1)
	v_fmac_f64_e32 v[142:143], v[108:109], v[122:123]
	scratch_load_b128 v[120:123], off, off offset:352
	s_wait_dscnt 0x0
	v_fmac_f64_e32 v[142:143], v[110:111], v[124:125]
	scratch_load_b128 v[108:111], off, off offset:368
	s_wait_loadcnt 0x5
	v_fmac_f64_e32 v[142:143], v[134:135], v[126:127]
	ds_load_2addr_b64 v[124:127], v2 offset0:89 offset1:90
	ds_load_2addr_b64 v[138:141], v2 offset0:91 offset1:92
	scratch_load_b64 v[134:135], off, off offset:400
	s_wait_dscnt 0x1
	v_fmac_f64_e32 v[142:143], v[136:137], v[124:125]
	s_wait_loadcnt 0x5
	s_delay_alu instid0(VALU_DEP_1) | instskip(SKIP_4) | instid1(VALU_DEP_1)
	v_fmac_f64_e32 v[142:143], v[112:113], v[126:127]
	scratch_load_b128 v[124:127], off, off offset:384
	s_wait_dscnt 0x0
	v_fmac_f64_e32 v[142:143], v[114:115], v[138:139]
	s_wait_loadcnt 0x5
	v_fmac_f64_e32 v[142:143], v[130:131], v[140:141]
	ds_load_2addr_b64 v[112:115], v2 offset0:93 offset1:94
	ds_load_2addr_b64 v[128:131], v2 offset0:95 offset1:96
	s_wait_dscnt 0x1
	v_fmac_f64_e32 v[142:143], v[132:133], v[112:113]
	s_wait_loadcnt 0x4
	s_delay_alu instid0(VALU_DEP_1) | instskip(SKIP_1) | instid1(VALU_DEP_1)
	v_fmac_f64_e32 v[142:143], v[116:117], v[114:115]
	s_wait_dscnt 0x0
	v_fmac_f64_e32 v[142:143], v[118:119], v[128:129]
	ds_load_2addr_b64 v[112:115], v2 offset0:97 offset1:98
	ds_load_2addr_b64 v[116:119], v2 offset0:99 offset1:100
	s_wait_loadcnt 0x3
	v_fmac_f64_e32 v[142:143], v[120:121], v[130:131]
	s_wait_dscnt 0x1
	s_delay_alu instid0(VALU_DEP_1) | instskip(SKIP_1) | instid1(VALU_DEP_1)
	v_fmac_f64_e32 v[142:143], v[122:123], v[112:113]
	s_wait_loadcnt 0x2
	v_fmac_f64_e32 v[142:143], v[108:109], v[114:115]
	s_wait_dscnt 0x0
	s_delay_alu instid0(VALU_DEP_1) | instskip(SKIP_4) | instid1(VALU_DEP_1)
	v_fmac_f64_e32 v[142:143], v[110:111], v[116:117]
	ds_load_2addr_b64 v[108:111], v2 offset0:101 offset1:102
	s_wait_loadcnt 0x0
	v_fmac_f64_e32 v[142:143], v[124:125], v[118:119]
	s_wait_dscnt 0x0
	v_fmac_f64_e32 v[142:143], v[126:127], v[108:109]
	s_delay_alu instid0(VALU_DEP_1) | instskip(NEXT) | instid1(VALU_DEP_1)
	v_fmac_f64_e32 v[142:143], v[134:135], v[110:111]
	v_add_f64_e64 v[2:3], v[106:107], -v[142:143]
	scratch_store_b64 off, v[2:3], off offset:160
	s_wait_xcnt 0x0
	v_cmpx_lt_u32_e32 19, v0
	s_cbranch_execz .LBB114_277
; %bb.276:
	scratch_load_b64 v[2:3], off, off offset:152
	v_mov_b64_e32 v[106:107], 0
	scratch_store_b64 off, v[106:107], off offset:152
	s_wait_loadcnt 0x0
	ds_store_b64 v1, v[2:3]
.LBB114_277:
	s_wait_xcnt 0x0
	s_or_b32 exec_lo, exec_lo, s0
	s_wait_storecnt_dscnt 0x0
	s_barrier_signal -1
	s_barrier_wait -1
	s_clause 0x5
	scratch_load_b128 v[106:109], off, off offset:152
	scratch_load_b128 v[110:113], off, off offset:168
	;; [unrolled: 1-line block ×6, first 2 shown]
	v_mov_b32_e32 v2, 0
	ds_load_b128 v[130:133], v2 offset:576
	ds_load_b128 v[134:137], v2 offset:592
	scratch_load_b128 v[138:141], off, off offset:248
	s_mov_b32 s0, exec_lo
	s_wait_loadcnt_dscnt 0x601
	v_fma_f64 v[142:143], v[108:109], v[130:131], 0
	s_wait_loadcnt 0x5
	s_delay_alu instid0(VALU_DEP_1) | instskip(SKIP_4) | instid1(VALU_DEP_1)
	v_fmac_f64_e32 v[142:143], v[110:111], v[132:133]
	scratch_load_b128 v[108:111], off, off offset:264
	s_wait_dscnt 0x0
	v_fmac_f64_e32 v[142:143], v[112:113], v[134:135]
	s_wait_loadcnt 0x5
	v_fmac_f64_e32 v[142:143], v[114:115], v[136:137]
	ds_load_b128 v[112:115], v2 offset:608
	ds_load_b128 v[130:133], v2 offset:624
	scratch_load_b128 v[134:137], off, off offset:280
	s_wait_dscnt 0x1
	v_fmac_f64_e32 v[142:143], v[116:117], v[112:113]
	s_wait_loadcnt 0x5
	s_delay_alu instid0(VALU_DEP_1) | instskip(SKIP_4) | instid1(VALU_DEP_1)
	v_fmac_f64_e32 v[142:143], v[118:119], v[114:115]
	scratch_load_b128 v[112:115], off, off offset:296
	s_wait_dscnt 0x0
	v_fmac_f64_e32 v[142:143], v[120:121], v[130:131]
	s_wait_loadcnt 0x5
	v_fmac_f64_e32 v[142:143], v[122:123], v[132:133]
	ds_load_b128 v[116:119], v2 offset:640
	ds_load_b128 v[120:123], v2 offset:656
	scratch_load_b128 v[130:133], off, off offset:312
	s_wait_dscnt 0x1
	v_fmac_f64_e32 v[142:143], v[124:125], v[116:117]
	s_wait_loadcnt 0x5
	s_delay_alu instid0(VALU_DEP_1) | instskip(SKIP_4) | instid1(VALU_DEP_1)
	v_fmac_f64_e32 v[142:143], v[126:127], v[118:119]
	scratch_load_b128 v[116:119], off, off offset:328
	s_wait_dscnt 0x0
	v_fmac_f64_e32 v[142:143], v[128:129], v[120:121]
	s_wait_loadcnt 0x5
	v_fmac_f64_e32 v[142:143], v[138:139], v[122:123]
	ds_load_b128 v[120:123], v2 offset:672
	ds_load_b128 v[124:127], v2 offset:688
	s_wait_dscnt 0x1
	v_fmac_f64_e32 v[142:143], v[140:141], v[120:121]
	s_wait_loadcnt 0x4
	s_delay_alu instid0(VALU_DEP_1)
	v_fmac_f64_e32 v[142:143], v[108:109], v[122:123]
	scratch_load_b128 v[120:123], off, off offset:344
	s_wait_dscnt 0x0
	v_fmac_f64_e32 v[142:143], v[110:111], v[124:125]
	scratch_load_b128 v[108:111], off, off offset:360
	s_wait_loadcnt 0x5
	v_fmac_f64_e32 v[142:143], v[134:135], v[126:127]
	ds_load_b128 v[124:127], v2 offset:704
	ds_load_b128 v[138:141], v2 offset:720
	s_wait_dscnt 0x1
	v_fmac_f64_e32 v[142:143], v[136:137], v[124:125]
	s_wait_loadcnt 0x4
	s_delay_alu instid0(VALU_DEP_1)
	v_fmac_f64_e32 v[142:143], v[112:113], v[126:127]
	scratch_load_b128 v[124:127], off, off offset:376
	s_wait_dscnt 0x0
	v_fmac_f64_e32 v[142:143], v[114:115], v[138:139]
	scratch_load_b128 v[112:115], off, off offset:392
	s_wait_loadcnt 0x5
	v_fmac_f64_e32 v[142:143], v[130:131], v[140:141]
	ds_load_b128 v[128:131], v2 offset:736
	ds_load_b128 v[134:137], v2 offset:752
	s_wait_dscnt 0x1
	v_fmac_f64_e32 v[142:143], v[132:133], v[128:129]
	s_wait_loadcnt 0x4
	s_delay_alu instid0(VALU_DEP_1) | instskip(SKIP_1) | instid1(VALU_DEP_1)
	v_fmac_f64_e32 v[142:143], v[116:117], v[130:131]
	s_wait_dscnt 0x0
	v_fmac_f64_e32 v[142:143], v[118:119], v[134:135]
	ds_load_b128 v[116:119], v2 offset:768
	ds_load_b128 v[128:131], v2 offset:784
	s_wait_loadcnt 0x3
	v_fmac_f64_e32 v[142:143], v[120:121], v[136:137]
	s_wait_dscnt 0x1
	s_delay_alu instid0(VALU_DEP_1) | instskip(SKIP_1) | instid1(VALU_DEP_1)
	v_fmac_f64_e32 v[142:143], v[122:123], v[116:117]
	s_wait_loadcnt 0x2
	v_fmac_f64_e32 v[142:143], v[108:109], v[118:119]
	s_wait_dscnt 0x0
	s_delay_alu instid0(VALU_DEP_1)
	v_fmac_f64_e32 v[142:143], v[110:111], v[128:129]
	ds_load_b128 v[108:111], v2 offset:800
	ds_load_b64 v[116:117], v2 offset:816
	s_wait_loadcnt 0x1
	v_fmac_f64_e32 v[142:143], v[124:125], v[130:131]
	s_wait_dscnt 0x1
	s_delay_alu instid0(VALU_DEP_1) | instskip(SKIP_1) | instid1(VALU_DEP_1)
	v_fmac_f64_e32 v[142:143], v[126:127], v[108:109]
	s_wait_loadcnt 0x0
	v_fmac_f64_e32 v[142:143], v[112:113], v[110:111]
	s_wait_dscnt 0x0
	s_delay_alu instid0(VALU_DEP_1) | instskip(NEXT) | instid1(VALU_DEP_1)
	v_fmac_f64_e32 v[142:143], v[114:115], v[116:117]
	v_add_f64_e64 v[106:107], v[106:107], -v[142:143]
	scratch_store_b64 off, v[106:107], off offset:152
	s_wait_xcnt 0x0
	v_cmpx_lt_u32_e32 18, v0
	s_cbranch_execz .LBB114_279
; %bb.278:
	scratch_load_b64 v[106:107], off, off offset:144
	v_mov_b64_e32 v[108:109], 0
	scratch_store_b64 off, v[108:109], off offset:144
	s_wait_loadcnt 0x0
	ds_store_b64 v1, v[106:107]
.LBB114_279:
	s_wait_xcnt 0x0
	s_or_b32 exec_lo, exec_lo, s0
	s_wait_storecnt_dscnt 0x0
	s_barrier_signal -1
	s_barrier_wait -1
	s_clause 0x5
	scratch_load_b128 v[106:109], off, off offset:144
	scratch_load_b128 v[110:113], off, off offset:160
	;; [unrolled: 1-line block ×6, first 2 shown]
	ds_load_2addr_b64 v[130:133], v2 offset0:71 offset1:72
	ds_load_2addr_b64 v[134:137], v2 offset0:73 offset1:74
	scratch_load_b128 v[138:141], off, off offset:240
	s_mov_b32 s0, exec_lo
	s_wait_loadcnt_dscnt 0x601
	v_fma_f64 v[142:143], v[108:109], v[130:131], 0
	s_wait_loadcnt 0x5
	s_delay_alu instid0(VALU_DEP_1) | instskip(SKIP_4) | instid1(VALU_DEP_1)
	v_fmac_f64_e32 v[142:143], v[110:111], v[132:133]
	scratch_load_b128 v[108:111], off, off offset:256
	s_wait_dscnt 0x0
	v_fmac_f64_e32 v[142:143], v[112:113], v[134:135]
	s_wait_loadcnt 0x5
	v_fmac_f64_e32 v[142:143], v[114:115], v[136:137]
	ds_load_2addr_b64 v[112:115], v2 offset0:75 offset1:76
	ds_load_2addr_b64 v[130:133], v2 offset0:77 offset1:78
	scratch_load_b128 v[134:137], off, off offset:272
	s_wait_dscnt 0x1
	v_fmac_f64_e32 v[142:143], v[116:117], v[112:113]
	s_wait_loadcnt 0x5
	s_delay_alu instid0(VALU_DEP_1) | instskip(SKIP_4) | instid1(VALU_DEP_1)
	v_fmac_f64_e32 v[142:143], v[118:119], v[114:115]
	scratch_load_b128 v[112:115], off, off offset:288
	s_wait_dscnt 0x0
	v_fmac_f64_e32 v[142:143], v[120:121], v[130:131]
	s_wait_loadcnt 0x5
	v_fmac_f64_e32 v[142:143], v[122:123], v[132:133]
	ds_load_2addr_b64 v[116:119], v2 offset0:79 offset1:80
	ds_load_2addr_b64 v[120:123], v2 offset0:81 offset1:82
	scratch_load_b128 v[130:133], off, off offset:304
	s_wait_dscnt 0x1
	v_fmac_f64_e32 v[142:143], v[124:125], v[116:117]
	s_wait_loadcnt 0x5
	s_delay_alu instid0(VALU_DEP_1) | instskip(SKIP_4) | instid1(VALU_DEP_1)
	v_fmac_f64_e32 v[142:143], v[126:127], v[118:119]
	scratch_load_b128 v[116:119], off, off offset:320
	s_wait_dscnt 0x0
	v_fmac_f64_e32 v[142:143], v[128:129], v[120:121]
	s_wait_loadcnt 0x5
	v_fmac_f64_e32 v[142:143], v[138:139], v[122:123]
	ds_load_2addr_b64 v[120:123], v2 offset0:83 offset1:84
	ds_load_2addr_b64 v[124:127], v2 offset0:85 offset1:86
	s_wait_dscnt 0x1
	v_fmac_f64_e32 v[142:143], v[140:141], v[120:121]
	s_wait_loadcnt 0x4
	s_delay_alu instid0(VALU_DEP_1)
	v_fmac_f64_e32 v[142:143], v[108:109], v[122:123]
	scratch_load_b128 v[120:123], off, off offset:336
	s_wait_dscnt 0x0
	v_fmac_f64_e32 v[142:143], v[110:111], v[124:125]
	scratch_load_b128 v[108:111], off, off offset:352
	s_wait_loadcnt 0x5
	v_fmac_f64_e32 v[142:143], v[134:135], v[126:127]
	ds_load_2addr_b64 v[124:127], v2 offset0:87 offset1:88
	ds_load_2addr_b64 v[138:141], v2 offset0:89 offset1:90
	s_wait_dscnt 0x1
	v_fmac_f64_e32 v[142:143], v[136:137], v[124:125]
	s_wait_loadcnt 0x4
	s_delay_alu instid0(VALU_DEP_1)
	v_fmac_f64_e32 v[142:143], v[112:113], v[126:127]
	scratch_load_b128 v[124:127], off, off offset:368
	s_wait_dscnt 0x0
	v_fmac_f64_e32 v[142:143], v[114:115], v[138:139]
	scratch_load_b128 v[112:115], off, off offset:384
	s_wait_loadcnt 0x5
	v_fmac_f64_e32 v[142:143], v[130:131], v[140:141]
	ds_load_2addr_b64 v[128:131], v2 offset0:91 offset1:92
	ds_load_2addr_b64 v[134:137], v2 offset0:93 offset1:94
	s_wait_dscnt 0x1
	v_fmac_f64_e32 v[142:143], v[132:133], v[128:129]
	scratch_load_b64 v[132:133], off, off offset:400
	s_wait_loadcnt 0x5
	v_fmac_f64_e32 v[142:143], v[116:117], v[130:131]
	s_wait_dscnt 0x0
	s_delay_alu instid0(VALU_DEP_1)
	v_fmac_f64_e32 v[142:143], v[118:119], v[134:135]
	ds_load_2addr_b64 v[116:119], v2 offset0:95 offset1:96
	ds_load_2addr_b64 v[128:131], v2 offset0:97 offset1:98
	s_wait_loadcnt 0x4
	v_fmac_f64_e32 v[142:143], v[120:121], v[136:137]
	s_wait_dscnt 0x1
	s_delay_alu instid0(VALU_DEP_1) | instskip(SKIP_1) | instid1(VALU_DEP_1)
	v_fmac_f64_e32 v[142:143], v[122:123], v[116:117]
	s_wait_loadcnt 0x3
	v_fmac_f64_e32 v[142:143], v[108:109], v[118:119]
	s_wait_dscnt 0x0
	s_delay_alu instid0(VALU_DEP_1)
	v_fmac_f64_e32 v[142:143], v[110:111], v[128:129]
	ds_load_2addr_b64 v[108:111], v2 offset0:99 offset1:100
	ds_load_2addr_b64 v[116:119], v2 offset0:101 offset1:102
	s_wait_loadcnt 0x2
	v_fmac_f64_e32 v[142:143], v[124:125], v[130:131]
	s_wait_dscnt 0x1
	s_delay_alu instid0(VALU_DEP_1) | instskip(SKIP_1) | instid1(VALU_DEP_1)
	v_fmac_f64_e32 v[142:143], v[126:127], v[108:109]
	s_wait_loadcnt 0x1
	v_fmac_f64_e32 v[142:143], v[112:113], v[110:111]
	s_wait_dscnt 0x0
	s_delay_alu instid0(VALU_DEP_1) | instskip(SKIP_1) | instid1(VALU_DEP_1)
	v_fmac_f64_e32 v[142:143], v[114:115], v[116:117]
	s_wait_loadcnt 0x0
	v_fmac_f64_e32 v[142:143], v[132:133], v[118:119]
	s_delay_alu instid0(VALU_DEP_1)
	v_add_f64_e64 v[2:3], v[106:107], -v[142:143]
	scratch_store_b64 off, v[2:3], off offset:144
	s_wait_xcnt 0x0
	v_cmpx_lt_u32_e32 17, v0
	s_cbranch_execz .LBB114_281
; %bb.280:
	scratch_load_b64 v[2:3], off, off offset:136
	v_mov_b64_e32 v[106:107], 0
	scratch_store_b64 off, v[106:107], off offset:136
	s_wait_loadcnt 0x0
	ds_store_b64 v1, v[2:3]
.LBB114_281:
	s_wait_xcnt 0x0
	s_or_b32 exec_lo, exec_lo, s0
	s_wait_storecnt_dscnt 0x0
	s_barrier_signal -1
	s_barrier_wait -1
	s_clause 0x5
	scratch_load_b128 v[106:109], off, off offset:136
	scratch_load_b128 v[110:113], off, off offset:152
	;; [unrolled: 1-line block ×6, first 2 shown]
	v_mov_b32_e32 v2, 0
	ds_load_b128 v[130:133], v2 offset:560
	ds_load_b128 v[134:137], v2 offset:576
	scratch_load_b128 v[138:141], off, off offset:232
	s_mov_b32 s0, exec_lo
	s_wait_loadcnt_dscnt 0x601
	v_fma_f64 v[142:143], v[108:109], v[130:131], 0
	s_wait_loadcnt 0x5
	s_delay_alu instid0(VALU_DEP_1) | instskip(SKIP_4) | instid1(VALU_DEP_1)
	v_fmac_f64_e32 v[142:143], v[110:111], v[132:133]
	scratch_load_b128 v[108:111], off, off offset:248
	s_wait_dscnt 0x0
	v_fmac_f64_e32 v[142:143], v[112:113], v[134:135]
	s_wait_loadcnt 0x5
	v_fmac_f64_e32 v[142:143], v[114:115], v[136:137]
	ds_load_b128 v[112:115], v2 offset:592
	ds_load_b128 v[130:133], v2 offset:608
	scratch_load_b128 v[134:137], off, off offset:264
	s_wait_dscnt 0x1
	v_fmac_f64_e32 v[142:143], v[116:117], v[112:113]
	s_wait_loadcnt 0x5
	s_delay_alu instid0(VALU_DEP_1) | instskip(SKIP_4) | instid1(VALU_DEP_1)
	v_fmac_f64_e32 v[142:143], v[118:119], v[114:115]
	scratch_load_b128 v[112:115], off, off offset:280
	s_wait_dscnt 0x0
	v_fmac_f64_e32 v[142:143], v[120:121], v[130:131]
	s_wait_loadcnt 0x5
	v_fmac_f64_e32 v[142:143], v[122:123], v[132:133]
	ds_load_b128 v[116:119], v2 offset:624
	ds_load_b128 v[120:123], v2 offset:640
	scratch_load_b128 v[130:133], off, off offset:296
	s_wait_dscnt 0x1
	v_fmac_f64_e32 v[142:143], v[124:125], v[116:117]
	s_wait_loadcnt 0x5
	s_delay_alu instid0(VALU_DEP_1) | instskip(SKIP_4) | instid1(VALU_DEP_1)
	v_fmac_f64_e32 v[142:143], v[126:127], v[118:119]
	scratch_load_b128 v[116:119], off, off offset:312
	s_wait_dscnt 0x0
	v_fmac_f64_e32 v[142:143], v[128:129], v[120:121]
	s_wait_loadcnt 0x5
	v_fmac_f64_e32 v[142:143], v[138:139], v[122:123]
	ds_load_b128 v[120:123], v2 offset:656
	ds_load_b128 v[124:127], v2 offset:672
	s_wait_dscnt 0x1
	v_fmac_f64_e32 v[142:143], v[140:141], v[120:121]
	s_wait_loadcnt 0x4
	s_delay_alu instid0(VALU_DEP_1)
	v_fmac_f64_e32 v[142:143], v[108:109], v[122:123]
	scratch_load_b128 v[120:123], off, off offset:328
	s_wait_dscnt 0x0
	v_fmac_f64_e32 v[142:143], v[110:111], v[124:125]
	scratch_load_b128 v[108:111], off, off offset:344
	s_wait_loadcnt 0x5
	v_fmac_f64_e32 v[142:143], v[134:135], v[126:127]
	ds_load_b128 v[124:127], v2 offset:688
	ds_load_b128 v[138:141], v2 offset:704
	s_wait_dscnt 0x1
	v_fmac_f64_e32 v[142:143], v[136:137], v[124:125]
	s_wait_loadcnt 0x4
	s_delay_alu instid0(VALU_DEP_1)
	v_fmac_f64_e32 v[142:143], v[112:113], v[126:127]
	scratch_load_b128 v[124:127], off, off offset:360
	s_wait_dscnt 0x0
	v_fmac_f64_e32 v[142:143], v[114:115], v[138:139]
	scratch_load_b128 v[112:115], off, off offset:376
	s_wait_loadcnt 0x5
	v_fmac_f64_e32 v[142:143], v[130:131], v[140:141]
	ds_load_b128 v[128:131], v2 offset:720
	ds_load_b128 v[134:137], v2 offset:736
	s_wait_dscnt 0x1
	v_fmac_f64_e32 v[142:143], v[132:133], v[128:129]
	s_wait_loadcnt 0x4
	s_delay_alu instid0(VALU_DEP_1)
	v_fmac_f64_e32 v[142:143], v[116:117], v[130:131]
	scratch_load_b128 v[128:131], off, off offset:392
	s_wait_dscnt 0x0
	v_fmac_f64_e32 v[142:143], v[118:119], v[134:135]
	ds_load_b128 v[116:119], v2 offset:752
	ds_load_b128 v[132:135], v2 offset:768
	s_wait_loadcnt 0x4
	v_fmac_f64_e32 v[142:143], v[120:121], v[136:137]
	s_wait_dscnt 0x1
	s_delay_alu instid0(VALU_DEP_1) | instskip(SKIP_1) | instid1(VALU_DEP_1)
	v_fmac_f64_e32 v[142:143], v[122:123], v[116:117]
	s_wait_loadcnt 0x3
	v_fmac_f64_e32 v[142:143], v[108:109], v[118:119]
	s_wait_dscnt 0x0
	s_delay_alu instid0(VALU_DEP_1)
	v_fmac_f64_e32 v[142:143], v[110:111], v[132:133]
	ds_load_b128 v[108:111], v2 offset:784
	ds_load_b128 v[116:119], v2 offset:800
	s_wait_loadcnt 0x2
	v_fmac_f64_e32 v[142:143], v[124:125], v[134:135]
	s_wait_dscnt 0x1
	s_delay_alu instid0(VALU_DEP_1) | instskip(SKIP_4) | instid1(VALU_DEP_1)
	v_fmac_f64_e32 v[142:143], v[126:127], v[108:109]
	ds_load_b64 v[108:109], v2 offset:816
	s_wait_loadcnt 0x1
	v_fmac_f64_e32 v[142:143], v[112:113], v[110:111]
	s_wait_dscnt 0x1
	v_fmac_f64_e32 v[142:143], v[114:115], v[116:117]
	s_wait_loadcnt 0x0
	s_delay_alu instid0(VALU_DEP_1) | instskip(SKIP_1) | instid1(VALU_DEP_1)
	v_fmac_f64_e32 v[142:143], v[128:129], v[118:119]
	s_wait_dscnt 0x0
	v_fmac_f64_e32 v[142:143], v[130:131], v[108:109]
	s_delay_alu instid0(VALU_DEP_1)
	v_add_f64_e64 v[106:107], v[106:107], -v[142:143]
	scratch_store_b64 off, v[106:107], off offset:136
	s_wait_xcnt 0x0
	v_cmpx_lt_u32_e32 16, v0
	s_cbranch_execz .LBB114_283
; %bb.282:
	scratch_load_b64 v[106:107], off, off offset:128
	v_mov_b64_e32 v[108:109], 0
	scratch_store_b64 off, v[108:109], off offset:128
	s_wait_loadcnt 0x0
	ds_store_b64 v1, v[106:107]
.LBB114_283:
	s_wait_xcnt 0x0
	s_or_b32 exec_lo, exec_lo, s0
	s_wait_storecnt_dscnt 0x0
	s_barrier_signal -1
	s_barrier_wait -1
	s_clause 0x5
	scratch_load_b128 v[106:109], off, off offset:128
	scratch_load_b128 v[110:113], off, off offset:144
	;; [unrolled: 1-line block ×6, first 2 shown]
	ds_load_2addr_b64 v[130:133], v2 offset0:69 offset1:70
	ds_load_2addr_b64 v[134:137], v2 offset0:71 offset1:72
	scratch_load_b128 v[138:141], off, off offset:224
	s_mov_b32 s0, exec_lo
	s_wait_loadcnt_dscnt 0x601
	v_fma_f64 v[142:143], v[108:109], v[130:131], 0
	s_wait_loadcnt 0x5
	s_delay_alu instid0(VALU_DEP_1) | instskip(SKIP_4) | instid1(VALU_DEP_1)
	v_fmac_f64_e32 v[142:143], v[110:111], v[132:133]
	scratch_load_b128 v[108:111], off, off offset:240
	s_wait_dscnt 0x0
	v_fmac_f64_e32 v[142:143], v[112:113], v[134:135]
	s_wait_loadcnt 0x5
	v_fmac_f64_e32 v[142:143], v[114:115], v[136:137]
	ds_load_2addr_b64 v[112:115], v2 offset0:73 offset1:74
	ds_load_2addr_b64 v[130:133], v2 offset0:75 offset1:76
	scratch_load_b128 v[134:137], off, off offset:256
	s_wait_dscnt 0x1
	v_fmac_f64_e32 v[142:143], v[116:117], v[112:113]
	s_wait_loadcnt 0x5
	s_delay_alu instid0(VALU_DEP_1) | instskip(SKIP_4) | instid1(VALU_DEP_1)
	v_fmac_f64_e32 v[142:143], v[118:119], v[114:115]
	scratch_load_b128 v[112:115], off, off offset:272
	s_wait_dscnt 0x0
	v_fmac_f64_e32 v[142:143], v[120:121], v[130:131]
	s_wait_loadcnt 0x5
	v_fmac_f64_e32 v[142:143], v[122:123], v[132:133]
	ds_load_2addr_b64 v[116:119], v2 offset0:77 offset1:78
	ds_load_2addr_b64 v[120:123], v2 offset0:79 offset1:80
	scratch_load_b128 v[130:133], off, off offset:288
	s_wait_dscnt 0x1
	v_fmac_f64_e32 v[142:143], v[124:125], v[116:117]
	s_wait_loadcnt 0x5
	s_delay_alu instid0(VALU_DEP_1) | instskip(SKIP_4) | instid1(VALU_DEP_1)
	v_fmac_f64_e32 v[142:143], v[126:127], v[118:119]
	scratch_load_b128 v[116:119], off, off offset:304
	s_wait_dscnt 0x0
	v_fmac_f64_e32 v[142:143], v[128:129], v[120:121]
	s_wait_loadcnt 0x5
	v_fmac_f64_e32 v[142:143], v[138:139], v[122:123]
	ds_load_2addr_b64 v[120:123], v2 offset0:81 offset1:82
	ds_load_2addr_b64 v[124:127], v2 offset0:83 offset1:84
	s_wait_dscnt 0x1
	v_fmac_f64_e32 v[142:143], v[140:141], v[120:121]
	scratch_load_b128 v[138:141], off, off offset:320
	s_wait_loadcnt 0x5
	v_fmac_f64_e32 v[142:143], v[108:109], v[122:123]
	s_wait_dscnt 0x0
	s_delay_alu instid0(VALU_DEP_1)
	v_fmac_f64_e32 v[142:143], v[110:111], v[124:125]
	scratch_load_b128 v[108:111], off, off offset:336
	s_wait_loadcnt 0x5
	v_fmac_f64_e32 v[142:143], v[134:135], v[126:127]
	ds_load_2addr_b64 v[120:123], v2 offset0:85 offset1:86
	ds_load_2addr_b64 v[124:127], v2 offset0:87 offset1:88
	s_wait_dscnt 0x1
	v_fmac_f64_e32 v[142:143], v[136:137], v[120:121]
	s_wait_loadcnt 0x4
	s_delay_alu instid0(VALU_DEP_1)
	v_fmac_f64_e32 v[142:143], v[112:113], v[122:123]
	scratch_load_b128 v[120:123], off, off offset:352
	s_wait_dscnt 0x0
	v_fmac_f64_e32 v[142:143], v[114:115], v[124:125]
	scratch_load_b128 v[112:115], off, off offset:368
	s_wait_loadcnt 0x5
	v_fmac_f64_e32 v[142:143], v[130:131], v[126:127]
	ds_load_2addr_b64 v[124:127], v2 offset0:89 offset1:90
	ds_load_2addr_b64 v[128:131], v2 offset0:91 offset1:92
	s_wait_dscnt 0x1
	v_fmac_f64_e32 v[142:143], v[132:133], v[124:125]
	scratch_load_b64 v[132:133], off, off offset:400
	s_wait_loadcnt 0x5
	v_fmac_f64_e32 v[142:143], v[116:117], v[126:127]
	scratch_load_b128 v[124:127], off, off offset:384
	s_wait_dscnt 0x0
	v_fmac_f64_e32 v[142:143], v[118:119], v[128:129]
	s_wait_loadcnt 0x5
	s_delay_alu instid0(VALU_DEP_1)
	v_fmac_f64_e32 v[142:143], v[138:139], v[130:131]
	ds_load_2addr_b64 v[116:119], v2 offset0:93 offset1:94
	ds_load_2addr_b64 v[128:131], v2 offset0:95 offset1:96
	s_wait_dscnt 0x1
	v_fmac_f64_e32 v[142:143], v[140:141], v[116:117]
	s_wait_loadcnt 0x4
	s_delay_alu instid0(VALU_DEP_1) | instskip(SKIP_1) | instid1(VALU_DEP_1)
	v_fmac_f64_e32 v[142:143], v[108:109], v[118:119]
	s_wait_dscnt 0x0
	v_fmac_f64_e32 v[142:143], v[110:111], v[128:129]
	ds_load_2addr_b64 v[108:111], v2 offset0:97 offset1:98
	ds_load_2addr_b64 v[116:119], v2 offset0:99 offset1:100
	s_wait_loadcnt 0x3
	v_fmac_f64_e32 v[142:143], v[120:121], v[130:131]
	s_wait_dscnt 0x1
	s_delay_alu instid0(VALU_DEP_1) | instskip(SKIP_1) | instid1(VALU_DEP_1)
	v_fmac_f64_e32 v[142:143], v[122:123], v[108:109]
	s_wait_loadcnt 0x2
	v_fmac_f64_e32 v[142:143], v[112:113], v[110:111]
	ds_load_2addr_b64 v[108:111], v2 offset0:101 offset1:102
	s_wait_dscnt 0x1
	v_fmac_f64_e32 v[142:143], v[114:115], v[116:117]
	s_wait_loadcnt 0x0
	s_delay_alu instid0(VALU_DEP_1) | instskip(SKIP_1) | instid1(VALU_DEP_1)
	v_fmac_f64_e32 v[142:143], v[124:125], v[118:119]
	s_wait_dscnt 0x0
	v_fmac_f64_e32 v[142:143], v[126:127], v[108:109]
	s_delay_alu instid0(VALU_DEP_1) | instskip(NEXT) | instid1(VALU_DEP_1)
	v_fmac_f64_e32 v[142:143], v[132:133], v[110:111]
	v_add_f64_e64 v[2:3], v[106:107], -v[142:143]
	scratch_store_b64 off, v[2:3], off offset:128
	s_wait_xcnt 0x0
	v_cmpx_lt_u32_e32 15, v0
	s_cbranch_execz .LBB114_285
; %bb.284:
	scratch_load_b64 v[2:3], off, off offset:120
	v_mov_b64_e32 v[106:107], 0
	scratch_store_b64 off, v[106:107], off offset:120
	s_wait_loadcnt 0x0
	ds_store_b64 v1, v[2:3]
.LBB114_285:
	s_wait_xcnt 0x0
	s_or_b32 exec_lo, exec_lo, s0
	s_wait_storecnt_dscnt 0x0
	s_barrier_signal -1
	s_barrier_wait -1
	s_clause 0x5
	scratch_load_b128 v[106:109], off, off offset:120
	scratch_load_b128 v[110:113], off, off offset:136
	;; [unrolled: 1-line block ×6, first 2 shown]
	v_mov_b32_e32 v2, 0
	ds_load_b128 v[130:133], v2 offset:544
	ds_load_b128 v[134:137], v2 offset:560
	scratch_load_b128 v[138:141], off, off offset:216
	s_mov_b32 s0, exec_lo
	s_wait_loadcnt_dscnt 0x601
	v_fma_f64 v[142:143], v[108:109], v[130:131], 0
	s_wait_loadcnt 0x5
	s_delay_alu instid0(VALU_DEP_1) | instskip(SKIP_4) | instid1(VALU_DEP_1)
	v_fmac_f64_e32 v[142:143], v[110:111], v[132:133]
	scratch_load_b128 v[108:111], off, off offset:232
	s_wait_dscnt 0x0
	v_fmac_f64_e32 v[142:143], v[112:113], v[134:135]
	s_wait_loadcnt 0x5
	v_fmac_f64_e32 v[142:143], v[114:115], v[136:137]
	ds_load_b128 v[112:115], v2 offset:576
	ds_load_b128 v[130:133], v2 offset:592
	scratch_load_b128 v[134:137], off, off offset:248
	s_wait_dscnt 0x1
	v_fmac_f64_e32 v[142:143], v[116:117], v[112:113]
	s_wait_loadcnt 0x5
	s_delay_alu instid0(VALU_DEP_1) | instskip(SKIP_4) | instid1(VALU_DEP_1)
	v_fmac_f64_e32 v[142:143], v[118:119], v[114:115]
	scratch_load_b128 v[112:115], off, off offset:264
	s_wait_dscnt 0x0
	v_fmac_f64_e32 v[142:143], v[120:121], v[130:131]
	s_wait_loadcnt 0x5
	v_fmac_f64_e32 v[142:143], v[122:123], v[132:133]
	ds_load_b128 v[116:119], v2 offset:608
	ds_load_b128 v[120:123], v2 offset:624
	scratch_load_b128 v[130:133], off, off offset:280
	s_wait_dscnt 0x1
	v_fmac_f64_e32 v[142:143], v[124:125], v[116:117]
	s_wait_loadcnt 0x5
	s_delay_alu instid0(VALU_DEP_1) | instskip(SKIP_4) | instid1(VALU_DEP_1)
	v_fmac_f64_e32 v[142:143], v[126:127], v[118:119]
	scratch_load_b128 v[116:119], off, off offset:296
	s_wait_dscnt 0x0
	v_fmac_f64_e32 v[142:143], v[128:129], v[120:121]
	s_wait_loadcnt 0x5
	v_fmac_f64_e32 v[142:143], v[138:139], v[122:123]
	ds_load_b128 v[120:123], v2 offset:640
	ds_load_b128 v[124:127], v2 offset:656
	s_wait_dscnt 0x1
	v_fmac_f64_e32 v[142:143], v[140:141], v[120:121]
	scratch_load_b128 v[138:141], off, off offset:312
	s_wait_loadcnt 0x5
	v_fmac_f64_e32 v[142:143], v[108:109], v[122:123]
	s_wait_dscnt 0x0
	s_delay_alu instid0(VALU_DEP_1)
	v_fmac_f64_e32 v[142:143], v[110:111], v[124:125]
	scratch_load_b128 v[108:111], off, off offset:328
	s_wait_loadcnt 0x5
	v_fmac_f64_e32 v[142:143], v[134:135], v[126:127]
	ds_load_b128 v[120:123], v2 offset:672
	ds_load_b128 v[124:127], v2 offset:688
	s_wait_dscnt 0x1
	v_fmac_f64_e32 v[142:143], v[136:137], v[120:121]
	s_wait_loadcnt 0x4
	s_delay_alu instid0(VALU_DEP_1)
	v_fmac_f64_e32 v[142:143], v[112:113], v[122:123]
	scratch_load_b128 v[120:123], off, off offset:344
	s_wait_dscnt 0x0
	v_fmac_f64_e32 v[142:143], v[114:115], v[124:125]
	scratch_load_b128 v[112:115], off, off offset:360
	s_wait_loadcnt 0x5
	v_fmac_f64_e32 v[142:143], v[130:131], v[126:127]
	ds_load_b128 v[124:127], v2 offset:704
	ds_load_b128 v[128:131], v2 offset:720
	s_wait_dscnt 0x1
	v_fmac_f64_e32 v[142:143], v[132:133], v[124:125]
	s_wait_loadcnt 0x4
	s_delay_alu instid0(VALU_DEP_1)
	v_fmac_f64_e32 v[142:143], v[116:117], v[126:127]
	scratch_load_b128 v[124:127], off, off offset:376
	s_wait_dscnt 0x0
	v_fmac_f64_e32 v[142:143], v[118:119], v[128:129]
	scratch_load_b128 v[116:119], off, off offset:392
	s_wait_loadcnt 0x5
	v_fmac_f64_e32 v[142:143], v[138:139], v[130:131]
	ds_load_b128 v[128:131], v2 offset:736
	ds_load_b128 v[132:135], v2 offset:752
	s_wait_dscnt 0x1
	v_fmac_f64_e32 v[142:143], v[140:141], v[128:129]
	s_wait_loadcnt 0x4
	s_delay_alu instid0(VALU_DEP_1) | instskip(SKIP_1) | instid1(VALU_DEP_1)
	v_fmac_f64_e32 v[142:143], v[108:109], v[130:131]
	s_wait_dscnt 0x0
	v_fmac_f64_e32 v[142:143], v[110:111], v[132:133]
	ds_load_b128 v[108:111], v2 offset:768
	ds_load_b128 v[128:131], v2 offset:784
	s_wait_loadcnt 0x3
	v_fmac_f64_e32 v[142:143], v[120:121], v[134:135]
	s_wait_dscnt 0x1
	s_delay_alu instid0(VALU_DEP_1) | instskip(SKIP_1) | instid1(VALU_DEP_1)
	v_fmac_f64_e32 v[142:143], v[122:123], v[108:109]
	s_wait_loadcnt 0x2
	v_fmac_f64_e32 v[142:143], v[112:113], v[110:111]
	ds_load_b128 v[108:111], v2 offset:800
	ds_load_b64 v[112:113], v2 offset:816
	s_wait_dscnt 0x2
	v_fmac_f64_e32 v[142:143], v[114:115], v[128:129]
	s_wait_loadcnt 0x1
	s_delay_alu instid0(VALU_DEP_1) | instskip(SKIP_1) | instid1(VALU_DEP_1)
	v_fmac_f64_e32 v[142:143], v[124:125], v[130:131]
	s_wait_dscnt 0x1
	v_fmac_f64_e32 v[142:143], v[126:127], v[108:109]
	s_wait_loadcnt 0x0
	s_delay_alu instid0(VALU_DEP_1) | instskip(SKIP_1) | instid1(VALU_DEP_1)
	v_fmac_f64_e32 v[142:143], v[116:117], v[110:111]
	s_wait_dscnt 0x0
	v_fmac_f64_e32 v[142:143], v[118:119], v[112:113]
	s_delay_alu instid0(VALU_DEP_1)
	v_add_f64_e64 v[106:107], v[106:107], -v[142:143]
	scratch_store_b64 off, v[106:107], off offset:120
	s_wait_xcnt 0x0
	v_cmpx_lt_u32_e32 14, v0
	s_cbranch_execz .LBB114_287
; %bb.286:
	scratch_load_b64 v[106:107], off, off offset:112
	v_mov_b64_e32 v[108:109], 0
	scratch_store_b64 off, v[108:109], off offset:112
	s_wait_loadcnt 0x0
	ds_store_b64 v1, v[106:107]
.LBB114_287:
	s_wait_xcnt 0x0
	s_or_b32 exec_lo, exec_lo, s0
	s_wait_storecnt_dscnt 0x0
	s_barrier_signal -1
	s_barrier_wait -1
	s_clause 0x5
	scratch_load_b128 v[106:109], off, off offset:112
	scratch_load_b128 v[110:113], off, off offset:128
	scratch_load_b128 v[114:117], off, off offset:144
	scratch_load_b128 v[118:121], off, off offset:160
	scratch_load_b128 v[122:125], off, off offset:176
	scratch_load_b128 v[126:129], off, off offset:192
	ds_load_2addr_b64 v[130:133], v2 offset0:67 offset1:68
	ds_load_2addr_b64 v[134:137], v2 offset0:69 offset1:70
	scratch_load_b128 v[138:141], off, off offset:208
	s_mov_b32 s0, exec_lo
	s_wait_loadcnt_dscnt 0x601
	v_fma_f64 v[142:143], v[108:109], v[130:131], 0
	s_wait_loadcnt 0x5
	s_delay_alu instid0(VALU_DEP_1) | instskip(SKIP_4) | instid1(VALU_DEP_1)
	v_fmac_f64_e32 v[142:143], v[110:111], v[132:133]
	scratch_load_b128 v[108:111], off, off offset:224
	s_wait_dscnt 0x0
	v_fmac_f64_e32 v[142:143], v[112:113], v[134:135]
	s_wait_loadcnt 0x5
	v_fmac_f64_e32 v[142:143], v[114:115], v[136:137]
	ds_load_2addr_b64 v[112:115], v2 offset0:71 offset1:72
	ds_load_2addr_b64 v[130:133], v2 offset0:73 offset1:74
	scratch_load_b128 v[134:137], off, off offset:240
	s_wait_dscnt 0x1
	v_fmac_f64_e32 v[142:143], v[116:117], v[112:113]
	s_wait_loadcnt 0x5
	s_delay_alu instid0(VALU_DEP_1) | instskip(SKIP_4) | instid1(VALU_DEP_1)
	v_fmac_f64_e32 v[142:143], v[118:119], v[114:115]
	scratch_load_b128 v[112:115], off, off offset:256
	s_wait_dscnt 0x0
	v_fmac_f64_e32 v[142:143], v[120:121], v[130:131]
	s_wait_loadcnt 0x5
	v_fmac_f64_e32 v[142:143], v[122:123], v[132:133]
	ds_load_2addr_b64 v[116:119], v2 offset0:75 offset1:76
	ds_load_2addr_b64 v[120:123], v2 offset0:77 offset1:78
	scratch_load_b128 v[130:133], off, off offset:272
	s_wait_dscnt 0x1
	v_fmac_f64_e32 v[142:143], v[124:125], v[116:117]
	s_wait_loadcnt 0x5
	s_delay_alu instid0(VALU_DEP_1) | instskip(SKIP_4) | instid1(VALU_DEP_1)
	v_fmac_f64_e32 v[142:143], v[126:127], v[118:119]
	scratch_load_b128 v[116:119], off, off offset:288
	s_wait_dscnt 0x0
	v_fmac_f64_e32 v[142:143], v[128:129], v[120:121]
	s_wait_loadcnt 0x5
	v_fmac_f64_e32 v[142:143], v[138:139], v[122:123]
	ds_load_2addr_b64 v[120:123], v2 offset0:79 offset1:80
	ds_load_2addr_b64 v[124:127], v2 offset0:81 offset1:82
	s_wait_dscnt 0x1
	v_fmac_f64_e32 v[142:143], v[140:141], v[120:121]
	scratch_load_b128 v[138:141], off, off offset:304
	s_wait_loadcnt 0x5
	v_fmac_f64_e32 v[142:143], v[108:109], v[122:123]
	s_wait_dscnt 0x0
	s_delay_alu instid0(VALU_DEP_1)
	v_fmac_f64_e32 v[142:143], v[110:111], v[124:125]
	scratch_load_b128 v[108:111], off, off offset:320
	s_wait_loadcnt 0x5
	v_fmac_f64_e32 v[142:143], v[134:135], v[126:127]
	ds_load_2addr_b64 v[120:123], v2 offset0:83 offset1:84
	ds_load_2addr_b64 v[124:127], v2 offset0:85 offset1:86
	s_wait_dscnt 0x1
	v_fmac_f64_e32 v[142:143], v[136:137], v[120:121]
	s_wait_loadcnt 0x4
	s_delay_alu instid0(VALU_DEP_1)
	v_fmac_f64_e32 v[142:143], v[112:113], v[122:123]
	scratch_load_b128 v[120:123], off, off offset:336
	s_wait_dscnt 0x0
	v_fmac_f64_e32 v[142:143], v[114:115], v[124:125]
	scratch_load_b128 v[112:115], off, off offset:352
	s_wait_loadcnt 0x5
	v_fmac_f64_e32 v[142:143], v[130:131], v[126:127]
	ds_load_2addr_b64 v[124:127], v2 offset0:87 offset1:88
	ds_load_2addr_b64 v[128:131], v2 offset0:89 offset1:90
	s_wait_dscnt 0x1
	v_fmac_f64_e32 v[142:143], v[132:133], v[124:125]
	s_wait_loadcnt 0x4
	s_delay_alu instid0(VALU_DEP_1)
	v_fmac_f64_e32 v[142:143], v[116:117], v[126:127]
	scratch_load_b128 v[124:127], off, off offset:368
	s_wait_dscnt 0x0
	v_fmac_f64_e32 v[142:143], v[118:119], v[128:129]
	scratch_load_b128 v[116:119], off, off offset:384
	s_wait_loadcnt 0x5
	v_fmac_f64_e32 v[142:143], v[138:139], v[130:131]
	ds_load_2addr_b64 v[128:131], v2 offset0:91 offset1:92
	ds_load_2addr_b64 v[132:135], v2 offset0:93 offset1:94
	scratch_load_b64 v[136:137], off, off offset:400
	s_wait_dscnt 0x1
	v_fmac_f64_e32 v[142:143], v[140:141], v[128:129]
	s_wait_loadcnt 0x5
	s_delay_alu instid0(VALU_DEP_1) | instskip(SKIP_1) | instid1(VALU_DEP_1)
	v_fmac_f64_e32 v[142:143], v[108:109], v[130:131]
	s_wait_dscnt 0x0
	v_fmac_f64_e32 v[142:143], v[110:111], v[132:133]
	ds_load_2addr_b64 v[108:111], v2 offset0:95 offset1:96
	ds_load_2addr_b64 v[128:131], v2 offset0:97 offset1:98
	s_wait_loadcnt 0x4
	v_fmac_f64_e32 v[142:143], v[120:121], v[134:135]
	s_wait_dscnt 0x1
	s_delay_alu instid0(VALU_DEP_1) | instskip(SKIP_1) | instid1(VALU_DEP_1)
	v_fmac_f64_e32 v[142:143], v[122:123], v[108:109]
	s_wait_loadcnt 0x3
	v_fmac_f64_e32 v[142:143], v[112:113], v[110:111]
	s_wait_dscnt 0x0
	s_delay_alu instid0(VALU_DEP_1)
	v_fmac_f64_e32 v[142:143], v[114:115], v[128:129]
	ds_load_2addr_b64 v[108:111], v2 offset0:99 offset1:100
	ds_load_2addr_b64 v[112:115], v2 offset0:101 offset1:102
	s_wait_loadcnt 0x2
	v_fmac_f64_e32 v[142:143], v[124:125], v[130:131]
	s_wait_dscnt 0x1
	s_delay_alu instid0(VALU_DEP_1) | instskip(SKIP_1) | instid1(VALU_DEP_1)
	v_fmac_f64_e32 v[142:143], v[126:127], v[108:109]
	s_wait_loadcnt 0x1
	v_fmac_f64_e32 v[142:143], v[116:117], v[110:111]
	s_wait_dscnt 0x0
	s_delay_alu instid0(VALU_DEP_1) | instskip(SKIP_1) | instid1(VALU_DEP_1)
	v_fmac_f64_e32 v[142:143], v[118:119], v[112:113]
	s_wait_loadcnt 0x0
	v_fmac_f64_e32 v[142:143], v[136:137], v[114:115]
	s_delay_alu instid0(VALU_DEP_1)
	v_add_f64_e64 v[2:3], v[106:107], -v[142:143]
	scratch_store_b64 off, v[2:3], off offset:112
	s_wait_xcnt 0x0
	v_cmpx_lt_u32_e32 13, v0
	s_cbranch_execz .LBB114_289
; %bb.288:
	scratch_load_b64 v[2:3], off, off offset:104
	v_mov_b64_e32 v[106:107], 0
	scratch_store_b64 off, v[106:107], off offset:104
	s_wait_loadcnt 0x0
	ds_store_b64 v1, v[2:3]
.LBB114_289:
	s_wait_xcnt 0x0
	s_or_b32 exec_lo, exec_lo, s0
	s_wait_storecnt_dscnt 0x0
	s_barrier_signal -1
	s_barrier_wait -1
	s_clause 0x5
	scratch_load_b128 v[106:109], off, off offset:104
	scratch_load_b128 v[110:113], off, off offset:120
	;; [unrolled: 1-line block ×6, first 2 shown]
	v_mov_b32_e32 v2, 0
	ds_load_b128 v[130:133], v2 offset:528
	ds_load_b128 v[134:137], v2 offset:544
	scratch_load_b128 v[138:141], off, off offset:200
	s_mov_b32 s0, exec_lo
	s_wait_loadcnt_dscnt 0x601
	v_fma_f64 v[142:143], v[108:109], v[130:131], 0
	s_wait_loadcnt 0x5
	s_delay_alu instid0(VALU_DEP_1) | instskip(SKIP_4) | instid1(VALU_DEP_1)
	v_fmac_f64_e32 v[142:143], v[110:111], v[132:133]
	scratch_load_b128 v[108:111], off, off offset:216
	s_wait_dscnt 0x0
	v_fmac_f64_e32 v[142:143], v[112:113], v[134:135]
	s_wait_loadcnt 0x5
	v_fmac_f64_e32 v[142:143], v[114:115], v[136:137]
	ds_load_b128 v[112:115], v2 offset:560
	ds_load_b128 v[130:133], v2 offset:576
	scratch_load_b128 v[134:137], off, off offset:232
	s_wait_dscnt 0x1
	v_fmac_f64_e32 v[142:143], v[116:117], v[112:113]
	s_wait_loadcnt 0x5
	s_delay_alu instid0(VALU_DEP_1) | instskip(SKIP_4) | instid1(VALU_DEP_1)
	v_fmac_f64_e32 v[142:143], v[118:119], v[114:115]
	scratch_load_b128 v[112:115], off, off offset:248
	s_wait_dscnt 0x0
	v_fmac_f64_e32 v[142:143], v[120:121], v[130:131]
	s_wait_loadcnt 0x5
	v_fmac_f64_e32 v[142:143], v[122:123], v[132:133]
	ds_load_b128 v[116:119], v2 offset:592
	ds_load_b128 v[120:123], v2 offset:608
	scratch_load_b128 v[130:133], off, off offset:264
	s_wait_dscnt 0x1
	v_fmac_f64_e32 v[142:143], v[124:125], v[116:117]
	s_wait_loadcnt 0x5
	s_delay_alu instid0(VALU_DEP_1) | instskip(SKIP_4) | instid1(VALU_DEP_1)
	v_fmac_f64_e32 v[142:143], v[126:127], v[118:119]
	scratch_load_b128 v[116:119], off, off offset:280
	s_wait_dscnt 0x0
	v_fmac_f64_e32 v[142:143], v[128:129], v[120:121]
	s_wait_loadcnt 0x5
	v_fmac_f64_e32 v[142:143], v[138:139], v[122:123]
	ds_load_b128 v[120:123], v2 offset:624
	ds_load_b128 v[124:127], v2 offset:640
	s_wait_dscnt 0x1
	v_fmac_f64_e32 v[142:143], v[140:141], v[120:121]
	scratch_load_b128 v[138:141], off, off offset:296
	s_wait_loadcnt 0x5
	v_fmac_f64_e32 v[142:143], v[108:109], v[122:123]
	s_wait_dscnt 0x0
	s_delay_alu instid0(VALU_DEP_1)
	v_fmac_f64_e32 v[142:143], v[110:111], v[124:125]
	scratch_load_b128 v[108:111], off, off offset:312
	s_wait_loadcnt 0x5
	v_fmac_f64_e32 v[142:143], v[134:135], v[126:127]
	ds_load_b128 v[120:123], v2 offset:656
	ds_load_b128 v[124:127], v2 offset:672
	s_wait_dscnt 0x1
	v_fmac_f64_e32 v[142:143], v[136:137], v[120:121]
	s_wait_loadcnt 0x4
	s_delay_alu instid0(VALU_DEP_1)
	v_fmac_f64_e32 v[142:143], v[112:113], v[122:123]
	scratch_load_b128 v[120:123], off, off offset:328
	s_wait_dscnt 0x0
	v_fmac_f64_e32 v[142:143], v[114:115], v[124:125]
	scratch_load_b128 v[112:115], off, off offset:344
	s_wait_loadcnt 0x5
	v_fmac_f64_e32 v[142:143], v[130:131], v[126:127]
	ds_load_b128 v[124:127], v2 offset:688
	ds_load_b128 v[128:131], v2 offset:704
	s_wait_dscnt 0x1
	v_fmac_f64_e32 v[142:143], v[132:133], v[124:125]
	s_wait_loadcnt 0x4
	s_delay_alu instid0(VALU_DEP_1)
	v_fmac_f64_e32 v[142:143], v[116:117], v[126:127]
	scratch_load_b128 v[124:127], off, off offset:360
	s_wait_dscnt 0x0
	v_fmac_f64_e32 v[142:143], v[118:119], v[128:129]
	scratch_load_b128 v[116:119], off, off offset:376
	s_wait_loadcnt 0x5
	v_fmac_f64_e32 v[142:143], v[138:139], v[130:131]
	ds_load_b128 v[128:131], v2 offset:720
	ds_load_b128 v[132:135], v2 offset:736
	s_wait_dscnt 0x1
	v_fmac_f64_e32 v[142:143], v[140:141], v[128:129]
	s_wait_loadcnt 0x4
	s_delay_alu instid0(VALU_DEP_1) | instskip(SKIP_4) | instid1(VALU_DEP_1)
	v_fmac_f64_e32 v[142:143], v[108:109], v[130:131]
	scratch_load_b128 v[128:131], off, off offset:392
	s_wait_dscnt 0x0
	v_fmac_f64_e32 v[142:143], v[110:111], v[132:133]
	s_wait_loadcnt 0x4
	v_fmac_f64_e32 v[142:143], v[120:121], v[134:135]
	ds_load_b128 v[108:111], v2 offset:752
	ds_load_b128 v[132:135], v2 offset:768
	s_wait_dscnt 0x1
	v_fmac_f64_e32 v[142:143], v[122:123], v[108:109]
	s_wait_loadcnt 0x3
	s_delay_alu instid0(VALU_DEP_1) | instskip(SKIP_1) | instid1(VALU_DEP_1)
	v_fmac_f64_e32 v[142:143], v[112:113], v[110:111]
	s_wait_dscnt 0x0
	v_fmac_f64_e32 v[142:143], v[114:115], v[132:133]
	ds_load_b128 v[108:111], v2 offset:784
	ds_load_b128 v[112:115], v2 offset:800
	s_wait_loadcnt 0x2
	v_fmac_f64_e32 v[142:143], v[124:125], v[134:135]
	s_wait_dscnt 0x1
	s_delay_alu instid0(VALU_DEP_1) | instskip(SKIP_4) | instid1(VALU_DEP_1)
	v_fmac_f64_e32 v[142:143], v[126:127], v[108:109]
	ds_load_b64 v[108:109], v2 offset:816
	s_wait_loadcnt 0x1
	v_fmac_f64_e32 v[142:143], v[116:117], v[110:111]
	s_wait_dscnt 0x1
	v_fmac_f64_e32 v[142:143], v[118:119], v[112:113]
	s_wait_loadcnt 0x0
	s_delay_alu instid0(VALU_DEP_1) | instskip(SKIP_1) | instid1(VALU_DEP_1)
	v_fmac_f64_e32 v[142:143], v[128:129], v[114:115]
	s_wait_dscnt 0x0
	v_fmac_f64_e32 v[142:143], v[130:131], v[108:109]
	s_delay_alu instid0(VALU_DEP_1)
	v_add_f64_e64 v[106:107], v[106:107], -v[142:143]
	scratch_store_b64 off, v[106:107], off offset:104
	s_wait_xcnt 0x0
	v_cmpx_lt_u32_e32 12, v0
	s_cbranch_execz .LBB114_291
; %bb.290:
	scratch_load_b64 v[106:107], off, off offset:96
	v_mov_b64_e32 v[108:109], 0
	scratch_store_b64 off, v[108:109], off offset:96
	s_wait_loadcnt 0x0
	ds_store_b64 v1, v[106:107]
.LBB114_291:
	s_wait_xcnt 0x0
	s_or_b32 exec_lo, exec_lo, s0
	s_wait_storecnt_dscnt 0x0
	s_barrier_signal -1
	s_barrier_wait -1
	s_clause 0x5
	scratch_load_b128 v[106:109], off, off offset:96
	scratch_load_b128 v[110:113], off, off offset:112
	scratch_load_b128 v[114:117], off, off offset:128
	scratch_load_b128 v[118:121], off, off offset:144
	scratch_load_b128 v[122:125], off, off offset:160
	scratch_load_b128 v[126:129], off, off offset:176
	ds_load_2addr_b64 v[130:133], v2 offset0:65 offset1:66
	ds_load_2addr_b64 v[134:137], v2 offset0:67 offset1:68
	scratch_load_b128 v[138:141], off, off offset:192
	s_mov_b32 s0, exec_lo
	s_wait_loadcnt_dscnt 0x601
	v_fma_f64 v[142:143], v[108:109], v[130:131], 0
	s_wait_loadcnt 0x5
	s_delay_alu instid0(VALU_DEP_1) | instskip(SKIP_4) | instid1(VALU_DEP_1)
	v_fmac_f64_e32 v[142:143], v[110:111], v[132:133]
	scratch_load_b128 v[108:111], off, off offset:208
	s_wait_dscnt 0x0
	v_fmac_f64_e32 v[142:143], v[112:113], v[134:135]
	s_wait_loadcnt 0x5
	v_fmac_f64_e32 v[142:143], v[114:115], v[136:137]
	ds_load_2addr_b64 v[112:115], v2 offset0:69 offset1:70
	ds_load_2addr_b64 v[130:133], v2 offset0:71 offset1:72
	scratch_load_b128 v[134:137], off, off offset:224
	s_wait_dscnt 0x1
	v_fmac_f64_e32 v[142:143], v[116:117], v[112:113]
	s_wait_loadcnt 0x5
	s_delay_alu instid0(VALU_DEP_1) | instskip(SKIP_4) | instid1(VALU_DEP_1)
	v_fmac_f64_e32 v[142:143], v[118:119], v[114:115]
	scratch_load_b128 v[112:115], off, off offset:240
	s_wait_dscnt 0x0
	v_fmac_f64_e32 v[142:143], v[120:121], v[130:131]
	s_wait_loadcnt 0x5
	v_fmac_f64_e32 v[142:143], v[122:123], v[132:133]
	ds_load_2addr_b64 v[116:119], v2 offset0:73 offset1:74
	ds_load_2addr_b64 v[120:123], v2 offset0:75 offset1:76
	scratch_load_b128 v[130:133], off, off offset:256
	s_wait_dscnt 0x1
	v_fmac_f64_e32 v[142:143], v[124:125], v[116:117]
	s_wait_loadcnt 0x5
	s_delay_alu instid0(VALU_DEP_1) | instskip(SKIP_4) | instid1(VALU_DEP_1)
	v_fmac_f64_e32 v[142:143], v[126:127], v[118:119]
	scratch_load_b128 v[116:119], off, off offset:272
	s_wait_dscnt 0x0
	v_fmac_f64_e32 v[142:143], v[128:129], v[120:121]
	s_wait_loadcnt 0x5
	v_fmac_f64_e32 v[142:143], v[138:139], v[122:123]
	ds_load_2addr_b64 v[120:123], v2 offset0:77 offset1:78
	ds_load_2addr_b64 v[124:127], v2 offset0:79 offset1:80
	s_wait_dscnt 0x1
	v_fmac_f64_e32 v[142:143], v[140:141], v[120:121]
	scratch_load_b128 v[138:141], off, off offset:288
	s_wait_loadcnt 0x5
	v_fmac_f64_e32 v[142:143], v[108:109], v[122:123]
	s_wait_dscnt 0x0
	s_delay_alu instid0(VALU_DEP_1)
	v_fmac_f64_e32 v[142:143], v[110:111], v[124:125]
	scratch_load_b128 v[108:111], off, off offset:304
	s_wait_loadcnt 0x5
	v_fmac_f64_e32 v[142:143], v[134:135], v[126:127]
	ds_load_2addr_b64 v[120:123], v2 offset0:81 offset1:82
	ds_load_2addr_b64 v[124:127], v2 offset0:83 offset1:84
	s_wait_dscnt 0x1
	v_fmac_f64_e32 v[142:143], v[136:137], v[120:121]
	scratch_load_b128 v[134:137], off, off offset:320
	s_wait_loadcnt 0x5
	v_fmac_f64_e32 v[142:143], v[112:113], v[122:123]
	s_wait_dscnt 0x0
	s_delay_alu instid0(VALU_DEP_1)
	v_fmac_f64_e32 v[142:143], v[114:115], v[124:125]
	scratch_load_b128 v[112:115], off, off offset:336
	s_wait_loadcnt 0x5
	v_fmac_f64_e32 v[142:143], v[130:131], v[126:127]
	ds_load_2addr_b64 v[120:123], v2 offset0:85 offset1:86
	ds_load_2addr_b64 v[124:127], v2 offset0:87 offset1:88
	s_wait_dscnt 0x1
	v_fmac_f64_e32 v[142:143], v[132:133], v[120:121]
	s_wait_loadcnt 0x4
	s_delay_alu instid0(VALU_DEP_1)
	v_fmac_f64_e32 v[142:143], v[116:117], v[122:123]
	scratch_load_b128 v[120:123], off, off offset:352
	s_wait_dscnt 0x0
	v_fmac_f64_e32 v[142:143], v[118:119], v[124:125]
	scratch_load_b128 v[116:119], off, off offset:368
	s_wait_loadcnt 0x5
	v_fmac_f64_e32 v[142:143], v[138:139], v[126:127]
	ds_load_2addr_b64 v[124:127], v2 offset0:89 offset1:90
	ds_load_2addr_b64 v[128:131], v2 offset0:91 offset1:92
	scratch_load_b64 v[132:133], off, off offset:400
	s_wait_dscnt 0x1
	v_fmac_f64_e32 v[142:143], v[140:141], v[124:125]
	s_wait_loadcnt 0x5
	s_delay_alu instid0(VALU_DEP_1) | instskip(SKIP_4) | instid1(VALU_DEP_1)
	v_fmac_f64_e32 v[142:143], v[108:109], v[126:127]
	scratch_load_b128 v[124:127], off, off offset:384
	s_wait_dscnt 0x0
	v_fmac_f64_e32 v[142:143], v[110:111], v[128:129]
	s_wait_loadcnt 0x5
	v_fmac_f64_e32 v[142:143], v[134:135], v[130:131]
	ds_load_2addr_b64 v[108:111], v2 offset0:93 offset1:94
	ds_load_2addr_b64 v[128:131], v2 offset0:95 offset1:96
	s_wait_dscnt 0x1
	v_fmac_f64_e32 v[142:143], v[136:137], v[108:109]
	s_wait_loadcnt 0x4
	s_delay_alu instid0(VALU_DEP_1) | instskip(SKIP_1) | instid1(VALU_DEP_1)
	v_fmac_f64_e32 v[142:143], v[112:113], v[110:111]
	s_wait_dscnt 0x0
	v_fmac_f64_e32 v[142:143], v[114:115], v[128:129]
	ds_load_2addr_b64 v[108:111], v2 offset0:97 offset1:98
	ds_load_2addr_b64 v[112:115], v2 offset0:99 offset1:100
	s_wait_loadcnt 0x3
	v_fmac_f64_e32 v[142:143], v[120:121], v[130:131]
	s_wait_dscnt 0x1
	s_delay_alu instid0(VALU_DEP_1) | instskip(SKIP_1) | instid1(VALU_DEP_1)
	v_fmac_f64_e32 v[142:143], v[122:123], v[108:109]
	s_wait_loadcnt 0x2
	v_fmac_f64_e32 v[142:143], v[116:117], v[110:111]
	ds_load_2addr_b64 v[108:111], v2 offset0:101 offset1:102
	s_wait_dscnt 0x1
	v_fmac_f64_e32 v[142:143], v[118:119], v[112:113]
	s_wait_loadcnt 0x0
	s_delay_alu instid0(VALU_DEP_1) | instskip(SKIP_1) | instid1(VALU_DEP_1)
	v_fmac_f64_e32 v[142:143], v[124:125], v[114:115]
	s_wait_dscnt 0x0
	v_fmac_f64_e32 v[142:143], v[126:127], v[108:109]
	s_delay_alu instid0(VALU_DEP_1) | instskip(NEXT) | instid1(VALU_DEP_1)
	v_fmac_f64_e32 v[142:143], v[132:133], v[110:111]
	v_add_f64_e64 v[2:3], v[106:107], -v[142:143]
	scratch_store_b64 off, v[2:3], off offset:96
	s_wait_xcnt 0x0
	v_cmpx_lt_u32_e32 11, v0
	s_cbranch_execz .LBB114_293
; %bb.292:
	scratch_load_b64 v[2:3], off, off offset:88
	v_mov_b64_e32 v[106:107], 0
	scratch_store_b64 off, v[106:107], off offset:88
	s_wait_loadcnt 0x0
	ds_store_b64 v1, v[2:3]
.LBB114_293:
	s_wait_xcnt 0x0
	s_or_b32 exec_lo, exec_lo, s0
	s_wait_storecnt_dscnt 0x0
	s_barrier_signal -1
	s_barrier_wait -1
	s_clause 0x5
	scratch_load_b128 v[106:109], off, off offset:88
	scratch_load_b128 v[110:113], off, off offset:104
	;; [unrolled: 1-line block ×6, first 2 shown]
	v_mov_b32_e32 v2, 0
	ds_load_b128 v[130:133], v2 offset:512
	ds_load_b128 v[134:137], v2 offset:528
	scratch_load_b128 v[138:141], off, off offset:184
	s_mov_b32 s0, exec_lo
	s_wait_loadcnt_dscnt 0x601
	v_fma_f64 v[142:143], v[108:109], v[130:131], 0
	s_wait_loadcnt 0x5
	s_delay_alu instid0(VALU_DEP_1) | instskip(SKIP_4) | instid1(VALU_DEP_1)
	v_fmac_f64_e32 v[142:143], v[110:111], v[132:133]
	scratch_load_b128 v[108:111], off, off offset:200
	s_wait_dscnt 0x0
	v_fmac_f64_e32 v[142:143], v[112:113], v[134:135]
	s_wait_loadcnt 0x5
	v_fmac_f64_e32 v[142:143], v[114:115], v[136:137]
	ds_load_b128 v[112:115], v2 offset:544
	ds_load_b128 v[130:133], v2 offset:560
	scratch_load_b128 v[134:137], off, off offset:216
	s_wait_dscnt 0x1
	v_fmac_f64_e32 v[142:143], v[116:117], v[112:113]
	s_wait_loadcnt 0x5
	s_delay_alu instid0(VALU_DEP_1) | instskip(SKIP_4) | instid1(VALU_DEP_1)
	v_fmac_f64_e32 v[142:143], v[118:119], v[114:115]
	scratch_load_b128 v[112:115], off, off offset:232
	s_wait_dscnt 0x0
	v_fmac_f64_e32 v[142:143], v[120:121], v[130:131]
	s_wait_loadcnt 0x5
	v_fmac_f64_e32 v[142:143], v[122:123], v[132:133]
	ds_load_b128 v[116:119], v2 offset:576
	ds_load_b128 v[120:123], v2 offset:592
	scratch_load_b128 v[130:133], off, off offset:248
	s_wait_dscnt 0x1
	v_fmac_f64_e32 v[142:143], v[124:125], v[116:117]
	s_wait_loadcnt 0x5
	s_delay_alu instid0(VALU_DEP_1) | instskip(SKIP_4) | instid1(VALU_DEP_1)
	v_fmac_f64_e32 v[142:143], v[126:127], v[118:119]
	scratch_load_b128 v[116:119], off, off offset:264
	s_wait_dscnt 0x0
	v_fmac_f64_e32 v[142:143], v[128:129], v[120:121]
	s_wait_loadcnt 0x5
	v_fmac_f64_e32 v[142:143], v[138:139], v[122:123]
	ds_load_b128 v[120:123], v2 offset:608
	ds_load_b128 v[124:127], v2 offset:624
	s_wait_dscnt 0x1
	v_fmac_f64_e32 v[142:143], v[140:141], v[120:121]
	scratch_load_b128 v[138:141], off, off offset:280
	s_wait_loadcnt 0x5
	v_fmac_f64_e32 v[142:143], v[108:109], v[122:123]
	s_wait_dscnt 0x0
	s_delay_alu instid0(VALU_DEP_1)
	v_fmac_f64_e32 v[142:143], v[110:111], v[124:125]
	scratch_load_b128 v[108:111], off, off offset:296
	s_wait_loadcnt 0x5
	v_fmac_f64_e32 v[142:143], v[134:135], v[126:127]
	ds_load_b128 v[120:123], v2 offset:640
	ds_load_b128 v[124:127], v2 offset:656
	s_wait_dscnt 0x1
	v_fmac_f64_e32 v[142:143], v[136:137], v[120:121]
	scratch_load_b128 v[134:137], off, off offset:312
	s_wait_loadcnt 0x5
	v_fmac_f64_e32 v[142:143], v[112:113], v[122:123]
	s_wait_dscnt 0x0
	s_delay_alu instid0(VALU_DEP_1)
	v_fmac_f64_e32 v[142:143], v[114:115], v[124:125]
	scratch_load_b128 v[112:115], off, off offset:328
	s_wait_loadcnt 0x5
	v_fmac_f64_e32 v[142:143], v[130:131], v[126:127]
	ds_load_b128 v[120:123], v2 offset:672
	ds_load_b128 v[124:127], v2 offset:688
	s_wait_dscnt 0x1
	v_fmac_f64_e32 v[142:143], v[132:133], v[120:121]
	s_wait_loadcnt 0x4
	s_delay_alu instid0(VALU_DEP_1)
	v_fmac_f64_e32 v[142:143], v[116:117], v[122:123]
	scratch_load_b128 v[120:123], off, off offset:344
	s_wait_dscnt 0x0
	v_fmac_f64_e32 v[142:143], v[118:119], v[124:125]
	scratch_load_b128 v[116:119], off, off offset:360
	s_wait_loadcnt 0x5
	v_fmac_f64_e32 v[142:143], v[138:139], v[126:127]
	ds_load_b128 v[124:127], v2 offset:704
	ds_load_b128 v[128:131], v2 offset:720
	s_wait_dscnt 0x1
	v_fmac_f64_e32 v[142:143], v[140:141], v[124:125]
	s_wait_loadcnt 0x4
	s_delay_alu instid0(VALU_DEP_1)
	v_fmac_f64_e32 v[142:143], v[108:109], v[126:127]
	scratch_load_b128 v[124:127], off, off offset:376
	s_wait_dscnt 0x0
	v_fmac_f64_e32 v[142:143], v[110:111], v[128:129]
	scratch_load_b128 v[108:111], off, off offset:392
	s_wait_loadcnt 0x5
	v_fmac_f64_e32 v[142:143], v[134:135], v[130:131]
	ds_load_b128 v[128:131], v2 offset:736
	ds_load_b128 v[132:135], v2 offset:752
	s_wait_dscnt 0x1
	v_fmac_f64_e32 v[142:143], v[136:137], v[128:129]
	s_wait_loadcnt 0x4
	s_delay_alu instid0(VALU_DEP_1) | instskip(SKIP_1) | instid1(VALU_DEP_1)
	v_fmac_f64_e32 v[142:143], v[112:113], v[130:131]
	s_wait_dscnt 0x0
	v_fmac_f64_e32 v[142:143], v[114:115], v[132:133]
	ds_load_b128 v[112:115], v2 offset:768
	ds_load_b128 v[128:131], v2 offset:784
	s_wait_loadcnt 0x3
	v_fmac_f64_e32 v[142:143], v[120:121], v[134:135]
	s_wait_dscnt 0x1
	s_delay_alu instid0(VALU_DEP_1) | instskip(SKIP_1) | instid1(VALU_DEP_1)
	v_fmac_f64_e32 v[142:143], v[122:123], v[112:113]
	s_wait_loadcnt 0x2
	v_fmac_f64_e32 v[142:143], v[116:117], v[114:115]
	ds_load_b128 v[112:115], v2 offset:800
	ds_load_b64 v[116:117], v2 offset:816
	s_wait_dscnt 0x2
	v_fmac_f64_e32 v[142:143], v[118:119], v[128:129]
	s_wait_loadcnt 0x1
	s_delay_alu instid0(VALU_DEP_1) | instskip(SKIP_1) | instid1(VALU_DEP_1)
	v_fmac_f64_e32 v[142:143], v[124:125], v[130:131]
	s_wait_dscnt 0x1
	v_fmac_f64_e32 v[142:143], v[126:127], v[112:113]
	s_wait_loadcnt 0x0
	s_delay_alu instid0(VALU_DEP_1) | instskip(SKIP_1) | instid1(VALU_DEP_1)
	v_fmac_f64_e32 v[142:143], v[108:109], v[114:115]
	s_wait_dscnt 0x0
	v_fmac_f64_e32 v[142:143], v[110:111], v[116:117]
	s_delay_alu instid0(VALU_DEP_1)
	v_add_f64_e64 v[106:107], v[106:107], -v[142:143]
	scratch_store_b64 off, v[106:107], off offset:88
	s_wait_xcnt 0x0
	v_cmpx_lt_u32_e32 10, v0
	s_cbranch_execz .LBB114_295
; %bb.294:
	scratch_load_b64 v[106:107], off, off offset:80
	v_mov_b64_e32 v[108:109], 0
	scratch_store_b64 off, v[108:109], off offset:80
	s_wait_loadcnt 0x0
	ds_store_b64 v1, v[106:107]
.LBB114_295:
	s_wait_xcnt 0x0
	s_or_b32 exec_lo, exec_lo, s0
	s_wait_storecnt_dscnt 0x0
	s_barrier_signal -1
	s_barrier_wait -1
	s_clause 0x5
	scratch_load_b128 v[106:109], off, off offset:80
	scratch_load_b128 v[110:113], off, off offset:96
	;; [unrolled: 1-line block ×6, first 2 shown]
	ds_load_2addr_b64 v[130:133], v2 offset0:63 offset1:64
	ds_load_2addr_b64 v[134:137], v2 offset0:65 offset1:66
	scratch_load_b128 v[138:141], off, off offset:176
	s_mov_b32 s0, exec_lo
	s_wait_loadcnt_dscnt 0x601
	v_fma_f64 v[142:143], v[108:109], v[130:131], 0
	s_wait_loadcnt 0x5
	s_delay_alu instid0(VALU_DEP_1) | instskip(SKIP_4) | instid1(VALU_DEP_1)
	v_fmac_f64_e32 v[142:143], v[110:111], v[132:133]
	scratch_load_b128 v[108:111], off, off offset:192
	s_wait_dscnt 0x0
	v_fmac_f64_e32 v[142:143], v[112:113], v[134:135]
	s_wait_loadcnt 0x5
	v_fmac_f64_e32 v[142:143], v[114:115], v[136:137]
	ds_load_2addr_b64 v[112:115], v2 offset0:67 offset1:68
	ds_load_2addr_b64 v[130:133], v2 offset0:69 offset1:70
	scratch_load_b128 v[134:137], off, off offset:208
	s_wait_dscnt 0x1
	v_fmac_f64_e32 v[142:143], v[116:117], v[112:113]
	s_wait_loadcnt 0x5
	s_delay_alu instid0(VALU_DEP_1) | instskip(SKIP_4) | instid1(VALU_DEP_1)
	v_fmac_f64_e32 v[142:143], v[118:119], v[114:115]
	scratch_load_b128 v[112:115], off, off offset:224
	s_wait_dscnt 0x0
	v_fmac_f64_e32 v[142:143], v[120:121], v[130:131]
	s_wait_loadcnt 0x5
	v_fmac_f64_e32 v[142:143], v[122:123], v[132:133]
	ds_load_2addr_b64 v[116:119], v2 offset0:71 offset1:72
	ds_load_2addr_b64 v[120:123], v2 offset0:73 offset1:74
	scratch_load_b128 v[130:133], off, off offset:240
	s_wait_dscnt 0x1
	v_fmac_f64_e32 v[142:143], v[124:125], v[116:117]
	s_wait_loadcnt 0x5
	s_delay_alu instid0(VALU_DEP_1) | instskip(SKIP_4) | instid1(VALU_DEP_1)
	v_fmac_f64_e32 v[142:143], v[126:127], v[118:119]
	scratch_load_b128 v[116:119], off, off offset:256
	s_wait_dscnt 0x0
	v_fmac_f64_e32 v[142:143], v[128:129], v[120:121]
	s_wait_loadcnt 0x5
	v_fmac_f64_e32 v[142:143], v[138:139], v[122:123]
	ds_load_2addr_b64 v[120:123], v2 offset0:75 offset1:76
	ds_load_2addr_b64 v[124:127], v2 offset0:77 offset1:78
	s_wait_dscnt 0x1
	v_fmac_f64_e32 v[142:143], v[140:141], v[120:121]
	scratch_load_b128 v[138:141], off, off offset:272
	s_wait_loadcnt 0x5
	v_fmac_f64_e32 v[142:143], v[108:109], v[122:123]
	s_wait_dscnt 0x0
	s_delay_alu instid0(VALU_DEP_1)
	v_fmac_f64_e32 v[142:143], v[110:111], v[124:125]
	scratch_load_b128 v[108:111], off, off offset:288
	s_wait_loadcnt 0x5
	v_fmac_f64_e32 v[142:143], v[134:135], v[126:127]
	ds_load_2addr_b64 v[120:123], v2 offset0:79 offset1:80
	ds_load_2addr_b64 v[124:127], v2 offset0:81 offset1:82
	s_wait_dscnt 0x1
	v_fmac_f64_e32 v[142:143], v[136:137], v[120:121]
	scratch_load_b128 v[134:137], off, off offset:304
	s_wait_loadcnt 0x5
	v_fmac_f64_e32 v[142:143], v[112:113], v[122:123]
	s_wait_dscnt 0x0
	s_delay_alu instid0(VALU_DEP_1)
	v_fmac_f64_e32 v[142:143], v[114:115], v[124:125]
	scratch_load_b128 v[112:115], off, off offset:320
	s_wait_loadcnt 0x5
	v_fmac_f64_e32 v[142:143], v[130:131], v[126:127]
	ds_load_2addr_b64 v[120:123], v2 offset0:83 offset1:84
	ds_load_2addr_b64 v[124:127], v2 offset0:85 offset1:86
	s_wait_dscnt 0x1
	v_fmac_f64_e32 v[142:143], v[132:133], v[120:121]
	s_wait_loadcnt 0x4
	s_delay_alu instid0(VALU_DEP_1)
	v_fmac_f64_e32 v[142:143], v[116:117], v[122:123]
	scratch_load_b128 v[120:123], off, off offset:336
	s_wait_dscnt 0x0
	v_fmac_f64_e32 v[142:143], v[118:119], v[124:125]
	scratch_load_b128 v[116:119], off, off offset:352
	s_wait_loadcnt 0x5
	v_fmac_f64_e32 v[142:143], v[138:139], v[126:127]
	ds_load_2addr_b64 v[124:127], v2 offset0:87 offset1:88
	ds_load_2addr_b64 v[128:131], v2 offset0:89 offset1:90
	s_wait_dscnt 0x1
	v_fmac_f64_e32 v[142:143], v[140:141], v[124:125]
	s_wait_loadcnt 0x4
	s_delay_alu instid0(VALU_DEP_1)
	v_fmac_f64_e32 v[142:143], v[108:109], v[126:127]
	scratch_load_b128 v[124:127], off, off offset:368
	s_wait_dscnt 0x0
	v_fmac_f64_e32 v[142:143], v[110:111], v[128:129]
	scratch_load_b128 v[108:111], off, off offset:384
	s_wait_loadcnt 0x5
	v_fmac_f64_e32 v[142:143], v[134:135], v[130:131]
	ds_load_2addr_b64 v[128:131], v2 offset0:91 offset1:92
	ds_load_2addr_b64 v[132:135], v2 offset0:93 offset1:94
	s_wait_dscnt 0x1
	v_fmac_f64_e32 v[142:143], v[136:137], v[128:129]
	scratch_load_b64 v[136:137], off, off offset:400
	s_wait_loadcnt 0x5
	v_fmac_f64_e32 v[142:143], v[112:113], v[130:131]
	s_wait_dscnt 0x0
	s_delay_alu instid0(VALU_DEP_1)
	v_fmac_f64_e32 v[142:143], v[114:115], v[132:133]
	ds_load_2addr_b64 v[112:115], v2 offset0:95 offset1:96
	ds_load_2addr_b64 v[128:131], v2 offset0:97 offset1:98
	s_wait_loadcnt 0x4
	v_fmac_f64_e32 v[142:143], v[120:121], v[134:135]
	s_wait_dscnt 0x1
	s_delay_alu instid0(VALU_DEP_1) | instskip(SKIP_1) | instid1(VALU_DEP_1)
	v_fmac_f64_e32 v[142:143], v[122:123], v[112:113]
	s_wait_loadcnt 0x3
	v_fmac_f64_e32 v[142:143], v[116:117], v[114:115]
	s_wait_dscnt 0x0
	s_delay_alu instid0(VALU_DEP_1)
	v_fmac_f64_e32 v[142:143], v[118:119], v[128:129]
	ds_load_2addr_b64 v[112:115], v2 offset0:99 offset1:100
	ds_load_2addr_b64 v[116:119], v2 offset0:101 offset1:102
	s_wait_loadcnt 0x2
	v_fmac_f64_e32 v[142:143], v[124:125], v[130:131]
	s_wait_dscnt 0x1
	s_delay_alu instid0(VALU_DEP_1) | instskip(SKIP_1) | instid1(VALU_DEP_1)
	v_fmac_f64_e32 v[142:143], v[126:127], v[112:113]
	s_wait_loadcnt 0x1
	v_fmac_f64_e32 v[142:143], v[108:109], v[114:115]
	s_wait_dscnt 0x0
	s_delay_alu instid0(VALU_DEP_1) | instskip(SKIP_1) | instid1(VALU_DEP_1)
	v_fmac_f64_e32 v[142:143], v[110:111], v[116:117]
	s_wait_loadcnt 0x0
	v_fmac_f64_e32 v[142:143], v[136:137], v[118:119]
	s_delay_alu instid0(VALU_DEP_1)
	v_add_f64_e64 v[2:3], v[106:107], -v[142:143]
	scratch_store_b64 off, v[2:3], off offset:80
	s_wait_xcnt 0x0
	v_cmpx_lt_u32_e32 9, v0
	s_cbranch_execz .LBB114_297
; %bb.296:
	scratch_load_b64 v[2:3], off, off offset:72
	v_mov_b64_e32 v[106:107], 0
	scratch_store_b64 off, v[106:107], off offset:72
	s_wait_loadcnt 0x0
	ds_store_b64 v1, v[2:3]
.LBB114_297:
	s_wait_xcnt 0x0
	s_or_b32 exec_lo, exec_lo, s0
	s_wait_storecnt_dscnt 0x0
	s_barrier_signal -1
	s_barrier_wait -1
	s_clause 0x5
	scratch_load_b128 v[106:109], off, off offset:72
	scratch_load_b128 v[110:113], off, off offset:88
	;; [unrolled: 1-line block ×6, first 2 shown]
	v_mov_b32_e32 v2, 0
	ds_load_b128 v[130:133], v2 offset:496
	ds_load_b128 v[134:137], v2 offset:512
	scratch_load_b128 v[138:141], off, off offset:168
	s_mov_b32 s0, exec_lo
	s_wait_loadcnt_dscnt 0x601
	v_fma_f64 v[142:143], v[108:109], v[130:131], 0
	s_wait_loadcnt 0x5
	s_delay_alu instid0(VALU_DEP_1) | instskip(SKIP_4) | instid1(VALU_DEP_1)
	v_fmac_f64_e32 v[142:143], v[110:111], v[132:133]
	scratch_load_b128 v[108:111], off, off offset:184
	s_wait_dscnt 0x0
	v_fmac_f64_e32 v[142:143], v[112:113], v[134:135]
	s_wait_loadcnt 0x5
	v_fmac_f64_e32 v[142:143], v[114:115], v[136:137]
	ds_load_b128 v[112:115], v2 offset:528
	ds_load_b128 v[130:133], v2 offset:544
	scratch_load_b128 v[134:137], off, off offset:200
	s_wait_dscnt 0x1
	v_fmac_f64_e32 v[142:143], v[116:117], v[112:113]
	s_wait_loadcnt 0x5
	s_delay_alu instid0(VALU_DEP_1) | instskip(SKIP_4) | instid1(VALU_DEP_1)
	v_fmac_f64_e32 v[142:143], v[118:119], v[114:115]
	scratch_load_b128 v[112:115], off, off offset:216
	s_wait_dscnt 0x0
	v_fmac_f64_e32 v[142:143], v[120:121], v[130:131]
	s_wait_loadcnt 0x5
	v_fmac_f64_e32 v[142:143], v[122:123], v[132:133]
	ds_load_b128 v[116:119], v2 offset:560
	ds_load_b128 v[120:123], v2 offset:576
	scratch_load_b128 v[130:133], off, off offset:232
	s_wait_dscnt 0x1
	v_fmac_f64_e32 v[142:143], v[124:125], v[116:117]
	s_wait_loadcnt 0x5
	s_delay_alu instid0(VALU_DEP_1) | instskip(SKIP_4) | instid1(VALU_DEP_1)
	v_fmac_f64_e32 v[142:143], v[126:127], v[118:119]
	scratch_load_b128 v[116:119], off, off offset:248
	s_wait_dscnt 0x0
	v_fmac_f64_e32 v[142:143], v[128:129], v[120:121]
	s_wait_loadcnt 0x5
	v_fmac_f64_e32 v[142:143], v[138:139], v[122:123]
	ds_load_b128 v[120:123], v2 offset:592
	ds_load_b128 v[124:127], v2 offset:608
	s_wait_dscnt 0x1
	v_fmac_f64_e32 v[142:143], v[140:141], v[120:121]
	scratch_load_b128 v[138:141], off, off offset:264
	s_wait_loadcnt 0x5
	v_fmac_f64_e32 v[142:143], v[108:109], v[122:123]
	s_wait_dscnt 0x0
	s_delay_alu instid0(VALU_DEP_1)
	v_fmac_f64_e32 v[142:143], v[110:111], v[124:125]
	scratch_load_b128 v[108:111], off, off offset:280
	s_wait_loadcnt 0x5
	v_fmac_f64_e32 v[142:143], v[134:135], v[126:127]
	ds_load_b128 v[120:123], v2 offset:624
	ds_load_b128 v[124:127], v2 offset:640
	s_wait_dscnt 0x1
	v_fmac_f64_e32 v[142:143], v[136:137], v[120:121]
	scratch_load_b128 v[134:137], off, off offset:296
	s_wait_loadcnt 0x5
	v_fmac_f64_e32 v[142:143], v[112:113], v[122:123]
	s_wait_dscnt 0x0
	s_delay_alu instid0(VALU_DEP_1)
	v_fmac_f64_e32 v[142:143], v[114:115], v[124:125]
	scratch_load_b128 v[112:115], off, off offset:312
	s_wait_loadcnt 0x5
	v_fmac_f64_e32 v[142:143], v[130:131], v[126:127]
	ds_load_b128 v[120:123], v2 offset:656
	ds_load_b128 v[124:127], v2 offset:672
	s_wait_dscnt 0x1
	v_fmac_f64_e32 v[142:143], v[132:133], v[120:121]
	s_wait_loadcnt 0x4
	s_delay_alu instid0(VALU_DEP_1)
	v_fmac_f64_e32 v[142:143], v[116:117], v[122:123]
	scratch_load_b128 v[120:123], off, off offset:328
	s_wait_dscnt 0x0
	v_fmac_f64_e32 v[142:143], v[118:119], v[124:125]
	scratch_load_b128 v[116:119], off, off offset:344
	s_wait_loadcnt 0x5
	v_fmac_f64_e32 v[142:143], v[138:139], v[126:127]
	ds_load_b128 v[124:127], v2 offset:688
	ds_load_b128 v[128:131], v2 offset:704
	s_wait_dscnt 0x1
	v_fmac_f64_e32 v[142:143], v[140:141], v[124:125]
	s_wait_loadcnt 0x4
	s_delay_alu instid0(VALU_DEP_1)
	v_fmac_f64_e32 v[142:143], v[108:109], v[126:127]
	scratch_load_b128 v[124:127], off, off offset:360
	s_wait_dscnt 0x0
	v_fmac_f64_e32 v[142:143], v[110:111], v[128:129]
	scratch_load_b128 v[108:111], off, off offset:376
	s_wait_loadcnt 0x5
	v_fmac_f64_e32 v[142:143], v[134:135], v[130:131]
	ds_load_b128 v[128:131], v2 offset:720
	ds_load_b128 v[132:135], v2 offset:736
	s_wait_dscnt 0x1
	v_fmac_f64_e32 v[142:143], v[136:137], v[128:129]
	s_wait_loadcnt 0x4
	s_delay_alu instid0(VALU_DEP_1) | instskip(SKIP_4) | instid1(VALU_DEP_1)
	v_fmac_f64_e32 v[142:143], v[112:113], v[130:131]
	scratch_load_b128 v[128:131], off, off offset:392
	s_wait_dscnt 0x0
	v_fmac_f64_e32 v[142:143], v[114:115], v[132:133]
	s_wait_loadcnt 0x4
	v_fmac_f64_e32 v[142:143], v[120:121], v[134:135]
	ds_load_b128 v[112:115], v2 offset:752
	ds_load_b128 v[132:135], v2 offset:768
	s_wait_dscnt 0x1
	v_fmac_f64_e32 v[142:143], v[122:123], v[112:113]
	s_wait_loadcnt 0x3
	s_delay_alu instid0(VALU_DEP_1) | instskip(SKIP_1) | instid1(VALU_DEP_1)
	v_fmac_f64_e32 v[142:143], v[116:117], v[114:115]
	s_wait_dscnt 0x0
	v_fmac_f64_e32 v[142:143], v[118:119], v[132:133]
	ds_load_b128 v[112:115], v2 offset:784
	ds_load_b128 v[116:119], v2 offset:800
	s_wait_loadcnt 0x2
	v_fmac_f64_e32 v[142:143], v[124:125], v[134:135]
	s_wait_dscnt 0x1
	s_delay_alu instid0(VALU_DEP_1) | instskip(SKIP_1) | instid1(VALU_DEP_1)
	v_fmac_f64_e32 v[142:143], v[126:127], v[112:113]
	s_wait_loadcnt 0x1
	v_fmac_f64_e32 v[142:143], v[108:109], v[114:115]
	ds_load_b64 v[108:109], v2 offset:816
	s_wait_dscnt 0x1
	v_fmac_f64_e32 v[142:143], v[110:111], v[116:117]
	s_wait_loadcnt 0x0
	s_delay_alu instid0(VALU_DEP_1) | instskip(SKIP_1) | instid1(VALU_DEP_1)
	v_fmac_f64_e32 v[142:143], v[128:129], v[118:119]
	s_wait_dscnt 0x0
	v_fmac_f64_e32 v[142:143], v[130:131], v[108:109]
	s_delay_alu instid0(VALU_DEP_1)
	v_add_f64_e64 v[106:107], v[106:107], -v[142:143]
	scratch_store_b64 off, v[106:107], off offset:72
	s_wait_xcnt 0x0
	v_cmpx_lt_u32_e32 8, v0
	s_cbranch_execz .LBB114_299
; %bb.298:
	scratch_load_b64 v[106:107], off, off offset:64
	v_mov_b64_e32 v[108:109], 0
	scratch_store_b64 off, v[108:109], off offset:64
	s_wait_loadcnt 0x0
	ds_store_b64 v1, v[106:107]
.LBB114_299:
	s_wait_xcnt 0x0
	s_or_b32 exec_lo, exec_lo, s0
	s_wait_storecnt_dscnt 0x0
	s_barrier_signal -1
	s_barrier_wait -1
	s_clause 0x5
	scratch_load_b128 v[106:109], off, off offset:64
	scratch_load_b128 v[110:113], off, off offset:80
	;; [unrolled: 1-line block ×6, first 2 shown]
	ds_load_2addr_b64 v[130:133], v2 offset0:61 offset1:62
	ds_load_2addr_b64 v[134:137], v2 offset0:63 offset1:64
	scratch_load_b128 v[138:141], off, off offset:160
	s_mov_b32 s0, exec_lo
	s_wait_loadcnt_dscnt 0x601
	v_fma_f64 v[142:143], v[108:109], v[130:131], 0
	s_wait_loadcnt 0x5
	s_delay_alu instid0(VALU_DEP_1) | instskip(SKIP_4) | instid1(VALU_DEP_1)
	v_fmac_f64_e32 v[142:143], v[110:111], v[132:133]
	scratch_load_b128 v[108:111], off, off offset:176
	s_wait_dscnt 0x0
	v_fmac_f64_e32 v[142:143], v[112:113], v[134:135]
	s_wait_loadcnt 0x5
	v_fmac_f64_e32 v[142:143], v[114:115], v[136:137]
	ds_load_2addr_b64 v[112:115], v2 offset0:65 offset1:66
	ds_load_2addr_b64 v[130:133], v2 offset0:67 offset1:68
	scratch_load_b128 v[134:137], off, off offset:192
	s_wait_dscnt 0x1
	v_fmac_f64_e32 v[142:143], v[116:117], v[112:113]
	s_wait_loadcnt 0x5
	s_delay_alu instid0(VALU_DEP_1) | instskip(SKIP_4) | instid1(VALU_DEP_1)
	v_fmac_f64_e32 v[142:143], v[118:119], v[114:115]
	scratch_load_b128 v[112:115], off, off offset:208
	s_wait_dscnt 0x0
	v_fmac_f64_e32 v[142:143], v[120:121], v[130:131]
	s_wait_loadcnt 0x5
	v_fmac_f64_e32 v[142:143], v[122:123], v[132:133]
	ds_load_2addr_b64 v[116:119], v2 offset0:69 offset1:70
	ds_load_2addr_b64 v[120:123], v2 offset0:71 offset1:72
	scratch_load_b128 v[130:133], off, off offset:224
	s_wait_dscnt 0x1
	v_fmac_f64_e32 v[142:143], v[124:125], v[116:117]
	s_wait_loadcnt 0x5
	s_delay_alu instid0(VALU_DEP_1) | instskip(SKIP_4) | instid1(VALU_DEP_1)
	v_fmac_f64_e32 v[142:143], v[126:127], v[118:119]
	scratch_load_b128 v[116:119], off, off offset:240
	s_wait_dscnt 0x0
	v_fmac_f64_e32 v[142:143], v[128:129], v[120:121]
	s_wait_loadcnt 0x5
	v_fmac_f64_e32 v[142:143], v[138:139], v[122:123]
	ds_load_2addr_b64 v[120:123], v2 offset0:73 offset1:74
	ds_load_2addr_b64 v[124:127], v2 offset0:75 offset1:76
	s_wait_dscnt 0x1
	v_fmac_f64_e32 v[142:143], v[140:141], v[120:121]
	scratch_load_b128 v[138:141], off, off offset:256
	s_wait_loadcnt 0x5
	v_fmac_f64_e32 v[142:143], v[108:109], v[122:123]
	s_wait_dscnt 0x0
	s_delay_alu instid0(VALU_DEP_1)
	v_fmac_f64_e32 v[142:143], v[110:111], v[124:125]
	scratch_load_b128 v[108:111], off, off offset:272
	s_wait_loadcnt 0x5
	v_fmac_f64_e32 v[142:143], v[134:135], v[126:127]
	ds_load_2addr_b64 v[120:123], v2 offset0:77 offset1:78
	ds_load_2addr_b64 v[124:127], v2 offset0:79 offset1:80
	s_wait_dscnt 0x1
	v_fmac_f64_e32 v[142:143], v[136:137], v[120:121]
	scratch_load_b128 v[134:137], off, off offset:288
	s_wait_loadcnt 0x5
	v_fmac_f64_e32 v[142:143], v[112:113], v[122:123]
	s_wait_dscnt 0x0
	s_delay_alu instid0(VALU_DEP_1)
	v_fmac_f64_e32 v[142:143], v[114:115], v[124:125]
	scratch_load_b128 v[112:115], off, off offset:304
	s_wait_loadcnt 0x5
	v_fmac_f64_e32 v[142:143], v[130:131], v[126:127]
	ds_load_2addr_b64 v[120:123], v2 offset0:81 offset1:82
	ds_load_2addr_b64 v[124:127], v2 offset0:83 offset1:84
	scratch_load_b128 v[128:131], off, off offset:320
	s_wait_dscnt 0x1
	v_fmac_f64_e32 v[142:143], v[132:133], v[120:121]
	s_wait_loadcnt 0x5
	s_delay_alu instid0(VALU_DEP_1) | instskip(SKIP_1) | instid1(VALU_DEP_1)
	v_fmac_f64_e32 v[142:143], v[116:117], v[122:123]
	s_wait_dscnt 0x0
	v_fmac_f64_e32 v[142:143], v[118:119], v[124:125]
	scratch_load_b128 v[116:119], off, off offset:336
	s_wait_loadcnt 0x5
	v_fmac_f64_e32 v[142:143], v[138:139], v[126:127]
	ds_load_2addr_b64 v[120:123], v2 offset0:85 offset1:86
	ds_load_2addr_b64 v[124:127], v2 offset0:87 offset1:88
	s_wait_dscnt 0x1
	v_fmac_f64_e32 v[142:143], v[140:141], v[120:121]
	s_wait_loadcnt 0x4
	s_delay_alu instid0(VALU_DEP_1)
	v_fmac_f64_e32 v[142:143], v[108:109], v[122:123]
	scratch_load_b128 v[120:123], off, off offset:352
	s_wait_dscnt 0x0
	v_fmac_f64_e32 v[142:143], v[110:111], v[124:125]
	scratch_load_b128 v[108:111], off, off offset:368
	s_wait_loadcnt 0x5
	v_fmac_f64_e32 v[142:143], v[134:135], v[126:127]
	ds_load_2addr_b64 v[124:127], v2 offset0:89 offset1:90
	ds_load_2addr_b64 v[132:135], v2 offset0:91 offset1:92
	s_wait_dscnt 0x1
	v_fmac_f64_e32 v[142:143], v[136:137], v[124:125]
	s_wait_loadcnt 0x4
	s_delay_alu instid0(VALU_DEP_1) | instskip(SKIP_4) | instid1(VALU_DEP_1)
	v_fmac_f64_e32 v[142:143], v[112:113], v[126:127]
	scratch_load_b128 v[124:127], off, off offset:384
	s_wait_dscnt 0x0
	v_fmac_f64_e32 v[142:143], v[114:115], v[132:133]
	s_wait_loadcnt 0x4
	v_fmac_f64_e32 v[142:143], v[128:129], v[134:135]
	scratch_load_b64 v[128:129], off, off offset:400
	ds_load_2addr_b64 v[112:115], v2 offset0:93 offset1:94
	ds_load_2addr_b64 v[132:135], v2 offset0:95 offset1:96
	s_wait_dscnt 0x1
	v_fmac_f64_e32 v[142:143], v[130:131], v[112:113]
	s_wait_loadcnt 0x4
	s_delay_alu instid0(VALU_DEP_1) | instskip(SKIP_1) | instid1(VALU_DEP_1)
	v_fmac_f64_e32 v[142:143], v[116:117], v[114:115]
	s_wait_dscnt 0x0
	v_fmac_f64_e32 v[142:143], v[118:119], v[132:133]
	ds_load_2addr_b64 v[112:115], v2 offset0:97 offset1:98
	ds_load_2addr_b64 v[116:119], v2 offset0:99 offset1:100
	s_wait_loadcnt 0x3
	v_fmac_f64_e32 v[142:143], v[120:121], v[134:135]
	s_wait_dscnt 0x1
	s_delay_alu instid0(VALU_DEP_1) | instskip(SKIP_1) | instid1(VALU_DEP_1)
	v_fmac_f64_e32 v[142:143], v[122:123], v[112:113]
	s_wait_loadcnt 0x2
	v_fmac_f64_e32 v[142:143], v[108:109], v[114:115]
	s_wait_dscnt 0x0
	s_delay_alu instid0(VALU_DEP_1) | instskip(SKIP_4) | instid1(VALU_DEP_1)
	v_fmac_f64_e32 v[142:143], v[110:111], v[116:117]
	ds_load_2addr_b64 v[108:111], v2 offset0:101 offset1:102
	s_wait_loadcnt 0x1
	v_fmac_f64_e32 v[142:143], v[124:125], v[118:119]
	s_wait_dscnt 0x0
	v_fmac_f64_e32 v[142:143], v[126:127], v[108:109]
	s_wait_loadcnt 0x0
	s_delay_alu instid0(VALU_DEP_1) | instskip(NEXT) | instid1(VALU_DEP_1)
	v_fmac_f64_e32 v[142:143], v[128:129], v[110:111]
	v_add_f64_e64 v[2:3], v[106:107], -v[142:143]
	scratch_store_b64 off, v[2:3], off offset:64
	s_wait_xcnt 0x0
	v_cmpx_lt_u32_e32 7, v0
	s_cbranch_execz .LBB114_301
; %bb.300:
	scratch_load_b64 v[2:3], off, off offset:56
	v_mov_b64_e32 v[106:107], 0
	scratch_store_b64 off, v[106:107], off offset:56
	s_wait_loadcnt 0x0
	ds_store_b64 v1, v[2:3]
.LBB114_301:
	s_wait_xcnt 0x0
	s_or_b32 exec_lo, exec_lo, s0
	s_wait_storecnt_dscnt 0x0
	s_barrier_signal -1
	s_barrier_wait -1
	s_clause 0x5
	scratch_load_b128 v[106:109], off, off offset:56
	scratch_load_b128 v[110:113], off, off offset:72
	scratch_load_b128 v[114:117], off, off offset:88
	scratch_load_b128 v[118:121], off, off offset:104
	scratch_load_b128 v[122:125], off, off offset:120
	scratch_load_b128 v[126:129], off, off offset:136
	v_mov_b32_e32 v2, 0
	ds_load_b128 v[130:133], v2 offset:480
	ds_load_b128 v[134:137], v2 offset:496
	scratch_load_b128 v[138:141], off, off offset:152
	s_mov_b32 s0, exec_lo
	s_wait_loadcnt_dscnt 0x601
	v_fma_f64 v[142:143], v[108:109], v[130:131], 0
	s_wait_loadcnt 0x5
	s_delay_alu instid0(VALU_DEP_1) | instskip(SKIP_4) | instid1(VALU_DEP_1)
	v_fmac_f64_e32 v[142:143], v[110:111], v[132:133]
	scratch_load_b128 v[108:111], off, off offset:168
	s_wait_dscnt 0x0
	v_fmac_f64_e32 v[142:143], v[112:113], v[134:135]
	s_wait_loadcnt 0x5
	v_fmac_f64_e32 v[142:143], v[114:115], v[136:137]
	ds_load_b128 v[112:115], v2 offset:512
	ds_load_b128 v[130:133], v2 offset:528
	scratch_load_b128 v[134:137], off, off offset:184
	s_wait_dscnt 0x1
	v_fmac_f64_e32 v[142:143], v[116:117], v[112:113]
	s_wait_loadcnt 0x5
	s_delay_alu instid0(VALU_DEP_1) | instskip(SKIP_4) | instid1(VALU_DEP_1)
	v_fmac_f64_e32 v[142:143], v[118:119], v[114:115]
	scratch_load_b128 v[112:115], off, off offset:200
	s_wait_dscnt 0x0
	v_fmac_f64_e32 v[142:143], v[120:121], v[130:131]
	s_wait_loadcnt 0x5
	v_fmac_f64_e32 v[142:143], v[122:123], v[132:133]
	ds_load_b128 v[116:119], v2 offset:544
	ds_load_b128 v[120:123], v2 offset:560
	scratch_load_b128 v[130:133], off, off offset:216
	s_wait_dscnt 0x1
	v_fmac_f64_e32 v[142:143], v[124:125], v[116:117]
	s_wait_loadcnt 0x5
	s_delay_alu instid0(VALU_DEP_1) | instskip(SKIP_4) | instid1(VALU_DEP_1)
	v_fmac_f64_e32 v[142:143], v[126:127], v[118:119]
	scratch_load_b128 v[116:119], off, off offset:232
	s_wait_dscnt 0x0
	v_fmac_f64_e32 v[142:143], v[128:129], v[120:121]
	s_wait_loadcnt 0x5
	v_fmac_f64_e32 v[142:143], v[138:139], v[122:123]
	ds_load_b128 v[120:123], v2 offset:576
	ds_load_b128 v[124:127], v2 offset:592
	s_wait_dscnt 0x1
	v_fmac_f64_e32 v[142:143], v[140:141], v[120:121]
	scratch_load_b128 v[138:141], off, off offset:248
	s_wait_loadcnt 0x5
	v_fmac_f64_e32 v[142:143], v[108:109], v[122:123]
	s_wait_dscnt 0x0
	s_delay_alu instid0(VALU_DEP_1)
	v_fmac_f64_e32 v[142:143], v[110:111], v[124:125]
	scratch_load_b128 v[108:111], off, off offset:264
	s_wait_loadcnt 0x5
	v_fmac_f64_e32 v[142:143], v[134:135], v[126:127]
	ds_load_b128 v[120:123], v2 offset:608
	ds_load_b128 v[124:127], v2 offset:624
	s_wait_dscnt 0x1
	v_fmac_f64_e32 v[142:143], v[136:137], v[120:121]
	scratch_load_b128 v[134:137], off, off offset:280
	s_wait_loadcnt 0x5
	v_fmac_f64_e32 v[142:143], v[112:113], v[122:123]
	s_wait_dscnt 0x0
	s_delay_alu instid0(VALU_DEP_1)
	v_fmac_f64_e32 v[142:143], v[114:115], v[124:125]
	scratch_load_b128 v[112:115], off, off offset:296
	s_wait_loadcnt 0x5
	v_fmac_f64_e32 v[142:143], v[130:131], v[126:127]
	ds_load_b128 v[120:123], v2 offset:640
	ds_load_b128 v[124:127], v2 offset:656
	scratch_load_b128 v[128:131], off, off offset:312
	s_wait_dscnt 0x1
	v_fmac_f64_e32 v[142:143], v[132:133], v[120:121]
	s_wait_loadcnt 0x5
	s_delay_alu instid0(VALU_DEP_1) | instskip(SKIP_1) | instid1(VALU_DEP_1)
	v_fmac_f64_e32 v[142:143], v[116:117], v[122:123]
	s_wait_dscnt 0x0
	v_fmac_f64_e32 v[142:143], v[118:119], v[124:125]
	scratch_load_b128 v[116:119], off, off offset:328
	s_wait_loadcnt 0x5
	v_fmac_f64_e32 v[142:143], v[138:139], v[126:127]
	ds_load_b128 v[120:123], v2 offset:672
	ds_load_b128 v[124:127], v2 offset:688
	s_wait_dscnt 0x1
	v_fmac_f64_e32 v[142:143], v[140:141], v[120:121]
	s_wait_loadcnt 0x4
	s_delay_alu instid0(VALU_DEP_1)
	v_fmac_f64_e32 v[142:143], v[108:109], v[122:123]
	scratch_load_b128 v[120:123], off, off offset:344
	s_wait_dscnt 0x0
	v_fmac_f64_e32 v[142:143], v[110:111], v[124:125]
	scratch_load_b128 v[108:111], off, off offset:360
	s_wait_loadcnt 0x5
	v_fmac_f64_e32 v[142:143], v[134:135], v[126:127]
	ds_load_b128 v[124:127], v2 offset:704
	ds_load_b128 v[132:135], v2 offset:720
	s_wait_dscnt 0x1
	v_fmac_f64_e32 v[142:143], v[136:137], v[124:125]
	s_wait_loadcnt 0x4
	s_delay_alu instid0(VALU_DEP_1)
	v_fmac_f64_e32 v[142:143], v[112:113], v[126:127]
	scratch_load_b128 v[124:127], off, off offset:376
	s_wait_dscnt 0x0
	v_fmac_f64_e32 v[142:143], v[114:115], v[132:133]
	scratch_load_b128 v[112:115], off, off offset:392
	s_wait_loadcnt 0x5
	v_fmac_f64_e32 v[142:143], v[128:129], v[134:135]
	ds_load_b128 v[132:135], v2 offset:736
	ds_load_b128 v[136:139], v2 offset:752
	s_wait_dscnt 0x1
	v_fmac_f64_e32 v[142:143], v[130:131], v[132:133]
	s_wait_loadcnt 0x4
	s_delay_alu instid0(VALU_DEP_1) | instskip(SKIP_1) | instid1(VALU_DEP_1)
	v_fmac_f64_e32 v[142:143], v[116:117], v[134:135]
	s_wait_dscnt 0x0
	v_fmac_f64_e32 v[142:143], v[118:119], v[136:137]
	ds_load_b128 v[116:119], v2 offset:768
	ds_load_b128 v[128:131], v2 offset:784
	s_wait_loadcnt 0x3
	v_fmac_f64_e32 v[142:143], v[120:121], v[138:139]
	s_wait_dscnt 0x1
	s_delay_alu instid0(VALU_DEP_1) | instskip(SKIP_1) | instid1(VALU_DEP_1)
	v_fmac_f64_e32 v[142:143], v[122:123], v[116:117]
	s_wait_loadcnt 0x2
	v_fmac_f64_e32 v[142:143], v[108:109], v[118:119]
	s_wait_dscnt 0x0
	s_delay_alu instid0(VALU_DEP_1)
	v_fmac_f64_e32 v[142:143], v[110:111], v[128:129]
	ds_load_b128 v[108:111], v2 offset:800
	ds_load_b64 v[116:117], v2 offset:816
	s_wait_loadcnt 0x1
	v_fmac_f64_e32 v[142:143], v[124:125], v[130:131]
	s_wait_dscnt 0x1
	s_delay_alu instid0(VALU_DEP_1) | instskip(SKIP_1) | instid1(VALU_DEP_1)
	v_fmac_f64_e32 v[142:143], v[126:127], v[108:109]
	s_wait_loadcnt 0x0
	v_fmac_f64_e32 v[142:143], v[112:113], v[110:111]
	s_wait_dscnt 0x0
	s_delay_alu instid0(VALU_DEP_1) | instskip(NEXT) | instid1(VALU_DEP_1)
	v_fmac_f64_e32 v[142:143], v[114:115], v[116:117]
	v_add_f64_e64 v[106:107], v[106:107], -v[142:143]
	scratch_store_b64 off, v[106:107], off offset:56
	s_wait_xcnt 0x0
	v_cmpx_lt_u32_e32 6, v0
	s_cbranch_execz .LBB114_303
; %bb.302:
	scratch_load_b64 v[106:107], off, off offset:48
	v_mov_b64_e32 v[108:109], 0
	scratch_store_b64 off, v[108:109], off offset:48
	s_wait_loadcnt 0x0
	ds_store_b64 v1, v[106:107]
.LBB114_303:
	s_wait_xcnt 0x0
	s_or_b32 exec_lo, exec_lo, s0
	s_wait_storecnt_dscnt 0x0
	s_barrier_signal -1
	s_barrier_wait -1
	s_clause 0x5
	scratch_load_b128 v[106:109], off, off offset:48
	scratch_load_b128 v[110:113], off, off offset:64
	scratch_load_b128 v[114:117], off, off offset:80
	scratch_load_b128 v[118:121], off, off offset:96
	scratch_load_b128 v[122:125], off, off offset:112
	scratch_load_b128 v[126:129], off, off offset:128
	ds_load_2addr_b64 v[130:133], v2 offset0:59 offset1:60
	ds_load_2addr_b64 v[134:137], v2 offset0:61 offset1:62
	scratch_load_b128 v[138:141], off, off offset:144
	s_mov_b32 s0, exec_lo
	s_wait_loadcnt_dscnt 0x601
	v_fma_f64 v[142:143], v[108:109], v[130:131], 0
	s_wait_loadcnt 0x5
	s_delay_alu instid0(VALU_DEP_1) | instskip(SKIP_4) | instid1(VALU_DEP_1)
	v_fmac_f64_e32 v[142:143], v[110:111], v[132:133]
	scratch_load_b128 v[108:111], off, off offset:160
	s_wait_dscnt 0x0
	v_fmac_f64_e32 v[142:143], v[112:113], v[134:135]
	s_wait_loadcnt 0x5
	v_fmac_f64_e32 v[142:143], v[114:115], v[136:137]
	ds_load_2addr_b64 v[112:115], v2 offset0:63 offset1:64
	ds_load_2addr_b64 v[130:133], v2 offset0:65 offset1:66
	scratch_load_b128 v[134:137], off, off offset:176
	s_wait_dscnt 0x1
	v_fmac_f64_e32 v[142:143], v[116:117], v[112:113]
	s_wait_loadcnt 0x5
	s_delay_alu instid0(VALU_DEP_1) | instskip(SKIP_4) | instid1(VALU_DEP_1)
	v_fmac_f64_e32 v[142:143], v[118:119], v[114:115]
	scratch_load_b128 v[112:115], off, off offset:192
	s_wait_dscnt 0x0
	v_fmac_f64_e32 v[142:143], v[120:121], v[130:131]
	s_wait_loadcnt 0x5
	v_fmac_f64_e32 v[142:143], v[122:123], v[132:133]
	ds_load_2addr_b64 v[116:119], v2 offset0:67 offset1:68
	ds_load_2addr_b64 v[120:123], v2 offset0:69 offset1:70
	scratch_load_b128 v[130:133], off, off offset:208
	s_wait_dscnt 0x1
	v_fmac_f64_e32 v[142:143], v[124:125], v[116:117]
	s_wait_loadcnt 0x5
	s_delay_alu instid0(VALU_DEP_1) | instskip(SKIP_4) | instid1(VALU_DEP_1)
	v_fmac_f64_e32 v[142:143], v[126:127], v[118:119]
	scratch_load_b128 v[116:119], off, off offset:224
	s_wait_dscnt 0x0
	v_fmac_f64_e32 v[142:143], v[128:129], v[120:121]
	s_wait_loadcnt 0x5
	v_fmac_f64_e32 v[142:143], v[138:139], v[122:123]
	ds_load_2addr_b64 v[120:123], v2 offset0:71 offset1:72
	ds_load_2addr_b64 v[124:127], v2 offset0:73 offset1:74
	s_wait_dscnt 0x1
	v_fmac_f64_e32 v[142:143], v[140:141], v[120:121]
	scratch_load_b128 v[138:141], off, off offset:240
	s_wait_loadcnt 0x5
	v_fmac_f64_e32 v[142:143], v[108:109], v[122:123]
	s_wait_dscnt 0x0
	s_delay_alu instid0(VALU_DEP_1)
	v_fmac_f64_e32 v[142:143], v[110:111], v[124:125]
	scratch_load_b128 v[108:111], off, off offset:256
	s_wait_loadcnt 0x5
	v_fmac_f64_e32 v[142:143], v[134:135], v[126:127]
	ds_load_2addr_b64 v[120:123], v2 offset0:75 offset1:76
	ds_load_2addr_b64 v[124:127], v2 offset0:77 offset1:78
	s_wait_dscnt 0x1
	v_fmac_f64_e32 v[142:143], v[136:137], v[120:121]
	scratch_load_b128 v[134:137], off, off offset:272
	s_wait_loadcnt 0x5
	v_fmac_f64_e32 v[142:143], v[112:113], v[122:123]
	s_wait_dscnt 0x0
	s_delay_alu instid0(VALU_DEP_1)
	v_fmac_f64_e32 v[142:143], v[114:115], v[124:125]
	scratch_load_b128 v[112:115], off, off offset:288
	s_wait_loadcnt 0x5
	v_fmac_f64_e32 v[142:143], v[130:131], v[126:127]
	ds_load_2addr_b64 v[120:123], v2 offset0:79 offset1:80
	ds_load_2addr_b64 v[124:127], v2 offset0:81 offset1:82
	scratch_load_b128 v[128:131], off, off offset:304
	s_wait_dscnt 0x1
	v_fmac_f64_e32 v[142:143], v[132:133], v[120:121]
	s_wait_loadcnt 0x5
	s_delay_alu instid0(VALU_DEP_1) | instskip(SKIP_1) | instid1(VALU_DEP_1)
	v_fmac_f64_e32 v[142:143], v[116:117], v[122:123]
	s_wait_dscnt 0x0
	v_fmac_f64_e32 v[142:143], v[118:119], v[124:125]
	scratch_load_b128 v[116:119], off, off offset:320
	s_wait_loadcnt 0x5
	v_fmac_f64_e32 v[142:143], v[138:139], v[126:127]
	ds_load_2addr_b64 v[120:123], v2 offset0:83 offset1:84
	ds_load_2addr_b64 v[124:127], v2 offset0:85 offset1:86
	s_wait_dscnt 0x1
	v_fmac_f64_e32 v[142:143], v[140:141], v[120:121]
	s_wait_loadcnt 0x4
	s_delay_alu instid0(VALU_DEP_1)
	v_fmac_f64_e32 v[142:143], v[108:109], v[122:123]
	scratch_load_b128 v[120:123], off, off offset:336
	s_wait_dscnt 0x0
	v_fmac_f64_e32 v[142:143], v[110:111], v[124:125]
	scratch_load_b128 v[108:111], off, off offset:352
	s_wait_loadcnt 0x5
	v_fmac_f64_e32 v[142:143], v[134:135], v[126:127]
	ds_load_2addr_b64 v[124:127], v2 offset0:87 offset1:88
	ds_load_2addr_b64 v[132:135], v2 offset0:89 offset1:90
	s_wait_dscnt 0x1
	v_fmac_f64_e32 v[142:143], v[136:137], v[124:125]
	s_wait_loadcnt 0x4
	s_delay_alu instid0(VALU_DEP_1)
	v_fmac_f64_e32 v[142:143], v[112:113], v[126:127]
	scratch_load_b128 v[124:127], off, off offset:368
	s_wait_dscnt 0x0
	v_fmac_f64_e32 v[142:143], v[114:115], v[132:133]
	scratch_load_b128 v[112:115], off, off offset:384
	s_wait_loadcnt 0x5
	v_fmac_f64_e32 v[142:143], v[128:129], v[134:135]
	ds_load_2addr_b64 v[132:135], v2 offset0:91 offset1:92
	ds_load_2addr_b64 v[136:139], v2 offset0:93 offset1:94
	s_wait_dscnt 0x1
	v_fmac_f64_e32 v[142:143], v[130:131], v[132:133]
	scratch_load_b64 v[132:133], off, off offset:400
	s_wait_loadcnt 0x5
	v_fmac_f64_e32 v[142:143], v[116:117], v[134:135]
	s_wait_dscnt 0x0
	s_delay_alu instid0(VALU_DEP_1)
	v_fmac_f64_e32 v[142:143], v[118:119], v[136:137]
	ds_load_2addr_b64 v[116:119], v2 offset0:95 offset1:96
	ds_load_2addr_b64 v[128:131], v2 offset0:97 offset1:98
	s_wait_loadcnt 0x4
	v_fmac_f64_e32 v[142:143], v[120:121], v[138:139]
	s_wait_dscnt 0x1
	s_delay_alu instid0(VALU_DEP_1) | instskip(SKIP_1) | instid1(VALU_DEP_1)
	v_fmac_f64_e32 v[142:143], v[122:123], v[116:117]
	s_wait_loadcnt 0x3
	v_fmac_f64_e32 v[142:143], v[108:109], v[118:119]
	s_wait_dscnt 0x0
	s_delay_alu instid0(VALU_DEP_1)
	v_fmac_f64_e32 v[142:143], v[110:111], v[128:129]
	ds_load_2addr_b64 v[108:111], v2 offset0:99 offset1:100
	ds_load_2addr_b64 v[116:119], v2 offset0:101 offset1:102
	s_wait_loadcnt 0x2
	v_fmac_f64_e32 v[142:143], v[124:125], v[130:131]
	s_wait_dscnt 0x1
	s_delay_alu instid0(VALU_DEP_1) | instskip(SKIP_1) | instid1(VALU_DEP_1)
	v_fmac_f64_e32 v[142:143], v[126:127], v[108:109]
	s_wait_loadcnt 0x1
	v_fmac_f64_e32 v[142:143], v[112:113], v[110:111]
	s_wait_dscnt 0x0
	s_delay_alu instid0(VALU_DEP_1) | instskip(SKIP_1) | instid1(VALU_DEP_1)
	v_fmac_f64_e32 v[142:143], v[114:115], v[116:117]
	s_wait_loadcnt 0x0
	v_fmac_f64_e32 v[142:143], v[132:133], v[118:119]
	s_delay_alu instid0(VALU_DEP_1)
	v_add_f64_e64 v[2:3], v[106:107], -v[142:143]
	scratch_store_b64 off, v[2:3], off offset:48
	s_wait_xcnt 0x0
	v_cmpx_lt_u32_e32 5, v0
	s_cbranch_execz .LBB114_305
; %bb.304:
	scratch_load_b64 v[2:3], off, off offset:40
	v_mov_b64_e32 v[106:107], 0
	scratch_store_b64 off, v[106:107], off offset:40
	s_wait_loadcnt 0x0
	ds_store_b64 v1, v[2:3]
.LBB114_305:
	s_wait_xcnt 0x0
	s_or_b32 exec_lo, exec_lo, s0
	s_wait_storecnt_dscnt 0x0
	s_barrier_signal -1
	s_barrier_wait -1
	s_clause 0x5
	scratch_load_b128 v[106:109], off, off offset:40
	scratch_load_b128 v[110:113], off, off offset:56
	scratch_load_b128 v[114:117], off, off offset:72
	scratch_load_b128 v[118:121], off, off offset:88
	scratch_load_b128 v[122:125], off, off offset:104
	scratch_load_b128 v[126:129], off, off offset:120
	v_mov_b32_e32 v2, 0
	ds_load_b128 v[130:133], v2 offset:464
	ds_load_b128 v[134:137], v2 offset:480
	scratch_load_b128 v[138:141], off, off offset:136
	s_mov_b32 s0, exec_lo
	s_wait_loadcnt_dscnt 0x601
	v_fma_f64 v[142:143], v[108:109], v[130:131], 0
	s_wait_loadcnt 0x5
	s_delay_alu instid0(VALU_DEP_1) | instskip(SKIP_4) | instid1(VALU_DEP_1)
	v_fmac_f64_e32 v[142:143], v[110:111], v[132:133]
	scratch_load_b128 v[108:111], off, off offset:152
	s_wait_dscnt 0x0
	v_fmac_f64_e32 v[142:143], v[112:113], v[134:135]
	s_wait_loadcnt 0x5
	v_fmac_f64_e32 v[142:143], v[114:115], v[136:137]
	ds_load_b128 v[112:115], v2 offset:496
	ds_load_b128 v[130:133], v2 offset:512
	scratch_load_b128 v[134:137], off, off offset:168
	s_wait_dscnt 0x1
	v_fmac_f64_e32 v[142:143], v[116:117], v[112:113]
	s_wait_loadcnt 0x5
	s_delay_alu instid0(VALU_DEP_1) | instskip(SKIP_4) | instid1(VALU_DEP_1)
	v_fmac_f64_e32 v[142:143], v[118:119], v[114:115]
	scratch_load_b128 v[112:115], off, off offset:184
	s_wait_dscnt 0x0
	v_fmac_f64_e32 v[142:143], v[120:121], v[130:131]
	s_wait_loadcnt 0x5
	v_fmac_f64_e32 v[142:143], v[122:123], v[132:133]
	ds_load_b128 v[116:119], v2 offset:528
	ds_load_b128 v[120:123], v2 offset:544
	scratch_load_b128 v[130:133], off, off offset:200
	s_wait_dscnt 0x1
	v_fmac_f64_e32 v[142:143], v[124:125], v[116:117]
	s_wait_loadcnt 0x5
	s_delay_alu instid0(VALU_DEP_1) | instskip(SKIP_4) | instid1(VALU_DEP_1)
	v_fmac_f64_e32 v[142:143], v[126:127], v[118:119]
	scratch_load_b128 v[116:119], off, off offset:216
	s_wait_dscnt 0x0
	v_fmac_f64_e32 v[142:143], v[128:129], v[120:121]
	s_wait_loadcnt 0x5
	v_fmac_f64_e32 v[142:143], v[138:139], v[122:123]
	ds_load_b128 v[120:123], v2 offset:560
	ds_load_b128 v[124:127], v2 offset:576
	s_wait_dscnt 0x1
	v_fmac_f64_e32 v[142:143], v[140:141], v[120:121]
	scratch_load_b128 v[138:141], off, off offset:232
	s_wait_loadcnt 0x5
	v_fmac_f64_e32 v[142:143], v[108:109], v[122:123]
	s_wait_dscnt 0x0
	s_delay_alu instid0(VALU_DEP_1)
	v_fmac_f64_e32 v[142:143], v[110:111], v[124:125]
	scratch_load_b128 v[108:111], off, off offset:248
	s_wait_loadcnt 0x5
	v_fmac_f64_e32 v[142:143], v[134:135], v[126:127]
	ds_load_b128 v[120:123], v2 offset:592
	ds_load_b128 v[124:127], v2 offset:608
	s_wait_dscnt 0x1
	v_fmac_f64_e32 v[142:143], v[136:137], v[120:121]
	scratch_load_b128 v[134:137], off, off offset:264
	s_wait_loadcnt 0x5
	v_fmac_f64_e32 v[142:143], v[112:113], v[122:123]
	s_wait_dscnt 0x0
	s_delay_alu instid0(VALU_DEP_1)
	v_fmac_f64_e32 v[142:143], v[114:115], v[124:125]
	scratch_load_b128 v[112:115], off, off offset:280
	s_wait_loadcnt 0x5
	v_fmac_f64_e32 v[142:143], v[130:131], v[126:127]
	ds_load_b128 v[120:123], v2 offset:624
	ds_load_b128 v[124:127], v2 offset:640
	scratch_load_b128 v[128:131], off, off offset:296
	s_wait_dscnt 0x1
	v_fmac_f64_e32 v[142:143], v[132:133], v[120:121]
	s_wait_loadcnt 0x5
	s_delay_alu instid0(VALU_DEP_1) | instskip(SKIP_1) | instid1(VALU_DEP_1)
	v_fmac_f64_e32 v[142:143], v[116:117], v[122:123]
	s_wait_dscnt 0x0
	v_fmac_f64_e32 v[142:143], v[118:119], v[124:125]
	scratch_load_b128 v[116:119], off, off offset:312
	s_wait_loadcnt 0x5
	v_fmac_f64_e32 v[142:143], v[138:139], v[126:127]
	ds_load_b128 v[120:123], v2 offset:656
	ds_load_b128 v[124:127], v2 offset:672
	s_wait_dscnt 0x1
	v_fmac_f64_e32 v[142:143], v[140:141], v[120:121]
	s_wait_loadcnt 0x4
	s_delay_alu instid0(VALU_DEP_1)
	v_fmac_f64_e32 v[142:143], v[108:109], v[122:123]
	scratch_load_b128 v[120:123], off, off offset:328
	s_wait_dscnt 0x0
	v_fmac_f64_e32 v[142:143], v[110:111], v[124:125]
	scratch_load_b128 v[108:111], off, off offset:344
	s_wait_loadcnt 0x5
	v_fmac_f64_e32 v[142:143], v[134:135], v[126:127]
	ds_load_b128 v[124:127], v2 offset:688
	ds_load_b128 v[132:135], v2 offset:704
	s_wait_dscnt 0x1
	v_fmac_f64_e32 v[142:143], v[136:137], v[124:125]
	s_wait_loadcnt 0x4
	s_delay_alu instid0(VALU_DEP_1)
	v_fmac_f64_e32 v[142:143], v[112:113], v[126:127]
	scratch_load_b128 v[124:127], off, off offset:360
	s_wait_dscnt 0x0
	v_fmac_f64_e32 v[142:143], v[114:115], v[132:133]
	scratch_load_b128 v[112:115], off, off offset:376
	s_wait_loadcnt 0x5
	v_fmac_f64_e32 v[142:143], v[128:129], v[134:135]
	ds_load_b128 v[132:135], v2 offset:720
	ds_load_b128 v[136:139], v2 offset:736
	s_wait_dscnt 0x1
	v_fmac_f64_e32 v[142:143], v[130:131], v[132:133]
	scratch_load_b128 v[128:131], off, off offset:392
	s_wait_loadcnt 0x5
	v_fmac_f64_e32 v[142:143], v[116:117], v[134:135]
	s_wait_dscnt 0x0
	s_delay_alu instid0(VALU_DEP_1)
	v_fmac_f64_e32 v[142:143], v[118:119], v[136:137]
	ds_load_b128 v[116:119], v2 offset:752
	ds_load_b128 v[132:135], v2 offset:768
	s_wait_loadcnt 0x4
	v_fmac_f64_e32 v[142:143], v[120:121], v[138:139]
	s_wait_dscnt 0x1
	s_delay_alu instid0(VALU_DEP_1) | instskip(SKIP_1) | instid1(VALU_DEP_1)
	v_fmac_f64_e32 v[142:143], v[122:123], v[116:117]
	s_wait_loadcnt 0x3
	v_fmac_f64_e32 v[142:143], v[108:109], v[118:119]
	s_wait_dscnt 0x0
	s_delay_alu instid0(VALU_DEP_1)
	v_fmac_f64_e32 v[142:143], v[110:111], v[132:133]
	ds_load_b128 v[108:111], v2 offset:784
	ds_load_b128 v[116:119], v2 offset:800
	s_wait_loadcnt 0x2
	v_fmac_f64_e32 v[142:143], v[124:125], v[134:135]
	s_wait_dscnt 0x1
	s_delay_alu instid0(VALU_DEP_1) | instskip(SKIP_4) | instid1(VALU_DEP_1)
	v_fmac_f64_e32 v[142:143], v[126:127], v[108:109]
	ds_load_b64 v[108:109], v2 offset:816
	s_wait_loadcnt 0x1
	v_fmac_f64_e32 v[142:143], v[112:113], v[110:111]
	s_wait_dscnt 0x1
	v_fmac_f64_e32 v[142:143], v[114:115], v[116:117]
	s_wait_loadcnt 0x0
	s_delay_alu instid0(VALU_DEP_1) | instskip(SKIP_1) | instid1(VALU_DEP_1)
	v_fmac_f64_e32 v[142:143], v[128:129], v[118:119]
	s_wait_dscnt 0x0
	v_fmac_f64_e32 v[142:143], v[130:131], v[108:109]
	s_delay_alu instid0(VALU_DEP_1)
	v_add_f64_e64 v[106:107], v[106:107], -v[142:143]
	scratch_store_b64 off, v[106:107], off offset:40
	s_wait_xcnt 0x0
	v_cmpx_lt_u32_e32 4, v0
	s_cbranch_execz .LBB114_307
; %bb.306:
	scratch_load_b64 v[106:107], off, off offset:32
	v_mov_b64_e32 v[108:109], 0
	scratch_store_b64 off, v[108:109], off offset:32
	s_wait_loadcnt 0x0
	ds_store_b64 v1, v[106:107]
.LBB114_307:
	s_wait_xcnt 0x0
	s_or_b32 exec_lo, exec_lo, s0
	s_wait_storecnt_dscnt 0x0
	s_barrier_signal -1
	s_barrier_wait -1
	s_clause 0x5
	scratch_load_b128 v[106:109], off, off offset:32
	scratch_load_b128 v[110:113], off, off offset:48
	;; [unrolled: 1-line block ×6, first 2 shown]
	ds_load_2addr_b64 v[130:133], v2 offset0:57 offset1:58
	ds_load_2addr_b64 v[134:137], v2 offset0:59 offset1:60
	scratch_load_b128 v[138:141], off, off offset:128
	s_mov_b32 s0, exec_lo
	s_wait_loadcnt_dscnt 0x601
	v_fma_f64 v[142:143], v[108:109], v[130:131], 0
	s_wait_loadcnt 0x5
	s_delay_alu instid0(VALU_DEP_1) | instskip(SKIP_4) | instid1(VALU_DEP_1)
	v_fmac_f64_e32 v[142:143], v[110:111], v[132:133]
	scratch_load_b128 v[108:111], off, off offset:144
	s_wait_dscnt 0x0
	v_fmac_f64_e32 v[142:143], v[112:113], v[134:135]
	s_wait_loadcnt 0x5
	v_fmac_f64_e32 v[142:143], v[114:115], v[136:137]
	ds_load_2addr_b64 v[112:115], v2 offset0:61 offset1:62
	ds_load_2addr_b64 v[130:133], v2 offset0:63 offset1:64
	scratch_load_b128 v[134:137], off, off offset:160
	s_wait_dscnt 0x1
	v_fmac_f64_e32 v[142:143], v[116:117], v[112:113]
	s_wait_loadcnt 0x5
	s_delay_alu instid0(VALU_DEP_1) | instskip(SKIP_4) | instid1(VALU_DEP_1)
	v_fmac_f64_e32 v[142:143], v[118:119], v[114:115]
	scratch_load_b128 v[112:115], off, off offset:176
	s_wait_dscnt 0x0
	v_fmac_f64_e32 v[142:143], v[120:121], v[130:131]
	s_wait_loadcnt 0x5
	v_fmac_f64_e32 v[142:143], v[122:123], v[132:133]
	ds_load_2addr_b64 v[116:119], v2 offset0:65 offset1:66
	ds_load_2addr_b64 v[120:123], v2 offset0:67 offset1:68
	scratch_load_b128 v[130:133], off, off offset:192
	s_wait_dscnt 0x1
	v_fmac_f64_e32 v[142:143], v[124:125], v[116:117]
	s_wait_loadcnt 0x5
	s_delay_alu instid0(VALU_DEP_1) | instskip(SKIP_4) | instid1(VALU_DEP_1)
	v_fmac_f64_e32 v[142:143], v[126:127], v[118:119]
	scratch_load_b128 v[116:119], off, off offset:208
	s_wait_dscnt 0x0
	v_fmac_f64_e32 v[142:143], v[128:129], v[120:121]
	s_wait_loadcnt 0x5
	v_fmac_f64_e32 v[142:143], v[138:139], v[122:123]
	ds_load_2addr_b64 v[120:123], v2 offset0:69 offset1:70
	ds_load_2addr_b64 v[124:127], v2 offset0:71 offset1:72
	s_wait_dscnt 0x1
	v_fmac_f64_e32 v[142:143], v[140:141], v[120:121]
	scratch_load_b128 v[138:141], off, off offset:224
	s_wait_loadcnt 0x5
	v_fmac_f64_e32 v[142:143], v[108:109], v[122:123]
	s_wait_dscnt 0x0
	s_delay_alu instid0(VALU_DEP_1)
	v_fmac_f64_e32 v[142:143], v[110:111], v[124:125]
	scratch_load_b128 v[108:111], off, off offset:240
	s_wait_loadcnt 0x5
	v_fmac_f64_e32 v[142:143], v[134:135], v[126:127]
	ds_load_2addr_b64 v[120:123], v2 offset0:73 offset1:74
	ds_load_2addr_b64 v[124:127], v2 offset0:75 offset1:76
	s_wait_dscnt 0x1
	v_fmac_f64_e32 v[142:143], v[136:137], v[120:121]
	scratch_load_b128 v[134:137], off, off offset:256
	s_wait_loadcnt 0x5
	v_fmac_f64_e32 v[142:143], v[112:113], v[122:123]
	s_wait_dscnt 0x0
	s_delay_alu instid0(VALU_DEP_1)
	v_fmac_f64_e32 v[142:143], v[114:115], v[124:125]
	scratch_load_b128 v[112:115], off, off offset:272
	s_wait_loadcnt 0x5
	v_fmac_f64_e32 v[142:143], v[130:131], v[126:127]
	ds_load_2addr_b64 v[120:123], v2 offset0:77 offset1:78
	ds_load_2addr_b64 v[124:127], v2 offset0:79 offset1:80
	scratch_load_b128 v[128:131], off, off offset:288
	s_wait_dscnt 0x1
	v_fmac_f64_e32 v[142:143], v[132:133], v[120:121]
	s_wait_loadcnt 0x5
	s_delay_alu instid0(VALU_DEP_1) | instskip(SKIP_1) | instid1(VALU_DEP_1)
	v_fmac_f64_e32 v[142:143], v[116:117], v[122:123]
	s_wait_dscnt 0x0
	v_fmac_f64_e32 v[142:143], v[118:119], v[124:125]
	scratch_load_b128 v[116:119], off, off offset:304
	s_wait_loadcnt 0x5
	v_fmac_f64_e32 v[142:143], v[138:139], v[126:127]
	ds_load_2addr_b64 v[120:123], v2 offset0:81 offset1:82
	ds_load_2addr_b64 v[124:127], v2 offset0:83 offset1:84
	s_wait_dscnt 0x1
	v_fmac_f64_e32 v[142:143], v[140:141], v[120:121]
	scratch_load_b128 v[138:141], off, off offset:320
	s_wait_loadcnt 0x5
	v_fmac_f64_e32 v[142:143], v[108:109], v[122:123]
	s_wait_dscnt 0x0
	s_delay_alu instid0(VALU_DEP_1)
	v_fmac_f64_e32 v[142:143], v[110:111], v[124:125]
	scratch_load_b128 v[108:111], off, off offset:336
	s_wait_loadcnt 0x5
	v_fmac_f64_e32 v[142:143], v[134:135], v[126:127]
	ds_load_2addr_b64 v[120:123], v2 offset0:85 offset1:86
	ds_load_2addr_b64 v[124:127], v2 offset0:87 offset1:88
	s_wait_dscnt 0x1
	v_fmac_f64_e32 v[142:143], v[136:137], v[120:121]
	s_wait_loadcnt 0x4
	s_delay_alu instid0(VALU_DEP_1)
	v_fmac_f64_e32 v[142:143], v[112:113], v[122:123]
	scratch_load_b128 v[120:123], off, off offset:352
	s_wait_dscnt 0x0
	v_fmac_f64_e32 v[142:143], v[114:115], v[124:125]
	scratch_load_b128 v[112:115], off, off offset:368
	s_wait_loadcnt 0x5
	v_fmac_f64_e32 v[142:143], v[128:129], v[126:127]
	ds_load_2addr_b64 v[124:127], v2 offset0:89 offset1:90
	ds_load_2addr_b64 v[132:135], v2 offset0:91 offset1:92
	s_wait_dscnt 0x1
	v_fmac_f64_e32 v[142:143], v[130:131], v[124:125]
	s_wait_loadcnt 0x4
	s_delay_alu instid0(VALU_DEP_1)
	v_fmac_f64_e32 v[142:143], v[116:117], v[126:127]
	scratch_load_b128 v[124:127], off, off offset:384
	s_wait_dscnt 0x0
	v_fmac_f64_e32 v[142:143], v[118:119], v[132:133]
	scratch_load_b64 v[132:133], off, off offset:400
	ds_load_2addr_b64 v[116:119], v2 offset0:93 offset1:94
	ds_load_2addr_b64 v[128:131], v2 offset0:95 offset1:96
	s_wait_loadcnt 0x5
	v_fmac_f64_e32 v[142:143], v[138:139], v[134:135]
	s_wait_dscnt 0x1
	s_delay_alu instid0(VALU_DEP_1) | instskip(SKIP_1) | instid1(VALU_DEP_1)
	v_fmac_f64_e32 v[142:143], v[140:141], v[116:117]
	s_wait_loadcnt 0x4
	v_fmac_f64_e32 v[142:143], v[108:109], v[118:119]
	s_wait_dscnt 0x0
	s_delay_alu instid0(VALU_DEP_1)
	v_fmac_f64_e32 v[142:143], v[110:111], v[128:129]
	ds_load_2addr_b64 v[108:111], v2 offset0:97 offset1:98
	ds_load_2addr_b64 v[116:119], v2 offset0:99 offset1:100
	s_wait_loadcnt 0x3
	v_fmac_f64_e32 v[142:143], v[120:121], v[130:131]
	s_wait_dscnt 0x1
	s_delay_alu instid0(VALU_DEP_1) | instskip(SKIP_1) | instid1(VALU_DEP_1)
	v_fmac_f64_e32 v[142:143], v[122:123], v[108:109]
	s_wait_loadcnt 0x2
	v_fmac_f64_e32 v[142:143], v[112:113], v[110:111]
	ds_load_2addr_b64 v[108:111], v2 offset0:101 offset1:102
	s_wait_dscnt 0x1
	v_fmac_f64_e32 v[142:143], v[114:115], v[116:117]
	s_wait_loadcnt 0x1
	s_delay_alu instid0(VALU_DEP_1) | instskip(SKIP_1) | instid1(VALU_DEP_1)
	v_fmac_f64_e32 v[142:143], v[124:125], v[118:119]
	s_wait_dscnt 0x0
	v_fmac_f64_e32 v[142:143], v[126:127], v[108:109]
	s_wait_loadcnt 0x0
	s_delay_alu instid0(VALU_DEP_1) | instskip(NEXT) | instid1(VALU_DEP_1)
	v_fmac_f64_e32 v[142:143], v[132:133], v[110:111]
	v_add_f64_e64 v[2:3], v[106:107], -v[142:143]
	scratch_store_b64 off, v[2:3], off offset:32
	s_wait_xcnt 0x0
	v_cmpx_lt_u32_e32 3, v0
	s_cbranch_execz .LBB114_309
; %bb.308:
	scratch_load_b64 v[2:3], off, off offset:24
	v_mov_b64_e32 v[106:107], 0
	scratch_store_b64 off, v[106:107], off offset:24
	s_wait_loadcnt 0x0
	ds_store_b64 v1, v[2:3]
.LBB114_309:
	s_wait_xcnt 0x0
	s_or_b32 exec_lo, exec_lo, s0
	s_wait_storecnt_dscnt 0x0
	s_barrier_signal -1
	s_barrier_wait -1
	s_clause 0x5
	scratch_load_b128 v[106:109], off, off offset:24
	scratch_load_b128 v[110:113], off, off offset:40
	scratch_load_b128 v[114:117], off, off offset:56
	scratch_load_b128 v[118:121], off, off offset:72
	scratch_load_b128 v[122:125], off, off offset:88
	scratch_load_b128 v[126:129], off, off offset:104
	v_mov_b32_e32 v2, 0
	ds_load_b128 v[130:133], v2 offset:448
	ds_load_b128 v[134:137], v2 offset:464
	scratch_load_b128 v[138:141], off, off offset:120
	s_mov_b32 s0, exec_lo
	s_wait_loadcnt_dscnt 0x601
	v_fma_f64 v[142:143], v[108:109], v[130:131], 0
	s_wait_loadcnt 0x5
	s_delay_alu instid0(VALU_DEP_1) | instskip(SKIP_4) | instid1(VALU_DEP_1)
	v_fmac_f64_e32 v[142:143], v[110:111], v[132:133]
	scratch_load_b128 v[108:111], off, off offset:136
	s_wait_dscnt 0x0
	v_fmac_f64_e32 v[142:143], v[112:113], v[134:135]
	s_wait_loadcnt 0x5
	v_fmac_f64_e32 v[142:143], v[114:115], v[136:137]
	ds_load_b128 v[112:115], v2 offset:480
	ds_load_b128 v[130:133], v2 offset:496
	scratch_load_b128 v[134:137], off, off offset:152
	s_wait_dscnt 0x1
	v_fmac_f64_e32 v[142:143], v[116:117], v[112:113]
	s_wait_loadcnt 0x5
	s_delay_alu instid0(VALU_DEP_1) | instskip(SKIP_4) | instid1(VALU_DEP_1)
	v_fmac_f64_e32 v[142:143], v[118:119], v[114:115]
	scratch_load_b128 v[112:115], off, off offset:168
	s_wait_dscnt 0x0
	v_fmac_f64_e32 v[142:143], v[120:121], v[130:131]
	s_wait_loadcnt 0x5
	v_fmac_f64_e32 v[142:143], v[122:123], v[132:133]
	ds_load_b128 v[116:119], v2 offset:512
	ds_load_b128 v[120:123], v2 offset:528
	scratch_load_b128 v[130:133], off, off offset:184
	s_wait_dscnt 0x1
	v_fmac_f64_e32 v[142:143], v[124:125], v[116:117]
	s_wait_loadcnt 0x5
	s_delay_alu instid0(VALU_DEP_1) | instskip(SKIP_4) | instid1(VALU_DEP_1)
	v_fmac_f64_e32 v[142:143], v[126:127], v[118:119]
	scratch_load_b128 v[116:119], off, off offset:200
	s_wait_dscnt 0x0
	v_fmac_f64_e32 v[142:143], v[128:129], v[120:121]
	s_wait_loadcnt 0x5
	v_fmac_f64_e32 v[142:143], v[138:139], v[122:123]
	ds_load_b128 v[120:123], v2 offset:544
	ds_load_b128 v[124:127], v2 offset:560
	s_wait_dscnt 0x1
	v_fmac_f64_e32 v[142:143], v[140:141], v[120:121]
	scratch_load_b128 v[138:141], off, off offset:216
	s_wait_loadcnt 0x5
	v_fmac_f64_e32 v[142:143], v[108:109], v[122:123]
	s_wait_dscnt 0x0
	s_delay_alu instid0(VALU_DEP_1)
	v_fmac_f64_e32 v[142:143], v[110:111], v[124:125]
	scratch_load_b128 v[108:111], off, off offset:232
	s_wait_loadcnt 0x5
	v_fmac_f64_e32 v[142:143], v[134:135], v[126:127]
	ds_load_b128 v[120:123], v2 offset:576
	ds_load_b128 v[124:127], v2 offset:592
	s_wait_dscnt 0x1
	v_fmac_f64_e32 v[142:143], v[136:137], v[120:121]
	scratch_load_b128 v[134:137], off, off offset:248
	s_wait_loadcnt 0x5
	v_fmac_f64_e32 v[142:143], v[112:113], v[122:123]
	s_wait_dscnt 0x0
	s_delay_alu instid0(VALU_DEP_1)
	v_fmac_f64_e32 v[142:143], v[114:115], v[124:125]
	scratch_load_b128 v[112:115], off, off offset:264
	s_wait_loadcnt 0x5
	v_fmac_f64_e32 v[142:143], v[130:131], v[126:127]
	ds_load_b128 v[120:123], v2 offset:608
	ds_load_b128 v[124:127], v2 offset:624
	scratch_load_b128 v[128:131], off, off offset:280
	s_wait_dscnt 0x1
	v_fmac_f64_e32 v[142:143], v[132:133], v[120:121]
	s_wait_loadcnt 0x5
	s_delay_alu instid0(VALU_DEP_1) | instskip(SKIP_1) | instid1(VALU_DEP_1)
	v_fmac_f64_e32 v[142:143], v[116:117], v[122:123]
	s_wait_dscnt 0x0
	v_fmac_f64_e32 v[142:143], v[118:119], v[124:125]
	scratch_load_b128 v[116:119], off, off offset:296
	s_wait_loadcnt 0x5
	v_fmac_f64_e32 v[142:143], v[138:139], v[126:127]
	ds_load_b128 v[120:123], v2 offset:640
	ds_load_b128 v[124:127], v2 offset:656
	s_wait_dscnt 0x1
	v_fmac_f64_e32 v[142:143], v[140:141], v[120:121]
	scratch_load_b128 v[138:141], off, off offset:312
	s_wait_loadcnt 0x5
	v_fmac_f64_e32 v[142:143], v[108:109], v[122:123]
	s_wait_dscnt 0x0
	s_delay_alu instid0(VALU_DEP_1)
	v_fmac_f64_e32 v[142:143], v[110:111], v[124:125]
	scratch_load_b128 v[108:111], off, off offset:328
	s_wait_loadcnt 0x5
	v_fmac_f64_e32 v[142:143], v[134:135], v[126:127]
	ds_load_b128 v[120:123], v2 offset:672
	ds_load_b128 v[124:127], v2 offset:688
	s_wait_dscnt 0x1
	v_fmac_f64_e32 v[142:143], v[136:137], v[120:121]
	s_wait_loadcnt 0x4
	s_delay_alu instid0(VALU_DEP_1)
	v_fmac_f64_e32 v[142:143], v[112:113], v[122:123]
	scratch_load_b128 v[120:123], off, off offset:344
	s_wait_dscnt 0x0
	v_fmac_f64_e32 v[142:143], v[114:115], v[124:125]
	scratch_load_b128 v[112:115], off, off offset:360
	s_wait_loadcnt 0x5
	v_fmac_f64_e32 v[142:143], v[128:129], v[126:127]
	ds_load_b128 v[124:127], v2 offset:704
	ds_load_b128 v[132:135], v2 offset:720
	s_wait_dscnt 0x1
	v_fmac_f64_e32 v[142:143], v[130:131], v[124:125]
	s_wait_loadcnt 0x4
	s_delay_alu instid0(VALU_DEP_1)
	v_fmac_f64_e32 v[142:143], v[116:117], v[126:127]
	scratch_load_b128 v[124:127], off, off offset:376
	s_wait_dscnt 0x0
	v_fmac_f64_e32 v[142:143], v[118:119], v[132:133]
	scratch_load_b128 v[116:119], off, off offset:392
	s_wait_loadcnt 0x5
	v_fmac_f64_e32 v[142:143], v[138:139], v[134:135]
	ds_load_b128 v[128:131], v2 offset:736
	ds_load_b128 v[132:135], v2 offset:752
	s_wait_dscnt 0x1
	v_fmac_f64_e32 v[142:143], v[140:141], v[128:129]
	s_wait_loadcnt 0x4
	s_delay_alu instid0(VALU_DEP_1) | instskip(SKIP_1) | instid1(VALU_DEP_1)
	v_fmac_f64_e32 v[142:143], v[108:109], v[130:131]
	s_wait_dscnt 0x0
	v_fmac_f64_e32 v[142:143], v[110:111], v[132:133]
	ds_load_b128 v[108:111], v2 offset:768
	ds_load_b128 v[128:131], v2 offset:784
	s_wait_loadcnt 0x3
	v_fmac_f64_e32 v[142:143], v[120:121], v[134:135]
	s_wait_dscnt 0x1
	s_delay_alu instid0(VALU_DEP_1) | instskip(SKIP_1) | instid1(VALU_DEP_1)
	v_fmac_f64_e32 v[142:143], v[122:123], v[108:109]
	s_wait_loadcnt 0x2
	v_fmac_f64_e32 v[142:143], v[112:113], v[110:111]
	ds_load_b128 v[108:111], v2 offset:800
	ds_load_b64 v[112:113], v2 offset:816
	s_wait_dscnt 0x2
	v_fmac_f64_e32 v[142:143], v[114:115], v[128:129]
	s_wait_loadcnt 0x1
	s_delay_alu instid0(VALU_DEP_1) | instskip(SKIP_1) | instid1(VALU_DEP_1)
	v_fmac_f64_e32 v[142:143], v[124:125], v[130:131]
	s_wait_dscnt 0x1
	v_fmac_f64_e32 v[142:143], v[126:127], v[108:109]
	s_wait_loadcnt 0x0
	s_delay_alu instid0(VALU_DEP_1) | instskip(SKIP_1) | instid1(VALU_DEP_1)
	v_fmac_f64_e32 v[142:143], v[116:117], v[110:111]
	s_wait_dscnt 0x0
	v_fmac_f64_e32 v[142:143], v[118:119], v[112:113]
	s_delay_alu instid0(VALU_DEP_1)
	v_add_f64_e64 v[106:107], v[106:107], -v[142:143]
	scratch_store_b64 off, v[106:107], off offset:24
	s_wait_xcnt 0x0
	v_cmpx_lt_u32_e32 2, v0
	s_cbranch_execz .LBB114_311
; %bb.310:
	scratch_load_b64 v[106:107], off, off offset:16
	v_mov_b64_e32 v[108:109], 0
	scratch_store_b64 off, v[108:109], off offset:16
	s_wait_loadcnt 0x0
	ds_store_b64 v1, v[106:107]
.LBB114_311:
	s_wait_xcnt 0x0
	s_or_b32 exec_lo, exec_lo, s0
	s_wait_storecnt_dscnt 0x0
	s_barrier_signal -1
	s_barrier_wait -1
	s_clause 0x5
	scratch_load_b128 v[106:109], off, off offset:16
	scratch_load_b128 v[110:113], off, off offset:32
	;; [unrolled: 1-line block ×6, first 2 shown]
	ds_load_2addr_b64 v[130:133], v2 offset0:55 offset1:56
	ds_load_2addr_b64 v[134:137], v2 offset0:57 offset1:58
	scratch_load_b128 v[138:141], off, off offset:112
	s_mov_b32 s0, exec_lo
	s_wait_loadcnt_dscnt 0x601
	v_fma_f64 v[142:143], v[108:109], v[130:131], 0
	s_wait_loadcnt 0x5
	s_delay_alu instid0(VALU_DEP_1) | instskip(SKIP_4) | instid1(VALU_DEP_1)
	v_fmac_f64_e32 v[142:143], v[110:111], v[132:133]
	scratch_load_b128 v[108:111], off, off offset:128
	s_wait_dscnt 0x0
	v_fmac_f64_e32 v[142:143], v[112:113], v[134:135]
	s_wait_loadcnt 0x5
	v_fmac_f64_e32 v[142:143], v[114:115], v[136:137]
	ds_load_2addr_b64 v[112:115], v2 offset0:59 offset1:60
	ds_load_2addr_b64 v[130:133], v2 offset0:61 offset1:62
	scratch_load_b128 v[134:137], off, off offset:144
	s_wait_dscnt 0x1
	v_fmac_f64_e32 v[142:143], v[116:117], v[112:113]
	s_wait_loadcnt 0x5
	s_delay_alu instid0(VALU_DEP_1) | instskip(SKIP_4) | instid1(VALU_DEP_1)
	v_fmac_f64_e32 v[142:143], v[118:119], v[114:115]
	scratch_load_b128 v[112:115], off, off offset:160
	s_wait_dscnt 0x0
	v_fmac_f64_e32 v[142:143], v[120:121], v[130:131]
	s_wait_loadcnt 0x5
	v_fmac_f64_e32 v[142:143], v[122:123], v[132:133]
	ds_load_2addr_b64 v[116:119], v2 offset0:63 offset1:64
	ds_load_2addr_b64 v[120:123], v2 offset0:65 offset1:66
	scratch_load_b128 v[130:133], off, off offset:176
	s_wait_dscnt 0x1
	v_fmac_f64_e32 v[142:143], v[124:125], v[116:117]
	s_wait_loadcnt 0x5
	s_delay_alu instid0(VALU_DEP_1) | instskip(SKIP_4) | instid1(VALU_DEP_1)
	v_fmac_f64_e32 v[142:143], v[126:127], v[118:119]
	scratch_load_b128 v[116:119], off, off offset:192
	s_wait_dscnt 0x0
	v_fmac_f64_e32 v[142:143], v[128:129], v[120:121]
	s_wait_loadcnt 0x5
	v_fmac_f64_e32 v[142:143], v[138:139], v[122:123]
	ds_load_2addr_b64 v[120:123], v2 offset0:67 offset1:68
	ds_load_2addr_b64 v[124:127], v2 offset0:69 offset1:70
	s_wait_dscnt 0x1
	v_fmac_f64_e32 v[142:143], v[140:141], v[120:121]
	scratch_load_b128 v[138:141], off, off offset:208
	s_wait_loadcnt 0x5
	v_fmac_f64_e32 v[142:143], v[108:109], v[122:123]
	s_wait_dscnt 0x0
	s_delay_alu instid0(VALU_DEP_1)
	v_fmac_f64_e32 v[142:143], v[110:111], v[124:125]
	scratch_load_b128 v[108:111], off, off offset:224
	s_wait_loadcnt 0x5
	v_fmac_f64_e32 v[142:143], v[134:135], v[126:127]
	ds_load_2addr_b64 v[120:123], v2 offset0:71 offset1:72
	ds_load_2addr_b64 v[124:127], v2 offset0:73 offset1:74
	s_wait_dscnt 0x1
	v_fmac_f64_e32 v[142:143], v[136:137], v[120:121]
	scratch_load_b128 v[134:137], off, off offset:240
	s_wait_loadcnt 0x5
	v_fmac_f64_e32 v[142:143], v[112:113], v[122:123]
	s_wait_dscnt 0x0
	s_delay_alu instid0(VALU_DEP_1)
	v_fmac_f64_e32 v[142:143], v[114:115], v[124:125]
	scratch_load_b128 v[112:115], off, off offset:256
	s_wait_loadcnt 0x5
	v_fmac_f64_e32 v[142:143], v[130:131], v[126:127]
	ds_load_2addr_b64 v[120:123], v2 offset0:75 offset1:76
	ds_load_2addr_b64 v[124:127], v2 offset0:77 offset1:78
	scratch_load_b128 v[128:131], off, off offset:272
	s_wait_dscnt 0x1
	v_fmac_f64_e32 v[142:143], v[132:133], v[120:121]
	s_wait_loadcnt 0x5
	s_delay_alu instid0(VALU_DEP_1) | instskip(SKIP_1) | instid1(VALU_DEP_1)
	v_fmac_f64_e32 v[142:143], v[116:117], v[122:123]
	s_wait_dscnt 0x0
	v_fmac_f64_e32 v[142:143], v[118:119], v[124:125]
	scratch_load_b128 v[116:119], off, off offset:288
	s_wait_loadcnt 0x5
	v_fmac_f64_e32 v[142:143], v[138:139], v[126:127]
	ds_load_2addr_b64 v[120:123], v2 offset0:79 offset1:80
	ds_load_2addr_b64 v[124:127], v2 offset0:81 offset1:82
	s_wait_dscnt 0x1
	v_fmac_f64_e32 v[142:143], v[140:141], v[120:121]
	scratch_load_b128 v[138:141], off, off offset:304
	s_wait_loadcnt 0x5
	v_fmac_f64_e32 v[142:143], v[108:109], v[122:123]
	s_wait_dscnt 0x0
	s_delay_alu instid0(VALU_DEP_1)
	v_fmac_f64_e32 v[142:143], v[110:111], v[124:125]
	scratch_load_b128 v[108:111], off, off offset:320
	s_wait_loadcnt 0x5
	v_fmac_f64_e32 v[142:143], v[134:135], v[126:127]
	ds_load_2addr_b64 v[120:123], v2 offset0:83 offset1:84
	ds_load_2addr_b64 v[124:127], v2 offset0:85 offset1:86
	s_wait_dscnt 0x1
	v_fmac_f64_e32 v[142:143], v[136:137], v[120:121]
	s_wait_loadcnt 0x4
	s_delay_alu instid0(VALU_DEP_1)
	v_fmac_f64_e32 v[142:143], v[112:113], v[122:123]
	scratch_load_b128 v[120:123], off, off offset:336
	s_wait_dscnt 0x0
	v_fmac_f64_e32 v[142:143], v[114:115], v[124:125]
	scratch_load_b128 v[112:115], off, off offset:352
	s_wait_loadcnt 0x5
	v_fmac_f64_e32 v[142:143], v[128:129], v[126:127]
	ds_load_2addr_b64 v[124:127], v2 offset0:87 offset1:88
	ds_load_2addr_b64 v[132:135], v2 offset0:89 offset1:90
	s_wait_dscnt 0x1
	v_fmac_f64_e32 v[142:143], v[130:131], v[124:125]
	s_wait_loadcnt 0x4
	s_delay_alu instid0(VALU_DEP_1)
	v_fmac_f64_e32 v[142:143], v[116:117], v[126:127]
	scratch_load_b128 v[124:127], off, off offset:368
	s_wait_dscnt 0x0
	v_fmac_f64_e32 v[142:143], v[118:119], v[132:133]
	scratch_load_b128 v[116:119], off, off offset:384
	s_wait_loadcnt 0x5
	v_fmac_f64_e32 v[142:143], v[138:139], v[134:135]
	ds_load_2addr_b64 v[128:131], v2 offset0:91 offset1:92
	ds_load_2addr_b64 v[132:135], v2 offset0:93 offset1:94
	scratch_load_b64 v[136:137], off, off offset:400
	s_wait_dscnt 0x1
	v_fmac_f64_e32 v[142:143], v[140:141], v[128:129]
	s_wait_loadcnt 0x5
	s_delay_alu instid0(VALU_DEP_1) | instskip(SKIP_1) | instid1(VALU_DEP_1)
	v_fmac_f64_e32 v[142:143], v[108:109], v[130:131]
	s_wait_dscnt 0x0
	v_fmac_f64_e32 v[142:143], v[110:111], v[132:133]
	ds_load_2addr_b64 v[108:111], v2 offset0:95 offset1:96
	ds_load_2addr_b64 v[128:131], v2 offset0:97 offset1:98
	s_wait_loadcnt 0x4
	v_fmac_f64_e32 v[142:143], v[120:121], v[134:135]
	s_wait_dscnt 0x1
	s_delay_alu instid0(VALU_DEP_1) | instskip(SKIP_1) | instid1(VALU_DEP_1)
	v_fmac_f64_e32 v[142:143], v[122:123], v[108:109]
	s_wait_loadcnt 0x3
	v_fmac_f64_e32 v[142:143], v[112:113], v[110:111]
	s_wait_dscnt 0x0
	s_delay_alu instid0(VALU_DEP_1)
	v_fmac_f64_e32 v[142:143], v[114:115], v[128:129]
	ds_load_2addr_b64 v[108:111], v2 offset0:99 offset1:100
	ds_load_2addr_b64 v[112:115], v2 offset0:101 offset1:102
	s_wait_loadcnt 0x2
	v_fmac_f64_e32 v[142:143], v[124:125], v[130:131]
	s_wait_dscnt 0x1
	s_delay_alu instid0(VALU_DEP_1) | instskip(SKIP_1) | instid1(VALU_DEP_1)
	v_fmac_f64_e32 v[142:143], v[126:127], v[108:109]
	s_wait_loadcnt 0x1
	v_fmac_f64_e32 v[142:143], v[116:117], v[110:111]
	s_wait_dscnt 0x0
	s_delay_alu instid0(VALU_DEP_1) | instskip(SKIP_1) | instid1(VALU_DEP_1)
	v_fmac_f64_e32 v[142:143], v[118:119], v[112:113]
	s_wait_loadcnt 0x0
	v_fmac_f64_e32 v[142:143], v[136:137], v[114:115]
	s_delay_alu instid0(VALU_DEP_1)
	v_add_f64_e64 v[2:3], v[106:107], -v[142:143]
	scratch_store_b64 off, v[2:3], off offset:16
	s_wait_xcnt 0x0
	v_cmpx_lt_u32_e32 1, v0
	s_cbranch_execz .LBB114_313
; %bb.312:
	scratch_load_b64 v[2:3], off, off offset:8
	v_mov_b64_e32 v[106:107], 0
	scratch_store_b64 off, v[106:107], off offset:8
	s_wait_loadcnt 0x0
	ds_store_b64 v1, v[2:3]
.LBB114_313:
	s_wait_xcnt 0x0
	s_or_b32 exec_lo, exec_lo, s0
	s_wait_storecnt_dscnt 0x0
	s_barrier_signal -1
	s_barrier_wait -1
	s_clause 0x5
	scratch_load_b128 v[108:111], off, off offset:8
	scratch_load_b128 v[112:115], off, off offset:24
	;; [unrolled: 1-line block ×6, first 2 shown]
	v_dual_mov_b32 v106, 0 :: v_dual_ashrrev_i32 v9, 31, v8
	ds_load_b128 v[132:135], v106 offset:432
	ds_load_b128 v[136:139], v106 offset:448
	scratch_load_b128 v[140:143], off, off offset:104
	v_dual_ashrrev_i32 v11, 31, v10 :: v_dual_ashrrev_i32 v13, 31, v12
	v_dual_ashrrev_i32 v15, 31, v14 :: v_dual_ashrrev_i32 v17, 31, v16
	;; [unrolled: 1-line block ×23, first 2 shown]
	v_ashrrev_i32_e32 v103, 31, v102
	s_mov_b32 s0, exec_lo
	v_ashrrev_i32_e32 v57, 31, v56
	s_wait_loadcnt_dscnt 0x601
	v_fma_f64 v[2:3], v[110:111], v[132:133], 0
	s_wait_loadcnt 0x5
	s_delay_alu instid0(VALU_DEP_1) | instskip(SKIP_4) | instid1(VALU_DEP_1)
	v_fmac_f64_e32 v[2:3], v[112:113], v[134:135]
	scratch_load_b128 v[110:113], off, off offset:120
	s_wait_dscnt 0x0
	v_fmac_f64_e32 v[2:3], v[114:115], v[136:137]
	s_wait_loadcnt 0x5
	v_fmac_f64_e32 v[2:3], v[116:117], v[138:139]
	ds_load_b128 v[114:117], v106 offset:464
	ds_load_b128 v[132:135], v106 offset:480
	scratch_load_b128 v[136:139], off, off offset:136
	s_wait_dscnt 0x1
	v_fmac_f64_e32 v[2:3], v[118:119], v[114:115]
	s_wait_loadcnt 0x5
	s_delay_alu instid0(VALU_DEP_1) | instskip(SKIP_4) | instid1(VALU_DEP_1)
	v_fmac_f64_e32 v[2:3], v[120:121], v[116:117]
	scratch_load_b128 v[114:117], off, off offset:152
	s_wait_dscnt 0x0
	v_fmac_f64_e32 v[2:3], v[122:123], v[132:133]
	s_wait_loadcnt 0x5
	v_fmac_f64_e32 v[2:3], v[124:125], v[134:135]
	ds_load_b128 v[118:121], v106 offset:496
	ds_load_b128 v[122:125], v106 offset:512
	scratch_load_b128 v[132:135], off, off offset:168
	s_wait_dscnt 0x1
	v_fmac_f64_e32 v[2:3], v[126:127], v[118:119]
	s_wait_loadcnt 0x5
	s_delay_alu instid0(VALU_DEP_1) | instskip(SKIP_4) | instid1(VALU_DEP_1)
	v_fmac_f64_e32 v[2:3], v[128:129], v[120:121]
	scratch_load_b128 v[118:121], off, off offset:184
	s_wait_dscnt 0x0
	v_fmac_f64_e32 v[2:3], v[130:131], v[122:123]
	s_wait_loadcnt 0x5
	v_fmac_f64_e32 v[2:3], v[140:141], v[124:125]
	ds_load_b128 v[122:125], v106 offset:528
	ds_load_b128 v[126:129], v106 offset:544
	s_wait_dscnt 0x1
	v_fmac_f64_e32 v[2:3], v[142:143], v[122:123]
	scratch_load_b128 v[140:143], off, off offset:200
	s_wait_loadcnt 0x5
	v_fmac_f64_e32 v[2:3], v[110:111], v[124:125]
	s_wait_dscnt 0x0
	s_delay_alu instid0(VALU_DEP_1)
	v_fmac_f64_e32 v[2:3], v[112:113], v[126:127]
	scratch_load_b128 v[110:113], off, off offset:216
	s_wait_loadcnt 0x5
	v_fmac_f64_e32 v[2:3], v[136:137], v[128:129]
	ds_load_b128 v[122:125], v106 offset:560
	ds_load_b128 v[126:129], v106 offset:576
	s_wait_dscnt 0x1
	v_fmac_f64_e32 v[2:3], v[138:139], v[122:123]
	scratch_load_b128 v[136:139], off, off offset:232
	s_wait_loadcnt 0x5
	v_fmac_f64_e32 v[2:3], v[114:115], v[124:125]
	s_wait_dscnt 0x0
	s_delay_alu instid0(VALU_DEP_1)
	v_fmac_f64_e32 v[2:3], v[116:117], v[126:127]
	scratch_load_b128 v[114:117], off, off offset:248
	s_wait_loadcnt 0x5
	v_fmac_f64_e32 v[2:3], v[132:133], v[128:129]
	ds_load_b128 v[122:125], v106 offset:592
	ds_load_b128 v[126:129], v106 offset:608
	scratch_load_b128 v[130:133], off, off offset:264
	s_wait_dscnt 0x1
	v_fmac_f64_e32 v[2:3], v[134:135], v[122:123]
	s_wait_loadcnt 0x5
	s_delay_alu instid0(VALU_DEP_1) | instskip(SKIP_1) | instid1(VALU_DEP_1)
	v_fmac_f64_e32 v[2:3], v[118:119], v[124:125]
	s_wait_dscnt 0x0
	v_fmac_f64_e32 v[2:3], v[120:121], v[126:127]
	scratch_load_b128 v[118:121], off, off offset:280
	s_wait_loadcnt 0x5
	v_fmac_f64_e32 v[2:3], v[140:141], v[128:129]
	ds_load_b128 v[122:125], v106 offset:624
	ds_load_b128 v[126:129], v106 offset:640
	s_wait_dscnt 0x1
	v_fmac_f64_e32 v[2:3], v[142:143], v[122:123]
	scratch_load_b128 v[140:143], off, off offset:296
	s_wait_loadcnt 0x5
	v_fmac_f64_e32 v[2:3], v[110:111], v[124:125]
	s_wait_dscnt 0x0
	s_delay_alu instid0(VALU_DEP_1)
	v_fmac_f64_e32 v[2:3], v[112:113], v[126:127]
	scratch_load_b128 v[110:113], off, off offset:312
	s_wait_loadcnt 0x5
	v_fmac_f64_e32 v[2:3], v[136:137], v[128:129]
	ds_load_b128 v[122:125], v106 offset:656
	ds_load_b128 v[126:129], v106 offset:672
	s_wait_dscnt 0x1
	v_fmac_f64_e32 v[2:3], v[138:139], v[122:123]
	s_wait_loadcnt 0x4
	s_delay_alu instid0(VALU_DEP_1)
	v_fmac_f64_e32 v[2:3], v[114:115], v[124:125]
	scratch_load_b128 v[122:125], off, off offset:328
	s_wait_dscnt 0x0
	v_fmac_f64_e32 v[2:3], v[116:117], v[126:127]
	scratch_load_b128 v[114:117], off, off offset:344
	s_wait_loadcnt 0x5
	v_fmac_f64_e32 v[2:3], v[130:131], v[128:129]
	ds_load_b128 v[126:129], v106 offset:688
	ds_load_b128 v[134:137], v106 offset:704
	s_wait_dscnt 0x1
	v_fmac_f64_e32 v[2:3], v[132:133], v[126:127]
	s_wait_loadcnt 0x4
	s_delay_alu instid0(VALU_DEP_1)
	v_fmac_f64_e32 v[2:3], v[118:119], v[128:129]
	scratch_load_b128 v[126:129], off, off offset:360
	s_wait_dscnt 0x0
	v_fmac_f64_e32 v[2:3], v[120:121], v[134:135]
	scratch_load_b128 v[118:121], off, off offset:376
	s_wait_loadcnt 0x5
	v_fmac_f64_e32 v[2:3], v[140:141], v[136:137]
	ds_load_b128 v[130:133], v106 offset:720
	ds_load_b128 v[134:137], v106 offset:736
	s_wait_dscnt 0x1
	v_fmac_f64_e32 v[2:3], v[142:143], v[130:131]
	s_wait_loadcnt 0x4
	s_delay_alu instid0(VALU_DEP_1) | instskip(SKIP_4) | instid1(VALU_DEP_1)
	v_fmac_f64_e32 v[2:3], v[110:111], v[132:133]
	scratch_load_b128 v[130:133], off, off offset:392
	s_wait_dscnt 0x0
	v_fmac_f64_e32 v[2:3], v[112:113], v[134:135]
	s_wait_loadcnt 0x4
	v_fmac_f64_e32 v[2:3], v[122:123], v[136:137]
	ds_load_b128 v[110:113], v106 offset:752
	ds_load_b128 v[134:137], v106 offset:768
	s_wait_dscnt 0x1
	v_fmac_f64_e32 v[2:3], v[124:125], v[110:111]
	s_wait_loadcnt 0x3
	s_delay_alu instid0(VALU_DEP_1) | instskip(SKIP_1) | instid1(VALU_DEP_1)
	v_fmac_f64_e32 v[2:3], v[114:115], v[112:113]
	s_wait_dscnt 0x0
	v_fmac_f64_e32 v[2:3], v[116:117], v[134:135]
	ds_load_b128 v[110:113], v106 offset:784
	ds_load_b128 v[114:117], v106 offset:800
	s_wait_loadcnt 0x2
	v_fmac_f64_e32 v[2:3], v[126:127], v[136:137]
	s_wait_dscnt 0x1
	s_delay_alu instid0(VALU_DEP_1) | instskip(SKIP_4) | instid1(VALU_DEP_1)
	v_fmac_f64_e32 v[2:3], v[128:129], v[110:111]
	ds_load_b64 v[110:111], v106 offset:816
	s_wait_loadcnt 0x1
	v_fmac_f64_e32 v[2:3], v[118:119], v[112:113]
	s_wait_dscnt 0x1
	v_fmac_f64_e32 v[2:3], v[120:121], v[114:115]
	s_wait_loadcnt 0x0
	s_delay_alu instid0(VALU_DEP_1) | instskip(SKIP_1) | instid1(VALU_DEP_1)
	v_fmac_f64_e32 v[2:3], v[130:131], v[116:117]
	s_wait_dscnt 0x0
	v_fmac_f64_e32 v[2:3], v[132:133], v[110:111]
	s_delay_alu instid0(VALU_DEP_1)
	v_add_f64_e64 v[2:3], v[108:109], -v[2:3]
	scratch_store_b64 off, v[2:3], off offset:8
	s_wait_xcnt 0x0
	v_cmpx_ne_u32_e32 0, v0
	s_cbranch_execz .LBB114_315
; %bb.314:
	scratch_load_b64 v[2:3], off, off
	v_mov_b64_e32 v[108:109], 0
	scratch_store_b64 off, v[108:109], off
	s_wait_loadcnt 0x0
	ds_store_b64 v1, v[2:3]
.LBB114_315:
	s_wait_xcnt 0x0
	s_or_b32 exec_lo, exec_lo, s0
	s_wait_storecnt_dscnt 0x0
	s_barrier_signal -1
	s_barrier_wait -1
	s_clause 0x5
	scratch_load_b128 v[108:111], off, off
	scratch_load_b128 v[0:3], off, off offset:16
	scratch_load_b128 v[112:115], off, off offset:32
	;; [unrolled: 1-line block ×5, first 2 shown]
	ds_load_2addr_b64 v[128:131], v106 offset0:53 offset1:54
	scratch_load_b128 v[132:135], off, off offset:96
	s_and_b32 vcc_lo, exec_lo, s12
	s_wait_loadcnt_dscnt 0x600
	v_fma_f64 v[138:139], v[110:111], v[128:129], 0
	s_wait_loadcnt 0x5
	s_delay_alu instid0(VALU_DEP_1)
	v_fmac_f64_e32 v[138:139], v[0:1], v[130:131]
	ds_load_2addr_b64 v[128:131], v106 offset0:55 offset1:56
	s_wait_dscnt 0x0
	v_fmac_f64_e32 v[138:139], v[2:3], v[128:129]
	scratch_load_b128 v[0:3], off, off offset:112
	s_wait_loadcnt 0x5
	v_fmac_f64_e32 v[138:139], v[112:113], v[130:131]
	ds_load_2addr_b64 v[110:113], v106 offset0:57 offset1:58
	scratch_load_b128 v[128:131], off, off offset:128
	s_wait_dscnt 0x0
	v_fmac_f64_e32 v[138:139], v[114:115], v[110:111]
	s_wait_loadcnt 0x5
	s_delay_alu instid0(VALU_DEP_1)
	v_fmac_f64_e32 v[138:139], v[116:117], v[112:113]
	ds_load_2addr_b64 v[110:113], v106 offset0:59 offset1:60
	scratch_load_b128 v[114:117], off, off offset:144
	s_wait_dscnt 0x0
	v_fmac_f64_e32 v[138:139], v[118:119], v[110:111]
	s_wait_loadcnt 0x5
	s_delay_alu instid0(VALU_DEP_1)
	;; [unrolled: 7-line block ×4, first 2 shown]
	v_fmac_f64_e32 v[138:139], v[132:133], v[112:113]
	ds_load_2addr_b64 v[110:113], v106 offset0:65 offset1:66
	s_wait_dscnt 0x0
	v_fmac_f64_e32 v[138:139], v[134:135], v[110:111]
	scratch_load_b128 v[132:135], off, off offset:192
	s_wait_loadcnt 0x5
	v_fmac_f64_e32 v[138:139], v[0:1], v[112:113]
	ds_load_2addr_b64 v[110:113], v106 offset0:67 offset1:68
	s_wait_dscnt 0x0
	v_fmac_f64_e32 v[138:139], v[2:3], v[110:111]
	scratch_load_b128 v[0:3], off, off offset:208
	s_wait_loadcnt 0x5
	v_fmac_f64_e32 v[138:139], v[128:129], v[112:113]
	ds_load_2addr_b64 v[110:113], v106 offset0:69 offset1:70
	scratch_load_b128 v[126:129], off, off offset:224
	s_wait_dscnt 0x0
	v_fmac_f64_e32 v[138:139], v[130:131], v[110:111]
	s_wait_loadcnt 0x5
	s_delay_alu instid0(VALU_DEP_1)
	v_fmac_f64_e32 v[138:139], v[114:115], v[112:113]
	ds_load_2addr_b64 v[110:113], v106 offset0:71 offset1:72
	s_wait_dscnt 0x0
	v_fmac_f64_e32 v[138:139], v[116:117], v[110:111]
	scratch_load_b128 v[114:117], off, off offset:240
	s_wait_loadcnt 0x5
	v_fmac_f64_e32 v[138:139], v[118:119], v[112:113]
	ds_load_2addr_b64 v[110:113], v106 offset0:73 offset1:74
	s_wait_dscnt 0x0
	v_fmac_f64_e32 v[138:139], v[120:121], v[110:111]
	scratch_load_b128 v[118:121], off, off offset:256
	s_wait_loadcnt 0x5
	;; [unrolled: 6-line block ×3, first 2 shown]
	v_fmac_f64_e32 v[138:139], v[132:133], v[112:113]
	ds_load_2addr_b64 v[110:113], v106 offset0:77 offset1:78
	scratch_load_b128 v[130:133], off, off offset:288
	s_wait_dscnt 0x0
	v_fmac_f64_e32 v[138:139], v[134:135], v[110:111]
	scratch_load_b128 v[134:137], off, off offset:304
	s_wait_loadcnt 0x6
	v_fmac_f64_e32 v[138:139], v[0:1], v[112:113]
	ds_load_2addr_b64 v[110:113], v106 offset0:79 offset1:80
	s_wait_dscnt 0x0
	v_fmac_f64_e32 v[138:139], v[2:3], v[110:111]
	ds_load_2addr_b64 v[0:3], v106 offset0:81 offset1:82
	s_wait_loadcnt 0x5
	v_fmac_f64_e32 v[138:139], v[126:127], v[112:113]
	scratch_load_b128 v[110:113], off, off offset:320
	s_wait_dscnt 0x0
	v_fmac_f64_e32 v[138:139], v[128:129], v[0:1]
	ds_load_2addr_b64 v[126:129], v106 offset0:89 offset1:90
	s_wait_loadcnt 0x5
	v_fmac_f64_e32 v[138:139], v[114:115], v[2:3]
	ds_load_2addr_b64 v[0:3], v106 offset0:83 offset1:84
	s_wait_dscnt 0x0
	v_fmac_f64_e32 v[138:139], v[116:117], v[0:1]
	scratch_load_b128 v[114:117], off, off offset:336
	s_wait_loadcnt 0x5
	v_fmac_f64_e32 v[138:139], v[118:119], v[2:3]
	ds_load_2addr_b64 v[0:3], v106 offset0:85 offset1:86
	s_wait_dscnt 0x0
	v_fmac_f64_e32 v[138:139], v[120:121], v[0:1]
	scratch_load_b128 v[118:121], off, off offset:352
	s_wait_loadcnt 0x5
	v_fmac_f64_e32 v[138:139], v[122:123], v[2:3]
	ds_load_2addr_b64 v[0:3], v106 offset0:87 offset1:88
	s_wait_dscnt 0x0
	v_fmac_f64_e32 v[138:139], v[124:125], v[0:1]
	scratch_load_b128 v[122:125], off, off offset:368
	s_wait_loadcnt 0x5
	v_fmac_f64_e32 v[138:139], v[130:131], v[2:3]
	s_clause 0x1
	scratch_load_b128 v[0:3], off, off offset:384
	scratch_load_b64 v[130:131], off, off offset:400
	v_fmac_f64_e32 v[138:139], v[132:133], v[126:127]
	s_wait_loadcnt 0x6
	s_delay_alu instid0(VALU_DEP_1) | instskip(SKIP_4) | instid1(VALU_DEP_1)
	v_fmac_f64_e32 v[138:139], v[134:135], v[128:129]
	ds_load_2addr_b64 v[126:129], v106 offset0:91 offset1:92
	s_wait_dscnt 0x0
	v_fmac_f64_e32 v[138:139], v[136:137], v[126:127]
	s_wait_loadcnt 0x5
	v_fmac_f64_e32 v[138:139], v[110:111], v[128:129]
	ds_load_2addr_b64 v[126:129], v106 offset0:93 offset1:94
	s_wait_dscnt 0x0
	v_fmac_f64_e32 v[138:139], v[112:113], v[126:127]
	ds_load_2addr_b64 v[110:113], v106 offset0:95 offset1:96
	s_wait_loadcnt 0x4
	v_fmac_f64_e32 v[138:139], v[114:115], v[128:129]
	s_wait_dscnt 0x0
	s_delay_alu instid0(VALU_DEP_1) | instskip(SKIP_1) | instid1(VALU_DEP_1)
	v_fmac_f64_e32 v[138:139], v[116:117], v[110:111]
	s_wait_loadcnt 0x3
	v_fmac_f64_e32 v[138:139], v[118:119], v[112:113]
	ds_load_2addr_b64 v[110:113], v106 offset0:97 offset1:98
	s_wait_dscnt 0x0
	v_fmac_f64_e32 v[138:139], v[120:121], v[110:111]
	s_wait_loadcnt 0x2
	s_delay_alu instid0(VALU_DEP_1) | instskip(SKIP_4) | instid1(VALU_DEP_1)
	v_fmac_f64_e32 v[138:139], v[122:123], v[112:113]
	ds_load_2addr_b64 v[110:113], v106 offset0:99 offset1:100
	s_wait_dscnt 0x0
	v_fmac_f64_e32 v[138:139], v[124:125], v[110:111]
	s_wait_loadcnt 0x1
	v_fmac_f64_e32 v[138:139], v[0:1], v[112:113]
	ds_load_2addr_b64 v[110:113], v106 offset0:101 offset1:102
	s_wait_dscnt 0x0
	v_fmac_f64_e32 v[138:139], v[2:3], v[110:111]
	s_wait_loadcnt 0x0
	s_delay_alu instid0(VALU_DEP_1) | instskip(NEXT) | instid1(VALU_DEP_1)
	v_fmac_f64_e32 v[138:139], v[130:131], v[112:113]
	v_add_f64_e64 v[106:107], v[108:109], -v[138:139]
	scratch_store_b64 off, v[106:107], off
	s_cbranch_vccz .LBB114_416
; %bb.316:
	v_mov_b32_e32 v0, 0
	global_load_b32 v1, v0, s[8:9] offset:196
	s_wait_loadcnt 0x0
	v_cmp_ne_u32_e32 vcc_lo, 50, v1
	s_cbranch_vccz .LBB114_318
; %bb.317:
	v_lshlrev_b32_e32 v1, 3, v1
	scratch_load_b64 v[106:107], v1, off offset:-8
	s_wait_loadcnt 0x0
	scratch_store_b64 off, v[106:107], off offset:392
	scratch_store_b64 v1, v[2:3], off offset:-8
.LBB114_318:
	global_load_b32 v0, v0, s[8:9] offset:192
	s_wait_loadcnt 0x0
	v_cmp_eq_u32_e32 vcc_lo, 49, v0
	s_cbranch_vccnz .LBB114_320
; %bb.319:
	s_wait_xcnt 0x0
	v_lshlrev_b32_e32 v0, 3, v0
	s_delay_alu instid0(VALU_DEP_1)
	v_mov_b32_e32 v106, v0
	scratch_load_b64 v[0:1], v106, off offset:-8
	scratch_load_b64 v[2:3], off, off offset:384
	s_wait_loadcnt 0x1
	scratch_store_b64 off, v[0:1], off offset:384
	s_wait_loadcnt 0x0
	scratch_store_b64 v106, v[2:3], off offset:-8
.LBB114_320:
	s_wait_xcnt 0x0
	v_mov_b32_e32 v0, 0
	global_load_b32 v1, v0, s[8:9] offset:188
	s_wait_loadcnt 0x0
	v_cmp_eq_u32_e32 vcc_lo, 48, v1
	s_cbranch_vccnz .LBB114_322
; %bb.321:
	v_lshlrev_b32_e32 v1, 3, v1
	scratch_load_b64 v[2:3], v1, off offset:-8
	scratch_load_b64 v[106:107], off, off offset:376
	s_wait_loadcnt 0x1
	scratch_store_b64 off, v[2:3], off offset:376
	s_wait_loadcnt 0x0
	scratch_store_b64 v1, v[106:107], off offset:-8
.LBB114_322:
	global_load_b32 v0, v0, s[8:9] offset:184
	s_wait_loadcnt 0x0
	v_cmp_eq_u32_e32 vcc_lo, 47, v0
	s_cbranch_vccnz .LBB114_324
; %bb.323:
	s_wait_xcnt 0x0
	v_lshlrev_b32_e32 v0, 3, v0
	s_delay_alu instid0(VALU_DEP_1)
	v_mov_b32_e32 v106, v0
	scratch_load_b64 v[0:1], v106, off offset:-8
	scratch_load_b64 v[2:3], off, off offset:368
	s_wait_loadcnt 0x1
	scratch_store_b64 off, v[0:1], off offset:368
	s_wait_loadcnt 0x0
	scratch_store_b64 v106, v[2:3], off offset:-8
.LBB114_324:
	s_wait_xcnt 0x0
	v_mov_b32_e32 v0, 0
	global_load_b32 v1, v0, s[8:9] offset:180
	s_wait_loadcnt 0x0
	v_cmp_eq_u32_e32 vcc_lo, 46, v1
	s_cbranch_vccnz .LBB114_326
; %bb.325:
	v_lshlrev_b32_e32 v1, 3, v1
	scratch_load_b64 v[2:3], v1, off offset:-8
	scratch_load_b64 v[106:107], off, off offset:360
	s_wait_loadcnt 0x1
	scratch_store_b64 off, v[2:3], off offset:360
	s_wait_loadcnt 0x0
	scratch_store_b64 v1, v[106:107], off offset:-8
.LBB114_326:
	;; [unrolled: 31-line block ×24, first 2 shown]
	global_load_b32 v0, v0, s[8:9]
	scratch_load_b64 v[106:107], off, off
	s_wait_loadcnt 0x1
	v_cmp_eq_u32_e32 vcc_lo, 1, v0
	s_cbranch_vccnz .LBB114_416
; %bb.415:
	s_wait_xcnt 0x1
	v_lshlrev_b32_e32 v0, 3, v0
	s_delay_alu instid0(VALU_DEP_1)
	v_mov_b32_e32 v2, v0
	scratch_load_b64 v[0:1], v2, off offset:-8
	s_wait_loadcnt 0x0
	scratch_store_b64 off, v[0:1], off
	scratch_store_b64 v2, v[106:107], off offset:-8
	scratch_load_b64 v[106:107], off, off
.LBB114_416:
	s_wait_loadcnt 0x0
	flat_store_b64 v[4:5], v[106:107]
	scratch_load_b64 v[4:5], off, off offset:8
	v_lshl_add_u64 v[152:153], v[8:9], 3, s[2:3]
	v_lshl_add_u64 v[150:151], v[10:11], 3, s[2:3]
	;; [unrolled: 1-line block ×49, first 2 shown]
	s_wait_loadcnt 0x0
	flat_store_b64 v[6:7], v[4:5]
	scratch_load_b64 v[4:5], off, off offset:16
	s_wait_loadcnt 0x0
	flat_store_b64 v[152:153], v[4:5]
	scratch_load_b64 v[4:5], off, off offset:24
	;; [unrolled: 3-line block ×49, first 2 shown]
	s_wait_loadcnt 0x0
	flat_store_b64 v[0:1], v[2:3]
	s_sendmsg sendmsg(MSG_DEALLOC_VGPRS)
	s_endpgm
	.section	.rodata,"a",@progbits
	.p2align	6, 0x0
	.amdhsa_kernel _ZN9rocsolver6v33100L18getri_kernel_smallILi51EdPKPdEEvT1_iilPiilS6_bb
		.amdhsa_group_segment_fixed_size 824
		.amdhsa_private_segment_fixed_size 416
		.amdhsa_kernarg_size 60
		.amdhsa_user_sgpr_count 2
		.amdhsa_user_sgpr_dispatch_ptr 0
		.amdhsa_user_sgpr_queue_ptr 0
		.amdhsa_user_sgpr_kernarg_segment_ptr 1
		.amdhsa_user_sgpr_dispatch_id 0
		.amdhsa_user_sgpr_kernarg_preload_length 0
		.amdhsa_user_sgpr_kernarg_preload_offset 0
		.amdhsa_user_sgpr_private_segment_size 0
		.amdhsa_wavefront_size32 1
		.amdhsa_uses_dynamic_stack 0
		.amdhsa_enable_private_segment 1
		.amdhsa_system_sgpr_workgroup_id_x 1
		.amdhsa_system_sgpr_workgroup_id_y 0
		.amdhsa_system_sgpr_workgroup_id_z 0
		.amdhsa_system_sgpr_workgroup_info 0
		.amdhsa_system_vgpr_workitem_id 0
		.amdhsa_next_free_vgpr 154
		.amdhsa_next_free_sgpr 19
		.amdhsa_named_barrier_count 0
		.amdhsa_reserve_vcc 1
		.amdhsa_float_round_mode_32 0
		.amdhsa_float_round_mode_16_64 0
		.amdhsa_float_denorm_mode_32 3
		.amdhsa_float_denorm_mode_16_64 3
		.amdhsa_fp16_overflow 0
		.amdhsa_memory_ordered 1
		.amdhsa_forward_progress 1
		.amdhsa_inst_pref_size 255
		.amdhsa_round_robin_scheduling 0
		.amdhsa_exception_fp_ieee_invalid_op 0
		.amdhsa_exception_fp_denorm_src 0
		.amdhsa_exception_fp_ieee_div_zero 0
		.amdhsa_exception_fp_ieee_overflow 0
		.amdhsa_exception_fp_ieee_underflow 0
		.amdhsa_exception_fp_ieee_inexact 0
		.amdhsa_exception_int_div_zero 0
	.end_amdhsa_kernel
	.section	.text._ZN9rocsolver6v33100L18getri_kernel_smallILi51EdPKPdEEvT1_iilPiilS6_bb,"axG",@progbits,_ZN9rocsolver6v33100L18getri_kernel_smallILi51EdPKPdEEvT1_iilPiilS6_bb,comdat
.Lfunc_end114:
	.size	_ZN9rocsolver6v33100L18getri_kernel_smallILi51EdPKPdEEvT1_iilPiilS6_bb, .Lfunc_end114-_ZN9rocsolver6v33100L18getri_kernel_smallILi51EdPKPdEEvT1_iilPiilS6_bb
                                        ; -- End function
	.set _ZN9rocsolver6v33100L18getri_kernel_smallILi51EdPKPdEEvT1_iilPiilS6_bb.num_vgpr, 154
	.set _ZN9rocsolver6v33100L18getri_kernel_smallILi51EdPKPdEEvT1_iilPiilS6_bb.num_agpr, 0
	.set _ZN9rocsolver6v33100L18getri_kernel_smallILi51EdPKPdEEvT1_iilPiilS6_bb.numbered_sgpr, 19
	.set _ZN9rocsolver6v33100L18getri_kernel_smallILi51EdPKPdEEvT1_iilPiilS6_bb.num_named_barrier, 0
	.set _ZN9rocsolver6v33100L18getri_kernel_smallILi51EdPKPdEEvT1_iilPiilS6_bb.private_seg_size, 416
	.set _ZN9rocsolver6v33100L18getri_kernel_smallILi51EdPKPdEEvT1_iilPiilS6_bb.uses_vcc, 1
	.set _ZN9rocsolver6v33100L18getri_kernel_smallILi51EdPKPdEEvT1_iilPiilS6_bb.uses_flat_scratch, 1
	.set _ZN9rocsolver6v33100L18getri_kernel_smallILi51EdPKPdEEvT1_iilPiilS6_bb.has_dyn_sized_stack, 0
	.set _ZN9rocsolver6v33100L18getri_kernel_smallILi51EdPKPdEEvT1_iilPiilS6_bb.has_recursion, 0
	.set _ZN9rocsolver6v33100L18getri_kernel_smallILi51EdPKPdEEvT1_iilPiilS6_bb.has_indirect_call, 0
	.section	.AMDGPU.csdata,"",@progbits
; Kernel info:
; codeLenInByte = 49780
; TotalNumSgprs: 21
; NumVgprs: 154
; ScratchSize: 416
; MemoryBound: 0
; FloatMode: 240
; IeeeMode: 1
; LDSByteSize: 824 bytes/workgroup (compile time only)
; SGPRBlocks: 0
; VGPRBlocks: 9
; NumSGPRsForWavesPerEU: 21
; NumVGPRsForWavesPerEU: 154
; NamedBarCnt: 0
; Occupancy: 6
; WaveLimiterHint : 1
; COMPUTE_PGM_RSRC2:SCRATCH_EN: 1
; COMPUTE_PGM_RSRC2:USER_SGPR: 2
; COMPUTE_PGM_RSRC2:TRAP_HANDLER: 0
; COMPUTE_PGM_RSRC2:TGID_X_EN: 1
; COMPUTE_PGM_RSRC2:TGID_Y_EN: 0
; COMPUTE_PGM_RSRC2:TGID_Z_EN: 0
; COMPUTE_PGM_RSRC2:TIDIG_COMP_CNT: 0
	.section	.text._ZN9rocsolver6v33100L18getri_kernel_smallILi52EdPKPdEEvT1_iilPiilS6_bb,"axG",@progbits,_ZN9rocsolver6v33100L18getri_kernel_smallILi52EdPKPdEEvT1_iilPiilS6_bb,comdat
	.globl	_ZN9rocsolver6v33100L18getri_kernel_smallILi52EdPKPdEEvT1_iilPiilS6_bb ; -- Begin function _ZN9rocsolver6v33100L18getri_kernel_smallILi52EdPKPdEEvT1_iilPiilS6_bb
	.p2align	8
	.type	_ZN9rocsolver6v33100L18getri_kernel_smallILi52EdPKPdEEvT1_iilPiilS6_bb,@function
_ZN9rocsolver6v33100L18getri_kernel_smallILi52EdPKPdEEvT1_iilPiilS6_bb: ; @_ZN9rocsolver6v33100L18getri_kernel_smallILi52EdPKPdEEvT1_iilPiilS6_bb
; %bb.0:
	s_mov_b32 s2, exec_lo
	v_cmpx_gt_u32_e32 52, v0
	s_cbranch_execz .LBB115_218
; %bb.1:
	s_clause 0x1
	s_load_b32 s13, s[0:1], 0x38
	s_load_b64 s[2:3], s[0:1], 0x0
	s_getreg_b32 s6, hwreg(HW_REG_IB_STS2, 6, 4)
	s_wait_kmcnt 0x0
	s_bitcmp1_b32 s13, 8
	s_cselect_b32 s12, -1, 0
	s_bfe_u32 s4, ttmp6, 0x4000c
	s_and_b32 s5, ttmp6, 15
	s_add_co_i32 s4, s4, 1
	s_delay_alu instid0(SALU_CYCLE_1) | instskip(NEXT) | instid1(SALU_CYCLE_1)
	s_mul_i32 s4, ttmp9, s4
	s_add_co_i32 s5, s5, s4
	s_cmp_eq_u32 s6, 0
	s_cselect_b32 s10, ttmp9, s5
	s_load_b128 s[4:7], s[0:1], 0x28
	s_ashr_i32 s11, s10, 31
	s_delay_alu instid0(SALU_CYCLE_1) | instskip(NEXT) | instid1(SALU_CYCLE_1)
	s_lshl_b64 s[8:9], s[10:11], 3
	s_add_nc_u64 s[2:3], s[2:3], s[8:9]
	s_bfe_u32 s8, s13, 0x10008
	s_load_b64 s[2:3], s[2:3], 0x0
	s_cmp_eq_u32 s8, 0
                                        ; implicit-def: $sgpr8_sgpr9
	s_cbranch_scc1 .LBB115_3
; %bb.2:
	s_load_b96 s[16:18], s[0:1], 0x18
	s_wait_kmcnt 0x0
	s_mul_u64 s[4:5], s[4:5], s[10:11]
	s_delay_alu instid0(SALU_CYCLE_1) | instskip(SKIP_4) | instid1(SALU_CYCLE_1)
	s_lshl_b64 s[4:5], s[4:5], 2
	s_ashr_i32 s9, s18, 31
	s_mov_b32 s8, s18
	s_add_nc_u64 s[4:5], s[16:17], s[4:5]
	s_lshl_b64 s[8:9], s[8:9], 2
	s_add_nc_u64 s[8:9], s[4:5], s[8:9]
.LBB115_3:
	s_wait_kmcnt 0x0
	s_clause 0x1
	s_load_b64 s[4:5], s[0:1], 0x8
	s_load_b32 s13, s[0:1], 0x38
	v_dual_mov_b32 v3, 0 :: v_dual_lshlrev_b32 v2, 3, v0
	s_wait_kmcnt 0x0
	s_ashr_i32 s1, s4, 31
	s_mov_b32 s0, s4
	s_delay_alu instid0(SALU_CYCLE_1) | instskip(NEXT) | instid1(SALU_CYCLE_1)
	s_lshl_b64 s[0:1], s[0:1], 3
	s_add_nc_u64 s[2:3], s[2:3], s[0:1]
	s_ashr_i32 s1, s5, 31
	flat_load_b64 v[8:9], v0, s[2:3] scale_offset
	v_add_nc_u64_e32 v[4:5], s[2:3], v[2:3]
	s_mov_b32 s0, s5
	s_bitcmp0_b32 s13, 0
	s_delay_alu instid0(VALU_DEP_1)
	v_lshl_add_u64 v[6:7], s[0:1], 3, v[4:5]
	s_mov_b32 s1, -1
	s_wait_loadcnt_dscnt 0x0
	scratch_store_b64 off, v[8:9], off
	flat_load_b64 v[10:11], v[6:7]
	s_wait_xcnt 0x1
	v_add3_u32 v8, s5, s5, v0
	s_wait_loadcnt_dscnt 0x0
	scratch_store_b64 off, v[10:11], off offset:8
	flat_load_b64 v[12:13], v8, s[2:3] scale_offset
	s_wait_xcnt 0x1
	v_add_nc_u32_e32 v10, s5, v8
	s_wait_loadcnt_dscnt 0x0
	scratch_store_b64 off, v[12:13], off offset:16
	flat_load_b64 v[14:15], v10, s[2:3] scale_offset
	s_wait_xcnt 0x1
	v_add_nc_u32_e32 v12, s5, v10
	;; [unrolled: 5-line block ×49, first 2 shown]
	s_wait_loadcnt_dscnt 0x0
	scratch_store_b64 off, v[108:109], off offset:400
	flat_load_b64 v[108:109], v106, s[2:3] scale_offset
	s_wait_loadcnt_dscnt 0x0
	scratch_store_b64 off, v[108:109], off offset:408
	s_cbranch_scc1 .LBB115_216
; %bb.4:
	v_cmp_eq_u32_e64 s0, 0, v0
	s_wait_xcnt 0x0
	s_and_saveexec_b32 s1, s0
; %bb.5:
	v_mov_b32_e32 v1, 0
	ds_store_b32 v1, v1 offset:832
; %bb.6:
	s_or_b32 exec_lo, exec_lo, s1
	s_wait_storecnt_dscnt 0x0
	s_barrier_signal -1
	s_barrier_wait -1
	scratch_load_b64 v[108:109], v0, off scale_offset
	s_mov_b32 s4, exec_lo
	s_wait_loadcnt 0x0
	v_cmpx_eq_f64_e32 0, v[108:109]
	s_cbranch_execz .LBB115_10
; %bb.7:
	v_mov_b32_e32 v1, 0
	s_mov_b32 s5, 0
	ds_load_b32 v3, v1 offset:832
	s_wait_dscnt 0x0
	v_readfirstlane_b32 s1, v3
	v_add_nc_u32_e32 v3, 1, v0
	s_cmp_eq_u32 s1, 0
	s_delay_alu instid0(VALU_DEP_1) | instskip(SKIP_1) | instid1(SALU_CYCLE_1)
	v_cmp_gt_i32_e32 vcc_lo, s1, v3
	s_cselect_b32 s13, -1, 0
	s_or_b32 s13, s13, vcc_lo
	s_delay_alu instid0(SALU_CYCLE_1)
	s_and_b32 exec_lo, exec_lo, s13
	s_cbranch_execz .LBB115_10
; %bb.8:
	v_mov_b32_e32 v9, s1
.LBB115_9:                              ; =>This Inner Loop Header: Depth=1
	ds_cmpstore_rtn_b32 v9, v1, v3, v9 offset:832
	s_wait_dscnt 0x0
	v_cmp_ne_u32_e32 vcc_lo, 0, v9
	v_cmp_le_i32_e64 s1, v9, v3
	s_and_b32 s1, vcc_lo, s1
	s_delay_alu instid0(SALU_CYCLE_1) | instskip(NEXT) | instid1(SALU_CYCLE_1)
	s_and_b32 s1, exec_lo, s1
	s_or_b32 s5, s1, s5
	s_delay_alu instid0(SALU_CYCLE_1)
	s_and_not1_b32 exec_lo, exec_lo, s5
	s_cbranch_execnz .LBB115_9
.LBB115_10:
	s_or_b32 exec_lo, exec_lo, s4
	v_mov_b32_e32 v1, 0
	s_barrier_signal -1
	s_barrier_wait -1
	ds_load_b32 v3, v1 offset:832
	s_and_saveexec_b32 s1, s0
	s_cbranch_execz .LBB115_12
; %bb.11:
	s_lshl_b64 s[4:5], s[10:11], 2
	s_delay_alu instid0(SALU_CYCLE_1)
	s_add_nc_u64 s[4:5], s[6:7], s[4:5]
	s_wait_dscnt 0x0
	global_store_b32 v1, v3, s[4:5]
.LBB115_12:
	s_wait_xcnt 0x0
	s_or_b32 exec_lo, exec_lo, s1
	s_wait_dscnt 0x0
	v_cmp_ne_u32_e32 vcc_lo, 0, v3
	s_mov_b32 s1, 0
	s_cbranch_vccnz .LBB115_216
; %bb.13:
	v_lshl_add_u32 v3, v0, 3, 0
	v_add_nc_u32_e32 v1, 0x1a0, v2
	scratch_load_b64 v[108:109], v3, off
	s_wait_loadcnt 0x0
	v_div_scale_f64 v[110:111], null, v[108:109], v[108:109], 1.0
	v_div_scale_f64 v[116:117], vcc_lo, 1.0, v[108:109], 1.0
	s_delay_alu instid0(VALU_DEP_2) | instskip(SKIP_1) | instid1(TRANS32_DEP_1)
	v_rcp_f64_e32 v[112:113], v[110:111]
	v_nop
	v_fma_f64 v[114:115], -v[110:111], v[112:113], 1.0
	s_delay_alu instid0(VALU_DEP_1) | instskip(NEXT) | instid1(VALU_DEP_1)
	v_fmac_f64_e32 v[112:113], v[112:113], v[114:115]
	v_fma_f64 v[114:115], -v[110:111], v[112:113], 1.0
	s_delay_alu instid0(VALU_DEP_1) | instskip(NEXT) | instid1(VALU_DEP_1)
	v_fmac_f64_e32 v[112:113], v[112:113], v[114:115]
	v_mul_f64_e32 v[114:115], v[116:117], v[112:113]
	s_delay_alu instid0(VALU_DEP_1) | instskip(NEXT) | instid1(VALU_DEP_1)
	v_fma_f64 v[110:111], -v[110:111], v[114:115], v[116:117]
	v_div_fmas_f64 v[110:111], v[110:111], v[112:113], v[114:115]
	s_delay_alu instid0(VALU_DEP_1)
	v_div_fixup_f64 v[108:109], v[110:111], v[108:109], 1.0
	scratch_store_b64 v3, v[108:109], off
	scratch_load_b64 v[110:111], off, off offset:8
	s_wait_xcnt 0x1
	v_xor_b32_e32 v109, 0x80000000, v109
	s_wait_loadcnt 0x0
	ds_store_2addr_b64 v2, v[108:109], v[110:111] offset1:52
	s_wait_storecnt_dscnt 0x0
	s_barrier_signal -1
	s_barrier_wait -1
	s_wait_xcnt 0x0
	s_and_saveexec_b32 s1, s0
	s_cbranch_execz .LBB115_15
; %bb.14:
	scratch_load_b64 v[108:109], v3, off
	ds_load_b64 v[110:111], v1
	s_wait_loadcnt_dscnt 0x0
	v_fma_f64 v[108:109], v[108:109], v[110:111], 0
	v_mov_b32_e32 v9, 0
	ds_load_b64 v[112:113], v9 offset:8
	s_wait_dscnt 0x0
	v_mul_f64_e32 v[108:109], v[108:109], v[112:113]
	scratch_store_b64 off, v[108:109], off offset:8
.LBB115_15:
	s_wait_xcnt 0x0
	s_or_b32 exec_lo, exec_lo, s1
	s_wait_storecnt 0x0
	s_barrier_signal -1
	s_barrier_wait -1
	scratch_load_b64 v[108:109], off, off offset:16
	s_mov_b32 s1, exec_lo
	s_wait_loadcnt 0x0
	ds_store_b64 v1, v[108:109]
	s_wait_dscnt 0x0
	s_barrier_signal -1
	s_barrier_wait -1
	v_cmpx_gt_u32_e32 2, v0
	s_cbranch_execz .LBB115_19
; %bb.16:
	scratch_load_b64 v[108:109], v3, off
	ds_load_b64 v[110:111], v1
	s_wait_loadcnt_dscnt 0x0
	v_fma_f64 v[108:109], v[108:109], v[110:111], 0
	s_and_saveexec_b32 s4, s0
	s_cbranch_execz .LBB115_18
; %bb.17:
	scratch_load_b64 v[110:111], off, off offset:8
	v_mov_b32_e32 v3, 0
	ds_load_b64 v[112:113], v3 offset:424
	s_wait_loadcnt_dscnt 0x0
	v_fmac_f64_e32 v[108:109], v[110:111], v[112:113]
.LBB115_18:
	s_or_b32 exec_lo, exec_lo, s4
	v_mov_b32_e32 v3, 0
	ds_load_b64 v[110:111], v3 offset:16
	s_wait_dscnt 0x0
	v_mul_f64_e32 v[108:109], v[108:109], v[110:111]
	scratch_store_b64 off, v[108:109], off offset:16
.LBB115_19:
	s_wait_xcnt 0x0
	s_or_b32 exec_lo, exec_lo, s1
	s_wait_storecnt 0x0
	s_barrier_signal -1
	s_barrier_wait -1
	scratch_load_b64 v[108:109], off, off offset:24
	v_add_nc_u32_e32 v3, -1, v0
	s_mov_b32 s0, exec_lo
	s_wait_loadcnt 0x0
	ds_store_b64 v1, v[108:109]
	s_wait_dscnt 0x0
	s_barrier_signal -1
	s_barrier_wait -1
	v_cmpx_gt_u32_e32 3, v0
	s_cbranch_execz .LBB115_23
; %bb.20:
	v_mov_b64_e32 v[108:109], 0
	v_dual_add_nc_u32 v9, -1, v0 :: v_dual_mov_b32 v13, v2
	v_add_nc_u32_e32 v11, 0x1a0, v2
	s_mov_b32 s1, 0
.LBB115_21:                             ; =>This Inner Loop Header: Depth=1
	scratch_load_b64 v[110:111], v13, off
	ds_load_b64 v[112:113], v11
	v_dual_add_nc_u32 v9, 1, v9 :: v_dual_add_nc_u32 v11, 8, v11
	s_wait_xcnt 0x0
	v_add_nc_u32_e32 v13, 8, v13
	s_delay_alu instid0(VALU_DEP_2)
	v_cmp_lt_u32_e32 vcc_lo, 1, v9
	s_or_b32 s1, vcc_lo, s1
	s_wait_loadcnt_dscnt 0x0
	v_fmac_f64_e32 v[108:109], v[110:111], v[112:113]
	s_and_not1_b32 exec_lo, exec_lo, s1
	s_cbranch_execnz .LBB115_21
; %bb.22:
	s_or_b32 exec_lo, exec_lo, s1
	v_mov_b32_e32 v9, 0
	ds_load_b64 v[110:111], v9 offset:24
	s_wait_dscnt 0x0
	v_mul_f64_e32 v[108:109], v[108:109], v[110:111]
	scratch_store_b64 off, v[108:109], off offset:24
.LBB115_23:
	s_wait_xcnt 0x0
	s_or_b32 exec_lo, exec_lo, s0
	s_wait_storecnt 0x0
	s_barrier_signal -1
	s_barrier_wait -1
	scratch_load_b64 v[108:109], off, off offset:32
	s_mov_b32 s0, exec_lo
	s_wait_loadcnt 0x0
	ds_store_b64 v1, v[108:109]
	s_wait_dscnt 0x0
	s_barrier_signal -1
	s_barrier_wait -1
	v_cmpx_gt_u32_e32 4, v0
	s_cbranch_execz .LBB115_27
; %bb.24:
	v_mov_b64_e32 v[108:109], 0
	v_dual_add_nc_u32 v9, -1, v0 :: v_dual_mov_b32 v13, v2
	v_add_nc_u32_e32 v11, 0x1a0, v2
	s_mov_b32 s1, 0
.LBB115_25:                             ; =>This Inner Loop Header: Depth=1
	scratch_load_b64 v[110:111], v13, off
	ds_load_b64 v[112:113], v11
	v_dual_add_nc_u32 v9, 1, v9 :: v_dual_add_nc_u32 v11, 8, v11
	s_wait_xcnt 0x0
	v_add_nc_u32_e32 v13, 8, v13
	s_delay_alu instid0(VALU_DEP_2)
	v_cmp_lt_u32_e32 vcc_lo, 2, v9
	s_or_b32 s1, vcc_lo, s1
	s_wait_loadcnt_dscnt 0x0
	v_fmac_f64_e32 v[108:109], v[110:111], v[112:113]
	s_and_not1_b32 exec_lo, exec_lo, s1
	s_cbranch_execnz .LBB115_25
; %bb.26:
	s_or_b32 exec_lo, exec_lo, s1
	v_mov_b32_e32 v9, 0
	ds_load_b64 v[110:111], v9 offset:32
	s_wait_dscnt 0x0
	v_mul_f64_e32 v[108:109], v[108:109], v[110:111]
	scratch_store_b64 off, v[108:109], off offset:32
.LBB115_27:
	s_wait_xcnt 0x0
	s_or_b32 exec_lo, exec_lo, s0
	s_wait_storecnt 0x0
	s_barrier_signal -1
	s_barrier_wait -1
	scratch_load_b64 v[108:109], off, off offset:40
	s_mov_b32 s0, exec_lo
	s_wait_loadcnt 0x0
	ds_store_b64 v1, v[108:109]
	s_wait_dscnt 0x0
	s_barrier_signal -1
	s_barrier_wait -1
	v_cmpx_gt_u32_e32 5, v0
	s_cbranch_execz .LBB115_31
; %bb.28:
	v_mov_b64_e32 v[108:109], 0
	v_dual_add_nc_u32 v9, -1, v0 :: v_dual_mov_b32 v13, v2
	v_add_nc_u32_e32 v11, 0x1a0, v2
	s_mov_b32 s1, 0
.LBB115_29:                             ; =>This Inner Loop Header: Depth=1
	scratch_load_b64 v[110:111], v13, off
	ds_load_b64 v[112:113], v11
	v_dual_add_nc_u32 v9, 1, v9 :: v_dual_add_nc_u32 v11, 8, v11
	s_wait_xcnt 0x0
	v_add_nc_u32_e32 v13, 8, v13
	s_delay_alu instid0(VALU_DEP_2)
	v_cmp_lt_u32_e32 vcc_lo, 3, v9
	s_or_b32 s1, vcc_lo, s1
	s_wait_loadcnt_dscnt 0x0
	v_fmac_f64_e32 v[108:109], v[110:111], v[112:113]
	s_and_not1_b32 exec_lo, exec_lo, s1
	s_cbranch_execnz .LBB115_29
; %bb.30:
	s_or_b32 exec_lo, exec_lo, s1
	v_mov_b32_e32 v9, 0
	ds_load_b64 v[110:111], v9 offset:40
	s_wait_dscnt 0x0
	v_mul_f64_e32 v[108:109], v[108:109], v[110:111]
	scratch_store_b64 off, v[108:109], off offset:40
.LBB115_31:
	s_wait_xcnt 0x0
	s_or_b32 exec_lo, exec_lo, s0
	s_wait_storecnt 0x0
	s_barrier_signal -1
	s_barrier_wait -1
	scratch_load_b64 v[108:109], off, off offset:48
	s_mov_b32 s0, exec_lo
	s_wait_loadcnt 0x0
	ds_store_b64 v1, v[108:109]
	s_wait_dscnt 0x0
	s_barrier_signal -1
	s_barrier_wait -1
	v_cmpx_gt_u32_e32 6, v0
	s_cbranch_execz .LBB115_35
; %bb.32:
	v_mov_b64_e32 v[108:109], 0
	v_dual_add_nc_u32 v9, -1, v0 :: v_dual_mov_b32 v13, v2
	v_add_nc_u32_e32 v11, 0x1a0, v2
	s_mov_b32 s1, 0
.LBB115_33:                             ; =>This Inner Loop Header: Depth=1
	scratch_load_b64 v[110:111], v13, off
	ds_load_b64 v[112:113], v11
	v_dual_add_nc_u32 v9, 1, v9 :: v_dual_add_nc_u32 v11, 8, v11
	s_wait_xcnt 0x0
	v_add_nc_u32_e32 v13, 8, v13
	s_delay_alu instid0(VALU_DEP_2)
	v_cmp_lt_u32_e32 vcc_lo, 4, v9
	s_or_b32 s1, vcc_lo, s1
	s_wait_loadcnt_dscnt 0x0
	v_fmac_f64_e32 v[108:109], v[110:111], v[112:113]
	s_and_not1_b32 exec_lo, exec_lo, s1
	s_cbranch_execnz .LBB115_33
; %bb.34:
	s_or_b32 exec_lo, exec_lo, s1
	v_mov_b32_e32 v9, 0
	ds_load_b64 v[110:111], v9 offset:48
	s_wait_dscnt 0x0
	v_mul_f64_e32 v[108:109], v[108:109], v[110:111]
	scratch_store_b64 off, v[108:109], off offset:48
.LBB115_35:
	s_wait_xcnt 0x0
	s_or_b32 exec_lo, exec_lo, s0
	s_wait_storecnt 0x0
	s_barrier_signal -1
	s_barrier_wait -1
	scratch_load_b64 v[108:109], off, off offset:56
	s_mov_b32 s0, exec_lo
	s_wait_loadcnt 0x0
	ds_store_b64 v1, v[108:109]
	s_wait_dscnt 0x0
	s_barrier_signal -1
	s_barrier_wait -1
	v_cmpx_gt_u32_e32 7, v0
	s_cbranch_execz .LBB115_39
; %bb.36:
	v_mov_b64_e32 v[108:109], 0
	v_dual_add_nc_u32 v9, -1, v0 :: v_dual_mov_b32 v13, v2
	v_add_nc_u32_e32 v11, 0x1a0, v2
	s_mov_b32 s1, 0
.LBB115_37:                             ; =>This Inner Loop Header: Depth=1
	scratch_load_b64 v[110:111], v13, off
	ds_load_b64 v[112:113], v11
	v_dual_add_nc_u32 v9, 1, v9 :: v_dual_add_nc_u32 v11, 8, v11
	s_wait_xcnt 0x0
	v_add_nc_u32_e32 v13, 8, v13
	s_delay_alu instid0(VALU_DEP_2)
	v_cmp_lt_u32_e32 vcc_lo, 5, v9
	s_or_b32 s1, vcc_lo, s1
	s_wait_loadcnt_dscnt 0x0
	v_fmac_f64_e32 v[108:109], v[110:111], v[112:113]
	s_and_not1_b32 exec_lo, exec_lo, s1
	s_cbranch_execnz .LBB115_37
; %bb.38:
	s_or_b32 exec_lo, exec_lo, s1
	v_mov_b32_e32 v9, 0
	ds_load_b64 v[110:111], v9 offset:56
	s_wait_dscnt 0x0
	v_mul_f64_e32 v[108:109], v[108:109], v[110:111]
	scratch_store_b64 off, v[108:109], off offset:56
.LBB115_39:
	s_wait_xcnt 0x0
	s_or_b32 exec_lo, exec_lo, s0
	s_wait_storecnt 0x0
	s_barrier_signal -1
	s_barrier_wait -1
	scratch_load_b64 v[108:109], off, off offset:64
	s_mov_b32 s0, exec_lo
	s_wait_loadcnt 0x0
	ds_store_b64 v1, v[108:109]
	s_wait_dscnt 0x0
	s_barrier_signal -1
	s_barrier_wait -1
	v_cmpx_gt_u32_e32 8, v0
	s_cbranch_execz .LBB115_43
; %bb.40:
	v_mov_b64_e32 v[108:109], 0
	v_dual_add_nc_u32 v9, -1, v0 :: v_dual_mov_b32 v13, v2
	v_add_nc_u32_e32 v11, 0x1a0, v2
	s_mov_b32 s1, 0
.LBB115_41:                             ; =>This Inner Loop Header: Depth=1
	scratch_load_b64 v[110:111], v13, off
	ds_load_b64 v[112:113], v11
	v_dual_add_nc_u32 v9, 1, v9 :: v_dual_add_nc_u32 v11, 8, v11
	s_wait_xcnt 0x0
	v_add_nc_u32_e32 v13, 8, v13
	s_delay_alu instid0(VALU_DEP_2)
	v_cmp_lt_u32_e32 vcc_lo, 6, v9
	s_or_b32 s1, vcc_lo, s1
	s_wait_loadcnt_dscnt 0x0
	v_fmac_f64_e32 v[108:109], v[110:111], v[112:113]
	s_and_not1_b32 exec_lo, exec_lo, s1
	s_cbranch_execnz .LBB115_41
; %bb.42:
	s_or_b32 exec_lo, exec_lo, s1
	v_mov_b32_e32 v9, 0
	ds_load_b64 v[110:111], v9 offset:64
	s_wait_dscnt 0x0
	v_mul_f64_e32 v[108:109], v[108:109], v[110:111]
	scratch_store_b64 off, v[108:109], off offset:64
.LBB115_43:
	s_wait_xcnt 0x0
	s_or_b32 exec_lo, exec_lo, s0
	s_wait_storecnt 0x0
	s_barrier_signal -1
	s_barrier_wait -1
	scratch_load_b64 v[108:109], off, off offset:72
	s_mov_b32 s0, exec_lo
	s_wait_loadcnt 0x0
	ds_store_b64 v1, v[108:109]
	s_wait_dscnt 0x0
	s_barrier_signal -1
	s_barrier_wait -1
	v_cmpx_gt_u32_e32 9, v0
	s_cbranch_execz .LBB115_47
; %bb.44:
	v_mov_b64_e32 v[108:109], 0
	v_dual_add_nc_u32 v9, -1, v0 :: v_dual_mov_b32 v13, v2
	v_add_nc_u32_e32 v11, 0x1a0, v2
	s_mov_b32 s1, 0
.LBB115_45:                             ; =>This Inner Loop Header: Depth=1
	scratch_load_b64 v[110:111], v13, off
	ds_load_b64 v[112:113], v11
	v_dual_add_nc_u32 v9, 1, v9 :: v_dual_add_nc_u32 v11, 8, v11
	s_wait_xcnt 0x0
	v_add_nc_u32_e32 v13, 8, v13
	s_delay_alu instid0(VALU_DEP_2)
	v_cmp_lt_u32_e32 vcc_lo, 7, v9
	s_or_b32 s1, vcc_lo, s1
	s_wait_loadcnt_dscnt 0x0
	v_fmac_f64_e32 v[108:109], v[110:111], v[112:113]
	s_and_not1_b32 exec_lo, exec_lo, s1
	s_cbranch_execnz .LBB115_45
; %bb.46:
	s_or_b32 exec_lo, exec_lo, s1
	v_mov_b32_e32 v9, 0
	ds_load_b64 v[110:111], v9 offset:72
	s_wait_dscnt 0x0
	v_mul_f64_e32 v[108:109], v[108:109], v[110:111]
	scratch_store_b64 off, v[108:109], off offset:72
.LBB115_47:
	s_wait_xcnt 0x0
	s_or_b32 exec_lo, exec_lo, s0
	s_wait_storecnt 0x0
	s_barrier_signal -1
	s_barrier_wait -1
	scratch_load_b64 v[108:109], off, off offset:80
	s_mov_b32 s0, exec_lo
	s_wait_loadcnt 0x0
	ds_store_b64 v1, v[108:109]
	s_wait_dscnt 0x0
	s_barrier_signal -1
	s_barrier_wait -1
	v_cmpx_gt_u32_e32 10, v0
	s_cbranch_execz .LBB115_51
; %bb.48:
	v_mov_b64_e32 v[108:109], 0
	v_dual_add_nc_u32 v9, -1, v0 :: v_dual_mov_b32 v13, v2
	v_add_nc_u32_e32 v11, 0x1a0, v2
	s_mov_b32 s1, 0
.LBB115_49:                             ; =>This Inner Loop Header: Depth=1
	scratch_load_b64 v[110:111], v13, off
	ds_load_b64 v[112:113], v11
	v_dual_add_nc_u32 v9, 1, v9 :: v_dual_add_nc_u32 v11, 8, v11
	s_wait_xcnt 0x0
	v_add_nc_u32_e32 v13, 8, v13
	s_delay_alu instid0(VALU_DEP_2)
	v_cmp_lt_u32_e32 vcc_lo, 8, v9
	s_or_b32 s1, vcc_lo, s1
	s_wait_loadcnt_dscnt 0x0
	v_fmac_f64_e32 v[108:109], v[110:111], v[112:113]
	s_and_not1_b32 exec_lo, exec_lo, s1
	s_cbranch_execnz .LBB115_49
; %bb.50:
	s_or_b32 exec_lo, exec_lo, s1
	v_mov_b32_e32 v9, 0
	ds_load_b64 v[110:111], v9 offset:80
	s_wait_dscnt 0x0
	v_mul_f64_e32 v[108:109], v[108:109], v[110:111]
	scratch_store_b64 off, v[108:109], off offset:80
.LBB115_51:
	s_wait_xcnt 0x0
	s_or_b32 exec_lo, exec_lo, s0
	s_wait_storecnt 0x0
	s_barrier_signal -1
	s_barrier_wait -1
	scratch_load_b64 v[108:109], off, off offset:88
	s_mov_b32 s0, exec_lo
	s_wait_loadcnt 0x0
	ds_store_b64 v1, v[108:109]
	s_wait_dscnt 0x0
	s_barrier_signal -1
	s_barrier_wait -1
	v_cmpx_gt_u32_e32 11, v0
	s_cbranch_execz .LBB115_55
; %bb.52:
	v_mov_b64_e32 v[108:109], 0
	v_dual_add_nc_u32 v9, -1, v0 :: v_dual_mov_b32 v13, v2
	v_add_nc_u32_e32 v11, 0x1a0, v2
	s_mov_b32 s1, 0
.LBB115_53:                             ; =>This Inner Loop Header: Depth=1
	scratch_load_b64 v[110:111], v13, off
	ds_load_b64 v[112:113], v11
	v_dual_add_nc_u32 v9, 1, v9 :: v_dual_add_nc_u32 v11, 8, v11
	s_wait_xcnt 0x0
	v_add_nc_u32_e32 v13, 8, v13
	s_delay_alu instid0(VALU_DEP_2)
	v_cmp_lt_u32_e32 vcc_lo, 9, v9
	s_or_b32 s1, vcc_lo, s1
	s_wait_loadcnt_dscnt 0x0
	v_fmac_f64_e32 v[108:109], v[110:111], v[112:113]
	s_and_not1_b32 exec_lo, exec_lo, s1
	s_cbranch_execnz .LBB115_53
; %bb.54:
	s_or_b32 exec_lo, exec_lo, s1
	v_mov_b32_e32 v9, 0
	ds_load_b64 v[110:111], v9 offset:88
	s_wait_dscnt 0x0
	v_mul_f64_e32 v[108:109], v[108:109], v[110:111]
	scratch_store_b64 off, v[108:109], off offset:88
.LBB115_55:
	s_wait_xcnt 0x0
	s_or_b32 exec_lo, exec_lo, s0
	s_wait_storecnt 0x0
	s_barrier_signal -1
	s_barrier_wait -1
	scratch_load_b64 v[108:109], off, off offset:96
	s_mov_b32 s0, exec_lo
	s_wait_loadcnt 0x0
	ds_store_b64 v1, v[108:109]
	s_wait_dscnt 0x0
	s_barrier_signal -1
	s_barrier_wait -1
	v_cmpx_gt_u32_e32 12, v0
	s_cbranch_execz .LBB115_59
; %bb.56:
	v_mov_b64_e32 v[108:109], 0
	v_dual_add_nc_u32 v9, -1, v0 :: v_dual_mov_b32 v13, v2
	v_add_nc_u32_e32 v11, 0x1a0, v2
	s_mov_b32 s1, 0
.LBB115_57:                             ; =>This Inner Loop Header: Depth=1
	scratch_load_b64 v[110:111], v13, off
	ds_load_b64 v[112:113], v11
	v_dual_add_nc_u32 v9, 1, v9 :: v_dual_add_nc_u32 v11, 8, v11
	s_wait_xcnt 0x0
	v_add_nc_u32_e32 v13, 8, v13
	s_delay_alu instid0(VALU_DEP_2)
	v_cmp_lt_u32_e32 vcc_lo, 10, v9
	s_or_b32 s1, vcc_lo, s1
	s_wait_loadcnt_dscnt 0x0
	v_fmac_f64_e32 v[108:109], v[110:111], v[112:113]
	s_and_not1_b32 exec_lo, exec_lo, s1
	s_cbranch_execnz .LBB115_57
; %bb.58:
	s_or_b32 exec_lo, exec_lo, s1
	v_mov_b32_e32 v9, 0
	ds_load_b64 v[110:111], v9 offset:96
	s_wait_dscnt 0x0
	v_mul_f64_e32 v[108:109], v[108:109], v[110:111]
	scratch_store_b64 off, v[108:109], off offset:96
.LBB115_59:
	s_wait_xcnt 0x0
	s_or_b32 exec_lo, exec_lo, s0
	s_wait_storecnt 0x0
	s_barrier_signal -1
	s_barrier_wait -1
	scratch_load_b64 v[108:109], off, off offset:104
	s_mov_b32 s0, exec_lo
	s_wait_loadcnt 0x0
	ds_store_b64 v1, v[108:109]
	s_wait_dscnt 0x0
	s_barrier_signal -1
	s_barrier_wait -1
	v_cmpx_gt_u32_e32 13, v0
	s_cbranch_execz .LBB115_63
; %bb.60:
	v_mov_b64_e32 v[108:109], 0
	v_dual_add_nc_u32 v9, -1, v0 :: v_dual_mov_b32 v13, v2
	v_add_nc_u32_e32 v11, 0x1a0, v2
	s_mov_b32 s1, 0
.LBB115_61:                             ; =>This Inner Loop Header: Depth=1
	scratch_load_b64 v[110:111], v13, off
	ds_load_b64 v[112:113], v11
	v_dual_add_nc_u32 v9, 1, v9 :: v_dual_add_nc_u32 v11, 8, v11
	s_wait_xcnt 0x0
	v_add_nc_u32_e32 v13, 8, v13
	s_delay_alu instid0(VALU_DEP_2)
	v_cmp_lt_u32_e32 vcc_lo, 11, v9
	s_or_b32 s1, vcc_lo, s1
	s_wait_loadcnt_dscnt 0x0
	v_fmac_f64_e32 v[108:109], v[110:111], v[112:113]
	s_and_not1_b32 exec_lo, exec_lo, s1
	s_cbranch_execnz .LBB115_61
; %bb.62:
	s_or_b32 exec_lo, exec_lo, s1
	v_mov_b32_e32 v9, 0
	ds_load_b64 v[110:111], v9 offset:104
	s_wait_dscnt 0x0
	v_mul_f64_e32 v[108:109], v[108:109], v[110:111]
	scratch_store_b64 off, v[108:109], off offset:104
.LBB115_63:
	s_wait_xcnt 0x0
	s_or_b32 exec_lo, exec_lo, s0
	s_wait_storecnt 0x0
	s_barrier_signal -1
	s_barrier_wait -1
	scratch_load_b64 v[108:109], off, off offset:112
	s_mov_b32 s0, exec_lo
	s_wait_loadcnt 0x0
	ds_store_b64 v1, v[108:109]
	s_wait_dscnt 0x0
	s_barrier_signal -1
	s_barrier_wait -1
	v_cmpx_gt_u32_e32 14, v0
	s_cbranch_execz .LBB115_67
; %bb.64:
	v_mov_b64_e32 v[108:109], 0
	v_dual_add_nc_u32 v9, -1, v0 :: v_dual_mov_b32 v13, v2
	v_add_nc_u32_e32 v11, 0x1a0, v2
	s_mov_b32 s1, 0
.LBB115_65:                             ; =>This Inner Loop Header: Depth=1
	scratch_load_b64 v[110:111], v13, off
	ds_load_b64 v[112:113], v11
	v_dual_add_nc_u32 v9, 1, v9 :: v_dual_add_nc_u32 v11, 8, v11
	s_wait_xcnt 0x0
	v_add_nc_u32_e32 v13, 8, v13
	s_delay_alu instid0(VALU_DEP_2)
	v_cmp_lt_u32_e32 vcc_lo, 12, v9
	s_or_b32 s1, vcc_lo, s1
	s_wait_loadcnt_dscnt 0x0
	v_fmac_f64_e32 v[108:109], v[110:111], v[112:113]
	s_and_not1_b32 exec_lo, exec_lo, s1
	s_cbranch_execnz .LBB115_65
; %bb.66:
	s_or_b32 exec_lo, exec_lo, s1
	v_mov_b32_e32 v9, 0
	ds_load_b64 v[110:111], v9 offset:112
	s_wait_dscnt 0x0
	v_mul_f64_e32 v[108:109], v[108:109], v[110:111]
	scratch_store_b64 off, v[108:109], off offset:112
.LBB115_67:
	s_wait_xcnt 0x0
	s_or_b32 exec_lo, exec_lo, s0
	s_wait_storecnt 0x0
	s_barrier_signal -1
	s_barrier_wait -1
	scratch_load_b64 v[108:109], off, off offset:120
	s_mov_b32 s0, exec_lo
	s_wait_loadcnt 0x0
	ds_store_b64 v1, v[108:109]
	s_wait_dscnt 0x0
	s_barrier_signal -1
	s_barrier_wait -1
	v_cmpx_gt_u32_e32 15, v0
	s_cbranch_execz .LBB115_71
; %bb.68:
	v_mov_b64_e32 v[108:109], 0
	v_dual_add_nc_u32 v9, -1, v0 :: v_dual_mov_b32 v13, v2
	v_add_nc_u32_e32 v11, 0x1a0, v2
	s_mov_b32 s1, 0
.LBB115_69:                             ; =>This Inner Loop Header: Depth=1
	scratch_load_b64 v[110:111], v13, off
	ds_load_b64 v[112:113], v11
	v_dual_add_nc_u32 v9, 1, v9 :: v_dual_add_nc_u32 v11, 8, v11
	s_wait_xcnt 0x0
	v_add_nc_u32_e32 v13, 8, v13
	s_delay_alu instid0(VALU_DEP_2)
	v_cmp_lt_u32_e32 vcc_lo, 13, v9
	s_or_b32 s1, vcc_lo, s1
	s_wait_loadcnt_dscnt 0x0
	v_fmac_f64_e32 v[108:109], v[110:111], v[112:113]
	s_and_not1_b32 exec_lo, exec_lo, s1
	s_cbranch_execnz .LBB115_69
; %bb.70:
	s_or_b32 exec_lo, exec_lo, s1
	v_mov_b32_e32 v9, 0
	ds_load_b64 v[110:111], v9 offset:120
	s_wait_dscnt 0x0
	v_mul_f64_e32 v[108:109], v[108:109], v[110:111]
	scratch_store_b64 off, v[108:109], off offset:120
.LBB115_71:
	s_wait_xcnt 0x0
	s_or_b32 exec_lo, exec_lo, s0
	s_wait_storecnt 0x0
	s_barrier_signal -1
	s_barrier_wait -1
	scratch_load_b64 v[108:109], off, off offset:128
	s_mov_b32 s0, exec_lo
	s_wait_loadcnt 0x0
	ds_store_b64 v1, v[108:109]
	s_wait_dscnt 0x0
	s_barrier_signal -1
	s_barrier_wait -1
	v_cmpx_gt_u32_e32 16, v0
	s_cbranch_execz .LBB115_75
; %bb.72:
	v_mov_b64_e32 v[108:109], 0
	v_dual_add_nc_u32 v9, -1, v0 :: v_dual_mov_b32 v13, v2
	v_add_nc_u32_e32 v11, 0x1a0, v2
	s_mov_b32 s1, 0
.LBB115_73:                             ; =>This Inner Loop Header: Depth=1
	scratch_load_b64 v[110:111], v13, off
	ds_load_b64 v[112:113], v11
	v_dual_add_nc_u32 v9, 1, v9 :: v_dual_add_nc_u32 v11, 8, v11
	s_wait_xcnt 0x0
	v_add_nc_u32_e32 v13, 8, v13
	s_delay_alu instid0(VALU_DEP_2)
	v_cmp_lt_u32_e32 vcc_lo, 14, v9
	s_or_b32 s1, vcc_lo, s1
	s_wait_loadcnt_dscnt 0x0
	v_fmac_f64_e32 v[108:109], v[110:111], v[112:113]
	s_and_not1_b32 exec_lo, exec_lo, s1
	s_cbranch_execnz .LBB115_73
; %bb.74:
	s_or_b32 exec_lo, exec_lo, s1
	v_mov_b32_e32 v9, 0
	ds_load_b64 v[110:111], v9 offset:128
	s_wait_dscnt 0x0
	v_mul_f64_e32 v[108:109], v[108:109], v[110:111]
	scratch_store_b64 off, v[108:109], off offset:128
.LBB115_75:
	s_wait_xcnt 0x0
	s_or_b32 exec_lo, exec_lo, s0
	s_wait_storecnt 0x0
	s_barrier_signal -1
	s_barrier_wait -1
	scratch_load_b64 v[108:109], off, off offset:136
	s_mov_b32 s0, exec_lo
	s_wait_loadcnt 0x0
	ds_store_b64 v1, v[108:109]
	s_wait_dscnt 0x0
	s_barrier_signal -1
	s_barrier_wait -1
	v_cmpx_gt_u32_e32 17, v0
	s_cbranch_execz .LBB115_79
; %bb.76:
	v_mov_b64_e32 v[108:109], 0
	v_dual_add_nc_u32 v9, -1, v0 :: v_dual_mov_b32 v13, v2
	v_add_nc_u32_e32 v11, 0x1a0, v2
	s_mov_b32 s1, 0
.LBB115_77:                             ; =>This Inner Loop Header: Depth=1
	scratch_load_b64 v[110:111], v13, off
	ds_load_b64 v[112:113], v11
	v_dual_add_nc_u32 v9, 1, v9 :: v_dual_add_nc_u32 v11, 8, v11
	s_wait_xcnt 0x0
	v_add_nc_u32_e32 v13, 8, v13
	s_delay_alu instid0(VALU_DEP_2)
	v_cmp_lt_u32_e32 vcc_lo, 15, v9
	s_or_b32 s1, vcc_lo, s1
	s_wait_loadcnt_dscnt 0x0
	v_fmac_f64_e32 v[108:109], v[110:111], v[112:113]
	s_and_not1_b32 exec_lo, exec_lo, s1
	s_cbranch_execnz .LBB115_77
; %bb.78:
	s_or_b32 exec_lo, exec_lo, s1
	v_mov_b32_e32 v9, 0
	ds_load_b64 v[110:111], v9 offset:136
	s_wait_dscnt 0x0
	v_mul_f64_e32 v[108:109], v[108:109], v[110:111]
	scratch_store_b64 off, v[108:109], off offset:136
.LBB115_79:
	s_wait_xcnt 0x0
	s_or_b32 exec_lo, exec_lo, s0
	s_wait_storecnt 0x0
	s_barrier_signal -1
	s_barrier_wait -1
	scratch_load_b64 v[108:109], off, off offset:144
	s_mov_b32 s0, exec_lo
	s_wait_loadcnt 0x0
	ds_store_b64 v1, v[108:109]
	s_wait_dscnt 0x0
	s_barrier_signal -1
	s_barrier_wait -1
	v_cmpx_gt_u32_e32 18, v0
	s_cbranch_execz .LBB115_83
; %bb.80:
	v_mov_b64_e32 v[108:109], 0
	v_dual_add_nc_u32 v9, -1, v0 :: v_dual_mov_b32 v13, v2
	v_add_nc_u32_e32 v11, 0x1a0, v2
	s_mov_b32 s1, 0
.LBB115_81:                             ; =>This Inner Loop Header: Depth=1
	scratch_load_b64 v[110:111], v13, off
	ds_load_b64 v[112:113], v11
	v_dual_add_nc_u32 v9, 1, v9 :: v_dual_add_nc_u32 v11, 8, v11
	s_wait_xcnt 0x0
	v_add_nc_u32_e32 v13, 8, v13
	s_delay_alu instid0(VALU_DEP_2)
	v_cmp_lt_u32_e32 vcc_lo, 16, v9
	s_or_b32 s1, vcc_lo, s1
	s_wait_loadcnt_dscnt 0x0
	v_fmac_f64_e32 v[108:109], v[110:111], v[112:113]
	s_and_not1_b32 exec_lo, exec_lo, s1
	s_cbranch_execnz .LBB115_81
; %bb.82:
	s_or_b32 exec_lo, exec_lo, s1
	v_mov_b32_e32 v9, 0
	ds_load_b64 v[110:111], v9 offset:144
	s_wait_dscnt 0x0
	v_mul_f64_e32 v[108:109], v[108:109], v[110:111]
	scratch_store_b64 off, v[108:109], off offset:144
.LBB115_83:
	s_wait_xcnt 0x0
	s_or_b32 exec_lo, exec_lo, s0
	s_wait_storecnt 0x0
	s_barrier_signal -1
	s_barrier_wait -1
	scratch_load_b64 v[108:109], off, off offset:152
	s_mov_b32 s0, exec_lo
	s_wait_loadcnt 0x0
	ds_store_b64 v1, v[108:109]
	s_wait_dscnt 0x0
	s_barrier_signal -1
	s_barrier_wait -1
	v_cmpx_gt_u32_e32 19, v0
	s_cbranch_execz .LBB115_87
; %bb.84:
	v_mov_b64_e32 v[108:109], 0
	v_dual_add_nc_u32 v9, -1, v0 :: v_dual_mov_b32 v13, v2
	v_add_nc_u32_e32 v11, 0x1a0, v2
	s_mov_b32 s1, 0
.LBB115_85:                             ; =>This Inner Loop Header: Depth=1
	scratch_load_b64 v[110:111], v13, off
	ds_load_b64 v[112:113], v11
	v_dual_add_nc_u32 v9, 1, v9 :: v_dual_add_nc_u32 v11, 8, v11
	s_wait_xcnt 0x0
	v_add_nc_u32_e32 v13, 8, v13
	s_delay_alu instid0(VALU_DEP_2)
	v_cmp_lt_u32_e32 vcc_lo, 17, v9
	s_or_b32 s1, vcc_lo, s1
	s_wait_loadcnt_dscnt 0x0
	v_fmac_f64_e32 v[108:109], v[110:111], v[112:113]
	s_and_not1_b32 exec_lo, exec_lo, s1
	s_cbranch_execnz .LBB115_85
; %bb.86:
	s_or_b32 exec_lo, exec_lo, s1
	v_mov_b32_e32 v9, 0
	ds_load_b64 v[110:111], v9 offset:152
	s_wait_dscnt 0x0
	v_mul_f64_e32 v[108:109], v[108:109], v[110:111]
	scratch_store_b64 off, v[108:109], off offset:152
.LBB115_87:
	s_wait_xcnt 0x0
	s_or_b32 exec_lo, exec_lo, s0
	s_wait_storecnt 0x0
	s_barrier_signal -1
	s_barrier_wait -1
	scratch_load_b64 v[108:109], off, off offset:160
	s_mov_b32 s0, exec_lo
	s_wait_loadcnt 0x0
	ds_store_b64 v1, v[108:109]
	s_wait_dscnt 0x0
	s_barrier_signal -1
	s_barrier_wait -1
	v_cmpx_gt_u32_e32 20, v0
	s_cbranch_execz .LBB115_91
; %bb.88:
	v_mov_b64_e32 v[108:109], 0
	v_dual_add_nc_u32 v9, -1, v0 :: v_dual_mov_b32 v13, v2
	v_add_nc_u32_e32 v11, 0x1a0, v2
	s_mov_b32 s1, 0
.LBB115_89:                             ; =>This Inner Loop Header: Depth=1
	scratch_load_b64 v[110:111], v13, off
	ds_load_b64 v[112:113], v11
	v_dual_add_nc_u32 v9, 1, v9 :: v_dual_add_nc_u32 v11, 8, v11
	s_wait_xcnt 0x0
	v_add_nc_u32_e32 v13, 8, v13
	s_delay_alu instid0(VALU_DEP_2)
	v_cmp_lt_u32_e32 vcc_lo, 18, v9
	s_or_b32 s1, vcc_lo, s1
	s_wait_loadcnt_dscnt 0x0
	v_fmac_f64_e32 v[108:109], v[110:111], v[112:113]
	s_and_not1_b32 exec_lo, exec_lo, s1
	s_cbranch_execnz .LBB115_89
; %bb.90:
	s_or_b32 exec_lo, exec_lo, s1
	v_mov_b32_e32 v9, 0
	ds_load_b64 v[110:111], v9 offset:160
	s_wait_dscnt 0x0
	v_mul_f64_e32 v[108:109], v[108:109], v[110:111]
	scratch_store_b64 off, v[108:109], off offset:160
.LBB115_91:
	s_wait_xcnt 0x0
	s_or_b32 exec_lo, exec_lo, s0
	s_wait_storecnt 0x0
	s_barrier_signal -1
	s_barrier_wait -1
	scratch_load_b64 v[108:109], off, off offset:168
	s_mov_b32 s0, exec_lo
	s_wait_loadcnt 0x0
	ds_store_b64 v1, v[108:109]
	s_wait_dscnt 0x0
	s_barrier_signal -1
	s_barrier_wait -1
	v_cmpx_gt_u32_e32 21, v0
	s_cbranch_execz .LBB115_95
; %bb.92:
	v_mov_b64_e32 v[108:109], 0
	v_dual_add_nc_u32 v9, -1, v0 :: v_dual_mov_b32 v13, v2
	v_add_nc_u32_e32 v11, 0x1a0, v2
	s_mov_b32 s1, 0
.LBB115_93:                             ; =>This Inner Loop Header: Depth=1
	scratch_load_b64 v[110:111], v13, off
	ds_load_b64 v[112:113], v11
	v_dual_add_nc_u32 v9, 1, v9 :: v_dual_add_nc_u32 v11, 8, v11
	s_wait_xcnt 0x0
	v_add_nc_u32_e32 v13, 8, v13
	s_delay_alu instid0(VALU_DEP_2)
	v_cmp_lt_u32_e32 vcc_lo, 19, v9
	s_or_b32 s1, vcc_lo, s1
	s_wait_loadcnt_dscnt 0x0
	v_fmac_f64_e32 v[108:109], v[110:111], v[112:113]
	s_and_not1_b32 exec_lo, exec_lo, s1
	s_cbranch_execnz .LBB115_93
; %bb.94:
	s_or_b32 exec_lo, exec_lo, s1
	v_mov_b32_e32 v9, 0
	ds_load_b64 v[110:111], v9 offset:168
	s_wait_dscnt 0x0
	v_mul_f64_e32 v[108:109], v[108:109], v[110:111]
	scratch_store_b64 off, v[108:109], off offset:168
.LBB115_95:
	s_wait_xcnt 0x0
	s_or_b32 exec_lo, exec_lo, s0
	s_wait_storecnt 0x0
	s_barrier_signal -1
	s_barrier_wait -1
	scratch_load_b64 v[108:109], off, off offset:176
	s_mov_b32 s0, exec_lo
	s_wait_loadcnt 0x0
	ds_store_b64 v1, v[108:109]
	s_wait_dscnt 0x0
	s_barrier_signal -1
	s_barrier_wait -1
	v_cmpx_gt_u32_e32 22, v0
	s_cbranch_execz .LBB115_99
; %bb.96:
	v_mov_b64_e32 v[108:109], 0
	v_dual_add_nc_u32 v9, -1, v0 :: v_dual_mov_b32 v13, v2
	v_add_nc_u32_e32 v11, 0x1a0, v2
	s_mov_b32 s1, 0
.LBB115_97:                             ; =>This Inner Loop Header: Depth=1
	scratch_load_b64 v[110:111], v13, off
	ds_load_b64 v[112:113], v11
	v_dual_add_nc_u32 v9, 1, v9 :: v_dual_add_nc_u32 v11, 8, v11
	s_wait_xcnt 0x0
	v_add_nc_u32_e32 v13, 8, v13
	s_delay_alu instid0(VALU_DEP_2)
	v_cmp_lt_u32_e32 vcc_lo, 20, v9
	s_or_b32 s1, vcc_lo, s1
	s_wait_loadcnt_dscnt 0x0
	v_fmac_f64_e32 v[108:109], v[110:111], v[112:113]
	s_and_not1_b32 exec_lo, exec_lo, s1
	s_cbranch_execnz .LBB115_97
; %bb.98:
	s_or_b32 exec_lo, exec_lo, s1
	v_mov_b32_e32 v9, 0
	ds_load_b64 v[110:111], v9 offset:176
	s_wait_dscnt 0x0
	v_mul_f64_e32 v[108:109], v[108:109], v[110:111]
	scratch_store_b64 off, v[108:109], off offset:176
.LBB115_99:
	s_wait_xcnt 0x0
	s_or_b32 exec_lo, exec_lo, s0
	s_wait_storecnt 0x0
	s_barrier_signal -1
	s_barrier_wait -1
	scratch_load_b64 v[108:109], off, off offset:184
	s_mov_b32 s0, exec_lo
	s_wait_loadcnt 0x0
	ds_store_b64 v1, v[108:109]
	s_wait_dscnt 0x0
	s_barrier_signal -1
	s_barrier_wait -1
	v_cmpx_gt_u32_e32 23, v0
	s_cbranch_execz .LBB115_103
; %bb.100:
	v_mov_b64_e32 v[108:109], 0
	v_dual_add_nc_u32 v9, -1, v0 :: v_dual_mov_b32 v13, v2
	v_add_nc_u32_e32 v11, 0x1a0, v2
	s_mov_b32 s1, 0
.LBB115_101:                            ; =>This Inner Loop Header: Depth=1
	scratch_load_b64 v[110:111], v13, off
	ds_load_b64 v[112:113], v11
	v_dual_add_nc_u32 v9, 1, v9 :: v_dual_add_nc_u32 v11, 8, v11
	s_wait_xcnt 0x0
	v_add_nc_u32_e32 v13, 8, v13
	s_delay_alu instid0(VALU_DEP_2)
	v_cmp_lt_u32_e32 vcc_lo, 21, v9
	s_or_b32 s1, vcc_lo, s1
	s_wait_loadcnt_dscnt 0x0
	v_fmac_f64_e32 v[108:109], v[110:111], v[112:113]
	s_and_not1_b32 exec_lo, exec_lo, s1
	s_cbranch_execnz .LBB115_101
; %bb.102:
	s_or_b32 exec_lo, exec_lo, s1
	v_mov_b32_e32 v9, 0
	ds_load_b64 v[110:111], v9 offset:184
	s_wait_dscnt 0x0
	v_mul_f64_e32 v[108:109], v[108:109], v[110:111]
	scratch_store_b64 off, v[108:109], off offset:184
.LBB115_103:
	s_wait_xcnt 0x0
	s_or_b32 exec_lo, exec_lo, s0
	s_wait_storecnt 0x0
	s_barrier_signal -1
	s_barrier_wait -1
	scratch_load_b64 v[108:109], off, off offset:192
	s_mov_b32 s0, exec_lo
	s_wait_loadcnt 0x0
	ds_store_b64 v1, v[108:109]
	s_wait_dscnt 0x0
	s_barrier_signal -1
	s_barrier_wait -1
	v_cmpx_gt_u32_e32 24, v0
	s_cbranch_execz .LBB115_107
; %bb.104:
	v_mov_b64_e32 v[108:109], 0
	v_dual_add_nc_u32 v9, -1, v0 :: v_dual_mov_b32 v13, v2
	v_add_nc_u32_e32 v11, 0x1a0, v2
	s_mov_b32 s1, 0
.LBB115_105:                            ; =>This Inner Loop Header: Depth=1
	scratch_load_b64 v[110:111], v13, off
	ds_load_b64 v[112:113], v11
	v_dual_add_nc_u32 v9, 1, v9 :: v_dual_add_nc_u32 v11, 8, v11
	s_wait_xcnt 0x0
	v_add_nc_u32_e32 v13, 8, v13
	s_delay_alu instid0(VALU_DEP_2)
	v_cmp_lt_u32_e32 vcc_lo, 22, v9
	s_or_b32 s1, vcc_lo, s1
	s_wait_loadcnt_dscnt 0x0
	v_fmac_f64_e32 v[108:109], v[110:111], v[112:113]
	s_and_not1_b32 exec_lo, exec_lo, s1
	s_cbranch_execnz .LBB115_105
; %bb.106:
	s_or_b32 exec_lo, exec_lo, s1
	v_mov_b32_e32 v9, 0
	ds_load_b64 v[110:111], v9 offset:192
	s_wait_dscnt 0x0
	v_mul_f64_e32 v[108:109], v[108:109], v[110:111]
	scratch_store_b64 off, v[108:109], off offset:192
.LBB115_107:
	s_wait_xcnt 0x0
	s_or_b32 exec_lo, exec_lo, s0
	s_wait_storecnt 0x0
	s_barrier_signal -1
	s_barrier_wait -1
	scratch_load_b64 v[108:109], off, off offset:200
	s_mov_b32 s0, exec_lo
	s_wait_loadcnt 0x0
	ds_store_b64 v1, v[108:109]
	s_wait_dscnt 0x0
	s_barrier_signal -1
	s_barrier_wait -1
	v_cmpx_gt_u32_e32 25, v0
	s_cbranch_execz .LBB115_111
; %bb.108:
	v_mov_b64_e32 v[108:109], 0
	v_dual_add_nc_u32 v9, -1, v0 :: v_dual_mov_b32 v13, v2
	v_add_nc_u32_e32 v11, 0x1a0, v2
	s_mov_b32 s1, 0
.LBB115_109:                            ; =>This Inner Loop Header: Depth=1
	scratch_load_b64 v[110:111], v13, off
	ds_load_b64 v[112:113], v11
	v_dual_add_nc_u32 v9, 1, v9 :: v_dual_add_nc_u32 v11, 8, v11
	s_wait_xcnt 0x0
	v_add_nc_u32_e32 v13, 8, v13
	s_delay_alu instid0(VALU_DEP_2)
	v_cmp_lt_u32_e32 vcc_lo, 23, v9
	s_or_b32 s1, vcc_lo, s1
	s_wait_loadcnt_dscnt 0x0
	v_fmac_f64_e32 v[108:109], v[110:111], v[112:113]
	s_and_not1_b32 exec_lo, exec_lo, s1
	s_cbranch_execnz .LBB115_109
; %bb.110:
	s_or_b32 exec_lo, exec_lo, s1
	v_mov_b32_e32 v9, 0
	ds_load_b64 v[110:111], v9 offset:200
	s_wait_dscnt 0x0
	v_mul_f64_e32 v[108:109], v[108:109], v[110:111]
	scratch_store_b64 off, v[108:109], off offset:200
.LBB115_111:
	s_wait_xcnt 0x0
	s_or_b32 exec_lo, exec_lo, s0
	s_wait_storecnt 0x0
	s_barrier_signal -1
	s_barrier_wait -1
	scratch_load_b64 v[108:109], off, off offset:208
	s_mov_b32 s0, exec_lo
	s_wait_loadcnt 0x0
	ds_store_b64 v1, v[108:109]
	s_wait_dscnt 0x0
	s_barrier_signal -1
	s_barrier_wait -1
	v_cmpx_gt_u32_e32 26, v0
	s_cbranch_execz .LBB115_115
; %bb.112:
	v_mov_b64_e32 v[108:109], 0
	v_dual_add_nc_u32 v9, -1, v0 :: v_dual_mov_b32 v13, v2
	v_add_nc_u32_e32 v11, 0x1a0, v2
	s_mov_b32 s1, 0
.LBB115_113:                            ; =>This Inner Loop Header: Depth=1
	scratch_load_b64 v[110:111], v13, off
	ds_load_b64 v[112:113], v11
	v_dual_add_nc_u32 v9, 1, v9 :: v_dual_add_nc_u32 v11, 8, v11
	s_wait_xcnt 0x0
	v_add_nc_u32_e32 v13, 8, v13
	s_delay_alu instid0(VALU_DEP_2)
	v_cmp_lt_u32_e32 vcc_lo, 24, v9
	s_or_b32 s1, vcc_lo, s1
	s_wait_loadcnt_dscnt 0x0
	v_fmac_f64_e32 v[108:109], v[110:111], v[112:113]
	s_and_not1_b32 exec_lo, exec_lo, s1
	s_cbranch_execnz .LBB115_113
; %bb.114:
	s_or_b32 exec_lo, exec_lo, s1
	v_mov_b32_e32 v9, 0
	ds_load_b64 v[110:111], v9 offset:208
	s_wait_dscnt 0x0
	v_mul_f64_e32 v[108:109], v[108:109], v[110:111]
	scratch_store_b64 off, v[108:109], off offset:208
.LBB115_115:
	s_wait_xcnt 0x0
	s_or_b32 exec_lo, exec_lo, s0
	s_wait_storecnt 0x0
	s_barrier_signal -1
	s_barrier_wait -1
	scratch_load_b64 v[108:109], off, off offset:216
	s_mov_b32 s0, exec_lo
	s_wait_loadcnt 0x0
	ds_store_b64 v1, v[108:109]
	s_wait_dscnt 0x0
	s_barrier_signal -1
	s_barrier_wait -1
	v_cmpx_gt_u32_e32 27, v0
	s_cbranch_execz .LBB115_119
; %bb.116:
	v_mov_b64_e32 v[108:109], 0
	v_dual_add_nc_u32 v9, -1, v0 :: v_dual_mov_b32 v13, v2
	v_add_nc_u32_e32 v11, 0x1a0, v2
	s_mov_b32 s1, 0
.LBB115_117:                            ; =>This Inner Loop Header: Depth=1
	scratch_load_b64 v[110:111], v13, off
	ds_load_b64 v[112:113], v11
	v_dual_add_nc_u32 v9, 1, v9 :: v_dual_add_nc_u32 v11, 8, v11
	s_wait_xcnt 0x0
	v_add_nc_u32_e32 v13, 8, v13
	s_delay_alu instid0(VALU_DEP_2)
	v_cmp_lt_u32_e32 vcc_lo, 25, v9
	s_or_b32 s1, vcc_lo, s1
	s_wait_loadcnt_dscnt 0x0
	v_fmac_f64_e32 v[108:109], v[110:111], v[112:113]
	s_and_not1_b32 exec_lo, exec_lo, s1
	s_cbranch_execnz .LBB115_117
; %bb.118:
	s_or_b32 exec_lo, exec_lo, s1
	v_mov_b32_e32 v9, 0
	ds_load_b64 v[110:111], v9 offset:216
	s_wait_dscnt 0x0
	v_mul_f64_e32 v[108:109], v[108:109], v[110:111]
	scratch_store_b64 off, v[108:109], off offset:216
.LBB115_119:
	s_wait_xcnt 0x0
	s_or_b32 exec_lo, exec_lo, s0
	s_wait_storecnt 0x0
	s_barrier_signal -1
	s_barrier_wait -1
	scratch_load_b64 v[108:109], off, off offset:224
	s_mov_b32 s0, exec_lo
	s_wait_loadcnt 0x0
	ds_store_b64 v1, v[108:109]
	s_wait_dscnt 0x0
	s_barrier_signal -1
	s_barrier_wait -1
	v_cmpx_gt_u32_e32 28, v0
	s_cbranch_execz .LBB115_123
; %bb.120:
	v_mov_b64_e32 v[108:109], 0
	v_dual_add_nc_u32 v9, -1, v0 :: v_dual_mov_b32 v13, v2
	v_add_nc_u32_e32 v11, 0x1a0, v2
	s_mov_b32 s1, 0
.LBB115_121:                            ; =>This Inner Loop Header: Depth=1
	scratch_load_b64 v[110:111], v13, off
	ds_load_b64 v[112:113], v11
	v_dual_add_nc_u32 v9, 1, v9 :: v_dual_add_nc_u32 v11, 8, v11
	s_wait_xcnt 0x0
	v_add_nc_u32_e32 v13, 8, v13
	s_delay_alu instid0(VALU_DEP_2)
	v_cmp_lt_u32_e32 vcc_lo, 26, v9
	s_or_b32 s1, vcc_lo, s1
	s_wait_loadcnt_dscnt 0x0
	v_fmac_f64_e32 v[108:109], v[110:111], v[112:113]
	s_and_not1_b32 exec_lo, exec_lo, s1
	s_cbranch_execnz .LBB115_121
; %bb.122:
	s_or_b32 exec_lo, exec_lo, s1
	v_mov_b32_e32 v9, 0
	ds_load_b64 v[110:111], v9 offset:224
	s_wait_dscnt 0x0
	v_mul_f64_e32 v[108:109], v[108:109], v[110:111]
	scratch_store_b64 off, v[108:109], off offset:224
.LBB115_123:
	s_wait_xcnt 0x0
	s_or_b32 exec_lo, exec_lo, s0
	s_wait_storecnt 0x0
	s_barrier_signal -1
	s_barrier_wait -1
	scratch_load_b64 v[108:109], off, off offset:232
	s_mov_b32 s0, exec_lo
	s_wait_loadcnt 0x0
	ds_store_b64 v1, v[108:109]
	s_wait_dscnt 0x0
	s_barrier_signal -1
	s_barrier_wait -1
	v_cmpx_gt_u32_e32 29, v0
	s_cbranch_execz .LBB115_127
; %bb.124:
	v_mov_b64_e32 v[108:109], 0
	v_dual_add_nc_u32 v9, -1, v0 :: v_dual_mov_b32 v13, v2
	v_add_nc_u32_e32 v11, 0x1a0, v2
	s_mov_b32 s1, 0
.LBB115_125:                            ; =>This Inner Loop Header: Depth=1
	scratch_load_b64 v[110:111], v13, off
	ds_load_b64 v[112:113], v11
	v_dual_add_nc_u32 v9, 1, v9 :: v_dual_add_nc_u32 v11, 8, v11
	s_wait_xcnt 0x0
	v_add_nc_u32_e32 v13, 8, v13
	s_delay_alu instid0(VALU_DEP_2)
	v_cmp_lt_u32_e32 vcc_lo, 27, v9
	s_or_b32 s1, vcc_lo, s1
	s_wait_loadcnt_dscnt 0x0
	v_fmac_f64_e32 v[108:109], v[110:111], v[112:113]
	s_and_not1_b32 exec_lo, exec_lo, s1
	s_cbranch_execnz .LBB115_125
; %bb.126:
	s_or_b32 exec_lo, exec_lo, s1
	v_mov_b32_e32 v9, 0
	ds_load_b64 v[110:111], v9 offset:232
	s_wait_dscnt 0x0
	v_mul_f64_e32 v[108:109], v[108:109], v[110:111]
	scratch_store_b64 off, v[108:109], off offset:232
.LBB115_127:
	s_wait_xcnt 0x0
	s_or_b32 exec_lo, exec_lo, s0
	s_wait_storecnt 0x0
	s_barrier_signal -1
	s_barrier_wait -1
	scratch_load_b64 v[108:109], off, off offset:240
	s_mov_b32 s0, exec_lo
	s_wait_loadcnt 0x0
	ds_store_b64 v1, v[108:109]
	s_wait_dscnt 0x0
	s_barrier_signal -1
	s_barrier_wait -1
	v_cmpx_gt_u32_e32 30, v0
	s_cbranch_execz .LBB115_131
; %bb.128:
	v_mov_b64_e32 v[108:109], 0
	v_dual_add_nc_u32 v9, -1, v0 :: v_dual_mov_b32 v13, v2
	v_add_nc_u32_e32 v11, 0x1a0, v2
	s_mov_b32 s1, 0
.LBB115_129:                            ; =>This Inner Loop Header: Depth=1
	scratch_load_b64 v[110:111], v13, off
	ds_load_b64 v[112:113], v11
	v_dual_add_nc_u32 v9, 1, v9 :: v_dual_add_nc_u32 v11, 8, v11
	s_wait_xcnt 0x0
	v_add_nc_u32_e32 v13, 8, v13
	s_delay_alu instid0(VALU_DEP_2)
	v_cmp_lt_u32_e32 vcc_lo, 28, v9
	s_or_b32 s1, vcc_lo, s1
	s_wait_loadcnt_dscnt 0x0
	v_fmac_f64_e32 v[108:109], v[110:111], v[112:113]
	s_and_not1_b32 exec_lo, exec_lo, s1
	s_cbranch_execnz .LBB115_129
; %bb.130:
	s_or_b32 exec_lo, exec_lo, s1
	v_mov_b32_e32 v9, 0
	ds_load_b64 v[110:111], v9 offset:240
	s_wait_dscnt 0x0
	v_mul_f64_e32 v[108:109], v[108:109], v[110:111]
	scratch_store_b64 off, v[108:109], off offset:240
.LBB115_131:
	s_wait_xcnt 0x0
	s_or_b32 exec_lo, exec_lo, s0
	s_wait_storecnt 0x0
	s_barrier_signal -1
	s_barrier_wait -1
	scratch_load_b64 v[108:109], off, off offset:248
	s_mov_b32 s0, exec_lo
	s_wait_loadcnt 0x0
	ds_store_b64 v1, v[108:109]
	s_wait_dscnt 0x0
	s_barrier_signal -1
	s_barrier_wait -1
	v_cmpx_gt_u32_e32 31, v0
	s_cbranch_execz .LBB115_135
; %bb.132:
	v_mov_b64_e32 v[108:109], 0
	v_dual_add_nc_u32 v9, -1, v0 :: v_dual_mov_b32 v13, v2
	v_add_nc_u32_e32 v11, 0x1a0, v2
	s_mov_b32 s1, 0
.LBB115_133:                            ; =>This Inner Loop Header: Depth=1
	scratch_load_b64 v[110:111], v13, off
	ds_load_b64 v[112:113], v11
	v_dual_add_nc_u32 v9, 1, v9 :: v_dual_add_nc_u32 v11, 8, v11
	s_wait_xcnt 0x0
	v_add_nc_u32_e32 v13, 8, v13
	s_delay_alu instid0(VALU_DEP_2)
	v_cmp_lt_u32_e32 vcc_lo, 29, v9
	s_or_b32 s1, vcc_lo, s1
	s_wait_loadcnt_dscnt 0x0
	v_fmac_f64_e32 v[108:109], v[110:111], v[112:113]
	s_and_not1_b32 exec_lo, exec_lo, s1
	s_cbranch_execnz .LBB115_133
; %bb.134:
	s_or_b32 exec_lo, exec_lo, s1
	v_mov_b32_e32 v9, 0
	ds_load_b64 v[110:111], v9 offset:248
	s_wait_dscnt 0x0
	v_mul_f64_e32 v[108:109], v[108:109], v[110:111]
	scratch_store_b64 off, v[108:109], off offset:248
.LBB115_135:
	s_wait_xcnt 0x0
	s_or_b32 exec_lo, exec_lo, s0
	s_wait_storecnt 0x0
	s_barrier_signal -1
	s_barrier_wait -1
	scratch_load_b64 v[108:109], off, off offset:256
	s_mov_b32 s0, exec_lo
	s_wait_loadcnt 0x0
	ds_store_b64 v1, v[108:109]
	s_wait_dscnt 0x0
	s_barrier_signal -1
	s_barrier_wait -1
	v_cmpx_gt_u32_e32 32, v0
	s_cbranch_execz .LBB115_139
; %bb.136:
	v_mov_b64_e32 v[108:109], 0
	v_dual_add_nc_u32 v9, -1, v0 :: v_dual_mov_b32 v13, v2
	v_add_nc_u32_e32 v11, 0x1a0, v2
	s_mov_b32 s1, 0
.LBB115_137:                            ; =>This Inner Loop Header: Depth=1
	scratch_load_b64 v[110:111], v13, off
	ds_load_b64 v[112:113], v11
	v_dual_add_nc_u32 v9, 1, v9 :: v_dual_add_nc_u32 v11, 8, v11
	s_wait_xcnt 0x0
	v_add_nc_u32_e32 v13, 8, v13
	s_delay_alu instid0(VALU_DEP_2)
	v_cmp_lt_u32_e32 vcc_lo, 30, v9
	s_or_b32 s1, vcc_lo, s1
	s_wait_loadcnt_dscnt 0x0
	v_fmac_f64_e32 v[108:109], v[110:111], v[112:113]
	s_and_not1_b32 exec_lo, exec_lo, s1
	s_cbranch_execnz .LBB115_137
; %bb.138:
	s_or_b32 exec_lo, exec_lo, s1
	v_mov_b32_e32 v9, 0
	ds_load_b64 v[110:111], v9 offset:256
	s_wait_dscnt 0x0
	v_mul_f64_e32 v[108:109], v[108:109], v[110:111]
	scratch_store_b64 off, v[108:109], off offset:256
.LBB115_139:
	s_wait_xcnt 0x0
	s_or_b32 exec_lo, exec_lo, s0
	s_wait_storecnt 0x0
	s_barrier_signal -1
	s_barrier_wait -1
	scratch_load_b64 v[108:109], off, off offset:264
	s_mov_b32 s0, exec_lo
	s_wait_loadcnt 0x0
	ds_store_b64 v1, v[108:109]
	s_wait_dscnt 0x0
	s_barrier_signal -1
	s_barrier_wait -1
	v_cmpx_gt_u32_e32 33, v0
	s_cbranch_execz .LBB115_143
; %bb.140:
	v_mov_b64_e32 v[108:109], 0
	v_dual_add_nc_u32 v9, -1, v0 :: v_dual_mov_b32 v13, v2
	v_add_nc_u32_e32 v11, 0x1a0, v2
	s_mov_b32 s1, 0
.LBB115_141:                            ; =>This Inner Loop Header: Depth=1
	scratch_load_b64 v[110:111], v13, off
	ds_load_b64 v[112:113], v11
	v_dual_add_nc_u32 v9, 1, v9 :: v_dual_add_nc_u32 v11, 8, v11
	s_wait_xcnt 0x0
	v_add_nc_u32_e32 v13, 8, v13
	s_delay_alu instid0(VALU_DEP_2)
	v_cmp_lt_u32_e32 vcc_lo, 31, v9
	s_or_b32 s1, vcc_lo, s1
	s_wait_loadcnt_dscnt 0x0
	v_fmac_f64_e32 v[108:109], v[110:111], v[112:113]
	s_and_not1_b32 exec_lo, exec_lo, s1
	s_cbranch_execnz .LBB115_141
; %bb.142:
	s_or_b32 exec_lo, exec_lo, s1
	v_mov_b32_e32 v9, 0
	ds_load_b64 v[110:111], v9 offset:264
	s_wait_dscnt 0x0
	v_mul_f64_e32 v[108:109], v[108:109], v[110:111]
	scratch_store_b64 off, v[108:109], off offset:264
.LBB115_143:
	s_wait_xcnt 0x0
	s_or_b32 exec_lo, exec_lo, s0
	s_wait_storecnt 0x0
	s_barrier_signal -1
	s_barrier_wait -1
	scratch_load_b64 v[108:109], off, off offset:272
	s_mov_b32 s0, exec_lo
	s_wait_loadcnt 0x0
	ds_store_b64 v1, v[108:109]
	s_wait_dscnt 0x0
	s_barrier_signal -1
	s_barrier_wait -1
	v_cmpx_gt_u32_e32 34, v0
	s_cbranch_execz .LBB115_147
; %bb.144:
	v_mov_b64_e32 v[108:109], 0
	v_dual_add_nc_u32 v9, -1, v0 :: v_dual_mov_b32 v13, v2
	v_add_nc_u32_e32 v11, 0x1a0, v2
	s_mov_b32 s1, 0
.LBB115_145:                            ; =>This Inner Loop Header: Depth=1
	scratch_load_b64 v[110:111], v13, off
	ds_load_b64 v[112:113], v11
	v_dual_add_nc_u32 v9, 1, v9 :: v_dual_add_nc_u32 v11, 8, v11
	s_wait_xcnt 0x0
	v_add_nc_u32_e32 v13, 8, v13
	s_delay_alu instid0(VALU_DEP_2)
	v_cmp_lt_u32_e32 vcc_lo, 32, v9
	s_or_b32 s1, vcc_lo, s1
	s_wait_loadcnt_dscnt 0x0
	v_fmac_f64_e32 v[108:109], v[110:111], v[112:113]
	s_and_not1_b32 exec_lo, exec_lo, s1
	s_cbranch_execnz .LBB115_145
; %bb.146:
	s_or_b32 exec_lo, exec_lo, s1
	v_mov_b32_e32 v9, 0
	ds_load_b64 v[110:111], v9 offset:272
	s_wait_dscnt 0x0
	v_mul_f64_e32 v[108:109], v[108:109], v[110:111]
	scratch_store_b64 off, v[108:109], off offset:272
.LBB115_147:
	s_wait_xcnt 0x0
	s_or_b32 exec_lo, exec_lo, s0
	s_wait_storecnt 0x0
	s_barrier_signal -1
	s_barrier_wait -1
	scratch_load_b64 v[108:109], off, off offset:280
	s_mov_b32 s0, exec_lo
	s_wait_loadcnt 0x0
	ds_store_b64 v1, v[108:109]
	s_wait_dscnt 0x0
	s_barrier_signal -1
	s_barrier_wait -1
	v_cmpx_gt_u32_e32 35, v0
	s_cbranch_execz .LBB115_151
; %bb.148:
	v_mov_b64_e32 v[108:109], 0
	v_dual_add_nc_u32 v9, -1, v0 :: v_dual_mov_b32 v13, v2
	v_add_nc_u32_e32 v11, 0x1a0, v2
	s_mov_b32 s1, 0
.LBB115_149:                            ; =>This Inner Loop Header: Depth=1
	scratch_load_b64 v[110:111], v13, off
	ds_load_b64 v[112:113], v11
	v_dual_add_nc_u32 v9, 1, v9 :: v_dual_add_nc_u32 v11, 8, v11
	s_wait_xcnt 0x0
	v_add_nc_u32_e32 v13, 8, v13
	s_delay_alu instid0(VALU_DEP_2)
	v_cmp_lt_u32_e32 vcc_lo, 33, v9
	s_or_b32 s1, vcc_lo, s1
	s_wait_loadcnt_dscnt 0x0
	v_fmac_f64_e32 v[108:109], v[110:111], v[112:113]
	s_and_not1_b32 exec_lo, exec_lo, s1
	s_cbranch_execnz .LBB115_149
; %bb.150:
	s_or_b32 exec_lo, exec_lo, s1
	v_mov_b32_e32 v9, 0
	ds_load_b64 v[110:111], v9 offset:280
	s_wait_dscnt 0x0
	v_mul_f64_e32 v[108:109], v[108:109], v[110:111]
	scratch_store_b64 off, v[108:109], off offset:280
.LBB115_151:
	s_wait_xcnt 0x0
	s_or_b32 exec_lo, exec_lo, s0
	s_wait_storecnt 0x0
	s_barrier_signal -1
	s_barrier_wait -1
	scratch_load_b64 v[108:109], off, off offset:288
	s_mov_b32 s0, exec_lo
	s_wait_loadcnt 0x0
	ds_store_b64 v1, v[108:109]
	s_wait_dscnt 0x0
	s_barrier_signal -1
	s_barrier_wait -1
	v_cmpx_gt_u32_e32 36, v0
	s_cbranch_execz .LBB115_155
; %bb.152:
	v_mov_b64_e32 v[108:109], 0
	v_dual_add_nc_u32 v9, -1, v0 :: v_dual_mov_b32 v13, v2
	v_add_nc_u32_e32 v11, 0x1a0, v2
	s_mov_b32 s1, 0
.LBB115_153:                            ; =>This Inner Loop Header: Depth=1
	scratch_load_b64 v[110:111], v13, off
	ds_load_b64 v[112:113], v11
	v_dual_add_nc_u32 v9, 1, v9 :: v_dual_add_nc_u32 v11, 8, v11
	s_wait_xcnt 0x0
	v_add_nc_u32_e32 v13, 8, v13
	s_delay_alu instid0(VALU_DEP_2)
	v_cmp_lt_u32_e32 vcc_lo, 34, v9
	s_or_b32 s1, vcc_lo, s1
	s_wait_loadcnt_dscnt 0x0
	v_fmac_f64_e32 v[108:109], v[110:111], v[112:113]
	s_and_not1_b32 exec_lo, exec_lo, s1
	s_cbranch_execnz .LBB115_153
; %bb.154:
	s_or_b32 exec_lo, exec_lo, s1
	v_mov_b32_e32 v9, 0
	ds_load_b64 v[110:111], v9 offset:288
	s_wait_dscnt 0x0
	v_mul_f64_e32 v[108:109], v[108:109], v[110:111]
	scratch_store_b64 off, v[108:109], off offset:288
.LBB115_155:
	s_wait_xcnt 0x0
	s_or_b32 exec_lo, exec_lo, s0
	s_wait_storecnt 0x0
	s_barrier_signal -1
	s_barrier_wait -1
	scratch_load_b64 v[108:109], off, off offset:296
	s_mov_b32 s0, exec_lo
	s_wait_loadcnt 0x0
	ds_store_b64 v1, v[108:109]
	s_wait_dscnt 0x0
	s_barrier_signal -1
	s_barrier_wait -1
	v_cmpx_gt_u32_e32 37, v0
	s_cbranch_execz .LBB115_159
; %bb.156:
	v_mov_b64_e32 v[108:109], 0
	v_dual_add_nc_u32 v9, -1, v0 :: v_dual_mov_b32 v13, v2
	v_add_nc_u32_e32 v11, 0x1a0, v2
	s_mov_b32 s1, 0
.LBB115_157:                            ; =>This Inner Loop Header: Depth=1
	scratch_load_b64 v[110:111], v13, off
	ds_load_b64 v[112:113], v11
	v_dual_add_nc_u32 v9, 1, v9 :: v_dual_add_nc_u32 v11, 8, v11
	s_wait_xcnt 0x0
	v_add_nc_u32_e32 v13, 8, v13
	s_delay_alu instid0(VALU_DEP_2)
	v_cmp_lt_u32_e32 vcc_lo, 35, v9
	s_or_b32 s1, vcc_lo, s1
	s_wait_loadcnt_dscnt 0x0
	v_fmac_f64_e32 v[108:109], v[110:111], v[112:113]
	s_and_not1_b32 exec_lo, exec_lo, s1
	s_cbranch_execnz .LBB115_157
; %bb.158:
	s_or_b32 exec_lo, exec_lo, s1
	v_mov_b32_e32 v9, 0
	ds_load_b64 v[110:111], v9 offset:296
	s_wait_dscnt 0x0
	v_mul_f64_e32 v[108:109], v[108:109], v[110:111]
	scratch_store_b64 off, v[108:109], off offset:296
.LBB115_159:
	s_wait_xcnt 0x0
	s_or_b32 exec_lo, exec_lo, s0
	s_wait_storecnt 0x0
	s_barrier_signal -1
	s_barrier_wait -1
	scratch_load_b64 v[108:109], off, off offset:304
	s_mov_b32 s0, exec_lo
	s_wait_loadcnt 0x0
	ds_store_b64 v1, v[108:109]
	s_wait_dscnt 0x0
	s_barrier_signal -1
	s_barrier_wait -1
	v_cmpx_gt_u32_e32 38, v0
	s_cbranch_execz .LBB115_163
; %bb.160:
	v_mov_b64_e32 v[108:109], 0
	v_dual_add_nc_u32 v9, -1, v0 :: v_dual_mov_b32 v13, v2
	v_add_nc_u32_e32 v11, 0x1a0, v2
	s_mov_b32 s1, 0
.LBB115_161:                            ; =>This Inner Loop Header: Depth=1
	scratch_load_b64 v[110:111], v13, off
	ds_load_b64 v[112:113], v11
	v_dual_add_nc_u32 v9, 1, v9 :: v_dual_add_nc_u32 v11, 8, v11
	s_wait_xcnt 0x0
	v_add_nc_u32_e32 v13, 8, v13
	s_delay_alu instid0(VALU_DEP_2)
	v_cmp_lt_u32_e32 vcc_lo, 36, v9
	s_or_b32 s1, vcc_lo, s1
	s_wait_loadcnt_dscnt 0x0
	v_fmac_f64_e32 v[108:109], v[110:111], v[112:113]
	s_and_not1_b32 exec_lo, exec_lo, s1
	s_cbranch_execnz .LBB115_161
; %bb.162:
	s_or_b32 exec_lo, exec_lo, s1
	v_mov_b32_e32 v9, 0
	ds_load_b64 v[110:111], v9 offset:304
	s_wait_dscnt 0x0
	v_mul_f64_e32 v[108:109], v[108:109], v[110:111]
	scratch_store_b64 off, v[108:109], off offset:304
.LBB115_163:
	s_wait_xcnt 0x0
	s_or_b32 exec_lo, exec_lo, s0
	s_wait_storecnt 0x0
	s_barrier_signal -1
	s_barrier_wait -1
	scratch_load_b64 v[108:109], off, off offset:312
	s_mov_b32 s0, exec_lo
	s_wait_loadcnt 0x0
	ds_store_b64 v1, v[108:109]
	s_wait_dscnt 0x0
	s_barrier_signal -1
	s_barrier_wait -1
	v_cmpx_gt_u32_e32 39, v0
	s_cbranch_execz .LBB115_167
; %bb.164:
	v_mov_b64_e32 v[108:109], 0
	v_dual_add_nc_u32 v9, -1, v0 :: v_dual_mov_b32 v13, v2
	v_add_nc_u32_e32 v11, 0x1a0, v2
	s_mov_b32 s1, 0
.LBB115_165:                            ; =>This Inner Loop Header: Depth=1
	scratch_load_b64 v[110:111], v13, off
	ds_load_b64 v[112:113], v11
	v_dual_add_nc_u32 v9, 1, v9 :: v_dual_add_nc_u32 v11, 8, v11
	s_wait_xcnt 0x0
	v_add_nc_u32_e32 v13, 8, v13
	s_delay_alu instid0(VALU_DEP_2)
	v_cmp_lt_u32_e32 vcc_lo, 37, v9
	s_or_b32 s1, vcc_lo, s1
	s_wait_loadcnt_dscnt 0x0
	v_fmac_f64_e32 v[108:109], v[110:111], v[112:113]
	s_and_not1_b32 exec_lo, exec_lo, s1
	s_cbranch_execnz .LBB115_165
; %bb.166:
	s_or_b32 exec_lo, exec_lo, s1
	v_mov_b32_e32 v9, 0
	ds_load_b64 v[110:111], v9 offset:312
	s_wait_dscnt 0x0
	v_mul_f64_e32 v[108:109], v[108:109], v[110:111]
	scratch_store_b64 off, v[108:109], off offset:312
.LBB115_167:
	s_wait_xcnt 0x0
	s_or_b32 exec_lo, exec_lo, s0
	s_wait_storecnt 0x0
	s_barrier_signal -1
	s_barrier_wait -1
	scratch_load_b64 v[108:109], off, off offset:320
	s_mov_b32 s0, exec_lo
	s_wait_loadcnt 0x0
	ds_store_b64 v1, v[108:109]
	s_wait_dscnt 0x0
	s_barrier_signal -1
	s_barrier_wait -1
	v_cmpx_gt_u32_e32 40, v0
	s_cbranch_execz .LBB115_171
; %bb.168:
	v_mov_b64_e32 v[108:109], 0
	v_dual_add_nc_u32 v9, -1, v0 :: v_dual_mov_b32 v13, v2
	v_add_nc_u32_e32 v11, 0x1a0, v2
	s_mov_b32 s1, 0
.LBB115_169:                            ; =>This Inner Loop Header: Depth=1
	scratch_load_b64 v[110:111], v13, off
	ds_load_b64 v[112:113], v11
	v_dual_add_nc_u32 v9, 1, v9 :: v_dual_add_nc_u32 v11, 8, v11
	s_wait_xcnt 0x0
	v_add_nc_u32_e32 v13, 8, v13
	s_delay_alu instid0(VALU_DEP_2)
	v_cmp_lt_u32_e32 vcc_lo, 38, v9
	s_or_b32 s1, vcc_lo, s1
	s_wait_loadcnt_dscnt 0x0
	v_fmac_f64_e32 v[108:109], v[110:111], v[112:113]
	s_and_not1_b32 exec_lo, exec_lo, s1
	s_cbranch_execnz .LBB115_169
; %bb.170:
	s_or_b32 exec_lo, exec_lo, s1
	v_mov_b32_e32 v9, 0
	ds_load_b64 v[110:111], v9 offset:320
	s_wait_dscnt 0x0
	v_mul_f64_e32 v[108:109], v[108:109], v[110:111]
	scratch_store_b64 off, v[108:109], off offset:320
.LBB115_171:
	s_wait_xcnt 0x0
	s_or_b32 exec_lo, exec_lo, s0
	s_wait_storecnt 0x0
	s_barrier_signal -1
	s_barrier_wait -1
	scratch_load_b64 v[108:109], off, off offset:328
	s_mov_b32 s0, exec_lo
	s_wait_loadcnt 0x0
	ds_store_b64 v1, v[108:109]
	s_wait_dscnt 0x0
	s_barrier_signal -1
	s_barrier_wait -1
	v_cmpx_gt_u32_e32 41, v0
	s_cbranch_execz .LBB115_175
; %bb.172:
	v_mov_b64_e32 v[108:109], 0
	v_dual_add_nc_u32 v9, -1, v0 :: v_dual_mov_b32 v13, v2
	v_add_nc_u32_e32 v11, 0x1a0, v2
	s_mov_b32 s1, 0
.LBB115_173:                            ; =>This Inner Loop Header: Depth=1
	scratch_load_b64 v[110:111], v13, off
	ds_load_b64 v[112:113], v11
	v_dual_add_nc_u32 v9, 1, v9 :: v_dual_add_nc_u32 v11, 8, v11
	s_wait_xcnt 0x0
	v_add_nc_u32_e32 v13, 8, v13
	s_delay_alu instid0(VALU_DEP_2)
	v_cmp_lt_u32_e32 vcc_lo, 39, v9
	s_or_b32 s1, vcc_lo, s1
	s_wait_loadcnt_dscnt 0x0
	v_fmac_f64_e32 v[108:109], v[110:111], v[112:113]
	s_and_not1_b32 exec_lo, exec_lo, s1
	s_cbranch_execnz .LBB115_173
; %bb.174:
	s_or_b32 exec_lo, exec_lo, s1
	v_mov_b32_e32 v9, 0
	ds_load_b64 v[110:111], v9 offset:328
	s_wait_dscnt 0x0
	v_mul_f64_e32 v[108:109], v[108:109], v[110:111]
	scratch_store_b64 off, v[108:109], off offset:328
.LBB115_175:
	s_wait_xcnt 0x0
	s_or_b32 exec_lo, exec_lo, s0
	s_wait_storecnt 0x0
	s_barrier_signal -1
	s_barrier_wait -1
	scratch_load_b64 v[108:109], off, off offset:336
	s_mov_b32 s0, exec_lo
	s_wait_loadcnt 0x0
	ds_store_b64 v1, v[108:109]
	s_wait_dscnt 0x0
	s_barrier_signal -1
	s_barrier_wait -1
	v_cmpx_gt_u32_e32 42, v0
	s_cbranch_execz .LBB115_179
; %bb.176:
	v_mov_b64_e32 v[108:109], 0
	v_dual_add_nc_u32 v9, -1, v0 :: v_dual_mov_b32 v13, v2
	v_add_nc_u32_e32 v11, 0x1a0, v2
	s_mov_b32 s1, 0
.LBB115_177:                            ; =>This Inner Loop Header: Depth=1
	scratch_load_b64 v[110:111], v13, off
	ds_load_b64 v[112:113], v11
	v_dual_add_nc_u32 v9, 1, v9 :: v_dual_add_nc_u32 v11, 8, v11
	s_wait_xcnt 0x0
	v_add_nc_u32_e32 v13, 8, v13
	s_delay_alu instid0(VALU_DEP_2)
	v_cmp_lt_u32_e32 vcc_lo, 40, v9
	s_or_b32 s1, vcc_lo, s1
	s_wait_loadcnt_dscnt 0x0
	v_fmac_f64_e32 v[108:109], v[110:111], v[112:113]
	s_and_not1_b32 exec_lo, exec_lo, s1
	s_cbranch_execnz .LBB115_177
; %bb.178:
	s_or_b32 exec_lo, exec_lo, s1
	v_mov_b32_e32 v9, 0
	ds_load_b64 v[110:111], v9 offset:336
	s_wait_dscnt 0x0
	v_mul_f64_e32 v[108:109], v[108:109], v[110:111]
	scratch_store_b64 off, v[108:109], off offset:336
.LBB115_179:
	s_wait_xcnt 0x0
	s_or_b32 exec_lo, exec_lo, s0
	s_wait_storecnt 0x0
	s_barrier_signal -1
	s_barrier_wait -1
	scratch_load_b64 v[108:109], off, off offset:344
	s_mov_b32 s0, exec_lo
	s_wait_loadcnt 0x0
	ds_store_b64 v1, v[108:109]
	s_wait_dscnt 0x0
	s_barrier_signal -1
	s_barrier_wait -1
	v_cmpx_gt_u32_e32 43, v0
	s_cbranch_execz .LBB115_183
; %bb.180:
	v_mov_b64_e32 v[108:109], 0
	v_dual_add_nc_u32 v9, -1, v0 :: v_dual_mov_b32 v13, v2
	v_add_nc_u32_e32 v11, 0x1a0, v2
	s_mov_b32 s1, 0
.LBB115_181:                            ; =>This Inner Loop Header: Depth=1
	scratch_load_b64 v[110:111], v13, off
	ds_load_b64 v[112:113], v11
	v_dual_add_nc_u32 v9, 1, v9 :: v_dual_add_nc_u32 v11, 8, v11
	s_wait_xcnt 0x0
	v_add_nc_u32_e32 v13, 8, v13
	s_delay_alu instid0(VALU_DEP_2)
	v_cmp_lt_u32_e32 vcc_lo, 41, v9
	s_or_b32 s1, vcc_lo, s1
	s_wait_loadcnt_dscnt 0x0
	v_fmac_f64_e32 v[108:109], v[110:111], v[112:113]
	s_and_not1_b32 exec_lo, exec_lo, s1
	s_cbranch_execnz .LBB115_181
; %bb.182:
	s_or_b32 exec_lo, exec_lo, s1
	v_mov_b32_e32 v9, 0
	ds_load_b64 v[110:111], v9 offset:344
	s_wait_dscnt 0x0
	v_mul_f64_e32 v[108:109], v[108:109], v[110:111]
	scratch_store_b64 off, v[108:109], off offset:344
.LBB115_183:
	s_wait_xcnt 0x0
	s_or_b32 exec_lo, exec_lo, s0
	s_wait_storecnt 0x0
	s_barrier_signal -1
	s_barrier_wait -1
	scratch_load_b64 v[108:109], off, off offset:352
	s_mov_b32 s0, exec_lo
	s_wait_loadcnt 0x0
	ds_store_b64 v1, v[108:109]
	s_wait_dscnt 0x0
	s_barrier_signal -1
	s_barrier_wait -1
	v_cmpx_gt_u32_e32 44, v0
	s_cbranch_execz .LBB115_187
; %bb.184:
	v_mov_b64_e32 v[108:109], 0
	v_dual_add_nc_u32 v9, -1, v0 :: v_dual_mov_b32 v13, v2
	v_add_nc_u32_e32 v11, 0x1a0, v2
	s_mov_b32 s1, 0
.LBB115_185:                            ; =>This Inner Loop Header: Depth=1
	scratch_load_b64 v[110:111], v13, off
	ds_load_b64 v[112:113], v11
	v_dual_add_nc_u32 v9, 1, v9 :: v_dual_add_nc_u32 v11, 8, v11
	s_wait_xcnt 0x0
	v_add_nc_u32_e32 v13, 8, v13
	s_delay_alu instid0(VALU_DEP_2)
	v_cmp_lt_u32_e32 vcc_lo, 42, v9
	s_or_b32 s1, vcc_lo, s1
	s_wait_loadcnt_dscnt 0x0
	v_fmac_f64_e32 v[108:109], v[110:111], v[112:113]
	s_and_not1_b32 exec_lo, exec_lo, s1
	s_cbranch_execnz .LBB115_185
; %bb.186:
	s_or_b32 exec_lo, exec_lo, s1
	v_mov_b32_e32 v9, 0
	ds_load_b64 v[110:111], v9 offset:352
	s_wait_dscnt 0x0
	v_mul_f64_e32 v[108:109], v[108:109], v[110:111]
	scratch_store_b64 off, v[108:109], off offset:352
.LBB115_187:
	s_wait_xcnt 0x0
	s_or_b32 exec_lo, exec_lo, s0
	s_wait_storecnt 0x0
	s_barrier_signal -1
	s_barrier_wait -1
	scratch_load_b64 v[108:109], off, off offset:360
	s_mov_b32 s0, exec_lo
	s_wait_loadcnt 0x0
	ds_store_b64 v1, v[108:109]
	s_wait_dscnt 0x0
	s_barrier_signal -1
	s_barrier_wait -1
	v_cmpx_gt_u32_e32 45, v0
	s_cbranch_execz .LBB115_191
; %bb.188:
	v_mov_b64_e32 v[108:109], 0
	v_dual_add_nc_u32 v9, -1, v0 :: v_dual_mov_b32 v13, v2
	v_add_nc_u32_e32 v11, 0x1a0, v2
	s_mov_b32 s1, 0
.LBB115_189:                            ; =>This Inner Loop Header: Depth=1
	scratch_load_b64 v[110:111], v13, off
	ds_load_b64 v[112:113], v11
	v_dual_add_nc_u32 v9, 1, v9 :: v_dual_add_nc_u32 v11, 8, v11
	s_wait_xcnt 0x0
	v_add_nc_u32_e32 v13, 8, v13
	s_delay_alu instid0(VALU_DEP_2)
	v_cmp_lt_u32_e32 vcc_lo, 43, v9
	s_or_b32 s1, vcc_lo, s1
	s_wait_loadcnt_dscnt 0x0
	v_fmac_f64_e32 v[108:109], v[110:111], v[112:113]
	s_and_not1_b32 exec_lo, exec_lo, s1
	s_cbranch_execnz .LBB115_189
; %bb.190:
	s_or_b32 exec_lo, exec_lo, s1
	v_mov_b32_e32 v9, 0
	ds_load_b64 v[110:111], v9 offset:360
	s_wait_dscnt 0x0
	v_mul_f64_e32 v[108:109], v[108:109], v[110:111]
	scratch_store_b64 off, v[108:109], off offset:360
.LBB115_191:
	s_wait_xcnt 0x0
	s_or_b32 exec_lo, exec_lo, s0
	s_wait_storecnt 0x0
	s_barrier_signal -1
	s_barrier_wait -1
	scratch_load_b64 v[108:109], off, off offset:368
	s_mov_b32 s0, exec_lo
	s_wait_loadcnt 0x0
	ds_store_b64 v1, v[108:109]
	s_wait_dscnt 0x0
	s_barrier_signal -1
	s_barrier_wait -1
	v_cmpx_gt_u32_e32 46, v0
	s_cbranch_execz .LBB115_195
; %bb.192:
	v_mov_b64_e32 v[108:109], 0
	v_dual_add_nc_u32 v9, -1, v0 :: v_dual_mov_b32 v13, v2
	v_add_nc_u32_e32 v11, 0x1a0, v2
	s_mov_b32 s1, 0
.LBB115_193:                            ; =>This Inner Loop Header: Depth=1
	scratch_load_b64 v[110:111], v13, off
	ds_load_b64 v[112:113], v11
	v_dual_add_nc_u32 v9, 1, v9 :: v_dual_add_nc_u32 v11, 8, v11
	s_wait_xcnt 0x0
	v_add_nc_u32_e32 v13, 8, v13
	s_delay_alu instid0(VALU_DEP_2)
	v_cmp_lt_u32_e32 vcc_lo, 44, v9
	s_or_b32 s1, vcc_lo, s1
	s_wait_loadcnt_dscnt 0x0
	v_fmac_f64_e32 v[108:109], v[110:111], v[112:113]
	s_and_not1_b32 exec_lo, exec_lo, s1
	s_cbranch_execnz .LBB115_193
; %bb.194:
	s_or_b32 exec_lo, exec_lo, s1
	v_mov_b32_e32 v9, 0
	ds_load_b64 v[110:111], v9 offset:368
	s_wait_dscnt 0x0
	v_mul_f64_e32 v[108:109], v[108:109], v[110:111]
	scratch_store_b64 off, v[108:109], off offset:368
.LBB115_195:
	s_wait_xcnt 0x0
	s_or_b32 exec_lo, exec_lo, s0
	s_wait_storecnt 0x0
	s_barrier_signal -1
	s_barrier_wait -1
	scratch_load_b64 v[108:109], off, off offset:376
	s_mov_b32 s0, exec_lo
	s_wait_loadcnt 0x0
	ds_store_b64 v1, v[108:109]
	s_wait_dscnt 0x0
	s_barrier_signal -1
	s_barrier_wait -1
	v_cmpx_gt_u32_e32 47, v0
	s_cbranch_execz .LBB115_199
; %bb.196:
	v_mov_b64_e32 v[108:109], 0
	v_dual_add_nc_u32 v9, -1, v0 :: v_dual_mov_b32 v13, v2
	v_add_nc_u32_e32 v11, 0x1a0, v2
	s_mov_b32 s1, 0
.LBB115_197:                            ; =>This Inner Loop Header: Depth=1
	scratch_load_b64 v[110:111], v13, off
	ds_load_b64 v[112:113], v11
	v_dual_add_nc_u32 v9, 1, v9 :: v_dual_add_nc_u32 v11, 8, v11
	s_wait_xcnt 0x0
	v_add_nc_u32_e32 v13, 8, v13
	s_delay_alu instid0(VALU_DEP_2)
	v_cmp_lt_u32_e32 vcc_lo, 45, v9
	s_or_b32 s1, vcc_lo, s1
	s_wait_loadcnt_dscnt 0x0
	v_fmac_f64_e32 v[108:109], v[110:111], v[112:113]
	s_and_not1_b32 exec_lo, exec_lo, s1
	s_cbranch_execnz .LBB115_197
; %bb.198:
	s_or_b32 exec_lo, exec_lo, s1
	v_mov_b32_e32 v9, 0
	ds_load_b64 v[110:111], v9 offset:376
	s_wait_dscnt 0x0
	v_mul_f64_e32 v[108:109], v[108:109], v[110:111]
	scratch_store_b64 off, v[108:109], off offset:376
.LBB115_199:
	s_wait_xcnt 0x0
	s_or_b32 exec_lo, exec_lo, s0
	s_wait_storecnt 0x0
	s_barrier_signal -1
	s_barrier_wait -1
	scratch_load_b64 v[108:109], off, off offset:384
	s_mov_b32 s0, exec_lo
	s_wait_loadcnt 0x0
	ds_store_b64 v1, v[108:109]
	s_wait_dscnt 0x0
	s_barrier_signal -1
	s_barrier_wait -1
	v_cmpx_gt_u32_e32 48, v0
	s_cbranch_execz .LBB115_203
; %bb.200:
	v_mov_b64_e32 v[108:109], 0
	v_dual_add_nc_u32 v9, -1, v0 :: v_dual_mov_b32 v13, v2
	v_add_nc_u32_e32 v11, 0x1a0, v2
	s_mov_b32 s1, 0
.LBB115_201:                            ; =>This Inner Loop Header: Depth=1
	scratch_load_b64 v[110:111], v13, off
	ds_load_b64 v[112:113], v11
	v_dual_add_nc_u32 v9, 1, v9 :: v_dual_add_nc_u32 v11, 8, v11
	s_wait_xcnt 0x0
	v_add_nc_u32_e32 v13, 8, v13
	s_delay_alu instid0(VALU_DEP_2)
	v_cmp_lt_u32_e32 vcc_lo, 46, v9
	s_or_b32 s1, vcc_lo, s1
	s_wait_loadcnt_dscnt 0x0
	v_fmac_f64_e32 v[108:109], v[110:111], v[112:113]
	s_and_not1_b32 exec_lo, exec_lo, s1
	s_cbranch_execnz .LBB115_201
; %bb.202:
	s_or_b32 exec_lo, exec_lo, s1
	v_mov_b32_e32 v9, 0
	ds_load_b64 v[110:111], v9 offset:384
	s_wait_dscnt 0x0
	v_mul_f64_e32 v[108:109], v[108:109], v[110:111]
	scratch_store_b64 off, v[108:109], off offset:384
.LBB115_203:
	s_wait_xcnt 0x0
	s_or_b32 exec_lo, exec_lo, s0
	s_wait_storecnt 0x0
	s_barrier_signal -1
	s_barrier_wait -1
	scratch_load_b64 v[108:109], off, off offset:392
	s_mov_b32 s0, exec_lo
	s_wait_loadcnt 0x0
	ds_store_b64 v1, v[108:109]
	s_wait_dscnt 0x0
	s_barrier_signal -1
	s_barrier_wait -1
	v_cmpx_gt_u32_e32 49, v0
	s_cbranch_execz .LBB115_207
; %bb.204:
	v_mov_b64_e32 v[108:109], 0
	v_dual_add_nc_u32 v9, -1, v0 :: v_dual_mov_b32 v13, v2
	v_add_nc_u32_e32 v11, 0x1a0, v2
	s_mov_b32 s1, 0
.LBB115_205:                            ; =>This Inner Loop Header: Depth=1
	scratch_load_b64 v[110:111], v13, off
	ds_load_b64 v[112:113], v11
	v_dual_add_nc_u32 v9, 1, v9 :: v_dual_add_nc_u32 v11, 8, v11
	s_wait_xcnt 0x0
	v_add_nc_u32_e32 v13, 8, v13
	s_delay_alu instid0(VALU_DEP_2)
	v_cmp_lt_u32_e32 vcc_lo, 47, v9
	s_or_b32 s1, vcc_lo, s1
	s_wait_loadcnt_dscnt 0x0
	v_fmac_f64_e32 v[108:109], v[110:111], v[112:113]
	s_and_not1_b32 exec_lo, exec_lo, s1
	s_cbranch_execnz .LBB115_205
; %bb.206:
	s_or_b32 exec_lo, exec_lo, s1
	v_mov_b32_e32 v9, 0
	ds_load_b64 v[110:111], v9 offset:392
	s_wait_dscnt 0x0
	v_mul_f64_e32 v[108:109], v[108:109], v[110:111]
	scratch_store_b64 off, v[108:109], off offset:392
.LBB115_207:
	s_wait_xcnt 0x0
	s_or_b32 exec_lo, exec_lo, s0
	s_wait_storecnt 0x0
	s_barrier_signal -1
	s_barrier_wait -1
	scratch_load_b64 v[108:109], off, off offset:400
	s_mov_b32 s0, exec_lo
	s_wait_loadcnt 0x0
	ds_store_b64 v1, v[108:109]
	s_wait_dscnt 0x0
	s_barrier_signal -1
	s_barrier_wait -1
	v_cmpx_gt_u32_e32 50, v0
	s_cbranch_execz .LBB115_211
; %bb.208:
	v_mov_b64_e32 v[108:109], 0
	v_dual_add_nc_u32 v9, -1, v0 :: v_dual_mov_b32 v13, v2
	v_add_nc_u32_e32 v11, 0x1a0, v2
	s_mov_b32 s1, 0
.LBB115_209:                            ; =>This Inner Loop Header: Depth=1
	scratch_load_b64 v[110:111], v13, off
	ds_load_b64 v[112:113], v11
	v_dual_add_nc_u32 v9, 1, v9 :: v_dual_add_nc_u32 v11, 8, v11
	s_wait_xcnt 0x0
	v_add_nc_u32_e32 v13, 8, v13
	s_delay_alu instid0(VALU_DEP_2)
	v_cmp_lt_u32_e32 vcc_lo, 48, v9
	s_or_b32 s1, vcc_lo, s1
	s_wait_loadcnt_dscnt 0x0
	v_fmac_f64_e32 v[108:109], v[110:111], v[112:113]
	s_and_not1_b32 exec_lo, exec_lo, s1
	s_cbranch_execnz .LBB115_209
; %bb.210:
	s_or_b32 exec_lo, exec_lo, s1
	v_mov_b32_e32 v9, 0
	ds_load_b64 v[110:111], v9 offset:400
	s_wait_dscnt 0x0
	v_mul_f64_e32 v[108:109], v[108:109], v[110:111]
	scratch_store_b64 off, v[108:109], off offset:400
.LBB115_211:
	s_wait_xcnt 0x0
	s_or_b32 exec_lo, exec_lo, s0
	s_wait_storecnt 0x0
	s_barrier_signal -1
	s_barrier_wait -1
	scratch_load_b64 v[108:109], off, off offset:408
	s_mov_b32 s0, exec_lo
	s_wait_loadcnt 0x0
	ds_store_b64 v1, v[108:109]
	s_wait_dscnt 0x0
	s_barrier_signal -1
	s_barrier_wait -1
	v_cmpx_ne_u32_e32 51, v0
	s_cbranch_execz .LBB115_215
; %bb.212:
	v_mov_b64_e32 v[108:109], 0
	s_mov_b32 s1, 0
.LBB115_213:                            ; =>This Inner Loop Header: Depth=1
	scratch_load_b64 v[110:111], v2, off
	ds_load_b64 v[112:113], v1
	v_dual_add_nc_u32 v3, 1, v3 :: v_dual_add_nc_u32 v1, 8, v1
	s_wait_xcnt 0x0
	v_add_nc_u32_e32 v2, 8, v2
	s_delay_alu instid0(VALU_DEP_2)
	v_cmp_lt_u32_e32 vcc_lo, 49, v3
	s_or_b32 s1, vcc_lo, s1
	s_wait_loadcnt_dscnt 0x0
	v_fmac_f64_e32 v[108:109], v[110:111], v[112:113]
	s_and_not1_b32 exec_lo, exec_lo, s1
	s_cbranch_execnz .LBB115_213
; %bb.214:
	s_or_b32 exec_lo, exec_lo, s1
	v_mov_b32_e32 v1, 0
	ds_load_b64 v[2:3], v1 offset:408
	s_wait_dscnt 0x0
	v_mul_f64_e32 v[2:3], v[108:109], v[2:3]
	scratch_store_b64 off, v[2:3], off offset:408
.LBB115_215:
	s_wait_xcnt 0x0
	s_or_b32 exec_lo, exec_lo, s0
	s_mov_b32 s1, -1
	s_wait_storecnt 0x0
	s_barrier_signal -1
	s_barrier_wait -1
.LBB115_216:
	s_and_b32 vcc_lo, exec_lo, s1
	s_cbranch_vccz .LBB115_218
; %bb.217:
	v_mov_b32_e32 v1, 0
	s_lshl_b64 s[0:1], s[10:11], 2
	s_delay_alu instid0(SALU_CYCLE_1)
	s_add_nc_u64 s[0:1], s[6:7], s[0:1]
	global_load_b32 v1, v1, s[0:1]
	s_wait_loadcnt 0x0
	v_cmp_ne_u32_e32 vcc_lo, 0, v1
	s_cbranch_vccz .LBB115_219
.LBB115_218:
	s_sendmsg sendmsg(MSG_DEALLOC_VGPRS)
	s_endpgm
.LBB115_219:
	s_wait_xcnt 0x0
	v_lshl_add_u32 v1, v0, 3, 0x1a0
	s_mov_b32 s0, exec_lo
	v_cmpx_eq_u32_e32 51, v0
	s_cbranch_execz .LBB115_221
; %bb.220:
	scratch_load_b64 v[2:3], off, off offset:400
	v_mov_b64_e32 v[108:109], 0
	scratch_store_b64 off, v[108:109], off offset:400
	s_wait_loadcnt 0x0
	ds_store_b64 v1, v[2:3]
.LBB115_221:
	s_wait_xcnt 0x0
	s_or_b32 exec_lo, exec_lo, s0
	s_wait_storecnt_dscnt 0x0
	s_barrier_signal -1
	s_barrier_wait -1
	scratch_load_b128 v[108:111], off, off offset:400
	v_mov_b32_e32 v2, 0
	s_mov_b32 s0, exec_lo
	ds_load_b64 v[112:113], v2 offset:824
	s_wait_loadcnt_dscnt 0x0
	v_fma_f64 v[110:111], v[110:111], v[112:113], 0
	s_delay_alu instid0(VALU_DEP_1)
	v_add_f64_e64 v[108:109], v[108:109], -v[110:111]
	scratch_store_b64 off, v[108:109], off offset:400
	s_wait_xcnt 0x0
	v_cmpx_lt_u32_e32 49, v0
	s_cbranch_execz .LBB115_223
; %bb.222:
	scratch_load_b64 v[108:109], off, off offset:392
	v_mov_b64_e32 v[110:111], 0
	scratch_store_b64 off, v[110:111], off offset:392
	s_wait_loadcnt 0x0
	ds_store_b64 v1, v[108:109]
.LBB115_223:
	s_wait_xcnt 0x0
	s_or_b32 exec_lo, exec_lo, s0
	s_wait_storecnt_dscnt 0x0
	s_barrier_signal -1
	s_barrier_wait -1
	s_clause 0x1
	scratch_load_b128 v[108:111], off, off offset:392
	scratch_load_b64 v[116:117], off, off offset:408
	ds_load_b128 v[112:115], v2 offset:816
	s_mov_b32 s0, exec_lo
	s_wait_loadcnt_dscnt 0x100
	v_fma_f64 v[2:3], v[110:111], v[112:113], 0
	s_wait_loadcnt 0x0
	s_delay_alu instid0(VALU_DEP_1) | instskip(NEXT) | instid1(VALU_DEP_1)
	v_fmac_f64_e32 v[2:3], v[116:117], v[114:115]
	v_add_f64_e64 v[2:3], v[108:109], -v[2:3]
	scratch_store_b64 off, v[2:3], off offset:392
	s_wait_xcnt 0x0
	v_cmpx_lt_u32_e32 48, v0
	s_cbranch_execz .LBB115_225
; %bb.224:
	scratch_load_b64 v[2:3], off, off offset:384
	v_mov_b64_e32 v[108:109], 0
	scratch_store_b64 off, v[108:109], off offset:384
	s_wait_loadcnt 0x0
	ds_store_b64 v1, v[2:3]
.LBB115_225:
	s_wait_xcnt 0x0
	s_or_b32 exec_lo, exec_lo, s0
	s_wait_storecnt_dscnt 0x0
	s_barrier_signal -1
	s_barrier_wait -1
	s_clause 0x1
	scratch_load_b128 v[108:111], off, off offset:384
	scratch_load_b128 v[112:115], off, off offset:400
	v_mov_b32_e32 v2, 0
	ds_load_2addr_b64 v[116:119], v2 offset0:101 offset1:102
	ds_load_b64 v[120:121], v2 offset:824
	s_mov_b32 s0, exec_lo
	s_wait_loadcnt_dscnt 0x101
	v_fma_f64 v[110:111], v[110:111], v[116:117], 0
	s_wait_loadcnt 0x0
	s_delay_alu instid0(VALU_DEP_1) | instskip(SKIP_1) | instid1(VALU_DEP_1)
	v_fmac_f64_e32 v[110:111], v[112:113], v[118:119]
	s_wait_dscnt 0x0
	v_fmac_f64_e32 v[110:111], v[114:115], v[120:121]
	s_delay_alu instid0(VALU_DEP_1)
	v_add_f64_e64 v[108:109], v[108:109], -v[110:111]
	scratch_store_b64 off, v[108:109], off offset:384
	s_wait_xcnt 0x0
	v_cmpx_lt_u32_e32 47, v0
	s_cbranch_execz .LBB115_227
; %bb.226:
	scratch_load_b64 v[108:109], off, off offset:376
	v_mov_b64_e32 v[110:111], 0
	scratch_store_b64 off, v[110:111], off offset:376
	s_wait_loadcnt 0x0
	ds_store_b64 v1, v[108:109]
.LBB115_227:
	s_wait_xcnt 0x0
	s_or_b32 exec_lo, exec_lo, s0
	s_wait_storecnt_dscnt 0x0
	s_barrier_signal -1
	s_barrier_wait -1
	s_clause 0x2
	scratch_load_b128 v[108:111], off, off offset:376
	scratch_load_b128 v[112:115], off, off offset:392
	scratch_load_b64 v[124:125], off, off offset:408
	ds_load_b128 v[116:119], v2 offset:800
	ds_load_b128 v[120:123], v2 offset:816
	s_mov_b32 s0, exec_lo
	s_wait_loadcnt_dscnt 0x201
	v_fma_f64 v[2:3], v[110:111], v[116:117], 0
	s_wait_loadcnt 0x1
	s_delay_alu instid0(VALU_DEP_1) | instskip(SKIP_1) | instid1(VALU_DEP_1)
	v_fmac_f64_e32 v[2:3], v[112:113], v[118:119]
	s_wait_dscnt 0x0
	v_fmac_f64_e32 v[2:3], v[114:115], v[120:121]
	s_wait_loadcnt 0x0
	s_delay_alu instid0(VALU_DEP_1) | instskip(NEXT) | instid1(VALU_DEP_1)
	v_fmac_f64_e32 v[2:3], v[124:125], v[122:123]
	v_add_f64_e64 v[2:3], v[108:109], -v[2:3]
	scratch_store_b64 off, v[2:3], off offset:376
	s_wait_xcnt 0x0
	v_cmpx_lt_u32_e32 46, v0
	s_cbranch_execz .LBB115_229
; %bb.228:
	scratch_load_b64 v[2:3], off, off offset:368
	v_mov_b64_e32 v[108:109], 0
	scratch_store_b64 off, v[108:109], off offset:368
	s_wait_loadcnt 0x0
	ds_store_b64 v1, v[2:3]
.LBB115_229:
	s_wait_xcnt 0x0
	s_or_b32 exec_lo, exec_lo, s0
	s_wait_storecnt_dscnt 0x0
	s_barrier_signal -1
	s_barrier_wait -1
	s_clause 0x2
	scratch_load_b128 v[108:111], off, off offset:368
	scratch_load_b128 v[112:115], off, off offset:384
	;; [unrolled: 1-line block ×3, first 2 shown]
	v_mov_b32_e32 v2, 0
	ds_load_2addr_b64 v[120:123], v2 offset0:99 offset1:100
	ds_load_2addr_b64 v[124:127], v2 offset0:101 offset1:102
	s_mov_b32 s0, exec_lo
	s_wait_loadcnt_dscnt 0x201
	v_fma_f64 v[110:111], v[110:111], v[120:121], 0
	s_wait_loadcnt 0x1
	s_delay_alu instid0(VALU_DEP_1) | instskip(SKIP_4) | instid1(VALU_DEP_1)
	v_fmac_f64_e32 v[110:111], v[112:113], v[122:123]
	ds_load_b64 v[112:113], v2 offset:824
	s_wait_dscnt 0x1
	v_fmac_f64_e32 v[110:111], v[114:115], v[124:125]
	s_wait_loadcnt 0x0
	v_fmac_f64_e32 v[110:111], v[116:117], v[126:127]
	s_wait_dscnt 0x0
	s_delay_alu instid0(VALU_DEP_1) | instskip(NEXT) | instid1(VALU_DEP_1)
	v_fmac_f64_e32 v[110:111], v[118:119], v[112:113]
	v_add_f64_e64 v[108:109], v[108:109], -v[110:111]
	scratch_store_b64 off, v[108:109], off offset:368
	s_wait_xcnt 0x0
	v_cmpx_lt_u32_e32 45, v0
	s_cbranch_execz .LBB115_231
; %bb.230:
	scratch_load_b64 v[108:109], off, off offset:360
	v_mov_b64_e32 v[110:111], 0
	scratch_store_b64 off, v[110:111], off offset:360
	s_wait_loadcnt 0x0
	ds_store_b64 v1, v[108:109]
.LBB115_231:
	s_wait_xcnt 0x0
	s_or_b32 exec_lo, exec_lo, s0
	s_wait_storecnt_dscnt 0x0
	s_barrier_signal -1
	s_barrier_wait -1
	s_clause 0x3
	scratch_load_b128 v[108:111], off, off offset:360
	scratch_load_b128 v[112:115], off, off offset:376
	;; [unrolled: 1-line block ×3, first 2 shown]
	scratch_load_b64 v[128:129], off, off offset:408
	ds_load_b128 v[120:123], v2 offset:784
	ds_load_b128 v[124:127], v2 offset:800
	s_mov_b32 s0, exec_lo
	s_wait_loadcnt_dscnt 0x301
	v_fma_f64 v[120:121], v[110:111], v[120:121], 0
	s_wait_loadcnt 0x2
	s_delay_alu instid0(VALU_DEP_1) | instskip(SKIP_4) | instid1(VALU_DEP_1)
	v_fmac_f64_e32 v[120:121], v[112:113], v[122:123]
	ds_load_b128 v[110:113], v2 offset:816
	s_wait_dscnt 0x1
	v_fmac_f64_e32 v[120:121], v[114:115], v[124:125]
	s_wait_loadcnt 0x1
	v_fmac_f64_e32 v[120:121], v[116:117], v[126:127]
	s_wait_dscnt 0x0
	s_delay_alu instid0(VALU_DEP_1) | instskip(SKIP_1) | instid1(VALU_DEP_1)
	v_fmac_f64_e32 v[120:121], v[118:119], v[110:111]
	s_wait_loadcnt 0x0
	v_fmac_f64_e32 v[120:121], v[128:129], v[112:113]
	s_delay_alu instid0(VALU_DEP_1)
	v_add_f64_e64 v[2:3], v[108:109], -v[120:121]
	scratch_store_b64 off, v[2:3], off offset:360
	s_wait_xcnt 0x0
	v_cmpx_lt_u32_e32 44, v0
	s_cbranch_execz .LBB115_233
; %bb.232:
	scratch_load_b64 v[2:3], off, off offset:352
	v_mov_b64_e32 v[108:109], 0
	scratch_store_b64 off, v[108:109], off offset:352
	s_wait_loadcnt 0x0
	ds_store_b64 v1, v[2:3]
.LBB115_233:
	s_wait_xcnt 0x0
	s_or_b32 exec_lo, exec_lo, s0
	s_wait_storecnt_dscnt 0x0
	s_barrier_signal -1
	s_barrier_wait -1
	s_clause 0x3
	scratch_load_b128 v[108:111], off, off offset:352
	scratch_load_b128 v[112:115], off, off offset:368
	;; [unrolled: 1-line block ×4, first 2 shown]
	v_mov_b32_e32 v2, 0
	ds_load_2addr_b64 v[124:127], v2 offset0:97 offset1:98
	ds_load_2addr_b64 v[128:131], v2 offset0:99 offset1:100
	s_mov_b32 s0, exec_lo
	s_wait_loadcnt_dscnt 0x301
	v_fma_f64 v[124:125], v[110:111], v[124:125], 0
	s_wait_loadcnt 0x2
	s_delay_alu instid0(VALU_DEP_1) | instskip(SKIP_1) | instid1(VALU_DEP_1)
	v_fmac_f64_e32 v[124:125], v[112:113], v[126:127]
	s_wait_dscnt 0x0
	v_fmac_f64_e32 v[124:125], v[114:115], v[128:129]
	ds_load_2addr_b64 v[110:113], v2 offset0:101 offset1:102
	ds_load_b64 v[114:115], v2 offset:824
	s_wait_loadcnt 0x1
	v_fmac_f64_e32 v[124:125], v[116:117], v[130:131]
	s_wait_dscnt 0x1
	s_delay_alu instid0(VALU_DEP_1) | instskip(SKIP_1) | instid1(VALU_DEP_1)
	v_fmac_f64_e32 v[124:125], v[118:119], v[110:111]
	s_wait_loadcnt 0x0
	v_fmac_f64_e32 v[124:125], v[120:121], v[112:113]
	s_wait_dscnt 0x0
	s_delay_alu instid0(VALU_DEP_1) | instskip(NEXT) | instid1(VALU_DEP_1)
	v_fmac_f64_e32 v[124:125], v[122:123], v[114:115]
	v_add_f64_e64 v[108:109], v[108:109], -v[124:125]
	scratch_store_b64 off, v[108:109], off offset:352
	s_wait_xcnt 0x0
	v_cmpx_lt_u32_e32 43, v0
	s_cbranch_execz .LBB115_235
; %bb.234:
	scratch_load_b64 v[108:109], off, off offset:344
	v_mov_b64_e32 v[110:111], 0
	scratch_store_b64 off, v[110:111], off offset:344
	s_wait_loadcnt 0x0
	ds_store_b64 v1, v[108:109]
.LBB115_235:
	s_wait_xcnt 0x0
	s_or_b32 exec_lo, exec_lo, s0
	s_wait_storecnt_dscnt 0x0
	s_barrier_signal -1
	s_barrier_wait -1
	s_clause 0x4
	scratch_load_b128 v[108:111], off, off offset:344
	scratch_load_b128 v[112:115], off, off offset:360
	scratch_load_b128 v[116:119], off, off offset:376
	scratch_load_b128 v[120:123], off, off offset:392
	scratch_load_b64 v[132:133], off, off offset:408
	ds_load_b128 v[124:127], v2 offset:768
	ds_load_b128 v[128:131], v2 offset:784
	s_mov_b32 s0, exec_lo
	s_wait_loadcnt_dscnt 0x401
	v_fma_f64 v[124:125], v[110:111], v[124:125], 0
	s_wait_loadcnt 0x3
	s_delay_alu instid0(VALU_DEP_1) | instskip(SKIP_1) | instid1(VALU_DEP_1)
	v_fmac_f64_e32 v[124:125], v[112:113], v[126:127]
	s_wait_dscnt 0x0
	v_fmac_f64_e32 v[124:125], v[114:115], v[128:129]
	s_wait_loadcnt 0x2
	s_delay_alu instid0(VALU_DEP_1)
	v_fmac_f64_e32 v[124:125], v[116:117], v[130:131]
	ds_load_b128 v[110:113], v2 offset:800
	ds_load_b128 v[114:117], v2 offset:816
	s_wait_dscnt 0x1
	v_fmac_f64_e32 v[124:125], v[118:119], v[110:111]
	s_wait_loadcnt 0x1
	s_delay_alu instid0(VALU_DEP_1) | instskip(SKIP_1) | instid1(VALU_DEP_1)
	v_fmac_f64_e32 v[124:125], v[120:121], v[112:113]
	s_wait_dscnt 0x0
	v_fmac_f64_e32 v[124:125], v[122:123], v[114:115]
	s_wait_loadcnt 0x0
	s_delay_alu instid0(VALU_DEP_1) | instskip(NEXT) | instid1(VALU_DEP_1)
	v_fmac_f64_e32 v[124:125], v[132:133], v[116:117]
	v_add_f64_e64 v[2:3], v[108:109], -v[124:125]
	scratch_store_b64 off, v[2:3], off offset:344
	s_wait_xcnt 0x0
	v_cmpx_lt_u32_e32 42, v0
	s_cbranch_execz .LBB115_237
; %bb.236:
	scratch_load_b64 v[2:3], off, off offset:336
	v_mov_b64_e32 v[108:109], 0
	scratch_store_b64 off, v[108:109], off offset:336
	s_wait_loadcnt 0x0
	ds_store_b64 v1, v[2:3]
.LBB115_237:
	s_wait_xcnt 0x0
	s_or_b32 exec_lo, exec_lo, s0
	s_wait_storecnt_dscnt 0x0
	s_barrier_signal -1
	s_barrier_wait -1
	s_clause 0x4
	scratch_load_b128 v[108:111], off, off offset:336
	scratch_load_b128 v[112:115], off, off offset:352
	;; [unrolled: 1-line block ×5, first 2 shown]
	v_mov_b32_e32 v2, 0
	ds_load_2addr_b64 v[128:131], v2 offset0:95 offset1:96
	ds_load_2addr_b64 v[132:135], v2 offset0:97 offset1:98
	s_mov_b32 s0, exec_lo
	s_wait_loadcnt_dscnt 0x401
	v_fma_f64 v[128:129], v[110:111], v[128:129], 0
	s_wait_loadcnt 0x3
	s_delay_alu instid0(VALU_DEP_1) | instskip(SKIP_1) | instid1(VALU_DEP_1)
	v_fmac_f64_e32 v[128:129], v[112:113], v[130:131]
	s_wait_dscnt 0x0
	v_fmac_f64_e32 v[128:129], v[114:115], v[132:133]
	s_wait_loadcnt 0x2
	s_delay_alu instid0(VALU_DEP_1)
	v_fmac_f64_e32 v[128:129], v[116:117], v[134:135]
	ds_load_2addr_b64 v[110:113], v2 offset0:99 offset1:100
	ds_load_2addr_b64 v[114:117], v2 offset0:101 offset1:102
	s_wait_dscnt 0x1
	v_fmac_f64_e32 v[128:129], v[118:119], v[110:111]
	ds_load_b64 v[110:111], v2 offset:824
	s_wait_loadcnt 0x1
	v_fmac_f64_e32 v[128:129], v[120:121], v[112:113]
	s_wait_dscnt 0x1
	s_delay_alu instid0(VALU_DEP_1) | instskip(SKIP_1) | instid1(VALU_DEP_1)
	v_fmac_f64_e32 v[128:129], v[122:123], v[114:115]
	s_wait_loadcnt 0x0
	v_fmac_f64_e32 v[128:129], v[124:125], v[116:117]
	s_wait_dscnt 0x0
	s_delay_alu instid0(VALU_DEP_1) | instskip(NEXT) | instid1(VALU_DEP_1)
	v_fmac_f64_e32 v[128:129], v[126:127], v[110:111]
	v_add_f64_e64 v[108:109], v[108:109], -v[128:129]
	scratch_store_b64 off, v[108:109], off offset:336
	s_wait_xcnt 0x0
	v_cmpx_lt_u32_e32 41, v0
	s_cbranch_execz .LBB115_239
; %bb.238:
	scratch_load_b64 v[108:109], off, off offset:328
	v_mov_b64_e32 v[110:111], 0
	scratch_store_b64 off, v[110:111], off offset:328
	s_wait_loadcnt 0x0
	ds_store_b64 v1, v[108:109]
.LBB115_239:
	s_wait_xcnt 0x0
	s_or_b32 exec_lo, exec_lo, s0
	s_wait_storecnt_dscnt 0x0
	s_barrier_signal -1
	s_barrier_wait -1
	s_clause 0x5
	scratch_load_b128 v[108:111], off, off offset:328
	scratch_load_b128 v[112:115], off, off offset:344
	;; [unrolled: 1-line block ×5, first 2 shown]
	scratch_load_b64 v[136:137], off, off offset:408
	ds_load_b128 v[128:131], v2 offset:752
	ds_load_b128 v[132:135], v2 offset:768
	s_mov_b32 s0, exec_lo
	s_wait_loadcnt_dscnt 0x501
	v_fma_f64 v[128:129], v[110:111], v[128:129], 0
	s_wait_loadcnt 0x4
	s_delay_alu instid0(VALU_DEP_1) | instskip(SKIP_1) | instid1(VALU_DEP_1)
	v_fmac_f64_e32 v[128:129], v[112:113], v[130:131]
	s_wait_dscnt 0x0
	v_fmac_f64_e32 v[128:129], v[114:115], v[132:133]
	s_wait_loadcnt 0x3
	s_delay_alu instid0(VALU_DEP_1)
	v_fmac_f64_e32 v[128:129], v[116:117], v[134:135]
	ds_load_b128 v[110:113], v2 offset:784
	ds_load_b128 v[114:117], v2 offset:800
	s_wait_dscnt 0x1
	v_fmac_f64_e32 v[128:129], v[118:119], v[110:111]
	s_wait_loadcnt 0x2
	s_delay_alu instid0(VALU_DEP_1) | instskip(SKIP_4) | instid1(VALU_DEP_1)
	v_fmac_f64_e32 v[128:129], v[120:121], v[112:113]
	ds_load_b128 v[110:113], v2 offset:816
	s_wait_dscnt 0x1
	v_fmac_f64_e32 v[128:129], v[122:123], v[114:115]
	s_wait_loadcnt 0x1
	v_fmac_f64_e32 v[128:129], v[124:125], v[116:117]
	s_wait_dscnt 0x0
	s_delay_alu instid0(VALU_DEP_1) | instskip(SKIP_1) | instid1(VALU_DEP_1)
	v_fmac_f64_e32 v[128:129], v[126:127], v[110:111]
	s_wait_loadcnt 0x0
	v_fmac_f64_e32 v[128:129], v[136:137], v[112:113]
	s_delay_alu instid0(VALU_DEP_1)
	v_add_f64_e64 v[2:3], v[108:109], -v[128:129]
	scratch_store_b64 off, v[2:3], off offset:328
	s_wait_xcnt 0x0
	v_cmpx_lt_u32_e32 40, v0
	s_cbranch_execz .LBB115_241
; %bb.240:
	scratch_load_b64 v[2:3], off, off offset:320
	v_mov_b64_e32 v[108:109], 0
	scratch_store_b64 off, v[108:109], off offset:320
	s_wait_loadcnt 0x0
	ds_store_b64 v1, v[2:3]
.LBB115_241:
	s_wait_xcnt 0x0
	s_or_b32 exec_lo, exec_lo, s0
	s_wait_storecnt_dscnt 0x0
	s_barrier_signal -1
	s_barrier_wait -1
	s_clause 0x5
	scratch_load_b128 v[108:111], off, off offset:320
	scratch_load_b128 v[112:115], off, off offset:336
	;; [unrolled: 1-line block ×6, first 2 shown]
	v_mov_b32_e32 v2, 0
	ds_load_2addr_b64 v[132:135], v2 offset0:93 offset1:94
	ds_load_2addr_b64 v[136:139], v2 offset0:95 offset1:96
	s_mov_b32 s0, exec_lo
	s_wait_loadcnt_dscnt 0x501
	v_fma_f64 v[132:133], v[110:111], v[132:133], 0
	s_wait_loadcnt 0x4
	s_delay_alu instid0(VALU_DEP_1) | instskip(SKIP_1) | instid1(VALU_DEP_1)
	v_fmac_f64_e32 v[132:133], v[112:113], v[134:135]
	s_wait_dscnt 0x0
	v_fmac_f64_e32 v[132:133], v[114:115], v[136:137]
	s_wait_loadcnt 0x3
	s_delay_alu instid0(VALU_DEP_1)
	v_fmac_f64_e32 v[132:133], v[116:117], v[138:139]
	ds_load_2addr_b64 v[110:113], v2 offset0:97 offset1:98
	ds_load_2addr_b64 v[114:117], v2 offset0:99 offset1:100
	s_wait_dscnt 0x1
	v_fmac_f64_e32 v[132:133], v[118:119], v[110:111]
	s_wait_loadcnt 0x2
	s_delay_alu instid0(VALU_DEP_1) | instskip(SKIP_1) | instid1(VALU_DEP_1)
	v_fmac_f64_e32 v[132:133], v[120:121], v[112:113]
	s_wait_dscnt 0x0
	v_fmac_f64_e32 v[132:133], v[122:123], v[114:115]
	ds_load_2addr_b64 v[110:113], v2 offset0:101 offset1:102
	ds_load_b64 v[114:115], v2 offset:824
	s_wait_loadcnt 0x1
	v_fmac_f64_e32 v[132:133], v[124:125], v[116:117]
	s_wait_dscnt 0x1
	s_delay_alu instid0(VALU_DEP_1) | instskip(SKIP_1) | instid1(VALU_DEP_1)
	v_fmac_f64_e32 v[132:133], v[126:127], v[110:111]
	s_wait_loadcnt 0x0
	v_fmac_f64_e32 v[132:133], v[128:129], v[112:113]
	s_wait_dscnt 0x0
	s_delay_alu instid0(VALU_DEP_1) | instskip(NEXT) | instid1(VALU_DEP_1)
	v_fmac_f64_e32 v[132:133], v[130:131], v[114:115]
	v_add_f64_e64 v[108:109], v[108:109], -v[132:133]
	scratch_store_b64 off, v[108:109], off offset:320
	s_wait_xcnt 0x0
	v_cmpx_lt_u32_e32 39, v0
	s_cbranch_execz .LBB115_243
; %bb.242:
	scratch_load_b64 v[108:109], off, off offset:312
	v_mov_b64_e32 v[110:111], 0
	scratch_store_b64 off, v[110:111], off offset:312
	s_wait_loadcnt 0x0
	ds_store_b64 v1, v[108:109]
.LBB115_243:
	s_wait_xcnt 0x0
	s_or_b32 exec_lo, exec_lo, s0
	s_wait_storecnt_dscnt 0x0
	s_barrier_signal -1
	s_barrier_wait -1
	s_clause 0x5
	scratch_load_b128 v[108:111], off, off offset:312
	scratch_load_b128 v[112:115], off, off offset:328
	;; [unrolled: 1-line block ×6, first 2 shown]
	ds_load_b128 v[132:135], v2 offset:736
	ds_load_b128 v[136:139], v2 offset:752
	s_mov_b32 s0, exec_lo
	s_wait_loadcnt_dscnt 0x501
	v_fma_f64 v[132:133], v[110:111], v[132:133], 0
	s_wait_loadcnt 0x4
	s_delay_alu instid0(VALU_DEP_1) | instskip(SKIP_4) | instid1(VALU_DEP_1)
	v_fmac_f64_e32 v[132:133], v[112:113], v[134:135]
	scratch_load_b64 v[134:135], off, off offset:408
	s_wait_dscnt 0x0
	v_fmac_f64_e32 v[132:133], v[114:115], v[136:137]
	s_wait_loadcnt 0x4
	v_fmac_f64_e32 v[132:133], v[116:117], v[138:139]
	ds_load_b128 v[110:113], v2 offset:768
	ds_load_b128 v[114:117], v2 offset:784
	s_wait_dscnt 0x1
	v_fmac_f64_e32 v[132:133], v[118:119], v[110:111]
	s_wait_loadcnt 0x3
	s_delay_alu instid0(VALU_DEP_1) | instskip(SKIP_1) | instid1(VALU_DEP_1)
	v_fmac_f64_e32 v[132:133], v[120:121], v[112:113]
	s_wait_dscnt 0x0
	v_fmac_f64_e32 v[132:133], v[122:123], v[114:115]
	s_wait_loadcnt 0x2
	s_delay_alu instid0(VALU_DEP_1)
	v_fmac_f64_e32 v[132:133], v[124:125], v[116:117]
	ds_load_b128 v[110:113], v2 offset:800
	ds_load_b128 v[114:117], v2 offset:816
	s_wait_dscnt 0x1
	v_fmac_f64_e32 v[132:133], v[126:127], v[110:111]
	s_wait_loadcnt 0x1
	s_delay_alu instid0(VALU_DEP_1) | instskip(SKIP_1) | instid1(VALU_DEP_1)
	v_fmac_f64_e32 v[132:133], v[128:129], v[112:113]
	s_wait_dscnt 0x0
	v_fmac_f64_e32 v[132:133], v[130:131], v[114:115]
	s_wait_loadcnt 0x0
	s_delay_alu instid0(VALU_DEP_1) | instskip(NEXT) | instid1(VALU_DEP_1)
	v_fmac_f64_e32 v[132:133], v[134:135], v[116:117]
	v_add_f64_e64 v[2:3], v[108:109], -v[132:133]
	scratch_store_b64 off, v[2:3], off offset:312
	s_wait_xcnt 0x0
	v_cmpx_lt_u32_e32 38, v0
	s_cbranch_execz .LBB115_245
; %bb.244:
	scratch_load_b64 v[2:3], off, off offset:304
	v_mov_b64_e32 v[108:109], 0
	scratch_store_b64 off, v[108:109], off offset:304
	s_wait_loadcnt 0x0
	ds_store_b64 v1, v[2:3]
.LBB115_245:
	s_wait_xcnt 0x0
	s_or_b32 exec_lo, exec_lo, s0
	s_wait_storecnt_dscnt 0x0
	s_barrier_signal -1
	s_barrier_wait -1
	s_clause 0x5
	scratch_load_b128 v[108:111], off, off offset:304
	scratch_load_b128 v[112:115], off, off offset:320
	;; [unrolled: 1-line block ×6, first 2 shown]
	v_mov_b32_e32 v2, 0
	ds_load_2addr_b64 v[132:135], v2 offset0:91 offset1:92
	ds_load_2addr_b64 v[136:139], v2 offset0:93 offset1:94
	s_mov_b32 s0, exec_lo
	s_wait_loadcnt_dscnt 0x501
	v_fma_f64 v[140:141], v[110:111], v[132:133], 0
	s_wait_loadcnt 0x4
	s_delay_alu instid0(VALU_DEP_1) | instskip(SKIP_4) | instid1(VALU_DEP_1)
	v_fmac_f64_e32 v[140:141], v[112:113], v[134:135]
	scratch_load_b128 v[110:113], off, off offset:400
	s_wait_dscnt 0x0
	v_fmac_f64_e32 v[140:141], v[114:115], v[136:137]
	s_wait_loadcnt 0x4
	v_fmac_f64_e32 v[140:141], v[116:117], v[138:139]
	ds_load_2addr_b64 v[114:117], v2 offset0:95 offset1:96
	ds_load_2addr_b64 v[132:135], v2 offset0:97 offset1:98
	s_wait_dscnt 0x1
	v_fmac_f64_e32 v[140:141], v[118:119], v[114:115]
	s_wait_loadcnt 0x3
	s_delay_alu instid0(VALU_DEP_1)
	v_fmac_f64_e32 v[140:141], v[120:121], v[116:117]
	ds_load_2addr_b64 v[114:117], v2 offset0:99 offset1:100
	ds_load_2addr_b64 v[118:121], v2 offset0:101 offset1:102
	s_wait_dscnt 0x2
	v_fmac_f64_e32 v[140:141], v[122:123], v[132:133]
	s_wait_loadcnt 0x2
	s_delay_alu instid0(VALU_DEP_1) | instskip(SKIP_1) | instid1(VALU_DEP_1)
	v_fmac_f64_e32 v[140:141], v[124:125], v[134:135]
	s_wait_dscnt 0x1
	v_fmac_f64_e32 v[140:141], v[126:127], v[114:115]
	s_wait_loadcnt 0x1
	s_delay_alu instid0(VALU_DEP_1) | instskip(SKIP_1) | instid1(VALU_DEP_1)
	v_fmac_f64_e32 v[140:141], v[128:129], v[116:117]
	s_wait_dscnt 0x0
	v_fmac_f64_e32 v[140:141], v[130:131], v[118:119]
	s_wait_loadcnt 0x0
	s_delay_alu instid0(VALU_DEP_1) | instskip(SKIP_3) | instid1(VALU_DEP_1)
	v_fmac_f64_e32 v[140:141], v[110:111], v[120:121]
	ds_load_b64 v[110:111], v2 offset:824
	s_wait_dscnt 0x0
	v_fmac_f64_e32 v[140:141], v[112:113], v[110:111]
	v_add_f64_e64 v[108:109], v[108:109], -v[140:141]
	scratch_store_b64 off, v[108:109], off offset:304
	s_wait_xcnt 0x0
	v_cmpx_lt_u32_e32 37, v0
	s_cbranch_execz .LBB115_247
; %bb.246:
	scratch_load_b64 v[108:109], off, off offset:296
	v_mov_b64_e32 v[110:111], 0
	scratch_store_b64 off, v[110:111], off offset:296
	s_wait_loadcnt 0x0
	ds_store_b64 v1, v[108:109]
.LBB115_247:
	s_wait_xcnt 0x0
	s_or_b32 exec_lo, exec_lo, s0
	s_wait_storecnt_dscnt 0x0
	s_barrier_signal -1
	s_barrier_wait -1
	s_clause 0x5
	scratch_load_b128 v[108:111], off, off offset:296
	scratch_load_b128 v[112:115], off, off offset:312
	;; [unrolled: 1-line block ×6, first 2 shown]
	ds_load_b128 v[132:135], v2 offset:720
	ds_load_b128 v[136:139], v2 offset:736
	s_mov_b32 s0, exec_lo
	s_wait_loadcnt_dscnt 0x501
	v_fma_f64 v[140:141], v[110:111], v[132:133], 0
	s_wait_loadcnt 0x4
	s_delay_alu instid0(VALU_DEP_1)
	v_fmac_f64_e32 v[140:141], v[112:113], v[134:135]
	scratch_load_b128 v[110:113], off, off offset:392
	s_wait_dscnt 0x0
	v_fmac_f64_e32 v[140:141], v[114:115], v[136:137]
	scratch_load_b64 v[136:137], off, off offset:408
	s_wait_loadcnt 0x5
	v_fmac_f64_e32 v[140:141], v[116:117], v[138:139]
	ds_load_b128 v[114:117], v2 offset:752
	ds_load_b128 v[132:135], v2 offset:768
	s_wait_dscnt 0x1
	v_fmac_f64_e32 v[140:141], v[118:119], v[114:115]
	s_wait_loadcnt 0x4
	s_delay_alu instid0(VALU_DEP_1)
	v_fmac_f64_e32 v[140:141], v[120:121], v[116:117]
	ds_load_b128 v[114:117], v2 offset:784
	ds_load_b128 v[118:121], v2 offset:800
	s_wait_dscnt 0x2
	v_fmac_f64_e32 v[140:141], v[122:123], v[132:133]
	s_wait_loadcnt 0x3
	s_delay_alu instid0(VALU_DEP_1) | instskip(SKIP_1) | instid1(VALU_DEP_1)
	v_fmac_f64_e32 v[140:141], v[124:125], v[134:135]
	s_wait_dscnt 0x1
	v_fmac_f64_e32 v[140:141], v[126:127], v[114:115]
	s_wait_loadcnt 0x2
	s_delay_alu instid0(VALU_DEP_1) | instskip(SKIP_4) | instid1(VALU_DEP_1)
	v_fmac_f64_e32 v[140:141], v[128:129], v[116:117]
	ds_load_b128 v[114:117], v2 offset:816
	s_wait_dscnt 0x1
	v_fmac_f64_e32 v[140:141], v[130:131], v[118:119]
	s_wait_loadcnt 0x1
	v_fmac_f64_e32 v[140:141], v[110:111], v[120:121]
	s_wait_dscnt 0x0
	s_delay_alu instid0(VALU_DEP_1) | instskip(SKIP_1) | instid1(VALU_DEP_1)
	v_fmac_f64_e32 v[140:141], v[112:113], v[114:115]
	s_wait_loadcnt 0x0
	v_fmac_f64_e32 v[140:141], v[136:137], v[116:117]
	s_delay_alu instid0(VALU_DEP_1)
	v_add_f64_e64 v[2:3], v[108:109], -v[140:141]
	scratch_store_b64 off, v[2:3], off offset:296
	s_wait_xcnt 0x0
	v_cmpx_lt_u32_e32 36, v0
	s_cbranch_execz .LBB115_249
; %bb.248:
	scratch_load_b64 v[2:3], off, off offset:288
	v_mov_b64_e32 v[108:109], 0
	scratch_store_b64 off, v[108:109], off offset:288
	s_wait_loadcnt 0x0
	ds_store_b64 v1, v[2:3]
.LBB115_249:
	s_wait_xcnt 0x0
	s_or_b32 exec_lo, exec_lo, s0
	s_wait_storecnt_dscnt 0x0
	s_barrier_signal -1
	s_barrier_wait -1
	s_clause 0x5
	scratch_load_b128 v[108:111], off, off offset:288
	scratch_load_b128 v[112:115], off, off offset:304
	;; [unrolled: 1-line block ×6, first 2 shown]
	v_mov_b32_e32 v2, 0
	ds_load_2addr_b64 v[132:135], v2 offset0:89 offset1:90
	ds_load_2addr_b64 v[136:139], v2 offset0:91 offset1:92
	s_mov_b32 s0, exec_lo
	s_wait_loadcnt_dscnt 0x501
	v_fma_f64 v[140:141], v[110:111], v[132:133], 0
	s_wait_loadcnt 0x4
	s_delay_alu instid0(VALU_DEP_1) | instskip(SKIP_4) | instid1(VALU_DEP_1)
	v_fmac_f64_e32 v[140:141], v[112:113], v[134:135]
	scratch_load_b128 v[110:113], off, off offset:384
	s_wait_dscnt 0x0
	v_fmac_f64_e32 v[140:141], v[114:115], v[136:137]
	s_wait_loadcnt 0x4
	v_fmac_f64_e32 v[140:141], v[116:117], v[138:139]
	scratch_load_b128 v[114:117], off, off offset:400
	ds_load_2addr_b64 v[132:135], v2 offset0:93 offset1:94
	ds_load_2addr_b64 v[136:139], v2 offset0:95 offset1:96
	s_wait_dscnt 0x1
	v_fmac_f64_e32 v[140:141], v[118:119], v[132:133]
	s_wait_loadcnt 0x4
	s_delay_alu instid0(VALU_DEP_1) | instskip(SKIP_1) | instid1(VALU_DEP_1)
	v_fmac_f64_e32 v[140:141], v[120:121], v[134:135]
	s_wait_dscnt 0x0
	v_fmac_f64_e32 v[140:141], v[122:123], v[136:137]
	s_wait_loadcnt 0x3
	s_delay_alu instid0(VALU_DEP_1)
	v_fmac_f64_e32 v[140:141], v[124:125], v[138:139]
	ds_load_2addr_b64 v[118:121], v2 offset0:97 offset1:98
	ds_load_2addr_b64 v[122:125], v2 offset0:99 offset1:100
	s_wait_dscnt 0x1
	v_fmac_f64_e32 v[140:141], v[126:127], v[118:119]
	s_wait_loadcnt 0x2
	s_delay_alu instid0(VALU_DEP_1) | instskip(SKIP_1) | instid1(VALU_DEP_1)
	v_fmac_f64_e32 v[140:141], v[128:129], v[120:121]
	s_wait_dscnt 0x0
	v_fmac_f64_e32 v[140:141], v[130:131], v[122:123]
	s_wait_loadcnt 0x1
	s_delay_alu instid0(VALU_DEP_1)
	v_fmac_f64_e32 v[140:141], v[110:111], v[124:125]
	ds_load_2addr_b64 v[118:121], v2 offset0:101 offset1:102
	ds_load_b64 v[110:111], v2 offset:824
	s_wait_dscnt 0x1
	v_fmac_f64_e32 v[140:141], v[112:113], v[118:119]
	s_wait_loadcnt 0x0
	s_delay_alu instid0(VALU_DEP_1) | instskip(SKIP_1) | instid1(VALU_DEP_1)
	v_fmac_f64_e32 v[140:141], v[114:115], v[120:121]
	s_wait_dscnt 0x0
	v_fmac_f64_e32 v[140:141], v[116:117], v[110:111]
	s_delay_alu instid0(VALU_DEP_1)
	v_add_f64_e64 v[108:109], v[108:109], -v[140:141]
	scratch_store_b64 off, v[108:109], off offset:288
	s_wait_xcnt 0x0
	v_cmpx_lt_u32_e32 35, v0
	s_cbranch_execz .LBB115_251
; %bb.250:
	scratch_load_b64 v[108:109], off, off offset:280
	v_mov_b64_e32 v[110:111], 0
	scratch_store_b64 off, v[110:111], off offset:280
	s_wait_loadcnt 0x0
	ds_store_b64 v1, v[108:109]
.LBB115_251:
	s_wait_xcnt 0x0
	s_or_b32 exec_lo, exec_lo, s0
	s_wait_storecnt_dscnt 0x0
	s_barrier_signal -1
	s_barrier_wait -1
	s_clause 0x5
	scratch_load_b128 v[108:111], off, off offset:280
	scratch_load_b128 v[112:115], off, off offset:296
	;; [unrolled: 1-line block ×6, first 2 shown]
	ds_load_b128 v[132:135], v2 offset:704
	ds_load_b128 v[136:139], v2 offset:720
	s_mov_b32 s0, exec_lo
	s_wait_loadcnt_dscnt 0x501
	v_fma_f64 v[140:141], v[110:111], v[132:133], 0
	s_wait_loadcnt 0x4
	s_delay_alu instid0(VALU_DEP_1) | instskip(SKIP_4) | instid1(VALU_DEP_1)
	v_fmac_f64_e32 v[140:141], v[112:113], v[134:135]
	scratch_load_b128 v[110:113], off, off offset:376
	s_wait_dscnt 0x0
	v_fmac_f64_e32 v[140:141], v[114:115], v[136:137]
	s_wait_loadcnt 0x4
	v_fmac_f64_e32 v[140:141], v[116:117], v[138:139]
	scratch_load_b128 v[114:117], off, off offset:392
	ds_load_b128 v[132:135], v2 offset:736
	ds_load_b128 v[136:139], v2 offset:752
	s_wait_dscnt 0x1
	v_fmac_f64_e32 v[140:141], v[118:119], v[132:133]
	scratch_load_b64 v[132:133], off, off offset:408
	s_wait_loadcnt 0x5
	v_fmac_f64_e32 v[140:141], v[120:121], v[134:135]
	s_wait_dscnt 0x0
	s_delay_alu instid0(VALU_DEP_1) | instskip(SKIP_1) | instid1(VALU_DEP_1)
	v_fmac_f64_e32 v[140:141], v[122:123], v[136:137]
	s_wait_loadcnt 0x4
	v_fmac_f64_e32 v[140:141], v[124:125], v[138:139]
	ds_load_b128 v[118:121], v2 offset:768
	ds_load_b128 v[122:125], v2 offset:784
	s_wait_dscnt 0x1
	v_fmac_f64_e32 v[140:141], v[126:127], v[118:119]
	s_wait_loadcnt 0x3
	s_delay_alu instid0(VALU_DEP_1) | instskip(SKIP_1) | instid1(VALU_DEP_1)
	v_fmac_f64_e32 v[140:141], v[128:129], v[120:121]
	s_wait_dscnt 0x0
	v_fmac_f64_e32 v[140:141], v[130:131], v[122:123]
	s_wait_loadcnt 0x2
	s_delay_alu instid0(VALU_DEP_1)
	v_fmac_f64_e32 v[140:141], v[110:111], v[124:125]
	ds_load_b128 v[118:121], v2 offset:800
	ds_load_b128 v[122:125], v2 offset:816
	s_wait_dscnt 0x1
	v_fmac_f64_e32 v[140:141], v[112:113], v[118:119]
	s_wait_loadcnt 0x1
	s_delay_alu instid0(VALU_DEP_1) | instskip(SKIP_1) | instid1(VALU_DEP_1)
	v_fmac_f64_e32 v[140:141], v[114:115], v[120:121]
	s_wait_dscnt 0x0
	v_fmac_f64_e32 v[140:141], v[116:117], v[122:123]
	s_wait_loadcnt 0x0
	s_delay_alu instid0(VALU_DEP_1) | instskip(NEXT) | instid1(VALU_DEP_1)
	v_fmac_f64_e32 v[140:141], v[132:133], v[124:125]
	v_add_f64_e64 v[2:3], v[108:109], -v[140:141]
	scratch_store_b64 off, v[2:3], off offset:280
	s_wait_xcnt 0x0
	v_cmpx_lt_u32_e32 34, v0
	s_cbranch_execz .LBB115_253
; %bb.252:
	scratch_load_b64 v[2:3], off, off offset:272
	v_mov_b64_e32 v[108:109], 0
	scratch_store_b64 off, v[108:109], off offset:272
	s_wait_loadcnt 0x0
	ds_store_b64 v1, v[2:3]
.LBB115_253:
	s_wait_xcnt 0x0
	s_or_b32 exec_lo, exec_lo, s0
	s_wait_storecnt_dscnt 0x0
	s_barrier_signal -1
	s_barrier_wait -1
	s_clause 0x5
	scratch_load_b128 v[108:111], off, off offset:272
	scratch_load_b128 v[112:115], off, off offset:288
	scratch_load_b128 v[116:119], off, off offset:304
	scratch_load_b128 v[120:123], off, off offset:320
	scratch_load_b128 v[124:127], off, off offset:336
	scratch_load_b128 v[128:131], off, off offset:352
	v_mov_b32_e32 v2, 0
	ds_load_2addr_b64 v[132:135], v2 offset0:87 offset1:88
	ds_load_2addr_b64 v[136:139], v2 offset0:89 offset1:90
	s_mov_b32 s0, exec_lo
	s_wait_loadcnt_dscnt 0x501
	v_fma_f64 v[140:141], v[110:111], v[132:133], 0
	s_wait_loadcnt 0x4
	s_delay_alu instid0(VALU_DEP_1) | instskip(SKIP_4) | instid1(VALU_DEP_1)
	v_fmac_f64_e32 v[140:141], v[112:113], v[134:135]
	scratch_load_b128 v[110:113], off, off offset:368
	s_wait_dscnt 0x0
	v_fmac_f64_e32 v[140:141], v[114:115], v[136:137]
	s_wait_loadcnt 0x4
	v_fmac_f64_e32 v[140:141], v[116:117], v[138:139]
	scratch_load_b128 v[114:117], off, off offset:384
	ds_load_2addr_b64 v[132:135], v2 offset0:91 offset1:92
	ds_load_2addr_b64 v[136:139], v2 offset0:93 offset1:94
	s_wait_dscnt 0x1
	v_fmac_f64_e32 v[140:141], v[118:119], v[132:133]
	s_wait_loadcnt 0x4
	s_delay_alu instid0(VALU_DEP_1) | instskip(SKIP_4) | instid1(VALU_DEP_1)
	v_fmac_f64_e32 v[140:141], v[120:121], v[134:135]
	scratch_load_b128 v[118:121], off, off offset:400
	s_wait_dscnt 0x0
	v_fmac_f64_e32 v[140:141], v[122:123], v[136:137]
	s_wait_loadcnt 0x4
	v_fmac_f64_e32 v[140:141], v[124:125], v[138:139]
	ds_load_2addr_b64 v[122:125], v2 offset0:95 offset1:96
	ds_load_2addr_b64 v[132:135], v2 offset0:97 offset1:98
	s_wait_dscnt 0x1
	v_fmac_f64_e32 v[140:141], v[126:127], v[122:123]
	s_wait_loadcnt 0x3
	s_delay_alu instid0(VALU_DEP_1)
	v_fmac_f64_e32 v[140:141], v[128:129], v[124:125]
	ds_load_2addr_b64 v[122:125], v2 offset0:99 offset1:100
	ds_load_2addr_b64 v[126:129], v2 offset0:101 offset1:102
	s_wait_dscnt 0x2
	v_fmac_f64_e32 v[140:141], v[130:131], v[132:133]
	s_wait_loadcnt 0x2
	s_delay_alu instid0(VALU_DEP_1) | instskip(SKIP_4) | instid1(VALU_DEP_1)
	v_fmac_f64_e32 v[140:141], v[110:111], v[134:135]
	ds_load_b64 v[110:111], v2 offset:824
	s_wait_dscnt 0x2
	v_fmac_f64_e32 v[140:141], v[112:113], v[122:123]
	s_wait_loadcnt 0x1
	v_fmac_f64_e32 v[140:141], v[114:115], v[124:125]
	s_wait_dscnt 0x1
	s_delay_alu instid0(VALU_DEP_1) | instskip(SKIP_1) | instid1(VALU_DEP_1)
	v_fmac_f64_e32 v[140:141], v[116:117], v[126:127]
	s_wait_loadcnt 0x0
	v_fmac_f64_e32 v[140:141], v[118:119], v[128:129]
	s_wait_dscnt 0x0
	s_delay_alu instid0(VALU_DEP_1) | instskip(NEXT) | instid1(VALU_DEP_1)
	v_fmac_f64_e32 v[140:141], v[120:121], v[110:111]
	v_add_f64_e64 v[108:109], v[108:109], -v[140:141]
	scratch_store_b64 off, v[108:109], off offset:272
	s_wait_xcnt 0x0
	v_cmpx_lt_u32_e32 33, v0
	s_cbranch_execz .LBB115_255
; %bb.254:
	scratch_load_b64 v[108:109], off, off offset:264
	v_mov_b64_e32 v[110:111], 0
	scratch_store_b64 off, v[110:111], off offset:264
	s_wait_loadcnt 0x0
	ds_store_b64 v1, v[108:109]
.LBB115_255:
	s_wait_xcnt 0x0
	s_or_b32 exec_lo, exec_lo, s0
	s_wait_storecnt_dscnt 0x0
	s_barrier_signal -1
	s_barrier_wait -1
	s_clause 0x5
	scratch_load_b128 v[108:111], off, off offset:264
	scratch_load_b128 v[112:115], off, off offset:280
	;; [unrolled: 1-line block ×6, first 2 shown]
	ds_load_b128 v[132:135], v2 offset:688
	ds_load_b128 v[136:139], v2 offset:704
	s_mov_b32 s0, exec_lo
	s_wait_loadcnt_dscnt 0x501
	v_fma_f64 v[140:141], v[110:111], v[132:133], 0
	s_wait_loadcnt 0x4
	s_delay_alu instid0(VALU_DEP_1) | instskip(SKIP_4) | instid1(VALU_DEP_1)
	v_fmac_f64_e32 v[140:141], v[112:113], v[134:135]
	scratch_load_b128 v[110:113], off, off offset:360
	s_wait_dscnt 0x0
	v_fmac_f64_e32 v[140:141], v[114:115], v[136:137]
	s_wait_loadcnt 0x4
	v_fmac_f64_e32 v[140:141], v[116:117], v[138:139]
	scratch_load_b128 v[114:117], off, off offset:376
	ds_load_b128 v[132:135], v2 offset:720
	ds_load_b128 v[136:139], v2 offset:736
	s_wait_dscnt 0x1
	v_fmac_f64_e32 v[140:141], v[118:119], v[132:133]
	s_wait_loadcnt 0x4
	s_delay_alu instid0(VALU_DEP_1)
	v_fmac_f64_e32 v[140:141], v[120:121], v[134:135]
	scratch_load_b128 v[118:121], off, off offset:392
	s_wait_dscnt 0x0
	v_fmac_f64_e32 v[140:141], v[122:123], v[136:137]
	scratch_load_b64 v[136:137], off, off offset:408
	s_wait_loadcnt 0x5
	v_fmac_f64_e32 v[140:141], v[124:125], v[138:139]
	ds_load_b128 v[122:125], v2 offset:752
	ds_load_b128 v[132:135], v2 offset:768
	s_wait_dscnt 0x1
	v_fmac_f64_e32 v[140:141], v[126:127], v[122:123]
	s_wait_loadcnt 0x4
	s_delay_alu instid0(VALU_DEP_1)
	v_fmac_f64_e32 v[140:141], v[128:129], v[124:125]
	ds_load_b128 v[122:125], v2 offset:784
	ds_load_b128 v[126:129], v2 offset:800
	s_wait_dscnt 0x2
	v_fmac_f64_e32 v[140:141], v[130:131], v[132:133]
	s_wait_loadcnt 0x3
	s_delay_alu instid0(VALU_DEP_1) | instskip(SKIP_1) | instid1(VALU_DEP_1)
	v_fmac_f64_e32 v[140:141], v[110:111], v[134:135]
	s_wait_dscnt 0x1
	v_fmac_f64_e32 v[140:141], v[112:113], v[122:123]
	ds_load_b128 v[110:113], v2 offset:816
	s_wait_loadcnt 0x2
	v_fmac_f64_e32 v[140:141], v[114:115], v[124:125]
	s_wait_dscnt 0x1
	s_delay_alu instid0(VALU_DEP_1) | instskip(SKIP_1) | instid1(VALU_DEP_1)
	v_fmac_f64_e32 v[140:141], v[116:117], v[126:127]
	s_wait_loadcnt 0x1
	v_fmac_f64_e32 v[140:141], v[118:119], v[128:129]
	s_wait_dscnt 0x0
	s_delay_alu instid0(VALU_DEP_1) | instskip(SKIP_1) | instid1(VALU_DEP_1)
	v_fmac_f64_e32 v[140:141], v[120:121], v[110:111]
	s_wait_loadcnt 0x0
	v_fmac_f64_e32 v[140:141], v[136:137], v[112:113]
	s_delay_alu instid0(VALU_DEP_1)
	v_add_f64_e64 v[2:3], v[108:109], -v[140:141]
	scratch_store_b64 off, v[2:3], off offset:264
	s_wait_xcnt 0x0
	v_cmpx_lt_u32_e32 32, v0
	s_cbranch_execz .LBB115_257
; %bb.256:
	scratch_load_b64 v[2:3], off, off offset:256
	v_mov_b64_e32 v[108:109], 0
	scratch_store_b64 off, v[108:109], off offset:256
	s_wait_loadcnt 0x0
	ds_store_b64 v1, v[2:3]
.LBB115_257:
	s_wait_xcnt 0x0
	s_or_b32 exec_lo, exec_lo, s0
	s_wait_storecnt_dscnt 0x0
	s_barrier_signal -1
	s_barrier_wait -1
	s_clause 0x5
	scratch_load_b128 v[108:111], off, off offset:256
	scratch_load_b128 v[112:115], off, off offset:272
	;; [unrolled: 1-line block ×6, first 2 shown]
	v_mov_b32_e32 v2, 0
	ds_load_2addr_b64 v[132:135], v2 offset0:85 offset1:86
	ds_load_2addr_b64 v[136:139], v2 offset0:87 offset1:88
	s_mov_b32 s0, exec_lo
	s_wait_loadcnt_dscnt 0x501
	v_fma_f64 v[140:141], v[110:111], v[132:133], 0
	s_wait_loadcnt 0x4
	s_delay_alu instid0(VALU_DEP_1) | instskip(SKIP_4) | instid1(VALU_DEP_1)
	v_fmac_f64_e32 v[140:141], v[112:113], v[134:135]
	scratch_load_b128 v[110:113], off, off offset:352
	s_wait_dscnt 0x0
	v_fmac_f64_e32 v[140:141], v[114:115], v[136:137]
	s_wait_loadcnt 0x4
	v_fmac_f64_e32 v[140:141], v[116:117], v[138:139]
	scratch_load_b128 v[114:117], off, off offset:368
	ds_load_2addr_b64 v[132:135], v2 offset0:89 offset1:90
	ds_load_2addr_b64 v[136:139], v2 offset0:91 offset1:92
	s_wait_dscnt 0x1
	v_fmac_f64_e32 v[140:141], v[118:119], v[132:133]
	s_wait_loadcnt 0x4
	s_delay_alu instid0(VALU_DEP_1) | instskip(SKIP_4) | instid1(VALU_DEP_1)
	v_fmac_f64_e32 v[140:141], v[120:121], v[134:135]
	scratch_load_b128 v[118:121], off, off offset:384
	s_wait_dscnt 0x0
	v_fmac_f64_e32 v[140:141], v[122:123], v[136:137]
	s_wait_loadcnt 0x4
	v_fmac_f64_e32 v[140:141], v[124:125], v[138:139]
	scratch_load_b128 v[122:125], off, off offset:400
	ds_load_2addr_b64 v[132:135], v2 offset0:93 offset1:94
	ds_load_2addr_b64 v[136:139], v2 offset0:95 offset1:96
	s_wait_dscnt 0x1
	v_fmac_f64_e32 v[140:141], v[126:127], v[132:133]
	s_wait_loadcnt 0x4
	s_delay_alu instid0(VALU_DEP_1) | instskip(SKIP_1) | instid1(VALU_DEP_1)
	v_fmac_f64_e32 v[140:141], v[128:129], v[134:135]
	s_wait_dscnt 0x0
	v_fmac_f64_e32 v[140:141], v[130:131], v[136:137]
	ds_load_2addr_b64 v[126:129], v2 offset0:97 offset1:98
	ds_load_2addr_b64 v[130:133], v2 offset0:99 offset1:100
	s_wait_loadcnt 0x3
	v_fmac_f64_e32 v[140:141], v[110:111], v[138:139]
	s_wait_dscnt 0x1
	s_delay_alu instid0(VALU_DEP_1) | instskip(SKIP_1) | instid1(VALU_DEP_1)
	v_fmac_f64_e32 v[140:141], v[112:113], v[126:127]
	s_wait_loadcnt 0x2
	v_fmac_f64_e32 v[140:141], v[114:115], v[128:129]
	ds_load_2addr_b64 v[110:113], v2 offset0:101 offset1:102
	ds_load_b64 v[114:115], v2 offset:824
	s_wait_dscnt 0x2
	v_fmac_f64_e32 v[140:141], v[116:117], v[130:131]
	s_wait_loadcnt 0x1
	s_delay_alu instid0(VALU_DEP_1) | instskip(SKIP_1) | instid1(VALU_DEP_1)
	v_fmac_f64_e32 v[140:141], v[118:119], v[132:133]
	s_wait_dscnt 0x1
	v_fmac_f64_e32 v[140:141], v[120:121], v[110:111]
	s_wait_loadcnt 0x0
	s_delay_alu instid0(VALU_DEP_1) | instskip(SKIP_1) | instid1(VALU_DEP_1)
	v_fmac_f64_e32 v[140:141], v[122:123], v[112:113]
	s_wait_dscnt 0x0
	v_fmac_f64_e32 v[140:141], v[124:125], v[114:115]
	s_delay_alu instid0(VALU_DEP_1)
	v_add_f64_e64 v[108:109], v[108:109], -v[140:141]
	scratch_store_b64 off, v[108:109], off offset:256
	s_wait_xcnt 0x0
	v_cmpx_lt_u32_e32 31, v0
	s_cbranch_execz .LBB115_259
; %bb.258:
	scratch_load_b64 v[108:109], off, off offset:248
	v_mov_b64_e32 v[110:111], 0
	scratch_store_b64 off, v[110:111], off offset:248
	s_wait_loadcnt 0x0
	ds_store_b64 v1, v[108:109]
.LBB115_259:
	s_wait_xcnt 0x0
	s_or_b32 exec_lo, exec_lo, s0
	s_wait_storecnt_dscnt 0x0
	s_barrier_signal -1
	s_barrier_wait -1
	s_clause 0x5
	scratch_load_b128 v[108:111], off, off offset:248
	scratch_load_b128 v[112:115], off, off offset:264
	;; [unrolled: 1-line block ×6, first 2 shown]
	ds_load_b128 v[132:135], v2 offset:672
	ds_load_b128 v[136:139], v2 offset:688
	s_mov_b32 s0, exec_lo
	s_wait_loadcnt_dscnt 0x501
	v_fma_f64 v[140:141], v[110:111], v[132:133], 0
	s_wait_loadcnt 0x4
	s_delay_alu instid0(VALU_DEP_1) | instskip(SKIP_4) | instid1(VALU_DEP_1)
	v_fmac_f64_e32 v[140:141], v[112:113], v[134:135]
	scratch_load_b128 v[110:113], off, off offset:344
	s_wait_dscnt 0x0
	v_fmac_f64_e32 v[140:141], v[114:115], v[136:137]
	s_wait_loadcnt 0x4
	v_fmac_f64_e32 v[140:141], v[116:117], v[138:139]
	scratch_load_b128 v[114:117], off, off offset:360
	ds_load_b128 v[132:135], v2 offset:704
	ds_load_b128 v[136:139], v2 offset:720
	s_wait_dscnt 0x1
	v_fmac_f64_e32 v[140:141], v[118:119], v[132:133]
	s_wait_loadcnt 0x4
	s_delay_alu instid0(VALU_DEP_1) | instskip(SKIP_4) | instid1(VALU_DEP_1)
	v_fmac_f64_e32 v[140:141], v[120:121], v[134:135]
	scratch_load_b128 v[118:121], off, off offset:376
	s_wait_dscnt 0x0
	v_fmac_f64_e32 v[140:141], v[122:123], v[136:137]
	s_wait_loadcnt 0x4
	v_fmac_f64_e32 v[140:141], v[124:125], v[138:139]
	scratch_load_b128 v[122:125], off, off offset:392
	ds_load_b128 v[132:135], v2 offset:736
	ds_load_b128 v[136:139], v2 offset:752
	s_wait_dscnt 0x1
	v_fmac_f64_e32 v[140:141], v[126:127], v[132:133]
	s_wait_loadcnt 0x4
	s_delay_alu instid0(VALU_DEP_1)
	v_fmac_f64_e32 v[140:141], v[128:129], v[134:135]
	scratch_load_b64 v[134:135], off, off offset:408
	s_wait_dscnt 0x0
	v_fmac_f64_e32 v[140:141], v[130:131], v[136:137]
	ds_load_b128 v[126:129], v2 offset:768
	ds_load_b128 v[130:133], v2 offset:784
	s_wait_loadcnt 0x4
	v_fmac_f64_e32 v[140:141], v[110:111], v[138:139]
	s_wait_dscnt 0x1
	s_delay_alu instid0(VALU_DEP_1) | instskip(SKIP_1) | instid1(VALU_DEP_1)
	v_fmac_f64_e32 v[140:141], v[112:113], v[126:127]
	s_wait_loadcnt 0x3
	v_fmac_f64_e32 v[140:141], v[114:115], v[128:129]
	s_wait_dscnt 0x0
	s_delay_alu instid0(VALU_DEP_1)
	v_fmac_f64_e32 v[140:141], v[116:117], v[130:131]
	ds_load_b128 v[110:113], v2 offset:800
	ds_load_b128 v[114:117], v2 offset:816
	s_wait_loadcnt 0x2
	v_fmac_f64_e32 v[140:141], v[118:119], v[132:133]
	s_wait_dscnt 0x1
	s_delay_alu instid0(VALU_DEP_1) | instskip(SKIP_1) | instid1(VALU_DEP_1)
	v_fmac_f64_e32 v[140:141], v[120:121], v[110:111]
	s_wait_loadcnt 0x1
	v_fmac_f64_e32 v[140:141], v[122:123], v[112:113]
	s_wait_dscnt 0x0
	s_delay_alu instid0(VALU_DEP_1) | instskip(SKIP_1) | instid1(VALU_DEP_1)
	v_fmac_f64_e32 v[140:141], v[124:125], v[114:115]
	s_wait_loadcnt 0x0
	v_fmac_f64_e32 v[140:141], v[134:135], v[116:117]
	s_delay_alu instid0(VALU_DEP_1)
	v_add_f64_e64 v[2:3], v[108:109], -v[140:141]
	scratch_store_b64 off, v[2:3], off offset:248
	s_wait_xcnt 0x0
	v_cmpx_lt_u32_e32 30, v0
	s_cbranch_execz .LBB115_261
; %bb.260:
	scratch_load_b64 v[2:3], off, off offset:240
	v_mov_b64_e32 v[108:109], 0
	scratch_store_b64 off, v[108:109], off offset:240
	s_wait_loadcnt 0x0
	ds_store_b64 v1, v[2:3]
.LBB115_261:
	s_wait_xcnt 0x0
	s_or_b32 exec_lo, exec_lo, s0
	s_wait_storecnt_dscnt 0x0
	s_barrier_signal -1
	s_barrier_wait -1
	s_clause 0x5
	scratch_load_b128 v[108:111], off, off offset:240
	scratch_load_b128 v[112:115], off, off offset:256
	;; [unrolled: 1-line block ×6, first 2 shown]
	v_mov_b32_e32 v2, 0
	ds_load_2addr_b64 v[132:135], v2 offset0:83 offset1:84
	ds_load_2addr_b64 v[136:139], v2 offset0:85 offset1:86
	s_mov_b32 s0, exec_lo
	s_wait_loadcnt_dscnt 0x501
	v_fma_f64 v[140:141], v[110:111], v[132:133], 0
	s_wait_loadcnt 0x4
	s_delay_alu instid0(VALU_DEP_1) | instskip(SKIP_4) | instid1(VALU_DEP_1)
	v_fmac_f64_e32 v[140:141], v[112:113], v[134:135]
	scratch_load_b128 v[110:113], off, off offset:336
	s_wait_dscnt 0x0
	v_fmac_f64_e32 v[140:141], v[114:115], v[136:137]
	s_wait_loadcnt 0x4
	v_fmac_f64_e32 v[140:141], v[116:117], v[138:139]
	scratch_load_b128 v[114:117], off, off offset:352
	ds_load_2addr_b64 v[132:135], v2 offset0:87 offset1:88
	ds_load_2addr_b64 v[136:139], v2 offset0:89 offset1:90
	s_wait_dscnt 0x1
	v_fmac_f64_e32 v[140:141], v[118:119], v[132:133]
	s_wait_loadcnt 0x4
	s_delay_alu instid0(VALU_DEP_1) | instskip(SKIP_4) | instid1(VALU_DEP_1)
	v_fmac_f64_e32 v[140:141], v[120:121], v[134:135]
	scratch_load_b128 v[118:121], off, off offset:368
	s_wait_dscnt 0x0
	v_fmac_f64_e32 v[140:141], v[122:123], v[136:137]
	s_wait_loadcnt 0x4
	v_fmac_f64_e32 v[140:141], v[124:125], v[138:139]
	scratch_load_b128 v[122:125], off, off offset:384
	ds_load_2addr_b64 v[132:135], v2 offset0:91 offset1:92
	ds_load_2addr_b64 v[136:139], v2 offset0:93 offset1:94
	s_wait_dscnt 0x1
	v_fmac_f64_e32 v[140:141], v[126:127], v[132:133]
	s_wait_loadcnt 0x4
	s_delay_alu instid0(VALU_DEP_1)
	v_fmac_f64_e32 v[140:141], v[128:129], v[134:135]
	scratch_load_b128 v[126:129], off, off offset:400
	s_wait_dscnt 0x0
	v_fmac_f64_e32 v[140:141], v[130:131], v[136:137]
	ds_load_2addr_b64 v[130:133], v2 offset0:95 offset1:96
	ds_load_2addr_b64 v[134:137], v2 offset0:97 offset1:98
	s_wait_loadcnt 0x4
	v_fmac_f64_e32 v[140:141], v[110:111], v[138:139]
	s_wait_dscnt 0x1
	s_delay_alu instid0(VALU_DEP_1) | instskip(SKIP_1) | instid1(VALU_DEP_1)
	v_fmac_f64_e32 v[140:141], v[112:113], v[130:131]
	s_wait_loadcnt 0x3
	v_fmac_f64_e32 v[140:141], v[114:115], v[132:133]
	s_wait_dscnt 0x0
	s_delay_alu instid0(VALU_DEP_1)
	v_fmac_f64_e32 v[140:141], v[116:117], v[134:135]
	ds_load_2addr_b64 v[110:113], v2 offset0:99 offset1:100
	ds_load_2addr_b64 v[114:117], v2 offset0:101 offset1:102
	s_wait_loadcnt 0x2
	v_fmac_f64_e32 v[140:141], v[118:119], v[136:137]
	s_wait_dscnt 0x1
	s_delay_alu instid0(VALU_DEP_1) | instskip(SKIP_4) | instid1(VALU_DEP_1)
	v_fmac_f64_e32 v[140:141], v[120:121], v[110:111]
	ds_load_b64 v[110:111], v2 offset:824
	s_wait_loadcnt 0x1
	v_fmac_f64_e32 v[140:141], v[122:123], v[112:113]
	s_wait_dscnt 0x1
	v_fmac_f64_e32 v[140:141], v[124:125], v[114:115]
	s_wait_loadcnt 0x0
	s_delay_alu instid0(VALU_DEP_1) | instskip(SKIP_1) | instid1(VALU_DEP_1)
	v_fmac_f64_e32 v[140:141], v[126:127], v[116:117]
	s_wait_dscnt 0x0
	v_fmac_f64_e32 v[140:141], v[128:129], v[110:111]
	s_delay_alu instid0(VALU_DEP_1)
	v_add_f64_e64 v[108:109], v[108:109], -v[140:141]
	scratch_store_b64 off, v[108:109], off offset:240
	s_wait_xcnt 0x0
	v_cmpx_lt_u32_e32 29, v0
	s_cbranch_execz .LBB115_263
; %bb.262:
	scratch_load_b64 v[108:109], off, off offset:232
	v_mov_b64_e32 v[110:111], 0
	scratch_store_b64 off, v[110:111], off offset:232
	s_wait_loadcnt 0x0
	ds_store_b64 v1, v[108:109]
.LBB115_263:
	s_wait_xcnt 0x0
	s_or_b32 exec_lo, exec_lo, s0
	s_wait_storecnt_dscnt 0x0
	s_barrier_signal -1
	s_barrier_wait -1
	s_clause 0x5
	scratch_load_b128 v[108:111], off, off offset:232
	scratch_load_b128 v[112:115], off, off offset:248
	;; [unrolled: 1-line block ×6, first 2 shown]
	ds_load_b128 v[132:135], v2 offset:656
	ds_load_b128 v[136:139], v2 offset:672
	scratch_load_b128 v[140:143], off, off offset:328
	s_mov_b32 s0, exec_lo
	s_wait_loadcnt_dscnt 0x601
	v_fma_f64 v[144:145], v[110:111], v[132:133], 0
	s_wait_loadcnt 0x5
	s_delay_alu instid0(VALU_DEP_1) | instskip(SKIP_4) | instid1(VALU_DEP_1)
	v_fmac_f64_e32 v[144:145], v[112:113], v[134:135]
	scratch_load_b128 v[110:113], off, off offset:344
	s_wait_dscnt 0x0
	v_fmac_f64_e32 v[144:145], v[114:115], v[136:137]
	s_wait_loadcnt 0x5
	v_fmac_f64_e32 v[144:145], v[116:117], v[138:139]
	ds_load_b128 v[114:117], v2 offset:688
	ds_load_b128 v[132:135], v2 offset:704
	s_wait_dscnt 0x1
	v_fmac_f64_e32 v[144:145], v[118:119], v[114:115]
	s_wait_loadcnt 0x4
	s_delay_alu instid0(VALU_DEP_1)
	v_fmac_f64_e32 v[144:145], v[120:121], v[116:117]
	s_clause 0x1
	scratch_load_b128 v[114:117], off, off offset:360
	scratch_load_b128 v[118:121], off, off offset:376
	s_wait_dscnt 0x0
	v_fmac_f64_e32 v[144:145], v[122:123], v[132:133]
	s_wait_loadcnt 0x5
	s_delay_alu instid0(VALU_DEP_1)
	v_fmac_f64_e32 v[144:145], v[124:125], v[134:135]
	ds_load_b128 v[122:125], v2 offset:720
	ds_load_b128 v[132:135], v2 offset:736
	s_wait_dscnt 0x1
	v_fmac_f64_e32 v[144:145], v[126:127], v[122:123]
	s_wait_loadcnt 0x4
	s_delay_alu instid0(VALU_DEP_1) | instskip(SKIP_4) | instid1(VALU_DEP_1)
	v_fmac_f64_e32 v[144:145], v[128:129], v[124:125]
	scratch_load_b128 v[122:125], off, off offset:392
	s_wait_dscnt 0x0
	v_fmac_f64_e32 v[144:145], v[130:131], v[132:133]
	s_wait_loadcnt 0x4
	v_fmac_f64_e32 v[144:145], v[140:141], v[134:135]
	scratch_load_b64 v[134:135], off, off offset:408
	ds_load_b128 v[126:129], v2 offset:752
	ds_load_b128 v[130:133], v2 offset:768
	s_wait_dscnt 0x1
	v_fmac_f64_e32 v[144:145], v[142:143], v[126:127]
	s_wait_loadcnt 0x4
	s_delay_alu instid0(VALU_DEP_1) | instskip(SKIP_1) | instid1(VALU_DEP_1)
	v_fmac_f64_e32 v[144:145], v[110:111], v[128:129]
	s_wait_dscnt 0x0
	v_fmac_f64_e32 v[144:145], v[112:113], v[130:131]
	ds_load_b128 v[110:113], v2 offset:784
	ds_load_b128 v[126:129], v2 offset:800
	s_wait_loadcnt 0x3
	v_fmac_f64_e32 v[144:145], v[114:115], v[132:133]
	s_wait_dscnt 0x1
	s_delay_alu instid0(VALU_DEP_1) | instskip(SKIP_1) | instid1(VALU_DEP_1)
	v_fmac_f64_e32 v[144:145], v[116:117], v[110:111]
	s_wait_loadcnt 0x2
	v_fmac_f64_e32 v[144:145], v[118:119], v[112:113]
	ds_load_b128 v[110:113], v2 offset:816
	s_wait_dscnt 0x1
	v_fmac_f64_e32 v[144:145], v[120:121], v[126:127]
	s_wait_loadcnt 0x1
	s_delay_alu instid0(VALU_DEP_1) | instskip(SKIP_1) | instid1(VALU_DEP_1)
	v_fmac_f64_e32 v[144:145], v[122:123], v[128:129]
	s_wait_dscnt 0x0
	v_fmac_f64_e32 v[144:145], v[124:125], v[110:111]
	s_wait_loadcnt 0x0
	s_delay_alu instid0(VALU_DEP_1) | instskip(NEXT) | instid1(VALU_DEP_1)
	v_fmac_f64_e32 v[144:145], v[134:135], v[112:113]
	v_add_f64_e64 v[2:3], v[108:109], -v[144:145]
	scratch_store_b64 off, v[2:3], off offset:232
	s_wait_xcnt 0x0
	v_cmpx_lt_u32_e32 28, v0
	s_cbranch_execz .LBB115_265
; %bb.264:
	scratch_load_b64 v[2:3], off, off offset:224
	v_mov_b64_e32 v[108:109], 0
	scratch_store_b64 off, v[108:109], off offset:224
	s_wait_loadcnt 0x0
	ds_store_b64 v1, v[2:3]
.LBB115_265:
	s_wait_xcnt 0x0
	s_or_b32 exec_lo, exec_lo, s0
	s_wait_storecnt_dscnt 0x0
	s_barrier_signal -1
	s_barrier_wait -1
	s_clause 0x5
	scratch_load_b128 v[108:111], off, off offset:224
	scratch_load_b128 v[112:115], off, off offset:240
	;; [unrolled: 1-line block ×6, first 2 shown]
	v_mov_b32_e32 v2, 0
	ds_load_2addr_b64 v[132:135], v2 offset0:81 offset1:82
	ds_load_2addr_b64 v[136:139], v2 offset0:83 offset1:84
	scratch_load_b128 v[140:143], off, off offset:320
	s_mov_b32 s0, exec_lo
	s_wait_loadcnt_dscnt 0x601
	v_fma_f64 v[144:145], v[110:111], v[132:133], 0
	s_wait_loadcnt 0x5
	s_delay_alu instid0(VALU_DEP_1) | instskip(SKIP_4) | instid1(VALU_DEP_1)
	v_fmac_f64_e32 v[144:145], v[112:113], v[134:135]
	scratch_load_b128 v[110:113], off, off offset:336
	s_wait_dscnt 0x0
	v_fmac_f64_e32 v[144:145], v[114:115], v[136:137]
	s_wait_loadcnt 0x5
	v_fmac_f64_e32 v[144:145], v[116:117], v[138:139]
	ds_load_2addr_b64 v[114:117], v2 offset0:85 offset1:86
	ds_load_2addr_b64 v[132:135], v2 offset0:87 offset1:88
	s_wait_dscnt 0x1
	v_fmac_f64_e32 v[144:145], v[118:119], v[114:115]
	s_wait_loadcnt 0x4
	s_delay_alu instid0(VALU_DEP_1)
	v_fmac_f64_e32 v[144:145], v[120:121], v[116:117]
	s_clause 0x1
	scratch_load_b128 v[114:117], off, off offset:352
	scratch_load_b128 v[118:121], off, off offset:368
	s_wait_dscnt 0x0
	v_fmac_f64_e32 v[144:145], v[122:123], v[132:133]
	s_wait_loadcnt 0x5
	s_delay_alu instid0(VALU_DEP_1)
	v_fmac_f64_e32 v[144:145], v[124:125], v[134:135]
	ds_load_2addr_b64 v[122:125], v2 offset0:89 offset1:90
	ds_load_2addr_b64 v[132:135], v2 offset0:91 offset1:92
	s_wait_dscnt 0x1
	v_fmac_f64_e32 v[144:145], v[126:127], v[122:123]
	s_wait_loadcnt 0x4
	s_delay_alu instid0(VALU_DEP_1)
	v_fmac_f64_e32 v[144:145], v[128:129], v[124:125]
	s_clause 0x1
	scratch_load_b128 v[122:125], off, off offset:384
	scratch_load_b128 v[126:129], off, off offset:400
	s_wait_dscnt 0x0
	v_fmac_f64_e32 v[144:145], v[130:131], v[132:133]
	s_wait_loadcnt 0x5
	s_delay_alu instid0(VALU_DEP_1)
	v_fmac_f64_e32 v[144:145], v[140:141], v[134:135]
	ds_load_2addr_b64 v[130:133], v2 offset0:93 offset1:94
	ds_load_2addr_b64 v[134:137], v2 offset0:95 offset1:96
	s_wait_dscnt 0x1
	v_fmac_f64_e32 v[144:145], v[142:143], v[130:131]
	s_wait_loadcnt 0x4
	s_delay_alu instid0(VALU_DEP_1) | instskip(SKIP_1) | instid1(VALU_DEP_1)
	v_fmac_f64_e32 v[144:145], v[110:111], v[132:133]
	s_wait_dscnt 0x0
	v_fmac_f64_e32 v[144:145], v[112:113], v[134:135]
	ds_load_2addr_b64 v[110:113], v2 offset0:97 offset1:98
	ds_load_2addr_b64 v[130:133], v2 offset0:99 offset1:100
	s_wait_loadcnt 0x3
	v_fmac_f64_e32 v[144:145], v[114:115], v[136:137]
	s_wait_dscnt 0x1
	s_delay_alu instid0(VALU_DEP_1) | instskip(SKIP_1) | instid1(VALU_DEP_1)
	v_fmac_f64_e32 v[144:145], v[116:117], v[110:111]
	s_wait_loadcnt 0x2
	v_fmac_f64_e32 v[144:145], v[118:119], v[112:113]
	ds_load_2addr_b64 v[110:113], v2 offset0:101 offset1:102
	ds_load_b64 v[114:115], v2 offset:824
	s_wait_dscnt 0x2
	v_fmac_f64_e32 v[144:145], v[120:121], v[130:131]
	s_wait_loadcnt 0x1
	s_delay_alu instid0(VALU_DEP_1) | instskip(SKIP_1) | instid1(VALU_DEP_1)
	v_fmac_f64_e32 v[144:145], v[122:123], v[132:133]
	s_wait_dscnt 0x1
	v_fmac_f64_e32 v[144:145], v[124:125], v[110:111]
	s_wait_loadcnt 0x0
	s_delay_alu instid0(VALU_DEP_1) | instskip(SKIP_1) | instid1(VALU_DEP_1)
	v_fmac_f64_e32 v[144:145], v[126:127], v[112:113]
	s_wait_dscnt 0x0
	v_fmac_f64_e32 v[144:145], v[128:129], v[114:115]
	s_delay_alu instid0(VALU_DEP_1)
	v_add_f64_e64 v[108:109], v[108:109], -v[144:145]
	scratch_store_b64 off, v[108:109], off offset:224
	s_wait_xcnt 0x0
	v_cmpx_lt_u32_e32 27, v0
	s_cbranch_execz .LBB115_267
; %bb.266:
	scratch_load_b64 v[108:109], off, off offset:216
	v_mov_b64_e32 v[110:111], 0
	scratch_store_b64 off, v[110:111], off offset:216
	s_wait_loadcnt 0x0
	ds_store_b64 v1, v[108:109]
.LBB115_267:
	s_wait_xcnt 0x0
	s_or_b32 exec_lo, exec_lo, s0
	s_wait_storecnt_dscnt 0x0
	s_barrier_signal -1
	s_barrier_wait -1
	s_clause 0x5
	scratch_load_b128 v[108:111], off, off offset:216
	scratch_load_b128 v[112:115], off, off offset:232
	;; [unrolled: 1-line block ×6, first 2 shown]
	ds_load_b128 v[132:135], v2 offset:640
	ds_load_b128 v[136:139], v2 offset:656
	scratch_load_b128 v[140:143], off, off offset:312
	s_mov_b32 s0, exec_lo
	s_wait_loadcnt_dscnt 0x601
	v_fma_f64 v[144:145], v[110:111], v[132:133], 0
	s_wait_loadcnt 0x5
	s_delay_alu instid0(VALU_DEP_1) | instskip(SKIP_4) | instid1(VALU_DEP_1)
	v_fmac_f64_e32 v[144:145], v[112:113], v[134:135]
	scratch_load_b128 v[110:113], off, off offset:328
	s_wait_dscnt 0x0
	v_fmac_f64_e32 v[144:145], v[114:115], v[136:137]
	s_wait_loadcnt 0x5
	v_fmac_f64_e32 v[144:145], v[116:117], v[138:139]
	ds_load_b128 v[114:117], v2 offset:672
	ds_load_b128 v[132:135], v2 offset:688
	s_wait_dscnt 0x1
	v_fmac_f64_e32 v[144:145], v[118:119], v[114:115]
	s_wait_loadcnt 0x4
	s_delay_alu instid0(VALU_DEP_1)
	v_fmac_f64_e32 v[144:145], v[120:121], v[116:117]
	s_clause 0x1
	scratch_load_b128 v[114:117], off, off offset:344
	scratch_load_b128 v[118:121], off, off offset:360
	s_wait_dscnt 0x0
	v_fmac_f64_e32 v[144:145], v[122:123], v[132:133]
	s_wait_loadcnt 0x5
	s_delay_alu instid0(VALU_DEP_1)
	v_fmac_f64_e32 v[144:145], v[124:125], v[134:135]
	ds_load_b128 v[122:125], v2 offset:704
	ds_load_b128 v[132:135], v2 offset:720
	s_wait_dscnt 0x1
	v_fmac_f64_e32 v[144:145], v[126:127], v[122:123]
	s_wait_loadcnt 0x4
	s_delay_alu instid0(VALU_DEP_1)
	v_fmac_f64_e32 v[144:145], v[128:129], v[124:125]
	s_clause 0x1
	scratch_load_b128 v[122:125], off, off offset:376
	scratch_load_b128 v[126:129], off, off offset:392
	s_wait_dscnt 0x0
	v_fmac_f64_e32 v[144:145], v[130:131], v[132:133]
	s_wait_loadcnt 0x5
	s_delay_alu instid0(VALU_DEP_1)
	v_fmac_f64_e32 v[144:145], v[140:141], v[134:135]
	ds_load_b128 v[130:133], v2 offset:736
	ds_load_b128 v[134:137], v2 offset:752
	scratch_load_b64 v[138:139], off, off offset:408
	s_wait_dscnt 0x1
	v_fmac_f64_e32 v[144:145], v[142:143], v[130:131]
	s_wait_loadcnt 0x5
	s_delay_alu instid0(VALU_DEP_1) | instskip(SKIP_1) | instid1(VALU_DEP_1)
	v_fmac_f64_e32 v[144:145], v[110:111], v[132:133]
	s_wait_dscnt 0x0
	v_fmac_f64_e32 v[144:145], v[112:113], v[134:135]
	ds_load_b128 v[110:113], v2 offset:768
	ds_load_b128 v[130:133], v2 offset:784
	s_wait_loadcnt 0x4
	v_fmac_f64_e32 v[144:145], v[114:115], v[136:137]
	s_wait_dscnt 0x1
	s_delay_alu instid0(VALU_DEP_1) | instskip(SKIP_1) | instid1(VALU_DEP_1)
	v_fmac_f64_e32 v[144:145], v[116:117], v[110:111]
	s_wait_loadcnt 0x3
	v_fmac_f64_e32 v[144:145], v[118:119], v[112:113]
	ds_load_b128 v[110:113], v2 offset:800
	ds_load_b128 v[114:117], v2 offset:816
	s_wait_dscnt 0x2
	v_fmac_f64_e32 v[144:145], v[120:121], v[130:131]
	s_wait_loadcnt 0x2
	s_delay_alu instid0(VALU_DEP_1) | instskip(SKIP_1) | instid1(VALU_DEP_1)
	v_fmac_f64_e32 v[144:145], v[122:123], v[132:133]
	s_wait_dscnt 0x1
	v_fmac_f64_e32 v[144:145], v[124:125], v[110:111]
	s_wait_loadcnt 0x1
	s_delay_alu instid0(VALU_DEP_1) | instskip(SKIP_1) | instid1(VALU_DEP_1)
	v_fmac_f64_e32 v[144:145], v[126:127], v[112:113]
	s_wait_dscnt 0x0
	v_fmac_f64_e32 v[144:145], v[128:129], v[114:115]
	s_wait_loadcnt 0x0
	s_delay_alu instid0(VALU_DEP_1) | instskip(NEXT) | instid1(VALU_DEP_1)
	v_fmac_f64_e32 v[144:145], v[138:139], v[116:117]
	v_add_f64_e64 v[2:3], v[108:109], -v[144:145]
	scratch_store_b64 off, v[2:3], off offset:216
	s_wait_xcnt 0x0
	v_cmpx_lt_u32_e32 26, v0
	s_cbranch_execz .LBB115_269
; %bb.268:
	scratch_load_b64 v[2:3], off, off offset:208
	v_mov_b64_e32 v[108:109], 0
	scratch_store_b64 off, v[108:109], off offset:208
	s_wait_loadcnt 0x0
	ds_store_b64 v1, v[2:3]
.LBB115_269:
	s_wait_xcnt 0x0
	s_or_b32 exec_lo, exec_lo, s0
	s_wait_storecnt_dscnt 0x0
	s_barrier_signal -1
	s_barrier_wait -1
	s_clause 0x5
	scratch_load_b128 v[108:111], off, off offset:208
	scratch_load_b128 v[112:115], off, off offset:224
	;; [unrolled: 1-line block ×6, first 2 shown]
	v_mov_b32_e32 v2, 0
	ds_load_2addr_b64 v[132:135], v2 offset0:79 offset1:80
	ds_load_2addr_b64 v[136:139], v2 offset0:81 offset1:82
	scratch_load_b128 v[140:143], off, off offset:304
	s_mov_b32 s0, exec_lo
	s_wait_loadcnt_dscnt 0x601
	v_fma_f64 v[144:145], v[110:111], v[132:133], 0
	s_wait_loadcnt 0x5
	s_delay_alu instid0(VALU_DEP_1) | instskip(SKIP_4) | instid1(VALU_DEP_1)
	v_fmac_f64_e32 v[144:145], v[112:113], v[134:135]
	scratch_load_b128 v[110:113], off, off offset:320
	s_wait_dscnt 0x0
	v_fmac_f64_e32 v[144:145], v[114:115], v[136:137]
	s_wait_loadcnt 0x5
	v_fmac_f64_e32 v[144:145], v[116:117], v[138:139]
	ds_load_2addr_b64 v[114:117], v2 offset0:83 offset1:84
	ds_load_2addr_b64 v[132:135], v2 offset0:85 offset1:86
	s_wait_dscnt 0x1
	v_fmac_f64_e32 v[144:145], v[118:119], v[114:115]
	s_wait_loadcnt 0x4
	s_delay_alu instid0(VALU_DEP_1)
	v_fmac_f64_e32 v[144:145], v[120:121], v[116:117]
	s_clause 0x1
	scratch_load_b128 v[114:117], off, off offset:336
	scratch_load_b128 v[118:121], off, off offset:352
	s_wait_dscnt 0x0
	v_fmac_f64_e32 v[144:145], v[122:123], v[132:133]
	s_wait_loadcnt 0x5
	s_delay_alu instid0(VALU_DEP_1)
	v_fmac_f64_e32 v[144:145], v[124:125], v[134:135]
	ds_load_2addr_b64 v[122:125], v2 offset0:87 offset1:88
	ds_load_2addr_b64 v[132:135], v2 offset0:89 offset1:90
	s_wait_dscnt 0x1
	v_fmac_f64_e32 v[144:145], v[126:127], v[122:123]
	s_wait_loadcnt 0x4
	s_delay_alu instid0(VALU_DEP_1)
	v_fmac_f64_e32 v[144:145], v[128:129], v[124:125]
	s_clause 0x1
	scratch_load_b128 v[122:125], off, off offset:368
	scratch_load_b128 v[126:129], off, off offset:384
	s_wait_dscnt 0x0
	v_fmac_f64_e32 v[144:145], v[130:131], v[132:133]
	s_wait_loadcnt 0x5
	s_delay_alu instid0(VALU_DEP_1)
	v_fmac_f64_e32 v[144:145], v[140:141], v[134:135]
	ds_load_2addr_b64 v[130:133], v2 offset0:91 offset1:92
	ds_load_2addr_b64 v[134:137], v2 offset0:93 offset1:94
	s_wait_dscnt 0x1
	v_fmac_f64_e32 v[144:145], v[142:143], v[130:131]
	s_wait_loadcnt 0x4
	s_delay_alu instid0(VALU_DEP_1) | instskip(SKIP_4) | instid1(VALU_DEP_1)
	v_fmac_f64_e32 v[144:145], v[110:111], v[132:133]
	scratch_load_b128 v[130:133], off, off offset:400
	s_wait_dscnt 0x0
	v_fmac_f64_e32 v[144:145], v[112:113], v[134:135]
	s_wait_loadcnt 0x4
	v_fmac_f64_e32 v[144:145], v[114:115], v[136:137]
	ds_load_2addr_b64 v[110:113], v2 offset0:95 offset1:96
	ds_load_2addr_b64 v[134:137], v2 offset0:97 offset1:98
	s_wait_dscnt 0x1
	v_fmac_f64_e32 v[144:145], v[116:117], v[110:111]
	s_wait_loadcnt 0x3
	s_delay_alu instid0(VALU_DEP_1)
	v_fmac_f64_e32 v[144:145], v[118:119], v[112:113]
	ds_load_2addr_b64 v[110:113], v2 offset0:99 offset1:100
	ds_load_2addr_b64 v[114:117], v2 offset0:101 offset1:102
	s_wait_dscnt 0x2
	v_fmac_f64_e32 v[144:145], v[120:121], v[134:135]
	s_wait_loadcnt 0x2
	s_delay_alu instid0(VALU_DEP_1) | instskip(SKIP_1) | instid1(VALU_DEP_1)
	v_fmac_f64_e32 v[144:145], v[122:123], v[136:137]
	s_wait_dscnt 0x1
	v_fmac_f64_e32 v[144:145], v[124:125], v[110:111]
	ds_load_b64 v[110:111], v2 offset:824
	s_wait_loadcnt 0x1
	v_fmac_f64_e32 v[144:145], v[126:127], v[112:113]
	s_wait_dscnt 0x1
	s_delay_alu instid0(VALU_DEP_1) | instskip(SKIP_1) | instid1(VALU_DEP_1)
	v_fmac_f64_e32 v[144:145], v[128:129], v[114:115]
	s_wait_loadcnt 0x0
	v_fmac_f64_e32 v[144:145], v[130:131], v[116:117]
	s_wait_dscnt 0x0
	s_delay_alu instid0(VALU_DEP_1) | instskip(NEXT) | instid1(VALU_DEP_1)
	v_fmac_f64_e32 v[144:145], v[132:133], v[110:111]
	v_add_f64_e64 v[108:109], v[108:109], -v[144:145]
	scratch_store_b64 off, v[108:109], off offset:208
	s_wait_xcnt 0x0
	v_cmpx_lt_u32_e32 25, v0
	s_cbranch_execz .LBB115_271
; %bb.270:
	scratch_load_b64 v[108:109], off, off offset:200
	v_mov_b64_e32 v[110:111], 0
	scratch_store_b64 off, v[110:111], off offset:200
	s_wait_loadcnt 0x0
	ds_store_b64 v1, v[108:109]
.LBB115_271:
	s_wait_xcnt 0x0
	s_or_b32 exec_lo, exec_lo, s0
	s_wait_storecnt_dscnt 0x0
	s_barrier_signal -1
	s_barrier_wait -1
	s_clause 0x5
	scratch_load_b128 v[108:111], off, off offset:200
	scratch_load_b128 v[112:115], off, off offset:216
	;; [unrolled: 1-line block ×6, first 2 shown]
	ds_load_b128 v[132:135], v2 offset:624
	ds_load_b128 v[136:139], v2 offset:640
	scratch_load_b128 v[140:143], off, off offset:296
	s_mov_b32 s0, exec_lo
	s_wait_loadcnt_dscnt 0x601
	v_fma_f64 v[144:145], v[110:111], v[132:133], 0
	s_wait_loadcnt 0x5
	s_delay_alu instid0(VALU_DEP_1) | instskip(SKIP_4) | instid1(VALU_DEP_1)
	v_fmac_f64_e32 v[144:145], v[112:113], v[134:135]
	scratch_load_b128 v[110:113], off, off offset:312
	s_wait_dscnt 0x0
	v_fmac_f64_e32 v[144:145], v[114:115], v[136:137]
	s_wait_loadcnt 0x5
	v_fmac_f64_e32 v[144:145], v[116:117], v[138:139]
	ds_load_b128 v[114:117], v2 offset:656
	ds_load_b128 v[132:135], v2 offset:672
	scratch_load_b128 v[136:139], off, off offset:328
	s_wait_dscnt 0x1
	v_fmac_f64_e32 v[144:145], v[118:119], v[114:115]
	s_wait_loadcnt 0x5
	s_delay_alu instid0(VALU_DEP_1) | instskip(SKIP_4) | instid1(VALU_DEP_1)
	v_fmac_f64_e32 v[144:145], v[120:121], v[116:117]
	scratch_load_b128 v[114:117], off, off offset:344
	s_wait_dscnt 0x0
	v_fmac_f64_e32 v[144:145], v[122:123], v[132:133]
	s_wait_loadcnt 0x5
	v_fmac_f64_e32 v[144:145], v[124:125], v[134:135]
	ds_load_b128 v[118:121], v2 offset:688
	ds_load_b128 v[122:125], v2 offset:704
	s_wait_dscnt 0x1
	v_fmac_f64_e32 v[144:145], v[126:127], v[118:119]
	s_wait_loadcnt 0x4
	s_delay_alu instid0(VALU_DEP_1) | instskip(SKIP_4) | instid1(VALU_DEP_1)
	v_fmac_f64_e32 v[144:145], v[128:129], v[120:121]
	scratch_load_b128 v[118:121], off, off offset:360
	s_wait_dscnt 0x0
	v_fmac_f64_e32 v[144:145], v[130:131], v[122:123]
	s_wait_loadcnt 0x4
	v_fmac_f64_e32 v[144:145], v[140:141], v[124:125]
	scratch_load_b128 v[122:125], off, off offset:376
	ds_load_b128 v[126:129], v2 offset:720
	ds_load_b128 v[130:133], v2 offset:736
	scratch_load_b64 v[134:135], off, off offset:408
	s_wait_dscnt 0x1
	v_fmac_f64_e32 v[144:145], v[142:143], v[126:127]
	s_wait_loadcnt 0x5
	s_delay_alu instid0(VALU_DEP_1) | instskip(SKIP_4) | instid1(VALU_DEP_1)
	v_fmac_f64_e32 v[144:145], v[110:111], v[128:129]
	scratch_load_b128 v[126:129], off, off offset:392
	s_wait_dscnt 0x0
	v_fmac_f64_e32 v[144:145], v[112:113], v[130:131]
	s_wait_loadcnt 0x5
	v_fmac_f64_e32 v[144:145], v[136:137], v[132:133]
	ds_load_b128 v[110:113], v2 offset:752
	ds_load_b128 v[130:133], v2 offset:768
	s_wait_dscnt 0x1
	v_fmac_f64_e32 v[144:145], v[138:139], v[110:111]
	s_wait_loadcnt 0x4
	s_delay_alu instid0(VALU_DEP_1) | instskip(SKIP_1) | instid1(VALU_DEP_1)
	v_fmac_f64_e32 v[144:145], v[114:115], v[112:113]
	s_wait_dscnt 0x0
	v_fmac_f64_e32 v[144:145], v[116:117], v[130:131]
	ds_load_b128 v[110:113], v2 offset:784
	ds_load_b128 v[114:117], v2 offset:800
	s_wait_loadcnt 0x3
	v_fmac_f64_e32 v[144:145], v[118:119], v[132:133]
	s_wait_dscnt 0x1
	s_delay_alu instid0(VALU_DEP_1) | instskip(SKIP_1) | instid1(VALU_DEP_1)
	v_fmac_f64_e32 v[144:145], v[120:121], v[110:111]
	s_wait_loadcnt 0x2
	v_fmac_f64_e32 v[144:145], v[122:123], v[112:113]
	ds_load_b128 v[110:113], v2 offset:816
	s_wait_dscnt 0x1
	v_fmac_f64_e32 v[144:145], v[124:125], v[114:115]
	s_wait_loadcnt 0x0
	s_delay_alu instid0(VALU_DEP_1) | instskip(SKIP_1) | instid1(VALU_DEP_1)
	v_fmac_f64_e32 v[144:145], v[126:127], v[116:117]
	s_wait_dscnt 0x0
	v_fmac_f64_e32 v[144:145], v[128:129], v[110:111]
	s_delay_alu instid0(VALU_DEP_1) | instskip(NEXT) | instid1(VALU_DEP_1)
	v_fmac_f64_e32 v[144:145], v[134:135], v[112:113]
	v_add_f64_e64 v[2:3], v[108:109], -v[144:145]
	scratch_store_b64 off, v[2:3], off offset:200
	s_wait_xcnt 0x0
	v_cmpx_lt_u32_e32 24, v0
	s_cbranch_execz .LBB115_273
; %bb.272:
	scratch_load_b64 v[2:3], off, off offset:192
	v_mov_b64_e32 v[108:109], 0
	scratch_store_b64 off, v[108:109], off offset:192
	s_wait_loadcnt 0x0
	ds_store_b64 v1, v[2:3]
.LBB115_273:
	s_wait_xcnt 0x0
	s_or_b32 exec_lo, exec_lo, s0
	s_wait_storecnt_dscnt 0x0
	s_barrier_signal -1
	s_barrier_wait -1
	s_clause 0x5
	scratch_load_b128 v[108:111], off, off offset:192
	scratch_load_b128 v[112:115], off, off offset:208
	;; [unrolled: 1-line block ×6, first 2 shown]
	v_mov_b32_e32 v2, 0
	ds_load_2addr_b64 v[132:135], v2 offset0:77 offset1:78
	ds_load_2addr_b64 v[136:139], v2 offset0:79 offset1:80
	scratch_load_b128 v[140:143], off, off offset:288
	s_mov_b32 s0, exec_lo
	s_wait_loadcnt_dscnt 0x601
	v_fma_f64 v[144:145], v[110:111], v[132:133], 0
	s_wait_loadcnt 0x5
	s_delay_alu instid0(VALU_DEP_1) | instskip(SKIP_4) | instid1(VALU_DEP_1)
	v_fmac_f64_e32 v[144:145], v[112:113], v[134:135]
	scratch_load_b128 v[110:113], off, off offset:304
	s_wait_dscnt 0x0
	v_fmac_f64_e32 v[144:145], v[114:115], v[136:137]
	s_wait_loadcnt 0x5
	v_fmac_f64_e32 v[144:145], v[116:117], v[138:139]
	ds_load_2addr_b64 v[114:117], v2 offset0:81 offset1:82
	ds_load_2addr_b64 v[132:135], v2 offset0:83 offset1:84
	scratch_load_b128 v[136:139], off, off offset:320
	s_wait_dscnt 0x1
	v_fmac_f64_e32 v[144:145], v[118:119], v[114:115]
	s_wait_loadcnt 0x5
	s_delay_alu instid0(VALU_DEP_1) | instskip(SKIP_4) | instid1(VALU_DEP_1)
	v_fmac_f64_e32 v[144:145], v[120:121], v[116:117]
	scratch_load_b128 v[114:117], off, off offset:336
	s_wait_dscnt 0x0
	v_fmac_f64_e32 v[144:145], v[122:123], v[132:133]
	s_wait_loadcnt 0x5
	v_fmac_f64_e32 v[144:145], v[124:125], v[134:135]
	ds_load_2addr_b64 v[118:121], v2 offset0:85 offset1:86
	ds_load_2addr_b64 v[122:125], v2 offset0:87 offset1:88
	s_wait_dscnt 0x1
	v_fmac_f64_e32 v[144:145], v[126:127], v[118:119]
	s_wait_loadcnt 0x4
	s_delay_alu instid0(VALU_DEP_1) | instskip(SKIP_4) | instid1(VALU_DEP_1)
	v_fmac_f64_e32 v[144:145], v[128:129], v[120:121]
	scratch_load_b128 v[118:121], off, off offset:352
	s_wait_dscnt 0x0
	v_fmac_f64_e32 v[144:145], v[130:131], v[122:123]
	s_wait_loadcnt 0x4
	v_fmac_f64_e32 v[144:145], v[140:141], v[124:125]
	scratch_load_b128 v[122:125], off, off offset:368
	ds_load_2addr_b64 v[126:129], v2 offset0:89 offset1:90
	ds_load_2addr_b64 v[130:133], v2 offset0:91 offset1:92
	s_wait_dscnt 0x1
	v_fmac_f64_e32 v[144:145], v[142:143], v[126:127]
	s_wait_loadcnt 0x4
	s_delay_alu instid0(VALU_DEP_1)
	v_fmac_f64_e32 v[144:145], v[110:111], v[128:129]
	scratch_load_b128 v[126:129], off, off offset:384
	s_wait_dscnt 0x0
	v_fmac_f64_e32 v[144:145], v[112:113], v[130:131]
	scratch_load_b128 v[110:113], off, off offset:400
	s_wait_loadcnt 0x5
	v_fmac_f64_e32 v[144:145], v[136:137], v[132:133]
	ds_load_2addr_b64 v[130:133], v2 offset0:93 offset1:94
	ds_load_2addr_b64 v[134:137], v2 offset0:95 offset1:96
	s_wait_dscnt 0x1
	v_fmac_f64_e32 v[144:145], v[138:139], v[130:131]
	s_wait_loadcnt 0x4
	s_delay_alu instid0(VALU_DEP_1) | instskip(SKIP_1) | instid1(VALU_DEP_1)
	v_fmac_f64_e32 v[144:145], v[114:115], v[132:133]
	s_wait_dscnt 0x0
	v_fmac_f64_e32 v[144:145], v[116:117], v[134:135]
	ds_load_2addr_b64 v[114:117], v2 offset0:97 offset1:98
	ds_load_2addr_b64 v[130:133], v2 offset0:99 offset1:100
	s_wait_loadcnt 0x3
	v_fmac_f64_e32 v[144:145], v[118:119], v[136:137]
	s_wait_dscnt 0x1
	s_delay_alu instid0(VALU_DEP_1) | instskip(SKIP_1) | instid1(VALU_DEP_1)
	v_fmac_f64_e32 v[144:145], v[120:121], v[114:115]
	s_wait_loadcnt 0x2
	v_fmac_f64_e32 v[144:145], v[122:123], v[116:117]
	ds_load_2addr_b64 v[114:117], v2 offset0:101 offset1:102
	ds_load_b64 v[118:119], v2 offset:824
	s_wait_dscnt 0x2
	v_fmac_f64_e32 v[144:145], v[124:125], v[130:131]
	s_wait_loadcnt 0x1
	s_delay_alu instid0(VALU_DEP_1) | instskip(SKIP_1) | instid1(VALU_DEP_1)
	v_fmac_f64_e32 v[144:145], v[126:127], v[132:133]
	s_wait_dscnt 0x1
	v_fmac_f64_e32 v[144:145], v[128:129], v[114:115]
	s_wait_loadcnt 0x0
	s_delay_alu instid0(VALU_DEP_1) | instskip(SKIP_1) | instid1(VALU_DEP_1)
	v_fmac_f64_e32 v[144:145], v[110:111], v[116:117]
	s_wait_dscnt 0x0
	v_fmac_f64_e32 v[144:145], v[112:113], v[118:119]
	s_delay_alu instid0(VALU_DEP_1)
	v_add_f64_e64 v[108:109], v[108:109], -v[144:145]
	scratch_store_b64 off, v[108:109], off offset:192
	s_wait_xcnt 0x0
	v_cmpx_lt_u32_e32 23, v0
	s_cbranch_execz .LBB115_275
; %bb.274:
	scratch_load_b64 v[108:109], off, off offset:184
	v_mov_b64_e32 v[110:111], 0
	scratch_store_b64 off, v[110:111], off offset:184
	s_wait_loadcnt 0x0
	ds_store_b64 v1, v[108:109]
.LBB115_275:
	s_wait_xcnt 0x0
	s_or_b32 exec_lo, exec_lo, s0
	s_wait_storecnt_dscnt 0x0
	s_barrier_signal -1
	s_barrier_wait -1
	s_clause 0x5
	scratch_load_b128 v[108:111], off, off offset:184
	scratch_load_b128 v[112:115], off, off offset:200
	;; [unrolled: 1-line block ×6, first 2 shown]
	ds_load_b128 v[132:135], v2 offset:608
	ds_load_b128 v[136:139], v2 offset:624
	scratch_load_b128 v[140:143], off, off offset:280
	s_mov_b32 s0, exec_lo
	s_wait_loadcnt_dscnt 0x601
	v_fma_f64 v[144:145], v[110:111], v[132:133], 0
	s_wait_loadcnt 0x5
	s_delay_alu instid0(VALU_DEP_1) | instskip(SKIP_4) | instid1(VALU_DEP_1)
	v_fmac_f64_e32 v[144:145], v[112:113], v[134:135]
	scratch_load_b128 v[110:113], off, off offset:296
	s_wait_dscnt 0x0
	v_fmac_f64_e32 v[144:145], v[114:115], v[136:137]
	s_wait_loadcnt 0x5
	v_fmac_f64_e32 v[144:145], v[116:117], v[138:139]
	ds_load_b128 v[114:117], v2 offset:640
	ds_load_b128 v[132:135], v2 offset:656
	scratch_load_b128 v[136:139], off, off offset:312
	s_wait_dscnt 0x1
	v_fmac_f64_e32 v[144:145], v[118:119], v[114:115]
	s_wait_loadcnt 0x5
	s_delay_alu instid0(VALU_DEP_1) | instskip(SKIP_4) | instid1(VALU_DEP_1)
	v_fmac_f64_e32 v[144:145], v[120:121], v[116:117]
	scratch_load_b128 v[114:117], off, off offset:328
	s_wait_dscnt 0x0
	v_fmac_f64_e32 v[144:145], v[122:123], v[132:133]
	s_wait_loadcnt 0x5
	v_fmac_f64_e32 v[144:145], v[124:125], v[134:135]
	ds_load_b128 v[118:121], v2 offset:672
	ds_load_b128 v[122:125], v2 offset:688
	s_wait_dscnt 0x1
	v_fmac_f64_e32 v[144:145], v[126:127], v[118:119]
	s_wait_loadcnt 0x4
	s_delay_alu instid0(VALU_DEP_1) | instskip(SKIP_4) | instid1(VALU_DEP_1)
	v_fmac_f64_e32 v[144:145], v[128:129], v[120:121]
	scratch_load_b128 v[118:121], off, off offset:344
	s_wait_dscnt 0x0
	v_fmac_f64_e32 v[144:145], v[130:131], v[122:123]
	s_wait_loadcnt 0x4
	v_fmac_f64_e32 v[144:145], v[140:141], v[124:125]
	scratch_load_b128 v[122:125], off, off offset:360
	ds_load_b128 v[126:129], v2 offset:704
	ds_load_b128 v[130:133], v2 offset:720
	s_wait_dscnt 0x1
	v_fmac_f64_e32 v[144:145], v[142:143], v[126:127]
	s_wait_loadcnt 0x4
	s_delay_alu instid0(VALU_DEP_1)
	v_fmac_f64_e32 v[144:145], v[110:111], v[128:129]
	scratch_load_b128 v[126:129], off, off offset:376
	s_wait_dscnt 0x0
	v_fmac_f64_e32 v[144:145], v[112:113], v[130:131]
	scratch_load_b128 v[110:113], off, off offset:392
	s_wait_loadcnt 0x5
	v_fmac_f64_e32 v[144:145], v[136:137], v[132:133]
	ds_load_b128 v[130:133], v2 offset:736
	ds_load_b128 v[134:137], v2 offset:752
	s_wait_dscnt 0x1
	v_fmac_f64_e32 v[144:145], v[138:139], v[130:131]
	scratch_load_b64 v[138:139], off, off offset:408
	s_wait_loadcnt 0x5
	v_fmac_f64_e32 v[144:145], v[114:115], v[132:133]
	s_wait_dscnt 0x0
	s_delay_alu instid0(VALU_DEP_1)
	v_fmac_f64_e32 v[144:145], v[116:117], v[134:135]
	ds_load_b128 v[114:117], v2 offset:768
	ds_load_b128 v[130:133], v2 offset:784
	s_wait_loadcnt 0x4
	v_fmac_f64_e32 v[144:145], v[118:119], v[136:137]
	s_wait_dscnt 0x1
	s_delay_alu instid0(VALU_DEP_1) | instskip(SKIP_1) | instid1(VALU_DEP_1)
	v_fmac_f64_e32 v[144:145], v[120:121], v[114:115]
	s_wait_loadcnt 0x3
	v_fmac_f64_e32 v[144:145], v[122:123], v[116:117]
	ds_load_b128 v[114:117], v2 offset:800
	ds_load_b128 v[118:121], v2 offset:816
	s_wait_dscnt 0x2
	v_fmac_f64_e32 v[144:145], v[124:125], v[130:131]
	s_wait_loadcnt 0x2
	s_delay_alu instid0(VALU_DEP_1) | instskip(SKIP_1) | instid1(VALU_DEP_1)
	v_fmac_f64_e32 v[144:145], v[126:127], v[132:133]
	s_wait_dscnt 0x1
	v_fmac_f64_e32 v[144:145], v[128:129], v[114:115]
	s_wait_loadcnt 0x1
	s_delay_alu instid0(VALU_DEP_1) | instskip(SKIP_1) | instid1(VALU_DEP_1)
	v_fmac_f64_e32 v[144:145], v[110:111], v[116:117]
	s_wait_dscnt 0x0
	v_fmac_f64_e32 v[144:145], v[112:113], v[118:119]
	s_wait_loadcnt 0x0
	s_delay_alu instid0(VALU_DEP_1) | instskip(NEXT) | instid1(VALU_DEP_1)
	v_fmac_f64_e32 v[144:145], v[138:139], v[120:121]
	v_add_f64_e64 v[2:3], v[108:109], -v[144:145]
	scratch_store_b64 off, v[2:3], off offset:184
	s_wait_xcnt 0x0
	v_cmpx_lt_u32_e32 22, v0
	s_cbranch_execz .LBB115_277
; %bb.276:
	scratch_load_b64 v[2:3], off, off offset:176
	v_mov_b64_e32 v[108:109], 0
	scratch_store_b64 off, v[108:109], off offset:176
	s_wait_loadcnt 0x0
	ds_store_b64 v1, v[2:3]
.LBB115_277:
	s_wait_xcnt 0x0
	s_or_b32 exec_lo, exec_lo, s0
	s_wait_storecnt_dscnt 0x0
	s_barrier_signal -1
	s_barrier_wait -1
	s_clause 0x5
	scratch_load_b128 v[108:111], off, off offset:176
	scratch_load_b128 v[112:115], off, off offset:192
	;; [unrolled: 1-line block ×6, first 2 shown]
	v_mov_b32_e32 v2, 0
	ds_load_2addr_b64 v[132:135], v2 offset0:75 offset1:76
	ds_load_2addr_b64 v[136:139], v2 offset0:77 offset1:78
	scratch_load_b128 v[140:143], off, off offset:272
	s_mov_b32 s0, exec_lo
	s_wait_loadcnt_dscnt 0x601
	v_fma_f64 v[144:145], v[110:111], v[132:133], 0
	s_wait_loadcnt 0x5
	s_delay_alu instid0(VALU_DEP_1) | instskip(SKIP_4) | instid1(VALU_DEP_1)
	v_fmac_f64_e32 v[144:145], v[112:113], v[134:135]
	scratch_load_b128 v[110:113], off, off offset:288
	s_wait_dscnt 0x0
	v_fmac_f64_e32 v[144:145], v[114:115], v[136:137]
	s_wait_loadcnt 0x5
	v_fmac_f64_e32 v[144:145], v[116:117], v[138:139]
	ds_load_2addr_b64 v[114:117], v2 offset0:79 offset1:80
	ds_load_2addr_b64 v[132:135], v2 offset0:81 offset1:82
	scratch_load_b128 v[136:139], off, off offset:304
	s_wait_dscnt 0x1
	v_fmac_f64_e32 v[144:145], v[118:119], v[114:115]
	s_wait_loadcnt 0x5
	s_delay_alu instid0(VALU_DEP_1) | instskip(SKIP_4) | instid1(VALU_DEP_1)
	v_fmac_f64_e32 v[144:145], v[120:121], v[116:117]
	scratch_load_b128 v[114:117], off, off offset:320
	s_wait_dscnt 0x0
	v_fmac_f64_e32 v[144:145], v[122:123], v[132:133]
	s_wait_loadcnt 0x5
	v_fmac_f64_e32 v[144:145], v[124:125], v[134:135]
	ds_load_2addr_b64 v[118:121], v2 offset0:83 offset1:84
	ds_load_2addr_b64 v[122:125], v2 offset0:85 offset1:86
	s_wait_dscnt 0x1
	v_fmac_f64_e32 v[144:145], v[126:127], v[118:119]
	s_wait_loadcnt 0x4
	s_delay_alu instid0(VALU_DEP_1) | instskip(SKIP_4) | instid1(VALU_DEP_1)
	v_fmac_f64_e32 v[144:145], v[128:129], v[120:121]
	scratch_load_b128 v[118:121], off, off offset:336
	s_wait_dscnt 0x0
	v_fmac_f64_e32 v[144:145], v[130:131], v[122:123]
	s_wait_loadcnt 0x4
	v_fmac_f64_e32 v[144:145], v[140:141], v[124:125]
	scratch_load_b128 v[122:125], off, off offset:352
	ds_load_2addr_b64 v[126:129], v2 offset0:87 offset1:88
	ds_load_2addr_b64 v[130:133], v2 offset0:89 offset1:90
	s_wait_dscnt 0x1
	v_fmac_f64_e32 v[144:145], v[142:143], v[126:127]
	s_wait_loadcnt 0x4
	s_delay_alu instid0(VALU_DEP_1)
	v_fmac_f64_e32 v[144:145], v[110:111], v[128:129]
	scratch_load_b128 v[126:129], off, off offset:368
	s_wait_dscnt 0x0
	v_fmac_f64_e32 v[144:145], v[112:113], v[130:131]
	scratch_load_b128 v[110:113], off, off offset:384
	s_wait_loadcnt 0x5
	v_fmac_f64_e32 v[144:145], v[136:137], v[132:133]
	ds_load_2addr_b64 v[130:133], v2 offset0:91 offset1:92
	ds_load_2addr_b64 v[134:137], v2 offset0:93 offset1:94
	s_wait_dscnt 0x1
	v_fmac_f64_e32 v[144:145], v[138:139], v[130:131]
	s_wait_loadcnt 0x4
	s_delay_alu instid0(VALU_DEP_1) | instskip(SKIP_4) | instid1(VALU_DEP_1)
	v_fmac_f64_e32 v[144:145], v[114:115], v[132:133]
	scratch_load_b128 v[130:133], off, off offset:400
	s_wait_dscnt 0x0
	v_fmac_f64_e32 v[144:145], v[116:117], v[134:135]
	s_wait_loadcnt 0x4
	v_fmac_f64_e32 v[144:145], v[118:119], v[136:137]
	ds_load_2addr_b64 v[114:117], v2 offset0:95 offset1:96
	ds_load_2addr_b64 v[134:137], v2 offset0:97 offset1:98
	s_wait_dscnt 0x1
	v_fmac_f64_e32 v[144:145], v[120:121], v[114:115]
	s_wait_loadcnt 0x3
	s_delay_alu instid0(VALU_DEP_1)
	v_fmac_f64_e32 v[144:145], v[122:123], v[116:117]
	ds_load_2addr_b64 v[114:117], v2 offset0:99 offset1:100
	ds_load_2addr_b64 v[118:121], v2 offset0:101 offset1:102
	s_wait_dscnt 0x2
	v_fmac_f64_e32 v[144:145], v[124:125], v[134:135]
	s_wait_loadcnt 0x2
	s_delay_alu instid0(VALU_DEP_1) | instskip(SKIP_1) | instid1(VALU_DEP_1)
	v_fmac_f64_e32 v[144:145], v[126:127], v[136:137]
	s_wait_dscnt 0x1
	v_fmac_f64_e32 v[144:145], v[128:129], v[114:115]
	s_wait_loadcnt 0x1
	s_delay_alu instid0(VALU_DEP_1) | instskip(SKIP_4) | instid1(VALU_DEP_1)
	v_fmac_f64_e32 v[144:145], v[110:111], v[116:117]
	ds_load_b64 v[110:111], v2 offset:824
	s_wait_dscnt 0x1
	v_fmac_f64_e32 v[144:145], v[112:113], v[118:119]
	s_wait_loadcnt 0x0
	v_fmac_f64_e32 v[144:145], v[130:131], v[120:121]
	s_wait_dscnt 0x0
	s_delay_alu instid0(VALU_DEP_1) | instskip(NEXT) | instid1(VALU_DEP_1)
	v_fmac_f64_e32 v[144:145], v[132:133], v[110:111]
	v_add_f64_e64 v[108:109], v[108:109], -v[144:145]
	scratch_store_b64 off, v[108:109], off offset:176
	s_wait_xcnt 0x0
	v_cmpx_lt_u32_e32 21, v0
	s_cbranch_execz .LBB115_279
; %bb.278:
	scratch_load_b64 v[108:109], off, off offset:168
	v_mov_b64_e32 v[110:111], 0
	scratch_store_b64 off, v[110:111], off offset:168
	s_wait_loadcnt 0x0
	ds_store_b64 v1, v[108:109]
.LBB115_279:
	s_wait_xcnt 0x0
	s_or_b32 exec_lo, exec_lo, s0
	s_wait_storecnt_dscnt 0x0
	s_barrier_signal -1
	s_barrier_wait -1
	s_clause 0x5
	scratch_load_b128 v[108:111], off, off offset:168
	scratch_load_b128 v[112:115], off, off offset:184
	;; [unrolled: 1-line block ×6, first 2 shown]
	ds_load_b128 v[132:135], v2 offset:592
	ds_load_b128 v[136:139], v2 offset:608
	scratch_load_b128 v[140:143], off, off offset:264
	s_mov_b32 s0, exec_lo
	s_wait_loadcnt_dscnt 0x601
	v_fma_f64 v[144:145], v[110:111], v[132:133], 0
	s_wait_loadcnt 0x5
	s_delay_alu instid0(VALU_DEP_1) | instskip(SKIP_4) | instid1(VALU_DEP_1)
	v_fmac_f64_e32 v[144:145], v[112:113], v[134:135]
	scratch_load_b128 v[110:113], off, off offset:280
	s_wait_dscnt 0x0
	v_fmac_f64_e32 v[144:145], v[114:115], v[136:137]
	s_wait_loadcnt 0x5
	v_fmac_f64_e32 v[144:145], v[116:117], v[138:139]
	ds_load_b128 v[114:117], v2 offset:624
	ds_load_b128 v[132:135], v2 offset:640
	scratch_load_b128 v[136:139], off, off offset:296
	s_wait_dscnt 0x1
	v_fmac_f64_e32 v[144:145], v[118:119], v[114:115]
	s_wait_loadcnt 0x5
	s_delay_alu instid0(VALU_DEP_1) | instskip(SKIP_4) | instid1(VALU_DEP_1)
	v_fmac_f64_e32 v[144:145], v[120:121], v[116:117]
	scratch_load_b128 v[114:117], off, off offset:312
	s_wait_dscnt 0x0
	v_fmac_f64_e32 v[144:145], v[122:123], v[132:133]
	s_wait_loadcnt 0x5
	v_fmac_f64_e32 v[144:145], v[124:125], v[134:135]
	ds_load_b128 v[118:121], v2 offset:656
	ds_load_b128 v[122:125], v2 offset:672
	scratch_load_b128 v[132:135], off, off offset:328
	s_wait_dscnt 0x1
	v_fmac_f64_e32 v[144:145], v[126:127], v[118:119]
	s_wait_loadcnt 0x5
	s_delay_alu instid0(VALU_DEP_1) | instskip(SKIP_4) | instid1(VALU_DEP_1)
	v_fmac_f64_e32 v[144:145], v[128:129], v[120:121]
	scratch_load_b128 v[118:121], off, off offset:344
	s_wait_dscnt 0x0
	v_fmac_f64_e32 v[144:145], v[130:131], v[122:123]
	s_wait_loadcnt 0x5
	v_fmac_f64_e32 v[144:145], v[140:141], v[124:125]
	ds_load_b128 v[122:125], v2 offset:688
	ds_load_b128 v[126:129], v2 offset:704
	s_wait_dscnt 0x1
	v_fmac_f64_e32 v[144:145], v[142:143], v[122:123]
	s_wait_loadcnt 0x4
	s_delay_alu instid0(VALU_DEP_1)
	v_fmac_f64_e32 v[144:145], v[110:111], v[124:125]
	scratch_load_b128 v[122:125], off, off offset:360
	s_wait_dscnt 0x0
	v_fmac_f64_e32 v[144:145], v[112:113], v[126:127]
	scratch_load_b128 v[110:113], off, off offset:376
	s_wait_loadcnt 0x5
	v_fmac_f64_e32 v[144:145], v[136:137], v[128:129]
	ds_load_b128 v[126:129], v2 offset:720
	ds_load_b128 v[140:143], v2 offset:736
	scratch_load_b64 v[136:137], off, off offset:408
	s_wait_dscnt 0x1
	v_fmac_f64_e32 v[144:145], v[138:139], v[126:127]
	s_wait_loadcnt 0x5
	s_delay_alu instid0(VALU_DEP_1) | instskip(SKIP_4) | instid1(VALU_DEP_1)
	v_fmac_f64_e32 v[144:145], v[114:115], v[128:129]
	scratch_load_b128 v[126:129], off, off offset:392
	s_wait_dscnt 0x0
	v_fmac_f64_e32 v[144:145], v[116:117], v[140:141]
	s_wait_loadcnt 0x5
	v_fmac_f64_e32 v[144:145], v[132:133], v[142:143]
	ds_load_b128 v[114:117], v2 offset:752
	ds_load_b128 v[130:133], v2 offset:768
	s_wait_dscnt 0x1
	v_fmac_f64_e32 v[144:145], v[134:135], v[114:115]
	s_wait_loadcnt 0x4
	s_delay_alu instid0(VALU_DEP_1) | instskip(SKIP_1) | instid1(VALU_DEP_1)
	v_fmac_f64_e32 v[144:145], v[118:119], v[116:117]
	s_wait_dscnt 0x0
	v_fmac_f64_e32 v[144:145], v[120:121], v[130:131]
	ds_load_b128 v[114:117], v2 offset:784
	ds_load_b128 v[118:121], v2 offset:800
	s_wait_loadcnt 0x3
	v_fmac_f64_e32 v[144:145], v[122:123], v[132:133]
	s_wait_dscnt 0x1
	s_delay_alu instid0(VALU_DEP_1) | instskip(SKIP_1) | instid1(VALU_DEP_1)
	v_fmac_f64_e32 v[144:145], v[124:125], v[114:115]
	s_wait_loadcnt 0x2
	v_fmac_f64_e32 v[144:145], v[110:111], v[116:117]
	s_wait_dscnt 0x0
	s_delay_alu instid0(VALU_DEP_1) | instskip(SKIP_4) | instid1(VALU_DEP_1)
	v_fmac_f64_e32 v[144:145], v[112:113], v[118:119]
	ds_load_b128 v[110:113], v2 offset:816
	s_wait_loadcnt 0x0
	v_fmac_f64_e32 v[144:145], v[126:127], v[120:121]
	s_wait_dscnt 0x0
	v_fmac_f64_e32 v[144:145], v[128:129], v[110:111]
	s_delay_alu instid0(VALU_DEP_1) | instskip(NEXT) | instid1(VALU_DEP_1)
	v_fmac_f64_e32 v[144:145], v[136:137], v[112:113]
	v_add_f64_e64 v[2:3], v[108:109], -v[144:145]
	scratch_store_b64 off, v[2:3], off offset:168
	s_wait_xcnt 0x0
	v_cmpx_lt_u32_e32 20, v0
	s_cbranch_execz .LBB115_281
; %bb.280:
	scratch_load_b64 v[2:3], off, off offset:160
	v_mov_b64_e32 v[108:109], 0
	scratch_store_b64 off, v[108:109], off offset:160
	s_wait_loadcnt 0x0
	ds_store_b64 v1, v[2:3]
.LBB115_281:
	s_wait_xcnt 0x0
	s_or_b32 exec_lo, exec_lo, s0
	s_wait_storecnt_dscnt 0x0
	s_barrier_signal -1
	s_barrier_wait -1
	s_clause 0x5
	scratch_load_b128 v[108:111], off, off offset:160
	scratch_load_b128 v[112:115], off, off offset:176
	;; [unrolled: 1-line block ×6, first 2 shown]
	v_mov_b32_e32 v2, 0
	ds_load_2addr_b64 v[132:135], v2 offset0:73 offset1:74
	ds_load_2addr_b64 v[136:139], v2 offset0:75 offset1:76
	scratch_load_b128 v[140:143], off, off offset:256
	s_mov_b32 s0, exec_lo
	s_wait_loadcnt_dscnt 0x601
	v_fma_f64 v[144:145], v[110:111], v[132:133], 0
	s_wait_loadcnt 0x5
	s_delay_alu instid0(VALU_DEP_1) | instskip(SKIP_4) | instid1(VALU_DEP_1)
	v_fmac_f64_e32 v[144:145], v[112:113], v[134:135]
	scratch_load_b128 v[110:113], off, off offset:272
	s_wait_dscnt 0x0
	v_fmac_f64_e32 v[144:145], v[114:115], v[136:137]
	s_wait_loadcnt 0x5
	v_fmac_f64_e32 v[144:145], v[116:117], v[138:139]
	ds_load_2addr_b64 v[114:117], v2 offset0:77 offset1:78
	ds_load_2addr_b64 v[132:135], v2 offset0:79 offset1:80
	scratch_load_b128 v[136:139], off, off offset:288
	s_wait_dscnt 0x1
	v_fmac_f64_e32 v[144:145], v[118:119], v[114:115]
	s_wait_loadcnt 0x5
	s_delay_alu instid0(VALU_DEP_1) | instskip(SKIP_4) | instid1(VALU_DEP_1)
	v_fmac_f64_e32 v[144:145], v[120:121], v[116:117]
	scratch_load_b128 v[114:117], off, off offset:304
	s_wait_dscnt 0x0
	v_fmac_f64_e32 v[144:145], v[122:123], v[132:133]
	s_wait_loadcnt 0x5
	v_fmac_f64_e32 v[144:145], v[124:125], v[134:135]
	ds_load_2addr_b64 v[118:121], v2 offset0:81 offset1:82
	ds_load_2addr_b64 v[122:125], v2 offset0:83 offset1:84
	scratch_load_b128 v[132:135], off, off offset:320
	s_wait_dscnt 0x1
	v_fmac_f64_e32 v[144:145], v[126:127], v[118:119]
	s_wait_loadcnt 0x5
	s_delay_alu instid0(VALU_DEP_1) | instskip(SKIP_4) | instid1(VALU_DEP_1)
	v_fmac_f64_e32 v[144:145], v[128:129], v[120:121]
	scratch_load_b128 v[118:121], off, off offset:336
	s_wait_dscnt 0x0
	v_fmac_f64_e32 v[144:145], v[130:131], v[122:123]
	s_wait_loadcnt 0x5
	v_fmac_f64_e32 v[144:145], v[140:141], v[124:125]
	ds_load_2addr_b64 v[122:125], v2 offset0:85 offset1:86
	ds_load_2addr_b64 v[126:129], v2 offset0:87 offset1:88
	s_wait_dscnt 0x1
	v_fmac_f64_e32 v[144:145], v[142:143], v[122:123]
	s_wait_loadcnt 0x4
	s_delay_alu instid0(VALU_DEP_1)
	v_fmac_f64_e32 v[144:145], v[110:111], v[124:125]
	scratch_load_b128 v[122:125], off, off offset:352
	s_wait_dscnt 0x0
	v_fmac_f64_e32 v[144:145], v[112:113], v[126:127]
	scratch_load_b128 v[110:113], off, off offset:368
	s_wait_loadcnt 0x5
	v_fmac_f64_e32 v[144:145], v[136:137], v[128:129]
	ds_load_2addr_b64 v[126:129], v2 offset0:89 offset1:90
	ds_load_2addr_b64 v[140:143], v2 offset0:91 offset1:92
	s_wait_dscnt 0x1
	v_fmac_f64_e32 v[144:145], v[138:139], v[126:127]
	s_wait_loadcnt 0x4
	s_delay_alu instid0(VALU_DEP_1)
	v_fmac_f64_e32 v[144:145], v[114:115], v[128:129]
	scratch_load_b128 v[126:129], off, off offset:384
	s_wait_dscnt 0x0
	v_fmac_f64_e32 v[144:145], v[116:117], v[140:141]
	scratch_load_b128 v[114:117], off, off offset:400
	s_wait_loadcnt 0x5
	v_fmac_f64_e32 v[144:145], v[132:133], v[142:143]
	ds_load_2addr_b64 v[130:133], v2 offset0:93 offset1:94
	ds_load_2addr_b64 v[136:139], v2 offset0:95 offset1:96
	s_wait_dscnt 0x1
	v_fmac_f64_e32 v[144:145], v[134:135], v[130:131]
	s_wait_loadcnt 0x4
	s_delay_alu instid0(VALU_DEP_1) | instskip(SKIP_1) | instid1(VALU_DEP_1)
	v_fmac_f64_e32 v[144:145], v[118:119], v[132:133]
	s_wait_dscnt 0x0
	v_fmac_f64_e32 v[144:145], v[120:121], v[136:137]
	ds_load_2addr_b64 v[118:121], v2 offset0:97 offset1:98
	ds_load_2addr_b64 v[130:133], v2 offset0:99 offset1:100
	s_wait_loadcnt 0x3
	v_fmac_f64_e32 v[144:145], v[122:123], v[138:139]
	s_wait_dscnt 0x1
	s_delay_alu instid0(VALU_DEP_1) | instskip(SKIP_1) | instid1(VALU_DEP_1)
	v_fmac_f64_e32 v[144:145], v[124:125], v[118:119]
	s_wait_loadcnt 0x2
	v_fmac_f64_e32 v[144:145], v[110:111], v[120:121]
	s_wait_dscnt 0x0
	s_delay_alu instid0(VALU_DEP_1)
	v_fmac_f64_e32 v[144:145], v[112:113], v[130:131]
	ds_load_2addr_b64 v[110:113], v2 offset0:101 offset1:102
	ds_load_b64 v[118:119], v2 offset:824
	s_wait_loadcnt 0x1
	v_fmac_f64_e32 v[144:145], v[126:127], v[132:133]
	s_wait_dscnt 0x1
	s_delay_alu instid0(VALU_DEP_1) | instskip(SKIP_1) | instid1(VALU_DEP_1)
	v_fmac_f64_e32 v[144:145], v[128:129], v[110:111]
	s_wait_loadcnt 0x0
	v_fmac_f64_e32 v[144:145], v[114:115], v[112:113]
	s_wait_dscnt 0x0
	s_delay_alu instid0(VALU_DEP_1) | instskip(NEXT) | instid1(VALU_DEP_1)
	v_fmac_f64_e32 v[144:145], v[116:117], v[118:119]
	v_add_f64_e64 v[108:109], v[108:109], -v[144:145]
	scratch_store_b64 off, v[108:109], off offset:160
	s_wait_xcnt 0x0
	v_cmpx_lt_u32_e32 19, v0
	s_cbranch_execz .LBB115_283
; %bb.282:
	scratch_load_b64 v[108:109], off, off offset:152
	v_mov_b64_e32 v[110:111], 0
	scratch_store_b64 off, v[110:111], off offset:152
	s_wait_loadcnt 0x0
	ds_store_b64 v1, v[108:109]
.LBB115_283:
	s_wait_xcnt 0x0
	s_or_b32 exec_lo, exec_lo, s0
	s_wait_storecnt_dscnt 0x0
	s_barrier_signal -1
	s_barrier_wait -1
	s_clause 0x5
	scratch_load_b128 v[108:111], off, off offset:152
	scratch_load_b128 v[112:115], off, off offset:168
	;; [unrolled: 1-line block ×6, first 2 shown]
	ds_load_b128 v[132:135], v2 offset:576
	ds_load_b128 v[136:139], v2 offset:592
	scratch_load_b128 v[140:143], off, off offset:248
	s_mov_b32 s0, exec_lo
	s_wait_loadcnt_dscnt 0x601
	v_fma_f64 v[144:145], v[110:111], v[132:133], 0
	s_wait_loadcnt 0x5
	s_delay_alu instid0(VALU_DEP_1) | instskip(SKIP_4) | instid1(VALU_DEP_1)
	v_fmac_f64_e32 v[144:145], v[112:113], v[134:135]
	scratch_load_b128 v[110:113], off, off offset:264
	s_wait_dscnt 0x0
	v_fmac_f64_e32 v[144:145], v[114:115], v[136:137]
	s_wait_loadcnt 0x5
	v_fmac_f64_e32 v[144:145], v[116:117], v[138:139]
	ds_load_b128 v[114:117], v2 offset:608
	ds_load_b128 v[132:135], v2 offset:624
	scratch_load_b128 v[136:139], off, off offset:280
	s_wait_dscnt 0x1
	v_fmac_f64_e32 v[144:145], v[118:119], v[114:115]
	s_wait_loadcnt 0x5
	s_delay_alu instid0(VALU_DEP_1) | instskip(SKIP_4) | instid1(VALU_DEP_1)
	v_fmac_f64_e32 v[144:145], v[120:121], v[116:117]
	scratch_load_b128 v[114:117], off, off offset:296
	s_wait_dscnt 0x0
	v_fmac_f64_e32 v[144:145], v[122:123], v[132:133]
	s_wait_loadcnt 0x5
	v_fmac_f64_e32 v[144:145], v[124:125], v[134:135]
	ds_load_b128 v[118:121], v2 offset:640
	ds_load_b128 v[122:125], v2 offset:656
	scratch_load_b128 v[132:135], off, off offset:312
	s_wait_dscnt 0x1
	v_fmac_f64_e32 v[144:145], v[126:127], v[118:119]
	s_wait_loadcnt 0x5
	s_delay_alu instid0(VALU_DEP_1) | instskip(SKIP_4) | instid1(VALU_DEP_1)
	v_fmac_f64_e32 v[144:145], v[128:129], v[120:121]
	scratch_load_b128 v[118:121], off, off offset:328
	s_wait_dscnt 0x0
	v_fmac_f64_e32 v[144:145], v[130:131], v[122:123]
	s_wait_loadcnt 0x5
	v_fmac_f64_e32 v[144:145], v[140:141], v[124:125]
	ds_load_b128 v[122:125], v2 offset:672
	ds_load_b128 v[126:129], v2 offset:688
	s_wait_dscnt 0x1
	v_fmac_f64_e32 v[144:145], v[142:143], v[122:123]
	s_wait_loadcnt 0x4
	s_delay_alu instid0(VALU_DEP_1)
	v_fmac_f64_e32 v[144:145], v[110:111], v[124:125]
	scratch_load_b128 v[122:125], off, off offset:344
	s_wait_dscnt 0x0
	v_fmac_f64_e32 v[144:145], v[112:113], v[126:127]
	scratch_load_b128 v[110:113], off, off offset:360
	s_wait_loadcnt 0x5
	v_fmac_f64_e32 v[144:145], v[136:137], v[128:129]
	ds_load_b128 v[126:129], v2 offset:704
	ds_load_b128 v[140:143], v2 offset:720
	s_wait_dscnt 0x1
	v_fmac_f64_e32 v[144:145], v[138:139], v[126:127]
	s_wait_loadcnt 0x4
	s_delay_alu instid0(VALU_DEP_1)
	v_fmac_f64_e32 v[144:145], v[114:115], v[128:129]
	scratch_load_b128 v[126:129], off, off offset:376
	s_wait_dscnt 0x0
	v_fmac_f64_e32 v[144:145], v[116:117], v[140:141]
	scratch_load_b128 v[114:117], off, off offset:392
	s_wait_loadcnt 0x5
	v_fmac_f64_e32 v[144:145], v[132:133], v[142:143]
	ds_load_b128 v[130:133], v2 offset:736
	ds_load_b128 v[136:139], v2 offset:752
	s_wait_dscnt 0x1
	v_fmac_f64_e32 v[144:145], v[134:135], v[130:131]
	scratch_load_b64 v[134:135], off, off offset:408
	s_wait_loadcnt 0x5
	v_fmac_f64_e32 v[144:145], v[118:119], v[132:133]
	s_wait_dscnt 0x0
	s_delay_alu instid0(VALU_DEP_1)
	v_fmac_f64_e32 v[144:145], v[120:121], v[136:137]
	ds_load_b128 v[118:121], v2 offset:768
	ds_load_b128 v[130:133], v2 offset:784
	s_wait_loadcnt 0x4
	v_fmac_f64_e32 v[144:145], v[122:123], v[138:139]
	s_wait_dscnt 0x1
	s_delay_alu instid0(VALU_DEP_1) | instskip(SKIP_1) | instid1(VALU_DEP_1)
	v_fmac_f64_e32 v[144:145], v[124:125], v[118:119]
	s_wait_loadcnt 0x3
	v_fmac_f64_e32 v[144:145], v[110:111], v[120:121]
	s_wait_dscnt 0x0
	s_delay_alu instid0(VALU_DEP_1)
	v_fmac_f64_e32 v[144:145], v[112:113], v[130:131]
	ds_load_b128 v[110:113], v2 offset:800
	ds_load_b128 v[118:121], v2 offset:816
	s_wait_loadcnt 0x2
	v_fmac_f64_e32 v[144:145], v[126:127], v[132:133]
	s_wait_dscnt 0x1
	s_delay_alu instid0(VALU_DEP_1) | instskip(SKIP_1) | instid1(VALU_DEP_1)
	v_fmac_f64_e32 v[144:145], v[128:129], v[110:111]
	s_wait_loadcnt 0x1
	v_fmac_f64_e32 v[144:145], v[114:115], v[112:113]
	s_wait_dscnt 0x0
	s_delay_alu instid0(VALU_DEP_1) | instskip(SKIP_1) | instid1(VALU_DEP_1)
	v_fmac_f64_e32 v[144:145], v[116:117], v[118:119]
	s_wait_loadcnt 0x0
	v_fmac_f64_e32 v[144:145], v[134:135], v[120:121]
	s_delay_alu instid0(VALU_DEP_1)
	v_add_f64_e64 v[2:3], v[108:109], -v[144:145]
	scratch_store_b64 off, v[2:3], off offset:152
	s_wait_xcnt 0x0
	v_cmpx_lt_u32_e32 18, v0
	s_cbranch_execz .LBB115_285
; %bb.284:
	scratch_load_b64 v[2:3], off, off offset:144
	v_mov_b64_e32 v[108:109], 0
	scratch_store_b64 off, v[108:109], off offset:144
	s_wait_loadcnt 0x0
	ds_store_b64 v1, v[2:3]
.LBB115_285:
	s_wait_xcnt 0x0
	s_or_b32 exec_lo, exec_lo, s0
	s_wait_storecnt_dscnt 0x0
	s_barrier_signal -1
	s_barrier_wait -1
	s_clause 0x5
	scratch_load_b128 v[108:111], off, off offset:144
	scratch_load_b128 v[112:115], off, off offset:160
	;; [unrolled: 1-line block ×6, first 2 shown]
	v_mov_b32_e32 v2, 0
	ds_load_2addr_b64 v[132:135], v2 offset0:71 offset1:72
	ds_load_2addr_b64 v[136:139], v2 offset0:73 offset1:74
	scratch_load_b128 v[140:143], off, off offset:240
	s_mov_b32 s0, exec_lo
	s_wait_loadcnt_dscnt 0x601
	v_fma_f64 v[144:145], v[110:111], v[132:133], 0
	s_wait_loadcnt 0x5
	s_delay_alu instid0(VALU_DEP_1) | instskip(SKIP_4) | instid1(VALU_DEP_1)
	v_fmac_f64_e32 v[144:145], v[112:113], v[134:135]
	scratch_load_b128 v[110:113], off, off offset:256
	s_wait_dscnt 0x0
	v_fmac_f64_e32 v[144:145], v[114:115], v[136:137]
	s_wait_loadcnt 0x5
	v_fmac_f64_e32 v[144:145], v[116:117], v[138:139]
	ds_load_2addr_b64 v[114:117], v2 offset0:75 offset1:76
	ds_load_2addr_b64 v[132:135], v2 offset0:77 offset1:78
	scratch_load_b128 v[136:139], off, off offset:272
	s_wait_dscnt 0x1
	v_fmac_f64_e32 v[144:145], v[118:119], v[114:115]
	s_wait_loadcnt 0x5
	s_delay_alu instid0(VALU_DEP_1) | instskip(SKIP_4) | instid1(VALU_DEP_1)
	v_fmac_f64_e32 v[144:145], v[120:121], v[116:117]
	scratch_load_b128 v[114:117], off, off offset:288
	s_wait_dscnt 0x0
	v_fmac_f64_e32 v[144:145], v[122:123], v[132:133]
	s_wait_loadcnt 0x5
	v_fmac_f64_e32 v[144:145], v[124:125], v[134:135]
	ds_load_2addr_b64 v[118:121], v2 offset0:79 offset1:80
	ds_load_2addr_b64 v[122:125], v2 offset0:81 offset1:82
	scratch_load_b128 v[132:135], off, off offset:304
	s_wait_dscnt 0x1
	v_fmac_f64_e32 v[144:145], v[126:127], v[118:119]
	s_wait_loadcnt 0x5
	s_delay_alu instid0(VALU_DEP_1) | instskip(SKIP_4) | instid1(VALU_DEP_1)
	v_fmac_f64_e32 v[144:145], v[128:129], v[120:121]
	scratch_load_b128 v[118:121], off, off offset:320
	s_wait_dscnt 0x0
	v_fmac_f64_e32 v[144:145], v[130:131], v[122:123]
	s_wait_loadcnt 0x5
	v_fmac_f64_e32 v[144:145], v[140:141], v[124:125]
	ds_load_2addr_b64 v[122:125], v2 offset0:83 offset1:84
	ds_load_2addr_b64 v[126:129], v2 offset0:85 offset1:86
	s_wait_dscnt 0x1
	v_fmac_f64_e32 v[144:145], v[142:143], v[122:123]
	s_wait_loadcnt 0x4
	s_delay_alu instid0(VALU_DEP_1)
	v_fmac_f64_e32 v[144:145], v[110:111], v[124:125]
	scratch_load_b128 v[122:125], off, off offset:336
	s_wait_dscnt 0x0
	v_fmac_f64_e32 v[144:145], v[112:113], v[126:127]
	scratch_load_b128 v[110:113], off, off offset:352
	s_wait_loadcnt 0x5
	v_fmac_f64_e32 v[144:145], v[136:137], v[128:129]
	ds_load_2addr_b64 v[126:129], v2 offset0:87 offset1:88
	ds_load_2addr_b64 v[140:143], v2 offset0:89 offset1:90
	s_wait_dscnt 0x1
	v_fmac_f64_e32 v[144:145], v[138:139], v[126:127]
	s_wait_loadcnt 0x4
	s_delay_alu instid0(VALU_DEP_1)
	v_fmac_f64_e32 v[144:145], v[114:115], v[128:129]
	scratch_load_b128 v[126:129], off, off offset:368
	s_wait_dscnt 0x0
	v_fmac_f64_e32 v[144:145], v[116:117], v[140:141]
	scratch_load_b128 v[114:117], off, off offset:384
	s_wait_loadcnt 0x5
	v_fmac_f64_e32 v[144:145], v[132:133], v[142:143]
	ds_load_2addr_b64 v[130:133], v2 offset0:91 offset1:92
	ds_load_2addr_b64 v[136:139], v2 offset0:93 offset1:94
	s_wait_dscnt 0x1
	v_fmac_f64_e32 v[144:145], v[134:135], v[130:131]
	s_wait_loadcnt 0x4
	s_delay_alu instid0(VALU_DEP_1)
	v_fmac_f64_e32 v[144:145], v[118:119], v[132:133]
	scratch_load_b128 v[130:133], off, off offset:400
	s_wait_dscnt 0x0
	v_fmac_f64_e32 v[144:145], v[120:121], v[136:137]
	ds_load_2addr_b64 v[118:121], v2 offset0:95 offset1:96
	ds_load_2addr_b64 v[134:137], v2 offset0:97 offset1:98
	s_wait_loadcnt 0x4
	v_fmac_f64_e32 v[144:145], v[122:123], v[138:139]
	s_wait_dscnt 0x1
	s_delay_alu instid0(VALU_DEP_1) | instskip(SKIP_1) | instid1(VALU_DEP_1)
	v_fmac_f64_e32 v[144:145], v[124:125], v[118:119]
	s_wait_loadcnt 0x3
	v_fmac_f64_e32 v[144:145], v[110:111], v[120:121]
	s_wait_dscnt 0x0
	s_delay_alu instid0(VALU_DEP_1)
	v_fmac_f64_e32 v[144:145], v[112:113], v[134:135]
	ds_load_2addr_b64 v[110:113], v2 offset0:99 offset1:100
	ds_load_2addr_b64 v[118:121], v2 offset0:101 offset1:102
	s_wait_loadcnt 0x2
	v_fmac_f64_e32 v[144:145], v[126:127], v[136:137]
	s_wait_dscnt 0x1
	s_delay_alu instid0(VALU_DEP_1) | instskip(SKIP_4) | instid1(VALU_DEP_1)
	v_fmac_f64_e32 v[144:145], v[128:129], v[110:111]
	ds_load_b64 v[110:111], v2 offset:824
	s_wait_loadcnt 0x1
	v_fmac_f64_e32 v[144:145], v[114:115], v[112:113]
	s_wait_dscnt 0x1
	v_fmac_f64_e32 v[144:145], v[116:117], v[118:119]
	s_wait_loadcnt 0x0
	s_delay_alu instid0(VALU_DEP_1) | instskip(SKIP_1) | instid1(VALU_DEP_1)
	v_fmac_f64_e32 v[144:145], v[130:131], v[120:121]
	s_wait_dscnt 0x0
	v_fmac_f64_e32 v[144:145], v[132:133], v[110:111]
	s_delay_alu instid0(VALU_DEP_1)
	v_add_f64_e64 v[108:109], v[108:109], -v[144:145]
	scratch_store_b64 off, v[108:109], off offset:144
	s_wait_xcnt 0x0
	v_cmpx_lt_u32_e32 17, v0
	s_cbranch_execz .LBB115_287
; %bb.286:
	scratch_load_b64 v[108:109], off, off offset:136
	v_mov_b64_e32 v[110:111], 0
	scratch_store_b64 off, v[110:111], off offset:136
	s_wait_loadcnt 0x0
	ds_store_b64 v1, v[108:109]
.LBB115_287:
	s_wait_xcnt 0x0
	s_or_b32 exec_lo, exec_lo, s0
	s_wait_storecnt_dscnt 0x0
	s_barrier_signal -1
	s_barrier_wait -1
	s_clause 0x5
	scratch_load_b128 v[108:111], off, off offset:136
	scratch_load_b128 v[112:115], off, off offset:152
	;; [unrolled: 1-line block ×6, first 2 shown]
	ds_load_b128 v[132:135], v2 offset:560
	ds_load_b128 v[136:139], v2 offset:576
	scratch_load_b128 v[140:143], off, off offset:232
	s_mov_b32 s0, exec_lo
	s_wait_loadcnt_dscnt 0x601
	v_fma_f64 v[144:145], v[110:111], v[132:133], 0
	s_wait_loadcnt 0x5
	s_delay_alu instid0(VALU_DEP_1) | instskip(SKIP_4) | instid1(VALU_DEP_1)
	v_fmac_f64_e32 v[144:145], v[112:113], v[134:135]
	scratch_load_b128 v[110:113], off, off offset:248
	s_wait_dscnt 0x0
	v_fmac_f64_e32 v[144:145], v[114:115], v[136:137]
	s_wait_loadcnt 0x5
	v_fmac_f64_e32 v[144:145], v[116:117], v[138:139]
	ds_load_b128 v[114:117], v2 offset:592
	ds_load_b128 v[132:135], v2 offset:608
	scratch_load_b128 v[136:139], off, off offset:264
	s_wait_dscnt 0x1
	v_fmac_f64_e32 v[144:145], v[118:119], v[114:115]
	s_wait_loadcnt 0x5
	s_delay_alu instid0(VALU_DEP_1) | instskip(SKIP_4) | instid1(VALU_DEP_1)
	v_fmac_f64_e32 v[144:145], v[120:121], v[116:117]
	scratch_load_b128 v[114:117], off, off offset:280
	s_wait_dscnt 0x0
	v_fmac_f64_e32 v[144:145], v[122:123], v[132:133]
	s_wait_loadcnt 0x5
	v_fmac_f64_e32 v[144:145], v[124:125], v[134:135]
	ds_load_b128 v[118:121], v2 offset:624
	ds_load_b128 v[122:125], v2 offset:640
	scratch_load_b128 v[132:135], off, off offset:296
	s_wait_dscnt 0x1
	v_fmac_f64_e32 v[144:145], v[126:127], v[118:119]
	s_wait_loadcnt 0x5
	s_delay_alu instid0(VALU_DEP_1) | instskip(SKIP_4) | instid1(VALU_DEP_1)
	v_fmac_f64_e32 v[144:145], v[128:129], v[120:121]
	scratch_load_b128 v[118:121], off, off offset:312
	s_wait_dscnt 0x0
	v_fmac_f64_e32 v[144:145], v[130:131], v[122:123]
	s_wait_loadcnt 0x5
	v_fmac_f64_e32 v[144:145], v[140:141], v[124:125]
	ds_load_b128 v[122:125], v2 offset:656
	ds_load_b128 v[126:129], v2 offset:672
	s_wait_dscnt 0x1
	v_fmac_f64_e32 v[144:145], v[142:143], v[122:123]
	scratch_load_b128 v[140:143], off, off offset:328
	s_wait_loadcnt 0x5
	v_fmac_f64_e32 v[144:145], v[110:111], v[124:125]
	s_wait_dscnt 0x0
	s_delay_alu instid0(VALU_DEP_1)
	v_fmac_f64_e32 v[144:145], v[112:113], v[126:127]
	scratch_load_b128 v[110:113], off, off offset:344
	s_wait_loadcnt 0x5
	v_fmac_f64_e32 v[144:145], v[136:137], v[128:129]
	ds_load_b128 v[122:125], v2 offset:688
	ds_load_b128 v[126:129], v2 offset:704
	s_wait_dscnt 0x1
	v_fmac_f64_e32 v[144:145], v[138:139], v[122:123]
	s_wait_loadcnt 0x4
	s_delay_alu instid0(VALU_DEP_1)
	v_fmac_f64_e32 v[144:145], v[114:115], v[124:125]
	scratch_load_b128 v[122:125], off, off offset:360
	s_wait_dscnt 0x0
	v_fmac_f64_e32 v[144:145], v[116:117], v[126:127]
	scratch_load_b128 v[114:117], off, off offset:376
	s_wait_loadcnt 0x5
	v_fmac_f64_e32 v[144:145], v[132:133], v[128:129]
	ds_load_b128 v[126:129], v2 offset:720
	ds_load_b128 v[130:133], v2 offset:736
	s_wait_dscnt 0x1
	v_fmac_f64_e32 v[144:145], v[134:135], v[126:127]
	scratch_load_b64 v[134:135], off, off offset:408
	s_wait_loadcnt 0x5
	v_fmac_f64_e32 v[144:145], v[118:119], v[128:129]
	scratch_load_b128 v[126:129], off, off offset:392
	s_wait_dscnt 0x0
	v_fmac_f64_e32 v[144:145], v[120:121], v[130:131]
	s_wait_loadcnt 0x5
	s_delay_alu instid0(VALU_DEP_1)
	v_fmac_f64_e32 v[144:145], v[140:141], v[132:133]
	ds_load_b128 v[118:121], v2 offset:752
	ds_load_b128 v[130:133], v2 offset:768
	s_wait_dscnt 0x1
	v_fmac_f64_e32 v[144:145], v[142:143], v[118:119]
	s_wait_loadcnt 0x4
	s_delay_alu instid0(VALU_DEP_1) | instskip(SKIP_1) | instid1(VALU_DEP_1)
	v_fmac_f64_e32 v[144:145], v[110:111], v[120:121]
	s_wait_dscnt 0x0
	v_fmac_f64_e32 v[144:145], v[112:113], v[130:131]
	ds_load_b128 v[110:113], v2 offset:784
	ds_load_b128 v[118:121], v2 offset:800
	s_wait_loadcnt 0x3
	v_fmac_f64_e32 v[144:145], v[122:123], v[132:133]
	s_wait_dscnt 0x1
	s_delay_alu instid0(VALU_DEP_1) | instskip(SKIP_1) | instid1(VALU_DEP_1)
	v_fmac_f64_e32 v[144:145], v[124:125], v[110:111]
	s_wait_loadcnt 0x2
	v_fmac_f64_e32 v[144:145], v[114:115], v[112:113]
	ds_load_b128 v[110:113], v2 offset:816
	s_wait_dscnt 0x1
	v_fmac_f64_e32 v[144:145], v[116:117], v[118:119]
	s_wait_loadcnt 0x0
	s_delay_alu instid0(VALU_DEP_1) | instskip(SKIP_1) | instid1(VALU_DEP_1)
	v_fmac_f64_e32 v[144:145], v[126:127], v[120:121]
	s_wait_dscnt 0x0
	v_fmac_f64_e32 v[144:145], v[128:129], v[110:111]
	s_delay_alu instid0(VALU_DEP_1) | instskip(NEXT) | instid1(VALU_DEP_1)
	v_fmac_f64_e32 v[144:145], v[134:135], v[112:113]
	v_add_f64_e64 v[2:3], v[108:109], -v[144:145]
	scratch_store_b64 off, v[2:3], off offset:136
	s_wait_xcnt 0x0
	v_cmpx_lt_u32_e32 16, v0
	s_cbranch_execz .LBB115_289
; %bb.288:
	scratch_load_b64 v[2:3], off, off offset:128
	v_mov_b64_e32 v[108:109], 0
	scratch_store_b64 off, v[108:109], off offset:128
	s_wait_loadcnt 0x0
	ds_store_b64 v1, v[2:3]
.LBB115_289:
	s_wait_xcnt 0x0
	s_or_b32 exec_lo, exec_lo, s0
	s_wait_storecnt_dscnt 0x0
	s_barrier_signal -1
	s_barrier_wait -1
	s_clause 0x5
	scratch_load_b128 v[108:111], off, off offset:128
	scratch_load_b128 v[112:115], off, off offset:144
	;; [unrolled: 1-line block ×6, first 2 shown]
	v_mov_b32_e32 v2, 0
	ds_load_2addr_b64 v[132:135], v2 offset0:69 offset1:70
	ds_load_2addr_b64 v[136:139], v2 offset0:71 offset1:72
	scratch_load_b128 v[140:143], off, off offset:224
	s_mov_b32 s0, exec_lo
	s_wait_loadcnt_dscnt 0x601
	v_fma_f64 v[144:145], v[110:111], v[132:133], 0
	s_wait_loadcnt 0x5
	s_delay_alu instid0(VALU_DEP_1) | instskip(SKIP_4) | instid1(VALU_DEP_1)
	v_fmac_f64_e32 v[144:145], v[112:113], v[134:135]
	scratch_load_b128 v[110:113], off, off offset:240
	s_wait_dscnt 0x0
	v_fmac_f64_e32 v[144:145], v[114:115], v[136:137]
	s_wait_loadcnt 0x5
	v_fmac_f64_e32 v[144:145], v[116:117], v[138:139]
	ds_load_2addr_b64 v[114:117], v2 offset0:73 offset1:74
	ds_load_2addr_b64 v[132:135], v2 offset0:75 offset1:76
	scratch_load_b128 v[136:139], off, off offset:256
	s_wait_dscnt 0x1
	v_fmac_f64_e32 v[144:145], v[118:119], v[114:115]
	s_wait_loadcnt 0x5
	s_delay_alu instid0(VALU_DEP_1) | instskip(SKIP_4) | instid1(VALU_DEP_1)
	v_fmac_f64_e32 v[144:145], v[120:121], v[116:117]
	scratch_load_b128 v[114:117], off, off offset:272
	s_wait_dscnt 0x0
	v_fmac_f64_e32 v[144:145], v[122:123], v[132:133]
	s_wait_loadcnt 0x5
	v_fmac_f64_e32 v[144:145], v[124:125], v[134:135]
	ds_load_2addr_b64 v[118:121], v2 offset0:77 offset1:78
	ds_load_2addr_b64 v[122:125], v2 offset0:79 offset1:80
	scratch_load_b128 v[132:135], off, off offset:288
	s_wait_dscnt 0x1
	v_fmac_f64_e32 v[144:145], v[126:127], v[118:119]
	s_wait_loadcnt 0x5
	s_delay_alu instid0(VALU_DEP_1) | instskip(SKIP_4) | instid1(VALU_DEP_1)
	v_fmac_f64_e32 v[144:145], v[128:129], v[120:121]
	scratch_load_b128 v[118:121], off, off offset:304
	s_wait_dscnt 0x0
	v_fmac_f64_e32 v[144:145], v[130:131], v[122:123]
	s_wait_loadcnt 0x5
	v_fmac_f64_e32 v[144:145], v[140:141], v[124:125]
	ds_load_2addr_b64 v[122:125], v2 offset0:81 offset1:82
	ds_load_2addr_b64 v[126:129], v2 offset0:83 offset1:84
	s_wait_dscnt 0x1
	v_fmac_f64_e32 v[144:145], v[142:143], v[122:123]
	scratch_load_b128 v[140:143], off, off offset:320
	s_wait_loadcnt 0x5
	v_fmac_f64_e32 v[144:145], v[110:111], v[124:125]
	s_wait_dscnt 0x0
	s_delay_alu instid0(VALU_DEP_1)
	v_fmac_f64_e32 v[144:145], v[112:113], v[126:127]
	scratch_load_b128 v[110:113], off, off offset:336
	s_wait_loadcnt 0x5
	v_fmac_f64_e32 v[144:145], v[136:137], v[128:129]
	ds_load_2addr_b64 v[122:125], v2 offset0:85 offset1:86
	ds_load_2addr_b64 v[126:129], v2 offset0:87 offset1:88
	s_wait_dscnt 0x1
	v_fmac_f64_e32 v[144:145], v[138:139], v[122:123]
	s_wait_loadcnt 0x4
	s_delay_alu instid0(VALU_DEP_1)
	v_fmac_f64_e32 v[144:145], v[114:115], v[124:125]
	scratch_load_b128 v[122:125], off, off offset:352
	s_wait_dscnt 0x0
	v_fmac_f64_e32 v[144:145], v[116:117], v[126:127]
	scratch_load_b128 v[114:117], off, off offset:368
	s_wait_loadcnt 0x5
	v_fmac_f64_e32 v[144:145], v[132:133], v[128:129]
	ds_load_2addr_b64 v[126:129], v2 offset0:89 offset1:90
	ds_load_2addr_b64 v[130:133], v2 offset0:91 offset1:92
	s_wait_dscnt 0x1
	v_fmac_f64_e32 v[144:145], v[134:135], v[126:127]
	s_wait_loadcnt 0x4
	s_delay_alu instid0(VALU_DEP_1)
	v_fmac_f64_e32 v[144:145], v[118:119], v[128:129]
	scratch_load_b128 v[126:129], off, off offset:384
	s_wait_dscnt 0x0
	v_fmac_f64_e32 v[144:145], v[120:121], v[130:131]
	scratch_load_b128 v[118:121], off, off offset:400
	s_wait_loadcnt 0x5
	v_fmac_f64_e32 v[144:145], v[140:141], v[132:133]
	ds_load_2addr_b64 v[130:133], v2 offset0:93 offset1:94
	ds_load_2addr_b64 v[134:137], v2 offset0:95 offset1:96
	s_wait_dscnt 0x1
	v_fmac_f64_e32 v[144:145], v[142:143], v[130:131]
	s_wait_loadcnt 0x4
	s_delay_alu instid0(VALU_DEP_1) | instskip(SKIP_1) | instid1(VALU_DEP_1)
	v_fmac_f64_e32 v[144:145], v[110:111], v[132:133]
	s_wait_dscnt 0x0
	v_fmac_f64_e32 v[144:145], v[112:113], v[134:135]
	ds_load_2addr_b64 v[110:113], v2 offset0:97 offset1:98
	ds_load_2addr_b64 v[130:133], v2 offset0:99 offset1:100
	s_wait_loadcnt 0x3
	v_fmac_f64_e32 v[144:145], v[122:123], v[136:137]
	s_wait_dscnt 0x1
	s_delay_alu instid0(VALU_DEP_1) | instskip(SKIP_1) | instid1(VALU_DEP_1)
	v_fmac_f64_e32 v[144:145], v[124:125], v[110:111]
	s_wait_loadcnt 0x2
	v_fmac_f64_e32 v[144:145], v[114:115], v[112:113]
	ds_load_2addr_b64 v[110:113], v2 offset0:101 offset1:102
	ds_load_b64 v[114:115], v2 offset:824
	s_wait_dscnt 0x2
	v_fmac_f64_e32 v[144:145], v[116:117], v[130:131]
	s_wait_loadcnt 0x1
	s_delay_alu instid0(VALU_DEP_1) | instskip(SKIP_1) | instid1(VALU_DEP_1)
	v_fmac_f64_e32 v[144:145], v[126:127], v[132:133]
	s_wait_dscnt 0x1
	v_fmac_f64_e32 v[144:145], v[128:129], v[110:111]
	s_wait_loadcnt 0x0
	s_delay_alu instid0(VALU_DEP_1) | instskip(SKIP_1) | instid1(VALU_DEP_1)
	v_fmac_f64_e32 v[144:145], v[118:119], v[112:113]
	s_wait_dscnt 0x0
	v_fmac_f64_e32 v[144:145], v[120:121], v[114:115]
	s_delay_alu instid0(VALU_DEP_1)
	v_add_f64_e64 v[108:109], v[108:109], -v[144:145]
	scratch_store_b64 off, v[108:109], off offset:128
	s_wait_xcnt 0x0
	v_cmpx_lt_u32_e32 15, v0
	s_cbranch_execz .LBB115_291
; %bb.290:
	scratch_load_b64 v[108:109], off, off offset:120
	v_mov_b64_e32 v[110:111], 0
	scratch_store_b64 off, v[110:111], off offset:120
	s_wait_loadcnt 0x0
	ds_store_b64 v1, v[108:109]
.LBB115_291:
	s_wait_xcnt 0x0
	s_or_b32 exec_lo, exec_lo, s0
	s_wait_storecnt_dscnt 0x0
	s_barrier_signal -1
	s_barrier_wait -1
	s_clause 0x5
	scratch_load_b128 v[108:111], off, off offset:120
	scratch_load_b128 v[112:115], off, off offset:136
	;; [unrolled: 1-line block ×6, first 2 shown]
	ds_load_b128 v[132:135], v2 offset:544
	ds_load_b128 v[136:139], v2 offset:560
	scratch_load_b128 v[140:143], off, off offset:216
	s_mov_b32 s0, exec_lo
	s_wait_loadcnt_dscnt 0x601
	v_fma_f64 v[144:145], v[110:111], v[132:133], 0
	s_wait_loadcnt 0x5
	s_delay_alu instid0(VALU_DEP_1) | instskip(SKIP_4) | instid1(VALU_DEP_1)
	v_fmac_f64_e32 v[144:145], v[112:113], v[134:135]
	scratch_load_b128 v[110:113], off, off offset:232
	s_wait_dscnt 0x0
	v_fmac_f64_e32 v[144:145], v[114:115], v[136:137]
	s_wait_loadcnt 0x5
	v_fmac_f64_e32 v[144:145], v[116:117], v[138:139]
	ds_load_b128 v[114:117], v2 offset:576
	ds_load_b128 v[132:135], v2 offset:592
	scratch_load_b128 v[136:139], off, off offset:248
	s_wait_dscnt 0x1
	v_fmac_f64_e32 v[144:145], v[118:119], v[114:115]
	s_wait_loadcnt 0x5
	s_delay_alu instid0(VALU_DEP_1) | instskip(SKIP_4) | instid1(VALU_DEP_1)
	v_fmac_f64_e32 v[144:145], v[120:121], v[116:117]
	scratch_load_b128 v[114:117], off, off offset:264
	s_wait_dscnt 0x0
	v_fmac_f64_e32 v[144:145], v[122:123], v[132:133]
	s_wait_loadcnt 0x5
	v_fmac_f64_e32 v[144:145], v[124:125], v[134:135]
	ds_load_b128 v[118:121], v2 offset:608
	ds_load_b128 v[122:125], v2 offset:624
	scratch_load_b128 v[132:135], off, off offset:280
	s_wait_dscnt 0x1
	v_fmac_f64_e32 v[144:145], v[126:127], v[118:119]
	s_wait_loadcnt 0x5
	s_delay_alu instid0(VALU_DEP_1) | instskip(SKIP_4) | instid1(VALU_DEP_1)
	v_fmac_f64_e32 v[144:145], v[128:129], v[120:121]
	scratch_load_b128 v[118:121], off, off offset:296
	s_wait_dscnt 0x0
	v_fmac_f64_e32 v[144:145], v[130:131], v[122:123]
	s_wait_loadcnt 0x5
	v_fmac_f64_e32 v[144:145], v[140:141], v[124:125]
	ds_load_b128 v[122:125], v2 offset:640
	ds_load_b128 v[126:129], v2 offset:656
	s_wait_dscnt 0x1
	v_fmac_f64_e32 v[144:145], v[142:143], v[122:123]
	scratch_load_b128 v[140:143], off, off offset:312
	s_wait_loadcnt 0x5
	v_fmac_f64_e32 v[144:145], v[110:111], v[124:125]
	s_wait_dscnt 0x0
	s_delay_alu instid0(VALU_DEP_1)
	v_fmac_f64_e32 v[144:145], v[112:113], v[126:127]
	scratch_load_b128 v[110:113], off, off offset:328
	s_wait_loadcnt 0x5
	v_fmac_f64_e32 v[144:145], v[136:137], v[128:129]
	ds_load_b128 v[122:125], v2 offset:672
	ds_load_b128 v[126:129], v2 offset:688
	s_wait_dscnt 0x1
	v_fmac_f64_e32 v[144:145], v[138:139], v[122:123]
	s_wait_loadcnt 0x4
	s_delay_alu instid0(VALU_DEP_1)
	v_fmac_f64_e32 v[144:145], v[114:115], v[124:125]
	scratch_load_b128 v[122:125], off, off offset:344
	s_wait_dscnt 0x0
	v_fmac_f64_e32 v[144:145], v[116:117], v[126:127]
	scratch_load_b128 v[114:117], off, off offset:360
	s_wait_loadcnt 0x5
	v_fmac_f64_e32 v[144:145], v[132:133], v[128:129]
	ds_load_b128 v[126:129], v2 offset:704
	ds_load_b128 v[130:133], v2 offset:720
	s_wait_dscnt 0x1
	v_fmac_f64_e32 v[144:145], v[134:135], v[126:127]
	s_wait_loadcnt 0x4
	s_delay_alu instid0(VALU_DEP_1)
	v_fmac_f64_e32 v[144:145], v[118:119], v[128:129]
	scratch_load_b128 v[126:129], off, off offset:376
	s_wait_dscnt 0x0
	v_fmac_f64_e32 v[144:145], v[120:121], v[130:131]
	scratch_load_b128 v[118:121], off, off offset:392
	s_wait_loadcnt 0x5
	v_fmac_f64_e32 v[144:145], v[140:141], v[132:133]
	ds_load_b128 v[130:133], v2 offset:736
	ds_load_b128 v[134:137], v2 offset:752
	scratch_load_b64 v[138:139], off, off offset:408
	s_wait_dscnt 0x1
	v_fmac_f64_e32 v[144:145], v[142:143], v[130:131]
	s_wait_loadcnt 0x5
	s_delay_alu instid0(VALU_DEP_1) | instskip(SKIP_1) | instid1(VALU_DEP_1)
	v_fmac_f64_e32 v[144:145], v[110:111], v[132:133]
	s_wait_dscnt 0x0
	v_fmac_f64_e32 v[144:145], v[112:113], v[134:135]
	ds_load_b128 v[110:113], v2 offset:768
	ds_load_b128 v[130:133], v2 offset:784
	s_wait_loadcnt 0x4
	v_fmac_f64_e32 v[144:145], v[122:123], v[136:137]
	s_wait_dscnt 0x1
	s_delay_alu instid0(VALU_DEP_1) | instskip(SKIP_1) | instid1(VALU_DEP_1)
	v_fmac_f64_e32 v[144:145], v[124:125], v[110:111]
	s_wait_loadcnt 0x3
	v_fmac_f64_e32 v[144:145], v[114:115], v[112:113]
	s_wait_dscnt 0x0
	s_delay_alu instid0(VALU_DEP_1)
	v_fmac_f64_e32 v[144:145], v[116:117], v[130:131]
	ds_load_b128 v[110:113], v2 offset:800
	ds_load_b128 v[114:117], v2 offset:816
	s_wait_loadcnt 0x2
	v_fmac_f64_e32 v[144:145], v[126:127], v[132:133]
	s_wait_dscnt 0x1
	s_delay_alu instid0(VALU_DEP_1) | instskip(SKIP_1) | instid1(VALU_DEP_1)
	v_fmac_f64_e32 v[144:145], v[128:129], v[110:111]
	s_wait_loadcnt 0x1
	v_fmac_f64_e32 v[144:145], v[118:119], v[112:113]
	s_wait_dscnt 0x0
	s_delay_alu instid0(VALU_DEP_1) | instskip(SKIP_1) | instid1(VALU_DEP_1)
	v_fmac_f64_e32 v[144:145], v[120:121], v[114:115]
	s_wait_loadcnt 0x0
	v_fmac_f64_e32 v[144:145], v[138:139], v[116:117]
	s_delay_alu instid0(VALU_DEP_1)
	v_add_f64_e64 v[2:3], v[108:109], -v[144:145]
	scratch_store_b64 off, v[2:3], off offset:120
	s_wait_xcnt 0x0
	v_cmpx_lt_u32_e32 14, v0
	s_cbranch_execz .LBB115_293
; %bb.292:
	scratch_load_b64 v[2:3], off, off offset:112
	v_mov_b64_e32 v[108:109], 0
	scratch_store_b64 off, v[108:109], off offset:112
	s_wait_loadcnt 0x0
	ds_store_b64 v1, v[2:3]
.LBB115_293:
	s_wait_xcnt 0x0
	s_or_b32 exec_lo, exec_lo, s0
	s_wait_storecnt_dscnt 0x0
	s_barrier_signal -1
	s_barrier_wait -1
	s_clause 0x5
	scratch_load_b128 v[108:111], off, off offset:112
	scratch_load_b128 v[112:115], off, off offset:128
	;; [unrolled: 1-line block ×6, first 2 shown]
	v_mov_b32_e32 v2, 0
	ds_load_2addr_b64 v[132:135], v2 offset0:67 offset1:68
	ds_load_2addr_b64 v[136:139], v2 offset0:69 offset1:70
	scratch_load_b128 v[140:143], off, off offset:208
	s_mov_b32 s0, exec_lo
	s_wait_loadcnt_dscnt 0x601
	v_fma_f64 v[144:145], v[110:111], v[132:133], 0
	s_wait_loadcnt 0x5
	s_delay_alu instid0(VALU_DEP_1) | instskip(SKIP_4) | instid1(VALU_DEP_1)
	v_fmac_f64_e32 v[144:145], v[112:113], v[134:135]
	scratch_load_b128 v[110:113], off, off offset:224
	s_wait_dscnt 0x0
	v_fmac_f64_e32 v[144:145], v[114:115], v[136:137]
	s_wait_loadcnt 0x5
	v_fmac_f64_e32 v[144:145], v[116:117], v[138:139]
	ds_load_2addr_b64 v[114:117], v2 offset0:71 offset1:72
	ds_load_2addr_b64 v[132:135], v2 offset0:73 offset1:74
	scratch_load_b128 v[136:139], off, off offset:240
	s_wait_dscnt 0x1
	v_fmac_f64_e32 v[144:145], v[118:119], v[114:115]
	s_wait_loadcnt 0x5
	s_delay_alu instid0(VALU_DEP_1) | instskip(SKIP_4) | instid1(VALU_DEP_1)
	v_fmac_f64_e32 v[144:145], v[120:121], v[116:117]
	scratch_load_b128 v[114:117], off, off offset:256
	s_wait_dscnt 0x0
	v_fmac_f64_e32 v[144:145], v[122:123], v[132:133]
	s_wait_loadcnt 0x5
	v_fmac_f64_e32 v[144:145], v[124:125], v[134:135]
	ds_load_2addr_b64 v[118:121], v2 offset0:75 offset1:76
	ds_load_2addr_b64 v[122:125], v2 offset0:77 offset1:78
	scratch_load_b128 v[132:135], off, off offset:272
	s_wait_dscnt 0x1
	v_fmac_f64_e32 v[144:145], v[126:127], v[118:119]
	s_wait_loadcnt 0x5
	s_delay_alu instid0(VALU_DEP_1) | instskip(SKIP_4) | instid1(VALU_DEP_1)
	v_fmac_f64_e32 v[144:145], v[128:129], v[120:121]
	scratch_load_b128 v[118:121], off, off offset:288
	s_wait_dscnt 0x0
	v_fmac_f64_e32 v[144:145], v[130:131], v[122:123]
	s_wait_loadcnt 0x5
	v_fmac_f64_e32 v[144:145], v[140:141], v[124:125]
	ds_load_2addr_b64 v[122:125], v2 offset0:79 offset1:80
	ds_load_2addr_b64 v[126:129], v2 offset0:81 offset1:82
	s_wait_dscnt 0x1
	v_fmac_f64_e32 v[144:145], v[142:143], v[122:123]
	scratch_load_b128 v[140:143], off, off offset:304
	s_wait_loadcnt 0x5
	v_fmac_f64_e32 v[144:145], v[110:111], v[124:125]
	s_wait_dscnt 0x0
	s_delay_alu instid0(VALU_DEP_1)
	v_fmac_f64_e32 v[144:145], v[112:113], v[126:127]
	scratch_load_b128 v[110:113], off, off offset:320
	s_wait_loadcnt 0x5
	v_fmac_f64_e32 v[144:145], v[136:137], v[128:129]
	ds_load_2addr_b64 v[122:125], v2 offset0:83 offset1:84
	ds_load_2addr_b64 v[126:129], v2 offset0:85 offset1:86
	s_wait_dscnt 0x1
	v_fmac_f64_e32 v[144:145], v[138:139], v[122:123]
	s_wait_loadcnt 0x4
	s_delay_alu instid0(VALU_DEP_1)
	v_fmac_f64_e32 v[144:145], v[114:115], v[124:125]
	scratch_load_b128 v[122:125], off, off offset:336
	s_wait_dscnt 0x0
	v_fmac_f64_e32 v[144:145], v[116:117], v[126:127]
	scratch_load_b128 v[114:117], off, off offset:352
	s_wait_loadcnt 0x5
	v_fmac_f64_e32 v[144:145], v[132:133], v[128:129]
	ds_load_2addr_b64 v[126:129], v2 offset0:87 offset1:88
	ds_load_2addr_b64 v[130:133], v2 offset0:89 offset1:90
	s_wait_dscnt 0x1
	v_fmac_f64_e32 v[144:145], v[134:135], v[126:127]
	s_wait_loadcnt 0x4
	s_delay_alu instid0(VALU_DEP_1)
	v_fmac_f64_e32 v[144:145], v[118:119], v[128:129]
	scratch_load_b128 v[126:129], off, off offset:368
	s_wait_dscnt 0x0
	v_fmac_f64_e32 v[144:145], v[120:121], v[130:131]
	scratch_load_b128 v[118:121], off, off offset:384
	s_wait_loadcnt 0x5
	v_fmac_f64_e32 v[144:145], v[140:141], v[132:133]
	ds_load_2addr_b64 v[130:133], v2 offset0:91 offset1:92
	ds_load_2addr_b64 v[134:137], v2 offset0:93 offset1:94
	s_wait_dscnt 0x1
	v_fmac_f64_e32 v[144:145], v[142:143], v[130:131]
	s_wait_loadcnt 0x4
	s_delay_alu instid0(VALU_DEP_1) | instskip(SKIP_4) | instid1(VALU_DEP_1)
	v_fmac_f64_e32 v[144:145], v[110:111], v[132:133]
	scratch_load_b128 v[130:133], off, off offset:400
	s_wait_dscnt 0x0
	v_fmac_f64_e32 v[144:145], v[112:113], v[134:135]
	s_wait_loadcnt 0x4
	v_fmac_f64_e32 v[144:145], v[122:123], v[136:137]
	ds_load_2addr_b64 v[110:113], v2 offset0:95 offset1:96
	ds_load_2addr_b64 v[134:137], v2 offset0:97 offset1:98
	s_wait_dscnt 0x1
	v_fmac_f64_e32 v[144:145], v[124:125], v[110:111]
	s_wait_loadcnt 0x3
	s_delay_alu instid0(VALU_DEP_1) | instskip(SKIP_1) | instid1(VALU_DEP_1)
	v_fmac_f64_e32 v[144:145], v[114:115], v[112:113]
	s_wait_dscnt 0x0
	v_fmac_f64_e32 v[144:145], v[116:117], v[134:135]
	ds_load_2addr_b64 v[110:113], v2 offset0:99 offset1:100
	ds_load_2addr_b64 v[114:117], v2 offset0:101 offset1:102
	s_wait_loadcnt 0x2
	v_fmac_f64_e32 v[144:145], v[126:127], v[136:137]
	s_wait_dscnt 0x1
	s_delay_alu instid0(VALU_DEP_1) | instskip(SKIP_4) | instid1(VALU_DEP_1)
	v_fmac_f64_e32 v[144:145], v[128:129], v[110:111]
	ds_load_b64 v[110:111], v2 offset:824
	s_wait_loadcnt 0x1
	v_fmac_f64_e32 v[144:145], v[118:119], v[112:113]
	s_wait_dscnt 0x1
	v_fmac_f64_e32 v[144:145], v[120:121], v[114:115]
	s_wait_loadcnt 0x0
	s_delay_alu instid0(VALU_DEP_1) | instskip(SKIP_1) | instid1(VALU_DEP_1)
	v_fmac_f64_e32 v[144:145], v[130:131], v[116:117]
	s_wait_dscnt 0x0
	v_fmac_f64_e32 v[144:145], v[132:133], v[110:111]
	s_delay_alu instid0(VALU_DEP_1)
	v_add_f64_e64 v[108:109], v[108:109], -v[144:145]
	scratch_store_b64 off, v[108:109], off offset:112
	s_wait_xcnt 0x0
	v_cmpx_lt_u32_e32 13, v0
	s_cbranch_execz .LBB115_295
; %bb.294:
	scratch_load_b64 v[108:109], off, off offset:104
	v_mov_b64_e32 v[110:111], 0
	scratch_store_b64 off, v[110:111], off offset:104
	s_wait_loadcnt 0x0
	ds_store_b64 v1, v[108:109]
.LBB115_295:
	s_wait_xcnt 0x0
	s_or_b32 exec_lo, exec_lo, s0
	s_wait_storecnt_dscnt 0x0
	s_barrier_signal -1
	s_barrier_wait -1
	s_clause 0x5
	scratch_load_b128 v[108:111], off, off offset:104
	scratch_load_b128 v[112:115], off, off offset:120
	;; [unrolled: 1-line block ×6, first 2 shown]
	ds_load_b128 v[132:135], v2 offset:528
	ds_load_b128 v[136:139], v2 offset:544
	scratch_load_b128 v[140:143], off, off offset:200
	s_mov_b32 s0, exec_lo
	s_wait_loadcnt_dscnt 0x601
	v_fma_f64 v[144:145], v[110:111], v[132:133], 0
	s_wait_loadcnt 0x5
	s_delay_alu instid0(VALU_DEP_1) | instskip(SKIP_4) | instid1(VALU_DEP_1)
	v_fmac_f64_e32 v[144:145], v[112:113], v[134:135]
	scratch_load_b128 v[110:113], off, off offset:216
	s_wait_dscnt 0x0
	v_fmac_f64_e32 v[144:145], v[114:115], v[136:137]
	s_wait_loadcnt 0x5
	v_fmac_f64_e32 v[144:145], v[116:117], v[138:139]
	ds_load_b128 v[114:117], v2 offset:560
	ds_load_b128 v[132:135], v2 offset:576
	scratch_load_b128 v[136:139], off, off offset:232
	s_wait_dscnt 0x1
	v_fmac_f64_e32 v[144:145], v[118:119], v[114:115]
	s_wait_loadcnt 0x5
	s_delay_alu instid0(VALU_DEP_1) | instskip(SKIP_4) | instid1(VALU_DEP_1)
	v_fmac_f64_e32 v[144:145], v[120:121], v[116:117]
	scratch_load_b128 v[114:117], off, off offset:248
	s_wait_dscnt 0x0
	v_fmac_f64_e32 v[144:145], v[122:123], v[132:133]
	s_wait_loadcnt 0x5
	v_fmac_f64_e32 v[144:145], v[124:125], v[134:135]
	ds_load_b128 v[118:121], v2 offset:592
	ds_load_b128 v[122:125], v2 offset:608
	scratch_load_b128 v[132:135], off, off offset:264
	s_wait_dscnt 0x1
	v_fmac_f64_e32 v[144:145], v[126:127], v[118:119]
	s_wait_loadcnt 0x5
	s_delay_alu instid0(VALU_DEP_1) | instskip(SKIP_4) | instid1(VALU_DEP_1)
	v_fmac_f64_e32 v[144:145], v[128:129], v[120:121]
	scratch_load_b128 v[118:121], off, off offset:280
	s_wait_dscnt 0x0
	v_fmac_f64_e32 v[144:145], v[130:131], v[122:123]
	s_wait_loadcnt 0x5
	v_fmac_f64_e32 v[144:145], v[140:141], v[124:125]
	ds_load_b128 v[122:125], v2 offset:624
	ds_load_b128 v[126:129], v2 offset:640
	s_wait_dscnt 0x1
	v_fmac_f64_e32 v[144:145], v[142:143], v[122:123]
	scratch_load_b128 v[140:143], off, off offset:296
	s_wait_loadcnt 0x5
	v_fmac_f64_e32 v[144:145], v[110:111], v[124:125]
	s_wait_dscnt 0x0
	s_delay_alu instid0(VALU_DEP_1)
	v_fmac_f64_e32 v[144:145], v[112:113], v[126:127]
	scratch_load_b128 v[110:113], off, off offset:312
	s_wait_loadcnt 0x5
	v_fmac_f64_e32 v[144:145], v[136:137], v[128:129]
	ds_load_b128 v[122:125], v2 offset:656
	ds_load_b128 v[126:129], v2 offset:672
	s_wait_dscnt 0x1
	v_fmac_f64_e32 v[144:145], v[138:139], v[122:123]
	scratch_load_b128 v[136:139], off, off offset:328
	s_wait_loadcnt 0x5
	v_fmac_f64_e32 v[144:145], v[114:115], v[124:125]
	s_wait_dscnt 0x0
	s_delay_alu instid0(VALU_DEP_1)
	v_fmac_f64_e32 v[144:145], v[116:117], v[126:127]
	scratch_load_b128 v[114:117], off, off offset:344
	s_wait_loadcnt 0x5
	v_fmac_f64_e32 v[144:145], v[132:133], v[128:129]
	ds_load_b128 v[122:125], v2 offset:688
	ds_load_b128 v[126:129], v2 offset:704
	s_wait_dscnt 0x1
	v_fmac_f64_e32 v[144:145], v[134:135], v[122:123]
	s_wait_loadcnt 0x4
	s_delay_alu instid0(VALU_DEP_1)
	v_fmac_f64_e32 v[144:145], v[118:119], v[124:125]
	scratch_load_b128 v[122:125], off, off offset:360
	s_wait_dscnt 0x0
	v_fmac_f64_e32 v[144:145], v[120:121], v[126:127]
	scratch_load_b128 v[118:121], off, off offset:376
	s_wait_loadcnt 0x5
	v_fmac_f64_e32 v[144:145], v[140:141], v[128:129]
	ds_load_b128 v[126:129], v2 offset:720
	ds_load_b128 v[130:133], v2 offset:736
	scratch_load_b64 v[134:135], off, off offset:408
	s_wait_dscnt 0x1
	v_fmac_f64_e32 v[144:145], v[142:143], v[126:127]
	s_wait_loadcnt 0x5
	s_delay_alu instid0(VALU_DEP_1) | instskip(SKIP_4) | instid1(VALU_DEP_1)
	v_fmac_f64_e32 v[144:145], v[110:111], v[128:129]
	scratch_load_b128 v[126:129], off, off offset:392
	s_wait_dscnt 0x0
	v_fmac_f64_e32 v[144:145], v[112:113], v[130:131]
	s_wait_loadcnt 0x5
	v_fmac_f64_e32 v[144:145], v[136:137], v[132:133]
	ds_load_b128 v[110:113], v2 offset:752
	ds_load_b128 v[130:133], v2 offset:768
	s_wait_dscnt 0x1
	v_fmac_f64_e32 v[144:145], v[138:139], v[110:111]
	s_wait_loadcnt 0x4
	s_delay_alu instid0(VALU_DEP_1) | instskip(SKIP_1) | instid1(VALU_DEP_1)
	v_fmac_f64_e32 v[144:145], v[114:115], v[112:113]
	s_wait_dscnt 0x0
	v_fmac_f64_e32 v[144:145], v[116:117], v[130:131]
	ds_load_b128 v[110:113], v2 offset:784
	ds_load_b128 v[114:117], v2 offset:800
	s_wait_loadcnt 0x3
	v_fmac_f64_e32 v[144:145], v[122:123], v[132:133]
	s_wait_dscnt 0x1
	s_delay_alu instid0(VALU_DEP_1) | instskip(SKIP_1) | instid1(VALU_DEP_1)
	v_fmac_f64_e32 v[144:145], v[124:125], v[110:111]
	s_wait_loadcnt 0x2
	v_fmac_f64_e32 v[144:145], v[118:119], v[112:113]
	ds_load_b128 v[110:113], v2 offset:816
	s_wait_dscnt 0x1
	v_fmac_f64_e32 v[144:145], v[120:121], v[114:115]
	s_wait_loadcnt 0x0
	s_delay_alu instid0(VALU_DEP_1) | instskip(SKIP_1) | instid1(VALU_DEP_1)
	v_fmac_f64_e32 v[144:145], v[126:127], v[116:117]
	s_wait_dscnt 0x0
	v_fmac_f64_e32 v[144:145], v[128:129], v[110:111]
	s_delay_alu instid0(VALU_DEP_1) | instskip(NEXT) | instid1(VALU_DEP_1)
	v_fmac_f64_e32 v[144:145], v[134:135], v[112:113]
	v_add_f64_e64 v[2:3], v[108:109], -v[144:145]
	scratch_store_b64 off, v[2:3], off offset:104
	s_wait_xcnt 0x0
	v_cmpx_lt_u32_e32 12, v0
	s_cbranch_execz .LBB115_297
; %bb.296:
	scratch_load_b64 v[2:3], off, off offset:96
	v_mov_b64_e32 v[108:109], 0
	scratch_store_b64 off, v[108:109], off offset:96
	s_wait_loadcnt 0x0
	ds_store_b64 v1, v[2:3]
.LBB115_297:
	s_wait_xcnt 0x0
	s_or_b32 exec_lo, exec_lo, s0
	s_wait_storecnt_dscnt 0x0
	s_barrier_signal -1
	s_barrier_wait -1
	s_clause 0x5
	scratch_load_b128 v[108:111], off, off offset:96
	scratch_load_b128 v[112:115], off, off offset:112
	;; [unrolled: 1-line block ×6, first 2 shown]
	v_mov_b32_e32 v2, 0
	ds_load_2addr_b64 v[132:135], v2 offset0:65 offset1:66
	ds_load_2addr_b64 v[136:139], v2 offset0:67 offset1:68
	scratch_load_b128 v[140:143], off, off offset:192
	s_mov_b32 s0, exec_lo
	s_wait_loadcnt_dscnt 0x601
	v_fma_f64 v[144:145], v[110:111], v[132:133], 0
	s_wait_loadcnt 0x5
	s_delay_alu instid0(VALU_DEP_1) | instskip(SKIP_4) | instid1(VALU_DEP_1)
	v_fmac_f64_e32 v[144:145], v[112:113], v[134:135]
	scratch_load_b128 v[110:113], off, off offset:208
	s_wait_dscnt 0x0
	v_fmac_f64_e32 v[144:145], v[114:115], v[136:137]
	s_wait_loadcnt 0x5
	v_fmac_f64_e32 v[144:145], v[116:117], v[138:139]
	ds_load_2addr_b64 v[114:117], v2 offset0:69 offset1:70
	ds_load_2addr_b64 v[132:135], v2 offset0:71 offset1:72
	scratch_load_b128 v[136:139], off, off offset:224
	s_wait_dscnt 0x1
	v_fmac_f64_e32 v[144:145], v[118:119], v[114:115]
	s_wait_loadcnt 0x5
	s_delay_alu instid0(VALU_DEP_1) | instskip(SKIP_4) | instid1(VALU_DEP_1)
	v_fmac_f64_e32 v[144:145], v[120:121], v[116:117]
	scratch_load_b128 v[114:117], off, off offset:240
	s_wait_dscnt 0x0
	v_fmac_f64_e32 v[144:145], v[122:123], v[132:133]
	s_wait_loadcnt 0x5
	v_fmac_f64_e32 v[144:145], v[124:125], v[134:135]
	ds_load_2addr_b64 v[118:121], v2 offset0:73 offset1:74
	ds_load_2addr_b64 v[122:125], v2 offset0:75 offset1:76
	scratch_load_b128 v[132:135], off, off offset:256
	s_wait_dscnt 0x1
	v_fmac_f64_e32 v[144:145], v[126:127], v[118:119]
	s_wait_loadcnt 0x5
	s_delay_alu instid0(VALU_DEP_1) | instskip(SKIP_4) | instid1(VALU_DEP_1)
	v_fmac_f64_e32 v[144:145], v[128:129], v[120:121]
	scratch_load_b128 v[118:121], off, off offset:272
	s_wait_dscnt 0x0
	v_fmac_f64_e32 v[144:145], v[130:131], v[122:123]
	s_wait_loadcnt 0x5
	v_fmac_f64_e32 v[144:145], v[140:141], v[124:125]
	ds_load_2addr_b64 v[122:125], v2 offset0:77 offset1:78
	ds_load_2addr_b64 v[126:129], v2 offset0:79 offset1:80
	s_wait_dscnt 0x1
	v_fmac_f64_e32 v[144:145], v[142:143], v[122:123]
	scratch_load_b128 v[140:143], off, off offset:288
	s_wait_loadcnt 0x5
	v_fmac_f64_e32 v[144:145], v[110:111], v[124:125]
	s_wait_dscnt 0x0
	s_delay_alu instid0(VALU_DEP_1)
	v_fmac_f64_e32 v[144:145], v[112:113], v[126:127]
	scratch_load_b128 v[110:113], off, off offset:304
	s_wait_loadcnt 0x5
	v_fmac_f64_e32 v[144:145], v[136:137], v[128:129]
	ds_load_2addr_b64 v[122:125], v2 offset0:81 offset1:82
	ds_load_2addr_b64 v[126:129], v2 offset0:83 offset1:84
	s_wait_dscnt 0x1
	v_fmac_f64_e32 v[144:145], v[138:139], v[122:123]
	scratch_load_b128 v[136:139], off, off offset:320
	s_wait_loadcnt 0x5
	v_fmac_f64_e32 v[144:145], v[114:115], v[124:125]
	s_wait_dscnt 0x0
	s_delay_alu instid0(VALU_DEP_1)
	v_fmac_f64_e32 v[144:145], v[116:117], v[126:127]
	scratch_load_b128 v[114:117], off, off offset:336
	s_wait_loadcnt 0x5
	v_fmac_f64_e32 v[144:145], v[132:133], v[128:129]
	ds_load_2addr_b64 v[122:125], v2 offset0:85 offset1:86
	ds_load_2addr_b64 v[126:129], v2 offset0:87 offset1:88
	s_wait_dscnt 0x1
	v_fmac_f64_e32 v[144:145], v[134:135], v[122:123]
	s_wait_loadcnt 0x4
	s_delay_alu instid0(VALU_DEP_1)
	v_fmac_f64_e32 v[144:145], v[118:119], v[124:125]
	scratch_load_b128 v[122:125], off, off offset:352
	s_wait_dscnt 0x0
	v_fmac_f64_e32 v[144:145], v[120:121], v[126:127]
	scratch_load_b128 v[118:121], off, off offset:368
	s_wait_loadcnt 0x5
	v_fmac_f64_e32 v[144:145], v[140:141], v[128:129]
	ds_load_2addr_b64 v[126:129], v2 offset0:89 offset1:90
	ds_load_2addr_b64 v[130:133], v2 offset0:91 offset1:92
	s_wait_dscnt 0x1
	v_fmac_f64_e32 v[144:145], v[142:143], v[126:127]
	s_wait_loadcnt 0x4
	s_delay_alu instid0(VALU_DEP_1)
	v_fmac_f64_e32 v[144:145], v[110:111], v[128:129]
	scratch_load_b128 v[126:129], off, off offset:384
	s_wait_dscnt 0x0
	v_fmac_f64_e32 v[144:145], v[112:113], v[130:131]
	scratch_load_b128 v[110:113], off, off offset:400
	s_wait_loadcnt 0x5
	v_fmac_f64_e32 v[144:145], v[136:137], v[132:133]
	ds_load_2addr_b64 v[130:133], v2 offset0:93 offset1:94
	ds_load_2addr_b64 v[134:137], v2 offset0:95 offset1:96
	s_wait_dscnt 0x1
	v_fmac_f64_e32 v[144:145], v[138:139], v[130:131]
	s_wait_loadcnt 0x4
	s_delay_alu instid0(VALU_DEP_1) | instskip(SKIP_1) | instid1(VALU_DEP_1)
	v_fmac_f64_e32 v[144:145], v[114:115], v[132:133]
	s_wait_dscnt 0x0
	v_fmac_f64_e32 v[144:145], v[116:117], v[134:135]
	ds_load_2addr_b64 v[114:117], v2 offset0:97 offset1:98
	ds_load_2addr_b64 v[130:133], v2 offset0:99 offset1:100
	s_wait_loadcnt 0x3
	v_fmac_f64_e32 v[144:145], v[122:123], v[136:137]
	s_wait_dscnt 0x1
	s_delay_alu instid0(VALU_DEP_1) | instskip(SKIP_1) | instid1(VALU_DEP_1)
	v_fmac_f64_e32 v[144:145], v[124:125], v[114:115]
	s_wait_loadcnt 0x2
	v_fmac_f64_e32 v[144:145], v[118:119], v[116:117]
	ds_load_2addr_b64 v[114:117], v2 offset0:101 offset1:102
	ds_load_b64 v[118:119], v2 offset:824
	s_wait_dscnt 0x2
	v_fmac_f64_e32 v[144:145], v[120:121], v[130:131]
	s_wait_loadcnt 0x1
	s_delay_alu instid0(VALU_DEP_1) | instskip(SKIP_1) | instid1(VALU_DEP_1)
	v_fmac_f64_e32 v[144:145], v[126:127], v[132:133]
	s_wait_dscnt 0x1
	v_fmac_f64_e32 v[144:145], v[128:129], v[114:115]
	s_wait_loadcnt 0x0
	s_delay_alu instid0(VALU_DEP_1) | instskip(SKIP_1) | instid1(VALU_DEP_1)
	v_fmac_f64_e32 v[144:145], v[110:111], v[116:117]
	s_wait_dscnt 0x0
	v_fmac_f64_e32 v[144:145], v[112:113], v[118:119]
	s_delay_alu instid0(VALU_DEP_1)
	v_add_f64_e64 v[108:109], v[108:109], -v[144:145]
	scratch_store_b64 off, v[108:109], off offset:96
	s_wait_xcnt 0x0
	v_cmpx_lt_u32_e32 11, v0
	s_cbranch_execz .LBB115_299
; %bb.298:
	scratch_load_b64 v[108:109], off, off offset:88
	v_mov_b64_e32 v[110:111], 0
	scratch_store_b64 off, v[110:111], off offset:88
	s_wait_loadcnt 0x0
	ds_store_b64 v1, v[108:109]
.LBB115_299:
	s_wait_xcnt 0x0
	s_or_b32 exec_lo, exec_lo, s0
	s_wait_storecnt_dscnt 0x0
	s_barrier_signal -1
	s_barrier_wait -1
	s_clause 0x5
	scratch_load_b128 v[108:111], off, off offset:88
	scratch_load_b128 v[112:115], off, off offset:104
	;; [unrolled: 1-line block ×6, first 2 shown]
	ds_load_b128 v[132:135], v2 offset:512
	ds_load_b128 v[136:139], v2 offset:528
	scratch_load_b128 v[140:143], off, off offset:184
	s_mov_b32 s0, exec_lo
	s_wait_loadcnt_dscnt 0x601
	v_fma_f64 v[144:145], v[110:111], v[132:133], 0
	s_wait_loadcnt 0x5
	s_delay_alu instid0(VALU_DEP_1) | instskip(SKIP_4) | instid1(VALU_DEP_1)
	v_fmac_f64_e32 v[144:145], v[112:113], v[134:135]
	scratch_load_b128 v[110:113], off, off offset:200
	s_wait_dscnt 0x0
	v_fmac_f64_e32 v[144:145], v[114:115], v[136:137]
	s_wait_loadcnt 0x5
	v_fmac_f64_e32 v[144:145], v[116:117], v[138:139]
	ds_load_b128 v[114:117], v2 offset:544
	ds_load_b128 v[132:135], v2 offset:560
	scratch_load_b128 v[136:139], off, off offset:216
	s_wait_dscnt 0x1
	v_fmac_f64_e32 v[144:145], v[118:119], v[114:115]
	s_wait_loadcnt 0x5
	s_delay_alu instid0(VALU_DEP_1) | instskip(SKIP_4) | instid1(VALU_DEP_1)
	v_fmac_f64_e32 v[144:145], v[120:121], v[116:117]
	scratch_load_b128 v[114:117], off, off offset:232
	s_wait_dscnt 0x0
	v_fmac_f64_e32 v[144:145], v[122:123], v[132:133]
	s_wait_loadcnt 0x5
	v_fmac_f64_e32 v[144:145], v[124:125], v[134:135]
	ds_load_b128 v[118:121], v2 offset:576
	ds_load_b128 v[122:125], v2 offset:592
	scratch_load_b128 v[132:135], off, off offset:248
	s_wait_dscnt 0x1
	v_fmac_f64_e32 v[144:145], v[126:127], v[118:119]
	s_wait_loadcnt 0x5
	s_delay_alu instid0(VALU_DEP_1) | instskip(SKIP_4) | instid1(VALU_DEP_1)
	v_fmac_f64_e32 v[144:145], v[128:129], v[120:121]
	scratch_load_b128 v[118:121], off, off offset:264
	s_wait_dscnt 0x0
	v_fmac_f64_e32 v[144:145], v[130:131], v[122:123]
	s_wait_loadcnt 0x5
	v_fmac_f64_e32 v[144:145], v[140:141], v[124:125]
	ds_load_b128 v[122:125], v2 offset:608
	ds_load_b128 v[126:129], v2 offset:624
	s_wait_dscnt 0x1
	v_fmac_f64_e32 v[144:145], v[142:143], v[122:123]
	scratch_load_b128 v[140:143], off, off offset:280
	s_wait_loadcnt 0x5
	v_fmac_f64_e32 v[144:145], v[110:111], v[124:125]
	s_wait_dscnt 0x0
	s_delay_alu instid0(VALU_DEP_1)
	v_fmac_f64_e32 v[144:145], v[112:113], v[126:127]
	scratch_load_b128 v[110:113], off, off offset:296
	s_wait_loadcnt 0x5
	v_fmac_f64_e32 v[144:145], v[136:137], v[128:129]
	ds_load_b128 v[122:125], v2 offset:640
	ds_load_b128 v[126:129], v2 offset:656
	s_wait_dscnt 0x1
	v_fmac_f64_e32 v[144:145], v[138:139], v[122:123]
	scratch_load_b128 v[136:139], off, off offset:312
	s_wait_loadcnt 0x5
	v_fmac_f64_e32 v[144:145], v[114:115], v[124:125]
	s_wait_dscnt 0x0
	s_delay_alu instid0(VALU_DEP_1)
	v_fmac_f64_e32 v[144:145], v[116:117], v[126:127]
	scratch_load_b128 v[114:117], off, off offset:328
	s_wait_loadcnt 0x5
	v_fmac_f64_e32 v[144:145], v[132:133], v[128:129]
	ds_load_b128 v[122:125], v2 offset:672
	ds_load_b128 v[126:129], v2 offset:688
	s_wait_dscnt 0x1
	v_fmac_f64_e32 v[144:145], v[134:135], v[122:123]
	s_wait_loadcnt 0x4
	s_delay_alu instid0(VALU_DEP_1)
	v_fmac_f64_e32 v[144:145], v[118:119], v[124:125]
	scratch_load_b128 v[122:125], off, off offset:344
	s_wait_dscnt 0x0
	v_fmac_f64_e32 v[144:145], v[120:121], v[126:127]
	scratch_load_b128 v[118:121], off, off offset:360
	s_wait_loadcnt 0x5
	v_fmac_f64_e32 v[144:145], v[140:141], v[128:129]
	ds_load_b128 v[126:129], v2 offset:704
	ds_load_b128 v[130:133], v2 offset:720
	s_wait_dscnt 0x1
	v_fmac_f64_e32 v[144:145], v[142:143], v[126:127]
	s_wait_loadcnt 0x4
	s_delay_alu instid0(VALU_DEP_1)
	v_fmac_f64_e32 v[144:145], v[110:111], v[128:129]
	scratch_load_b128 v[126:129], off, off offset:376
	s_wait_dscnt 0x0
	v_fmac_f64_e32 v[144:145], v[112:113], v[130:131]
	scratch_load_b128 v[110:113], off, off offset:392
	s_wait_loadcnt 0x5
	v_fmac_f64_e32 v[144:145], v[136:137], v[132:133]
	ds_load_b128 v[130:133], v2 offset:736
	ds_load_b128 v[134:137], v2 offset:752
	s_wait_dscnt 0x1
	v_fmac_f64_e32 v[144:145], v[138:139], v[130:131]
	scratch_load_b64 v[138:139], off, off offset:408
	s_wait_loadcnt 0x5
	v_fmac_f64_e32 v[144:145], v[114:115], v[132:133]
	s_wait_dscnt 0x0
	s_delay_alu instid0(VALU_DEP_1)
	v_fmac_f64_e32 v[144:145], v[116:117], v[134:135]
	ds_load_b128 v[114:117], v2 offset:768
	ds_load_b128 v[130:133], v2 offset:784
	s_wait_loadcnt 0x4
	v_fmac_f64_e32 v[144:145], v[122:123], v[136:137]
	s_wait_dscnt 0x1
	s_delay_alu instid0(VALU_DEP_1) | instskip(SKIP_1) | instid1(VALU_DEP_1)
	v_fmac_f64_e32 v[144:145], v[124:125], v[114:115]
	s_wait_loadcnt 0x3
	v_fmac_f64_e32 v[144:145], v[118:119], v[116:117]
	s_wait_dscnt 0x0
	s_delay_alu instid0(VALU_DEP_1)
	v_fmac_f64_e32 v[144:145], v[120:121], v[130:131]
	ds_load_b128 v[114:117], v2 offset:800
	ds_load_b128 v[118:121], v2 offset:816
	s_wait_loadcnt 0x2
	v_fmac_f64_e32 v[144:145], v[126:127], v[132:133]
	s_wait_dscnt 0x1
	s_delay_alu instid0(VALU_DEP_1) | instskip(SKIP_1) | instid1(VALU_DEP_1)
	v_fmac_f64_e32 v[144:145], v[128:129], v[114:115]
	s_wait_loadcnt 0x1
	v_fmac_f64_e32 v[144:145], v[110:111], v[116:117]
	s_wait_dscnt 0x0
	s_delay_alu instid0(VALU_DEP_1) | instskip(SKIP_1) | instid1(VALU_DEP_1)
	v_fmac_f64_e32 v[144:145], v[112:113], v[118:119]
	s_wait_loadcnt 0x0
	v_fmac_f64_e32 v[144:145], v[138:139], v[120:121]
	s_delay_alu instid0(VALU_DEP_1)
	v_add_f64_e64 v[2:3], v[108:109], -v[144:145]
	scratch_store_b64 off, v[2:3], off offset:88
	s_wait_xcnt 0x0
	v_cmpx_lt_u32_e32 10, v0
	s_cbranch_execz .LBB115_301
; %bb.300:
	scratch_load_b64 v[2:3], off, off offset:80
	v_mov_b64_e32 v[108:109], 0
	scratch_store_b64 off, v[108:109], off offset:80
	s_wait_loadcnt 0x0
	ds_store_b64 v1, v[2:3]
.LBB115_301:
	s_wait_xcnt 0x0
	s_or_b32 exec_lo, exec_lo, s0
	s_wait_storecnt_dscnt 0x0
	s_barrier_signal -1
	s_barrier_wait -1
	s_clause 0x5
	scratch_load_b128 v[108:111], off, off offset:80
	scratch_load_b128 v[112:115], off, off offset:96
	;; [unrolled: 1-line block ×6, first 2 shown]
	v_mov_b32_e32 v2, 0
	ds_load_2addr_b64 v[132:135], v2 offset0:63 offset1:64
	ds_load_2addr_b64 v[136:139], v2 offset0:65 offset1:66
	scratch_load_b128 v[140:143], off, off offset:176
	s_mov_b32 s0, exec_lo
	s_wait_loadcnt_dscnt 0x601
	v_fma_f64 v[144:145], v[110:111], v[132:133], 0
	s_wait_loadcnt 0x5
	s_delay_alu instid0(VALU_DEP_1) | instskip(SKIP_4) | instid1(VALU_DEP_1)
	v_fmac_f64_e32 v[144:145], v[112:113], v[134:135]
	scratch_load_b128 v[110:113], off, off offset:192
	s_wait_dscnt 0x0
	v_fmac_f64_e32 v[144:145], v[114:115], v[136:137]
	s_wait_loadcnt 0x5
	v_fmac_f64_e32 v[144:145], v[116:117], v[138:139]
	ds_load_2addr_b64 v[114:117], v2 offset0:67 offset1:68
	ds_load_2addr_b64 v[132:135], v2 offset0:69 offset1:70
	scratch_load_b128 v[136:139], off, off offset:208
	s_wait_dscnt 0x1
	v_fmac_f64_e32 v[144:145], v[118:119], v[114:115]
	s_wait_loadcnt 0x5
	s_delay_alu instid0(VALU_DEP_1) | instskip(SKIP_4) | instid1(VALU_DEP_1)
	v_fmac_f64_e32 v[144:145], v[120:121], v[116:117]
	scratch_load_b128 v[114:117], off, off offset:224
	s_wait_dscnt 0x0
	v_fmac_f64_e32 v[144:145], v[122:123], v[132:133]
	s_wait_loadcnt 0x5
	v_fmac_f64_e32 v[144:145], v[124:125], v[134:135]
	ds_load_2addr_b64 v[118:121], v2 offset0:71 offset1:72
	ds_load_2addr_b64 v[122:125], v2 offset0:73 offset1:74
	scratch_load_b128 v[132:135], off, off offset:240
	s_wait_dscnt 0x1
	v_fmac_f64_e32 v[144:145], v[126:127], v[118:119]
	s_wait_loadcnt 0x5
	s_delay_alu instid0(VALU_DEP_1) | instskip(SKIP_4) | instid1(VALU_DEP_1)
	v_fmac_f64_e32 v[144:145], v[128:129], v[120:121]
	scratch_load_b128 v[118:121], off, off offset:256
	s_wait_dscnt 0x0
	v_fmac_f64_e32 v[144:145], v[130:131], v[122:123]
	s_wait_loadcnt 0x5
	v_fmac_f64_e32 v[144:145], v[140:141], v[124:125]
	ds_load_2addr_b64 v[122:125], v2 offset0:75 offset1:76
	ds_load_2addr_b64 v[126:129], v2 offset0:77 offset1:78
	s_wait_dscnt 0x1
	v_fmac_f64_e32 v[144:145], v[142:143], v[122:123]
	scratch_load_b128 v[140:143], off, off offset:272
	s_wait_loadcnt 0x5
	v_fmac_f64_e32 v[144:145], v[110:111], v[124:125]
	s_wait_dscnt 0x0
	s_delay_alu instid0(VALU_DEP_1)
	v_fmac_f64_e32 v[144:145], v[112:113], v[126:127]
	scratch_load_b128 v[110:113], off, off offset:288
	s_wait_loadcnt 0x5
	v_fmac_f64_e32 v[144:145], v[136:137], v[128:129]
	ds_load_2addr_b64 v[122:125], v2 offset0:79 offset1:80
	ds_load_2addr_b64 v[126:129], v2 offset0:81 offset1:82
	s_wait_dscnt 0x1
	v_fmac_f64_e32 v[144:145], v[138:139], v[122:123]
	scratch_load_b128 v[136:139], off, off offset:304
	s_wait_loadcnt 0x5
	v_fmac_f64_e32 v[144:145], v[114:115], v[124:125]
	s_wait_dscnt 0x0
	s_delay_alu instid0(VALU_DEP_1)
	v_fmac_f64_e32 v[144:145], v[116:117], v[126:127]
	scratch_load_b128 v[114:117], off, off offset:320
	s_wait_loadcnt 0x5
	v_fmac_f64_e32 v[144:145], v[132:133], v[128:129]
	ds_load_2addr_b64 v[122:125], v2 offset0:83 offset1:84
	ds_load_2addr_b64 v[126:129], v2 offset0:85 offset1:86
	s_wait_dscnt 0x1
	v_fmac_f64_e32 v[144:145], v[134:135], v[122:123]
	s_wait_loadcnt 0x4
	s_delay_alu instid0(VALU_DEP_1)
	v_fmac_f64_e32 v[144:145], v[118:119], v[124:125]
	scratch_load_b128 v[122:125], off, off offset:336
	s_wait_dscnt 0x0
	v_fmac_f64_e32 v[144:145], v[120:121], v[126:127]
	scratch_load_b128 v[118:121], off, off offset:352
	s_wait_loadcnt 0x5
	v_fmac_f64_e32 v[144:145], v[140:141], v[128:129]
	ds_load_2addr_b64 v[126:129], v2 offset0:87 offset1:88
	ds_load_2addr_b64 v[130:133], v2 offset0:89 offset1:90
	s_wait_dscnt 0x1
	v_fmac_f64_e32 v[144:145], v[142:143], v[126:127]
	s_wait_loadcnt 0x4
	s_delay_alu instid0(VALU_DEP_1)
	v_fmac_f64_e32 v[144:145], v[110:111], v[128:129]
	scratch_load_b128 v[126:129], off, off offset:368
	s_wait_dscnt 0x0
	v_fmac_f64_e32 v[144:145], v[112:113], v[130:131]
	scratch_load_b128 v[110:113], off, off offset:384
	s_wait_loadcnt 0x5
	v_fmac_f64_e32 v[144:145], v[136:137], v[132:133]
	ds_load_2addr_b64 v[130:133], v2 offset0:91 offset1:92
	ds_load_2addr_b64 v[134:137], v2 offset0:93 offset1:94
	s_wait_dscnt 0x1
	v_fmac_f64_e32 v[144:145], v[138:139], v[130:131]
	s_wait_loadcnt 0x4
	s_delay_alu instid0(VALU_DEP_1) | instskip(SKIP_4) | instid1(VALU_DEP_1)
	v_fmac_f64_e32 v[144:145], v[114:115], v[132:133]
	scratch_load_b128 v[130:133], off, off offset:400
	s_wait_dscnt 0x0
	v_fmac_f64_e32 v[144:145], v[116:117], v[134:135]
	s_wait_loadcnt 0x4
	v_fmac_f64_e32 v[144:145], v[122:123], v[136:137]
	ds_load_2addr_b64 v[114:117], v2 offset0:95 offset1:96
	ds_load_2addr_b64 v[134:137], v2 offset0:97 offset1:98
	s_wait_dscnt 0x1
	v_fmac_f64_e32 v[144:145], v[124:125], v[114:115]
	s_wait_loadcnt 0x3
	s_delay_alu instid0(VALU_DEP_1) | instskip(SKIP_1) | instid1(VALU_DEP_1)
	v_fmac_f64_e32 v[144:145], v[118:119], v[116:117]
	s_wait_dscnt 0x0
	v_fmac_f64_e32 v[144:145], v[120:121], v[134:135]
	ds_load_2addr_b64 v[114:117], v2 offset0:99 offset1:100
	ds_load_2addr_b64 v[118:121], v2 offset0:101 offset1:102
	s_wait_loadcnt 0x2
	v_fmac_f64_e32 v[144:145], v[126:127], v[136:137]
	s_wait_dscnt 0x1
	s_delay_alu instid0(VALU_DEP_1) | instskip(SKIP_1) | instid1(VALU_DEP_1)
	v_fmac_f64_e32 v[144:145], v[128:129], v[114:115]
	s_wait_loadcnt 0x1
	v_fmac_f64_e32 v[144:145], v[110:111], v[116:117]
	ds_load_b64 v[110:111], v2 offset:824
	s_wait_dscnt 0x1
	v_fmac_f64_e32 v[144:145], v[112:113], v[118:119]
	s_wait_loadcnt 0x0
	s_delay_alu instid0(VALU_DEP_1) | instskip(SKIP_1) | instid1(VALU_DEP_1)
	v_fmac_f64_e32 v[144:145], v[130:131], v[120:121]
	s_wait_dscnt 0x0
	v_fmac_f64_e32 v[144:145], v[132:133], v[110:111]
	s_delay_alu instid0(VALU_DEP_1)
	v_add_f64_e64 v[108:109], v[108:109], -v[144:145]
	scratch_store_b64 off, v[108:109], off offset:80
	s_wait_xcnt 0x0
	v_cmpx_lt_u32_e32 9, v0
	s_cbranch_execz .LBB115_303
; %bb.302:
	scratch_load_b64 v[108:109], off, off offset:72
	v_mov_b64_e32 v[110:111], 0
	scratch_store_b64 off, v[110:111], off offset:72
	s_wait_loadcnt 0x0
	ds_store_b64 v1, v[108:109]
.LBB115_303:
	s_wait_xcnt 0x0
	s_or_b32 exec_lo, exec_lo, s0
	s_wait_storecnt_dscnt 0x0
	s_barrier_signal -1
	s_barrier_wait -1
	s_clause 0x5
	scratch_load_b128 v[108:111], off, off offset:72
	scratch_load_b128 v[112:115], off, off offset:88
	scratch_load_b128 v[116:119], off, off offset:104
	scratch_load_b128 v[120:123], off, off offset:120
	scratch_load_b128 v[124:127], off, off offset:136
	scratch_load_b128 v[128:131], off, off offset:152
	ds_load_b128 v[132:135], v2 offset:496
	ds_load_b128 v[136:139], v2 offset:512
	scratch_load_b128 v[140:143], off, off offset:168
	s_mov_b32 s0, exec_lo
	s_wait_loadcnt_dscnt 0x601
	v_fma_f64 v[144:145], v[110:111], v[132:133], 0
	s_wait_loadcnt 0x5
	s_delay_alu instid0(VALU_DEP_1) | instskip(SKIP_4) | instid1(VALU_DEP_1)
	v_fmac_f64_e32 v[144:145], v[112:113], v[134:135]
	scratch_load_b128 v[110:113], off, off offset:184
	s_wait_dscnt 0x0
	v_fmac_f64_e32 v[144:145], v[114:115], v[136:137]
	s_wait_loadcnt 0x5
	v_fmac_f64_e32 v[144:145], v[116:117], v[138:139]
	ds_load_b128 v[114:117], v2 offset:528
	ds_load_b128 v[132:135], v2 offset:544
	scratch_load_b128 v[136:139], off, off offset:200
	s_wait_dscnt 0x1
	v_fmac_f64_e32 v[144:145], v[118:119], v[114:115]
	s_wait_loadcnt 0x5
	s_delay_alu instid0(VALU_DEP_1) | instskip(SKIP_4) | instid1(VALU_DEP_1)
	v_fmac_f64_e32 v[144:145], v[120:121], v[116:117]
	scratch_load_b128 v[114:117], off, off offset:216
	s_wait_dscnt 0x0
	v_fmac_f64_e32 v[144:145], v[122:123], v[132:133]
	s_wait_loadcnt 0x5
	v_fmac_f64_e32 v[144:145], v[124:125], v[134:135]
	ds_load_b128 v[118:121], v2 offset:560
	ds_load_b128 v[122:125], v2 offset:576
	scratch_load_b128 v[132:135], off, off offset:232
	s_wait_dscnt 0x1
	v_fmac_f64_e32 v[144:145], v[126:127], v[118:119]
	s_wait_loadcnt 0x5
	s_delay_alu instid0(VALU_DEP_1) | instskip(SKIP_4) | instid1(VALU_DEP_1)
	v_fmac_f64_e32 v[144:145], v[128:129], v[120:121]
	scratch_load_b128 v[118:121], off, off offset:248
	s_wait_dscnt 0x0
	v_fmac_f64_e32 v[144:145], v[130:131], v[122:123]
	s_wait_loadcnt 0x5
	v_fmac_f64_e32 v[144:145], v[140:141], v[124:125]
	ds_load_b128 v[122:125], v2 offset:592
	ds_load_b128 v[126:129], v2 offset:608
	s_wait_dscnt 0x1
	v_fmac_f64_e32 v[144:145], v[142:143], v[122:123]
	scratch_load_b128 v[140:143], off, off offset:264
	s_wait_loadcnt 0x5
	v_fmac_f64_e32 v[144:145], v[110:111], v[124:125]
	s_wait_dscnt 0x0
	s_delay_alu instid0(VALU_DEP_1)
	v_fmac_f64_e32 v[144:145], v[112:113], v[126:127]
	scratch_load_b128 v[110:113], off, off offset:280
	s_wait_loadcnt 0x5
	v_fmac_f64_e32 v[144:145], v[136:137], v[128:129]
	ds_load_b128 v[122:125], v2 offset:624
	ds_load_b128 v[126:129], v2 offset:640
	s_wait_dscnt 0x1
	v_fmac_f64_e32 v[144:145], v[138:139], v[122:123]
	scratch_load_b128 v[136:139], off, off offset:296
	s_wait_loadcnt 0x5
	v_fmac_f64_e32 v[144:145], v[114:115], v[124:125]
	s_wait_dscnt 0x0
	s_delay_alu instid0(VALU_DEP_1)
	v_fmac_f64_e32 v[144:145], v[116:117], v[126:127]
	scratch_load_b128 v[114:117], off, off offset:312
	s_wait_loadcnt 0x5
	v_fmac_f64_e32 v[144:145], v[132:133], v[128:129]
	ds_load_b128 v[122:125], v2 offset:656
	ds_load_b128 v[126:129], v2 offset:672
	scratch_load_b128 v[130:133], off, off offset:328
	s_wait_dscnt 0x1
	v_fmac_f64_e32 v[144:145], v[134:135], v[122:123]
	s_wait_loadcnt 0x5
	s_delay_alu instid0(VALU_DEP_1) | instskip(SKIP_1) | instid1(VALU_DEP_1)
	v_fmac_f64_e32 v[144:145], v[118:119], v[124:125]
	s_wait_dscnt 0x0
	v_fmac_f64_e32 v[144:145], v[120:121], v[126:127]
	scratch_load_b128 v[118:121], off, off offset:344
	s_wait_loadcnt 0x5
	v_fmac_f64_e32 v[144:145], v[140:141], v[128:129]
	ds_load_b128 v[122:125], v2 offset:688
	ds_load_b128 v[126:129], v2 offset:704
	s_wait_dscnt 0x1
	v_fmac_f64_e32 v[144:145], v[142:143], v[122:123]
	s_wait_loadcnt 0x4
	s_delay_alu instid0(VALU_DEP_1)
	v_fmac_f64_e32 v[144:145], v[110:111], v[124:125]
	scratch_load_b128 v[122:125], off, off offset:360
	s_wait_dscnt 0x0
	v_fmac_f64_e32 v[144:145], v[112:113], v[126:127]
	scratch_load_b128 v[110:113], off, off offset:376
	s_wait_loadcnt 0x5
	v_fmac_f64_e32 v[144:145], v[136:137], v[128:129]
	ds_load_b128 v[126:129], v2 offset:720
	ds_load_b128 v[134:137], v2 offset:736
	s_wait_dscnt 0x1
	v_fmac_f64_e32 v[144:145], v[138:139], v[126:127]
	s_wait_loadcnt 0x4
	s_delay_alu instid0(VALU_DEP_1) | instskip(SKIP_4) | instid1(VALU_DEP_1)
	v_fmac_f64_e32 v[144:145], v[114:115], v[128:129]
	scratch_load_b128 v[126:129], off, off offset:392
	s_wait_dscnt 0x0
	v_fmac_f64_e32 v[144:145], v[116:117], v[134:135]
	s_wait_loadcnt 0x4
	v_fmac_f64_e32 v[144:145], v[130:131], v[136:137]
	scratch_load_b64 v[130:131], off, off offset:408
	ds_load_b128 v[114:117], v2 offset:752
	ds_load_b128 v[134:137], v2 offset:768
	s_wait_dscnt 0x1
	v_fmac_f64_e32 v[144:145], v[132:133], v[114:115]
	s_wait_loadcnt 0x4
	s_delay_alu instid0(VALU_DEP_1) | instskip(SKIP_1) | instid1(VALU_DEP_1)
	v_fmac_f64_e32 v[144:145], v[118:119], v[116:117]
	s_wait_dscnt 0x0
	v_fmac_f64_e32 v[144:145], v[120:121], v[134:135]
	ds_load_b128 v[114:117], v2 offset:784
	ds_load_b128 v[118:121], v2 offset:800
	s_wait_loadcnt 0x3
	v_fmac_f64_e32 v[144:145], v[122:123], v[136:137]
	s_wait_dscnt 0x1
	s_delay_alu instid0(VALU_DEP_1) | instskip(SKIP_1) | instid1(VALU_DEP_1)
	v_fmac_f64_e32 v[144:145], v[124:125], v[114:115]
	s_wait_loadcnt 0x2
	v_fmac_f64_e32 v[144:145], v[110:111], v[116:117]
	s_wait_dscnt 0x0
	s_delay_alu instid0(VALU_DEP_1) | instskip(SKIP_4) | instid1(VALU_DEP_1)
	v_fmac_f64_e32 v[144:145], v[112:113], v[118:119]
	ds_load_b128 v[110:113], v2 offset:816
	s_wait_loadcnt 0x1
	v_fmac_f64_e32 v[144:145], v[126:127], v[120:121]
	s_wait_dscnt 0x0
	v_fmac_f64_e32 v[144:145], v[128:129], v[110:111]
	s_wait_loadcnt 0x0
	s_delay_alu instid0(VALU_DEP_1) | instskip(NEXT) | instid1(VALU_DEP_1)
	v_fmac_f64_e32 v[144:145], v[130:131], v[112:113]
	v_add_f64_e64 v[2:3], v[108:109], -v[144:145]
	scratch_store_b64 off, v[2:3], off offset:72
	s_wait_xcnt 0x0
	v_cmpx_lt_u32_e32 8, v0
	s_cbranch_execz .LBB115_305
; %bb.304:
	scratch_load_b64 v[2:3], off, off offset:64
	v_mov_b64_e32 v[108:109], 0
	scratch_store_b64 off, v[108:109], off offset:64
	s_wait_loadcnt 0x0
	ds_store_b64 v1, v[2:3]
.LBB115_305:
	s_wait_xcnt 0x0
	s_or_b32 exec_lo, exec_lo, s0
	s_wait_storecnt_dscnt 0x0
	s_barrier_signal -1
	s_barrier_wait -1
	s_clause 0x5
	scratch_load_b128 v[108:111], off, off offset:64
	scratch_load_b128 v[112:115], off, off offset:80
	scratch_load_b128 v[116:119], off, off offset:96
	scratch_load_b128 v[120:123], off, off offset:112
	scratch_load_b128 v[124:127], off, off offset:128
	scratch_load_b128 v[128:131], off, off offset:144
	v_mov_b32_e32 v2, 0
	ds_load_2addr_b64 v[132:135], v2 offset0:61 offset1:62
	ds_load_2addr_b64 v[136:139], v2 offset0:63 offset1:64
	scratch_load_b128 v[140:143], off, off offset:160
	s_mov_b32 s0, exec_lo
	s_wait_loadcnt_dscnt 0x601
	v_fma_f64 v[144:145], v[110:111], v[132:133], 0
	s_wait_loadcnt 0x5
	s_delay_alu instid0(VALU_DEP_1) | instskip(SKIP_4) | instid1(VALU_DEP_1)
	v_fmac_f64_e32 v[144:145], v[112:113], v[134:135]
	scratch_load_b128 v[110:113], off, off offset:176
	s_wait_dscnt 0x0
	v_fmac_f64_e32 v[144:145], v[114:115], v[136:137]
	s_wait_loadcnt 0x5
	v_fmac_f64_e32 v[144:145], v[116:117], v[138:139]
	ds_load_2addr_b64 v[114:117], v2 offset0:65 offset1:66
	ds_load_2addr_b64 v[132:135], v2 offset0:67 offset1:68
	scratch_load_b128 v[136:139], off, off offset:192
	s_wait_dscnt 0x1
	v_fmac_f64_e32 v[144:145], v[118:119], v[114:115]
	s_wait_loadcnt 0x5
	s_delay_alu instid0(VALU_DEP_1) | instskip(SKIP_4) | instid1(VALU_DEP_1)
	v_fmac_f64_e32 v[144:145], v[120:121], v[116:117]
	scratch_load_b128 v[114:117], off, off offset:208
	s_wait_dscnt 0x0
	v_fmac_f64_e32 v[144:145], v[122:123], v[132:133]
	s_wait_loadcnt 0x5
	v_fmac_f64_e32 v[144:145], v[124:125], v[134:135]
	ds_load_2addr_b64 v[118:121], v2 offset0:69 offset1:70
	ds_load_2addr_b64 v[122:125], v2 offset0:71 offset1:72
	scratch_load_b128 v[132:135], off, off offset:224
	s_wait_dscnt 0x1
	v_fmac_f64_e32 v[144:145], v[126:127], v[118:119]
	s_wait_loadcnt 0x5
	s_delay_alu instid0(VALU_DEP_1) | instskip(SKIP_4) | instid1(VALU_DEP_1)
	v_fmac_f64_e32 v[144:145], v[128:129], v[120:121]
	scratch_load_b128 v[118:121], off, off offset:240
	s_wait_dscnt 0x0
	v_fmac_f64_e32 v[144:145], v[130:131], v[122:123]
	s_wait_loadcnt 0x5
	v_fmac_f64_e32 v[144:145], v[140:141], v[124:125]
	ds_load_2addr_b64 v[122:125], v2 offset0:73 offset1:74
	ds_load_2addr_b64 v[126:129], v2 offset0:75 offset1:76
	s_wait_dscnt 0x1
	v_fmac_f64_e32 v[144:145], v[142:143], v[122:123]
	scratch_load_b128 v[140:143], off, off offset:256
	s_wait_loadcnt 0x5
	v_fmac_f64_e32 v[144:145], v[110:111], v[124:125]
	s_wait_dscnt 0x0
	s_delay_alu instid0(VALU_DEP_1)
	v_fmac_f64_e32 v[144:145], v[112:113], v[126:127]
	scratch_load_b128 v[110:113], off, off offset:272
	s_wait_loadcnt 0x5
	v_fmac_f64_e32 v[144:145], v[136:137], v[128:129]
	ds_load_2addr_b64 v[122:125], v2 offset0:77 offset1:78
	ds_load_2addr_b64 v[126:129], v2 offset0:79 offset1:80
	s_wait_dscnt 0x1
	v_fmac_f64_e32 v[144:145], v[138:139], v[122:123]
	scratch_load_b128 v[136:139], off, off offset:288
	s_wait_loadcnt 0x5
	v_fmac_f64_e32 v[144:145], v[114:115], v[124:125]
	s_wait_dscnt 0x0
	s_delay_alu instid0(VALU_DEP_1)
	v_fmac_f64_e32 v[144:145], v[116:117], v[126:127]
	scratch_load_b128 v[114:117], off, off offset:304
	s_wait_loadcnt 0x5
	v_fmac_f64_e32 v[144:145], v[132:133], v[128:129]
	ds_load_2addr_b64 v[122:125], v2 offset0:81 offset1:82
	ds_load_2addr_b64 v[126:129], v2 offset0:83 offset1:84
	scratch_load_b128 v[130:133], off, off offset:320
	s_wait_dscnt 0x1
	v_fmac_f64_e32 v[144:145], v[134:135], v[122:123]
	s_wait_loadcnt 0x5
	s_delay_alu instid0(VALU_DEP_1) | instskip(SKIP_1) | instid1(VALU_DEP_1)
	v_fmac_f64_e32 v[144:145], v[118:119], v[124:125]
	s_wait_dscnt 0x0
	v_fmac_f64_e32 v[144:145], v[120:121], v[126:127]
	scratch_load_b128 v[118:121], off, off offset:336
	s_wait_loadcnt 0x5
	v_fmac_f64_e32 v[144:145], v[140:141], v[128:129]
	ds_load_2addr_b64 v[122:125], v2 offset0:85 offset1:86
	ds_load_2addr_b64 v[126:129], v2 offset0:87 offset1:88
	s_wait_dscnt 0x1
	v_fmac_f64_e32 v[144:145], v[142:143], v[122:123]
	s_wait_loadcnt 0x4
	s_delay_alu instid0(VALU_DEP_1)
	v_fmac_f64_e32 v[144:145], v[110:111], v[124:125]
	scratch_load_b128 v[122:125], off, off offset:352
	s_wait_dscnt 0x0
	v_fmac_f64_e32 v[144:145], v[112:113], v[126:127]
	scratch_load_b128 v[110:113], off, off offset:368
	s_wait_loadcnt 0x5
	v_fmac_f64_e32 v[144:145], v[136:137], v[128:129]
	ds_load_2addr_b64 v[126:129], v2 offset0:89 offset1:90
	ds_load_2addr_b64 v[134:137], v2 offset0:91 offset1:92
	s_wait_dscnt 0x1
	v_fmac_f64_e32 v[144:145], v[138:139], v[126:127]
	s_wait_loadcnt 0x4
	s_delay_alu instid0(VALU_DEP_1)
	v_fmac_f64_e32 v[144:145], v[114:115], v[128:129]
	scratch_load_b128 v[126:129], off, off offset:384
	s_wait_dscnt 0x0
	v_fmac_f64_e32 v[144:145], v[116:117], v[134:135]
	scratch_load_b128 v[114:117], off, off offset:400
	s_wait_loadcnt 0x5
	v_fmac_f64_e32 v[144:145], v[130:131], v[136:137]
	ds_load_2addr_b64 v[134:137], v2 offset0:93 offset1:94
	ds_load_2addr_b64 v[138:141], v2 offset0:95 offset1:96
	s_wait_dscnt 0x1
	v_fmac_f64_e32 v[144:145], v[132:133], v[134:135]
	s_wait_loadcnt 0x4
	s_delay_alu instid0(VALU_DEP_1) | instskip(SKIP_1) | instid1(VALU_DEP_1)
	v_fmac_f64_e32 v[144:145], v[118:119], v[136:137]
	s_wait_dscnt 0x0
	v_fmac_f64_e32 v[144:145], v[120:121], v[138:139]
	ds_load_2addr_b64 v[118:121], v2 offset0:97 offset1:98
	ds_load_2addr_b64 v[130:133], v2 offset0:99 offset1:100
	s_wait_loadcnt 0x3
	v_fmac_f64_e32 v[144:145], v[122:123], v[140:141]
	s_wait_dscnt 0x1
	s_delay_alu instid0(VALU_DEP_1) | instskip(SKIP_1) | instid1(VALU_DEP_1)
	v_fmac_f64_e32 v[144:145], v[124:125], v[118:119]
	s_wait_loadcnt 0x2
	v_fmac_f64_e32 v[144:145], v[110:111], v[120:121]
	s_wait_dscnt 0x0
	s_delay_alu instid0(VALU_DEP_1)
	v_fmac_f64_e32 v[144:145], v[112:113], v[130:131]
	ds_load_2addr_b64 v[110:113], v2 offset0:101 offset1:102
	ds_load_b64 v[118:119], v2 offset:824
	s_wait_loadcnt 0x1
	v_fmac_f64_e32 v[144:145], v[126:127], v[132:133]
	s_wait_dscnt 0x1
	s_delay_alu instid0(VALU_DEP_1) | instskip(SKIP_1) | instid1(VALU_DEP_1)
	v_fmac_f64_e32 v[144:145], v[128:129], v[110:111]
	s_wait_loadcnt 0x0
	v_fmac_f64_e32 v[144:145], v[114:115], v[112:113]
	s_wait_dscnt 0x0
	s_delay_alu instid0(VALU_DEP_1) | instskip(NEXT) | instid1(VALU_DEP_1)
	v_fmac_f64_e32 v[144:145], v[116:117], v[118:119]
	v_add_f64_e64 v[108:109], v[108:109], -v[144:145]
	scratch_store_b64 off, v[108:109], off offset:64
	s_wait_xcnt 0x0
	v_cmpx_lt_u32_e32 7, v0
	s_cbranch_execz .LBB115_307
; %bb.306:
	scratch_load_b64 v[108:109], off, off offset:56
	v_mov_b64_e32 v[110:111], 0
	scratch_store_b64 off, v[110:111], off offset:56
	s_wait_loadcnt 0x0
	ds_store_b64 v1, v[108:109]
.LBB115_307:
	s_wait_xcnt 0x0
	s_or_b32 exec_lo, exec_lo, s0
	s_wait_storecnt_dscnt 0x0
	s_barrier_signal -1
	s_barrier_wait -1
	s_clause 0x5
	scratch_load_b128 v[108:111], off, off offset:56
	scratch_load_b128 v[112:115], off, off offset:72
	scratch_load_b128 v[116:119], off, off offset:88
	scratch_load_b128 v[120:123], off, off offset:104
	scratch_load_b128 v[124:127], off, off offset:120
	scratch_load_b128 v[128:131], off, off offset:136
	ds_load_b128 v[132:135], v2 offset:480
	ds_load_b128 v[136:139], v2 offset:496
	scratch_load_b128 v[140:143], off, off offset:152
	s_mov_b32 s0, exec_lo
	s_wait_loadcnt_dscnt 0x601
	v_fma_f64 v[144:145], v[110:111], v[132:133], 0
	s_wait_loadcnt 0x5
	s_delay_alu instid0(VALU_DEP_1) | instskip(SKIP_4) | instid1(VALU_DEP_1)
	v_fmac_f64_e32 v[144:145], v[112:113], v[134:135]
	scratch_load_b128 v[110:113], off, off offset:168
	s_wait_dscnt 0x0
	v_fmac_f64_e32 v[144:145], v[114:115], v[136:137]
	s_wait_loadcnt 0x5
	v_fmac_f64_e32 v[144:145], v[116:117], v[138:139]
	ds_load_b128 v[114:117], v2 offset:512
	ds_load_b128 v[132:135], v2 offset:528
	scratch_load_b128 v[136:139], off, off offset:184
	s_wait_dscnt 0x1
	v_fmac_f64_e32 v[144:145], v[118:119], v[114:115]
	s_wait_loadcnt 0x5
	s_delay_alu instid0(VALU_DEP_1) | instskip(SKIP_4) | instid1(VALU_DEP_1)
	v_fmac_f64_e32 v[144:145], v[120:121], v[116:117]
	scratch_load_b128 v[114:117], off, off offset:200
	s_wait_dscnt 0x0
	v_fmac_f64_e32 v[144:145], v[122:123], v[132:133]
	s_wait_loadcnt 0x5
	v_fmac_f64_e32 v[144:145], v[124:125], v[134:135]
	ds_load_b128 v[118:121], v2 offset:544
	ds_load_b128 v[122:125], v2 offset:560
	scratch_load_b128 v[132:135], off, off offset:216
	s_wait_dscnt 0x1
	v_fmac_f64_e32 v[144:145], v[126:127], v[118:119]
	s_wait_loadcnt 0x5
	s_delay_alu instid0(VALU_DEP_1) | instskip(SKIP_4) | instid1(VALU_DEP_1)
	v_fmac_f64_e32 v[144:145], v[128:129], v[120:121]
	scratch_load_b128 v[118:121], off, off offset:232
	s_wait_dscnt 0x0
	v_fmac_f64_e32 v[144:145], v[130:131], v[122:123]
	s_wait_loadcnt 0x5
	v_fmac_f64_e32 v[144:145], v[140:141], v[124:125]
	ds_load_b128 v[122:125], v2 offset:576
	ds_load_b128 v[126:129], v2 offset:592
	s_wait_dscnt 0x1
	v_fmac_f64_e32 v[144:145], v[142:143], v[122:123]
	scratch_load_b128 v[140:143], off, off offset:248
	s_wait_loadcnt 0x5
	v_fmac_f64_e32 v[144:145], v[110:111], v[124:125]
	s_wait_dscnt 0x0
	s_delay_alu instid0(VALU_DEP_1)
	v_fmac_f64_e32 v[144:145], v[112:113], v[126:127]
	scratch_load_b128 v[110:113], off, off offset:264
	s_wait_loadcnt 0x5
	v_fmac_f64_e32 v[144:145], v[136:137], v[128:129]
	ds_load_b128 v[122:125], v2 offset:608
	ds_load_b128 v[126:129], v2 offset:624
	s_wait_dscnt 0x1
	v_fmac_f64_e32 v[144:145], v[138:139], v[122:123]
	scratch_load_b128 v[136:139], off, off offset:280
	s_wait_loadcnt 0x5
	v_fmac_f64_e32 v[144:145], v[114:115], v[124:125]
	s_wait_dscnt 0x0
	s_delay_alu instid0(VALU_DEP_1)
	v_fmac_f64_e32 v[144:145], v[116:117], v[126:127]
	scratch_load_b128 v[114:117], off, off offset:296
	s_wait_loadcnt 0x5
	v_fmac_f64_e32 v[144:145], v[132:133], v[128:129]
	ds_load_b128 v[122:125], v2 offset:640
	ds_load_b128 v[126:129], v2 offset:656
	scratch_load_b128 v[130:133], off, off offset:312
	s_wait_dscnt 0x1
	v_fmac_f64_e32 v[144:145], v[134:135], v[122:123]
	s_wait_loadcnt 0x5
	s_delay_alu instid0(VALU_DEP_1) | instskip(SKIP_1) | instid1(VALU_DEP_1)
	v_fmac_f64_e32 v[144:145], v[118:119], v[124:125]
	s_wait_dscnt 0x0
	v_fmac_f64_e32 v[144:145], v[120:121], v[126:127]
	scratch_load_b128 v[118:121], off, off offset:328
	s_wait_loadcnt 0x5
	v_fmac_f64_e32 v[144:145], v[140:141], v[128:129]
	ds_load_b128 v[122:125], v2 offset:672
	ds_load_b128 v[126:129], v2 offset:688
	s_wait_dscnt 0x1
	v_fmac_f64_e32 v[144:145], v[142:143], v[122:123]
	s_wait_loadcnt 0x4
	s_delay_alu instid0(VALU_DEP_1)
	v_fmac_f64_e32 v[144:145], v[110:111], v[124:125]
	scratch_load_b128 v[122:125], off, off offset:344
	s_wait_dscnt 0x0
	v_fmac_f64_e32 v[144:145], v[112:113], v[126:127]
	scratch_load_b128 v[110:113], off, off offset:360
	s_wait_loadcnt 0x5
	v_fmac_f64_e32 v[144:145], v[136:137], v[128:129]
	ds_load_b128 v[126:129], v2 offset:704
	ds_load_b128 v[134:137], v2 offset:720
	s_wait_dscnt 0x1
	v_fmac_f64_e32 v[144:145], v[138:139], v[126:127]
	s_wait_loadcnt 0x4
	s_delay_alu instid0(VALU_DEP_1)
	v_fmac_f64_e32 v[144:145], v[114:115], v[128:129]
	scratch_load_b128 v[126:129], off, off offset:376
	s_wait_dscnt 0x0
	v_fmac_f64_e32 v[144:145], v[116:117], v[134:135]
	scratch_load_b128 v[114:117], off, off offset:392
	s_wait_loadcnt 0x5
	v_fmac_f64_e32 v[144:145], v[130:131], v[136:137]
	ds_load_b128 v[134:137], v2 offset:736
	ds_load_b128 v[138:141], v2 offset:752
	s_wait_dscnt 0x1
	v_fmac_f64_e32 v[144:145], v[132:133], v[134:135]
	scratch_load_b64 v[134:135], off, off offset:408
	s_wait_loadcnt 0x5
	v_fmac_f64_e32 v[144:145], v[118:119], v[136:137]
	s_wait_dscnt 0x0
	s_delay_alu instid0(VALU_DEP_1)
	v_fmac_f64_e32 v[144:145], v[120:121], v[138:139]
	ds_load_b128 v[118:121], v2 offset:768
	ds_load_b128 v[130:133], v2 offset:784
	s_wait_loadcnt 0x4
	v_fmac_f64_e32 v[144:145], v[122:123], v[140:141]
	s_wait_dscnt 0x1
	s_delay_alu instid0(VALU_DEP_1) | instskip(SKIP_1) | instid1(VALU_DEP_1)
	v_fmac_f64_e32 v[144:145], v[124:125], v[118:119]
	s_wait_loadcnt 0x3
	v_fmac_f64_e32 v[144:145], v[110:111], v[120:121]
	s_wait_dscnt 0x0
	s_delay_alu instid0(VALU_DEP_1)
	v_fmac_f64_e32 v[144:145], v[112:113], v[130:131]
	ds_load_b128 v[110:113], v2 offset:800
	ds_load_b128 v[118:121], v2 offset:816
	s_wait_loadcnt 0x2
	v_fmac_f64_e32 v[144:145], v[126:127], v[132:133]
	s_wait_dscnt 0x1
	s_delay_alu instid0(VALU_DEP_1) | instskip(SKIP_1) | instid1(VALU_DEP_1)
	v_fmac_f64_e32 v[144:145], v[128:129], v[110:111]
	s_wait_loadcnt 0x1
	v_fmac_f64_e32 v[144:145], v[114:115], v[112:113]
	s_wait_dscnt 0x0
	s_delay_alu instid0(VALU_DEP_1) | instskip(SKIP_1) | instid1(VALU_DEP_1)
	v_fmac_f64_e32 v[144:145], v[116:117], v[118:119]
	s_wait_loadcnt 0x0
	v_fmac_f64_e32 v[144:145], v[134:135], v[120:121]
	s_delay_alu instid0(VALU_DEP_1)
	v_add_f64_e64 v[2:3], v[108:109], -v[144:145]
	scratch_store_b64 off, v[2:3], off offset:56
	s_wait_xcnt 0x0
	v_cmpx_lt_u32_e32 6, v0
	s_cbranch_execz .LBB115_309
; %bb.308:
	scratch_load_b64 v[2:3], off, off offset:48
	v_mov_b64_e32 v[108:109], 0
	scratch_store_b64 off, v[108:109], off offset:48
	s_wait_loadcnt 0x0
	ds_store_b64 v1, v[2:3]
.LBB115_309:
	s_wait_xcnt 0x0
	s_or_b32 exec_lo, exec_lo, s0
	s_wait_storecnt_dscnt 0x0
	s_barrier_signal -1
	s_barrier_wait -1
	s_clause 0x5
	scratch_load_b128 v[108:111], off, off offset:48
	scratch_load_b128 v[112:115], off, off offset:64
	;; [unrolled: 1-line block ×6, first 2 shown]
	v_mov_b32_e32 v2, 0
	ds_load_2addr_b64 v[132:135], v2 offset0:59 offset1:60
	ds_load_2addr_b64 v[136:139], v2 offset0:61 offset1:62
	scratch_load_b128 v[140:143], off, off offset:144
	s_mov_b32 s0, exec_lo
	s_wait_loadcnt_dscnt 0x601
	v_fma_f64 v[144:145], v[110:111], v[132:133], 0
	s_wait_loadcnt 0x5
	s_delay_alu instid0(VALU_DEP_1) | instskip(SKIP_4) | instid1(VALU_DEP_1)
	v_fmac_f64_e32 v[144:145], v[112:113], v[134:135]
	scratch_load_b128 v[110:113], off, off offset:160
	s_wait_dscnt 0x0
	v_fmac_f64_e32 v[144:145], v[114:115], v[136:137]
	s_wait_loadcnt 0x5
	v_fmac_f64_e32 v[144:145], v[116:117], v[138:139]
	ds_load_2addr_b64 v[114:117], v2 offset0:63 offset1:64
	ds_load_2addr_b64 v[132:135], v2 offset0:65 offset1:66
	scratch_load_b128 v[136:139], off, off offset:176
	s_wait_dscnt 0x1
	v_fmac_f64_e32 v[144:145], v[118:119], v[114:115]
	s_wait_loadcnt 0x5
	s_delay_alu instid0(VALU_DEP_1) | instskip(SKIP_4) | instid1(VALU_DEP_1)
	v_fmac_f64_e32 v[144:145], v[120:121], v[116:117]
	scratch_load_b128 v[114:117], off, off offset:192
	s_wait_dscnt 0x0
	v_fmac_f64_e32 v[144:145], v[122:123], v[132:133]
	s_wait_loadcnt 0x5
	v_fmac_f64_e32 v[144:145], v[124:125], v[134:135]
	ds_load_2addr_b64 v[118:121], v2 offset0:67 offset1:68
	ds_load_2addr_b64 v[122:125], v2 offset0:69 offset1:70
	scratch_load_b128 v[132:135], off, off offset:208
	s_wait_dscnt 0x1
	v_fmac_f64_e32 v[144:145], v[126:127], v[118:119]
	s_wait_loadcnt 0x5
	s_delay_alu instid0(VALU_DEP_1) | instskip(SKIP_4) | instid1(VALU_DEP_1)
	v_fmac_f64_e32 v[144:145], v[128:129], v[120:121]
	scratch_load_b128 v[118:121], off, off offset:224
	s_wait_dscnt 0x0
	v_fmac_f64_e32 v[144:145], v[130:131], v[122:123]
	s_wait_loadcnt 0x5
	v_fmac_f64_e32 v[144:145], v[140:141], v[124:125]
	ds_load_2addr_b64 v[122:125], v2 offset0:71 offset1:72
	ds_load_2addr_b64 v[126:129], v2 offset0:73 offset1:74
	s_wait_dscnt 0x1
	v_fmac_f64_e32 v[144:145], v[142:143], v[122:123]
	scratch_load_b128 v[140:143], off, off offset:240
	s_wait_loadcnt 0x5
	v_fmac_f64_e32 v[144:145], v[110:111], v[124:125]
	s_wait_dscnt 0x0
	s_delay_alu instid0(VALU_DEP_1)
	v_fmac_f64_e32 v[144:145], v[112:113], v[126:127]
	scratch_load_b128 v[110:113], off, off offset:256
	s_wait_loadcnt 0x5
	v_fmac_f64_e32 v[144:145], v[136:137], v[128:129]
	ds_load_2addr_b64 v[122:125], v2 offset0:75 offset1:76
	ds_load_2addr_b64 v[126:129], v2 offset0:77 offset1:78
	s_wait_dscnt 0x1
	v_fmac_f64_e32 v[144:145], v[138:139], v[122:123]
	scratch_load_b128 v[136:139], off, off offset:272
	s_wait_loadcnt 0x5
	v_fmac_f64_e32 v[144:145], v[114:115], v[124:125]
	s_wait_dscnt 0x0
	s_delay_alu instid0(VALU_DEP_1)
	v_fmac_f64_e32 v[144:145], v[116:117], v[126:127]
	scratch_load_b128 v[114:117], off, off offset:288
	s_wait_loadcnt 0x5
	v_fmac_f64_e32 v[144:145], v[132:133], v[128:129]
	ds_load_2addr_b64 v[122:125], v2 offset0:79 offset1:80
	ds_load_2addr_b64 v[126:129], v2 offset0:81 offset1:82
	scratch_load_b128 v[130:133], off, off offset:304
	s_wait_dscnt 0x1
	v_fmac_f64_e32 v[144:145], v[134:135], v[122:123]
	s_wait_loadcnt 0x5
	s_delay_alu instid0(VALU_DEP_1) | instskip(SKIP_1) | instid1(VALU_DEP_1)
	v_fmac_f64_e32 v[144:145], v[118:119], v[124:125]
	s_wait_dscnt 0x0
	v_fmac_f64_e32 v[144:145], v[120:121], v[126:127]
	scratch_load_b128 v[118:121], off, off offset:320
	s_wait_loadcnt 0x5
	v_fmac_f64_e32 v[144:145], v[140:141], v[128:129]
	ds_load_2addr_b64 v[122:125], v2 offset0:83 offset1:84
	ds_load_2addr_b64 v[126:129], v2 offset0:85 offset1:86
	s_wait_dscnt 0x1
	v_fmac_f64_e32 v[144:145], v[142:143], v[122:123]
	s_wait_loadcnt 0x4
	s_delay_alu instid0(VALU_DEP_1)
	v_fmac_f64_e32 v[144:145], v[110:111], v[124:125]
	scratch_load_b128 v[122:125], off, off offset:336
	s_wait_dscnt 0x0
	v_fmac_f64_e32 v[144:145], v[112:113], v[126:127]
	scratch_load_b128 v[110:113], off, off offset:352
	s_wait_loadcnt 0x5
	v_fmac_f64_e32 v[144:145], v[136:137], v[128:129]
	ds_load_2addr_b64 v[126:129], v2 offset0:87 offset1:88
	ds_load_2addr_b64 v[134:137], v2 offset0:89 offset1:90
	s_wait_dscnt 0x1
	v_fmac_f64_e32 v[144:145], v[138:139], v[126:127]
	s_wait_loadcnt 0x4
	s_delay_alu instid0(VALU_DEP_1)
	v_fmac_f64_e32 v[144:145], v[114:115], v[128:129]
	scratch_load_b128 v[126:129], off, off offset:368
	s_wait_dscnt 0x0
	v_fmac_f64_e32 v[144:145], v[116:117], v[134:135]
	scratch_load_b128 v[114:117], off, off offset:384
	s_wait_loadcnt 0x5
	v_fmac_f64_e32 v[144:145], v[130:131], v[136:137]
	ds_load_2addr_b64 v[134:137], v2 offset0:91 offset1:92
	ds_load_2addr_b64 v[138:141], v2 offset0:93 offset1:94
	s_wait_dscnt 0x1
	v_fmac_f64_e32 v[144:145], v[132:133], v[134:135]
	scratch_load_b128 v[130:133], off, off offset:400
	s_wait_loadcnt 0x5
	v_fmac_f64_e32 v[144:145], v[118:119], v[136:137]
	s_wait_dscnt 0x0
	s_delay_alu instid0(VALU_DEP_1)
	v_fmac_f64_e32 v[144:145], v[120:121], v[138:139]
	ds_load_2addr_b64 v[118:121], v2 offset0:95 offset1:96
	ds_load_2addr_b64 v[134:137], v2 offset0:97 offset1:98
	s_wait_loadcnt 0x4
	v_fmac_f64_e32 v[144:145], v[122:123], v[140:141]
	s_wait_dscnt 0x1
	s_delay_alu instid0(VALU_DEP_1) | instskip(SKIP_1) | instid1(VALU_DEP_1)
	v_fmac_f64_e32 v[144:145], v[124:125], v[118:119]
	s_wait_loadcnt 0x3
	v_fmac_f64_e32 v[144:145], v[110:111], v[120:121]
	s_wait_dscnt 0x0
	s_delay_alu instid0(VALU_DEP_1)
	v_fmac_f64_e32 v[144:145], v[112:113], v[134:135]
	ds_load_2addr_b64 v[110:113], v2 offset0:99 offset1:100
	ds_load_2addr_b64 v[118:121], v2 offset0:101 offset1:102
	s_wait_loadcnt 0x2
	v_fmac_f64_e32 v[144:145], v[126:127], v[136:137]
	s_wait_dscnt 0x1
	s_delay_alu instid0(VALU_DEP_1) | instskip(SKIP_4) | instid1(VALU_DEP_1)
	v_fmac_f64_e32 v[144:145], v[128:129], v[110:111]
	ds_load_b64 v[110:111], v2 offset:824
	s_wait_loadcnt 0x1
	v_fmac_f64_e32 v[144:145], v[114:115], v[112:113]
	s_wait_dscnt 0x1
	v_fmac_f64_e32 v[144:145], v[116:117], v[118:119]
	s_wait_loadcnt 0x0
	s_delay_alu instid0(VALU_DEP_1) | instskip(SKIP_1) | instid1(VALU_DEP_1)
	v_fmac_f64_e32 v[144:145], v[130:131], v[120:121]
	s_wait_dscnt 0x0
	v_fmac_f64_e32 v[144:145], v[132:133], v[110:111]
	s_delay_alu instid0(VALU_DEP_1)
	v_add_f64_e64 v[108:109], v[108:109], -v[144:145]
	scratch_store_b64 off, v[108:109], off offset:48
	s_wait_xcnt 0x0
	v_cmpx_lt_u32_e32 5, v0
	s_cbranch_execz .LBB115_311
; %bb.310:
	scratch_load_b64 v[108:109], off, off offset:40
	v_mov_b64_e32 v[110:111], 0
	scratch_store_b64 off, v[110:111], off offset:40
	s_wait_loadcnt 0x0
	ds_store_b64 v1, v[108:109]
.LBB115_311:
	s_wait_xcnt 0x0
	s_or_b32 exec_lo, exec_lo, s0
	s_wait_storecnt_dscnt 0x0
	s_barrier_signal -1
	s_barrier_wait -1
	s_clause 0x5
	scratch_load_b128 v[108:111], off, off offset:40
	scratch_load_b128 v[112:115], off, off offset:56
	scratch_load_b128 v[116:119], off, off offset:72
	scratch_load_b128 v[120:123], off, off offset:88
	scratch_load_b128 v[124:127], off, off offset:104
	scratch_load_b128 v[128:131], off, off offset:120
	ds_load_b128 v[132:135], v2 offset:464
	ds_load_b128 v[136:139], v2 offset:480
	scratch_load_b128 v[140:143], off, off offset:136
	s_mov_b32 s0, exec_lo
	s_wait_loadcnt_dscnt 0x601
	v_fma_f64 v[144:145], v[110:111], v[132:133], 0
	s_wait_loadcnt 0x5
	s_delay_alu instid0(VALU_DEP_1) | instskip(SKIP_4) | instid1(VALU_DEP_1)
	v_fmac_f64_e32 v[144:145], v[112:113], v[134:135]
	scratch_load_b128 v[110:113], off, off offset:152
	s_wait_dscnt 0x0
	v_fmac_f64_e32 v[144:145], v[114:115], v[136:137]
	s_wait_loadcnt 0x5
	v_fmac_f64_e32 v[144:145], v[116:117], v[138:139]
	ds_load_b128 v[114:117], v2 offset:496
	ds_load_b128 v[132:135], v2 offset:512
	scratch_load_b128 v[136:139], off, off offset:168
	s_wait_dscnt 0x1
	v_fmac_f64_e32 v[144:145], v[118:119], v[114:115]
	s_wait_loadcnt 0x5
	s_delay_alu instid0(VALU_DEP_1) | instskip(SKIP_4) | instid1(VALU_DEP_1)
	v_fmac_f64_e32 v[144:145], v[120:121], v[116:117]
	scratch_load_b128 v[114:117], off, off offset:184
	s_wait_dscnt 0x0
	v_fmac_f64_e32 v[144:145], v[122:123], v[132:133]
	s_wait_loadcnt 0x5
	v_fmac_f64_e32 v[144:145], v[124:125], v[134:135]
	ds_load_b128 v[118:121], v2 offset:528
	ds_load_b128 v[122:125], v2 offset:544
	scratch_load_b128 v[132:135], off, off offset:200
	s_wait_dscnt 0x1
	v_fmac_f64_e32 v[144:145], v[126:127], v[118:119]
	s_wait_loadcnt 0x5
	s_delay_alu instid0(VALU_DEP_1) | instskip(SKIP_4) | instid1(VALU_DEP_1)
	v_fmac_f64_e32 v[144:145], v[128:129], v[120:121]
	scratch_load_b128 v[118:121], off, off offset:216
	s_wait_dscnt 0x0
	v_fmac_f64_e32 v[144:145], v[130:131], v[122:123]
	s_wait_loadcnt 0x5
	v_fmac_f64_e32 v[144:145], v[140:141], v[124:125]
	ds_load_b128 v[122:125], v2 offset:560
	ds_load_b128 v[126:129], v2 offset:576
	s_wait_dscnt 0x1
	v_fmac_f64_e32 v[144:145], v[142:143], v[122:123]
	scratch_load_b128 v[140:143], off, off offset:232
	s_wait_loadcnt 0x5
	v_fmac_f64_e32 v[144:145], v[110:111], v[124:125]
	s_wait_dscnt 0x0
	s_delay_alu instid0(VALU_DEP_1)
	v_fmac_f64_e32 v[144:145], v[112:113], v[126:127]
	scratch_load_b128 v[110:113], off, off offset:248
	s_wait_loadcnt 0x5
	v_fmac_f64_e32 v[144:145], v[136:137], v[128:129]
	ds_load_b128 v[122:125], v2 offset:592
	ds_load_b128 v[126:129], v2 offset:608
	s_wait_dscnt 0x1
	v_fmac_f64_e32 v[144:145], v[138:139], v[122:123]
	scratch_load_b128 v[136:139], off, off offset:264
	s_wait_loadcnt 0x5
	v_fmac_f64_e32 v[144:145], v[114:115], v[124:125]
	s_wait_dscnt 0x0
	s_delay_alu instid0(VALU_DEP_1)
	v_fmac_f64_e32 v[144:145], v[116:117], v[126:127]
	scratch_load_b128 v[114:117], off, off offset:280
	s_wait_loadcnt 0x5
	v_fmac_f64_e32 v[144:145], v[132:133], v[128:129]
	ds_load_b128 v[122:125], v2 offset:624
	ds_load_b128 v[126:129], v2 offset:640
	scratch_load_b128 v[130:133], off, off offset:296
	s_wait_dscnt 0x1
	v_fmac_f64_e32 v[144:145], v[134:135], v[122:123]
	s_wait_loadcnt 0x5
	s_delay_alu instid0(VALU_DEP_1) | instskip(SKIP_1) | instid1(VALU_DEP_1)
	v_fmac_f64_e32 v[144:145], v[118:119], v[124:125]
	s_wait_dscnt 0x0
	v_fmac_f64_e32 v[144:145], v[120:121], v[126:127]
	scratch_load_b128 v[118:121], off, off offset:312
	s_wait_loadcnt 0x5
	v_fmac_f64_e32 v[144:145], v[140:141], v[128:129]
	ds_load_b128 v[122:125], v2 offset:656
	ds_load_b128 v[126:129], v2 offset:672
	s_wait_dscnt 0x1
	v_fmac_f64_e32 v[144:145], v[142:143], v[122:123]
	scratch_load_b128 v[140:143], off, off offset:328
	s_wait_loadcnt 0x5
	v_fmac_f64_e32 v[144:145], v[110:111], v[124:125]
	s_wait_dscnt 0x0
	s_delay_alu instid0(VALU_DEP_1)
	v_fmac_f64_e32 v[144:145], v[112:113], v[126:127]
	scratch_load_b128 v[110:113], off, off offset:344
	s_wait_loadcnt 0x5
	v_fmac_f64_e32 v[144:145], v[136:137], v[128:129]
	ds_load_b128 v[122:125], v2 offset:688
	ds_load_b128 v[126:129], v2 offset:704
	s_wait_dscnt 0x1
	v_fmac_f64_e32 v[144:145], v[138:139], v[122:123]
	s_wait_loadcnt 0x4
	s_delay_alu instid0(VALU_DEP_1)
	v_fmac_f64_e32 v[144:145], v[114:115], v[124:125]
	scratch_load_b128 v[122:125], off, off offset:360
	s_wait_dscnt 0x0
	v_fmac_f64_e32 v[144:145], v[116:117], v[126:127]
	scratch_load_b128 v[114:117], off, off offset:376
	s_wait_loadcnt 0x5
	v_fmac_f64_e32 v[144:145], v[130:131], v[128:129]
	ds_load_b128 v[126:129], v2 offset:720
	ds_load_b128 v[134:137], v2 offset:736
	s_wait_dscnt 0x1
	v_fmac_f64_e32 v[144:145], v[132:133], v[126:127]
	s_wait_loadcnt 0x4
	s_delay_alu instid0(VALU_DEP_1)
	v_fmac_f64_e32 v[144:145], v[118:119], v[128:129]
	scratch_load_b128 v[126:129], off, off offset:392
	s_wait_dscnt 0x0
	v_fmac_f64_e32 v[144:145], v[120:121], v[134:135]
	scratch_load_b64 v[134:135], off, off offset:408
	ds_load_b128 v[118:121], v2 offset:752
	ds_load_b128 v[130:133], v2 offset:768
	s_wait_loadcnt 0x5
	v_fmac_f64_e32 v[144:145], v[140:141], v[136:137]
	s_wait_dscnt 0x1
	s_delay_alu instid0(VALU_DEP_1) | instskip(SKIP_1) | instid1(VALU_DEP_1)
	v_fmac_f64_e32 v[144:145], v[142:143], v[118:119]
	s_wait_loadcnt 0x4
	v_fmac_f64_e32 v[144:145], v[110:111], v[120:121]
	s_wait_dscnt 0x0
	s_delay_alu instid0(VALU_DEP_1)
	v_fmac_f64_e32 v[144:145], v[112:113], v[130:131]
	ds_load_b128 v[110:113], v2 offset:784
	ds_load_b128 v[118:121], v2 offset:800
	s_wait_loadcnt 0x3
	v_fmac_f64_e32 v[144:145], v[122:123], v[132:133]
	s_wait_dscnt 0x1
	s_delay_alu instid0(VALU_DEP_1) | instskip(SKIP_1) | instid1(VALU_DEP_1)
	v_fmac_f64_e32 v[144:145], v[124:125], v[110:111]
	s_wait_loadcnt 0x2
	v_fmac_f64_e32 v[144:145], v[114:115], v[112:113]
	ds_load_b128 v[110:113], v2 offset:816
	s_wait_dscnt 0x1
	v_fmac_f64_e32 v[144:145], v[116:117], v[118:119]
	s_wait_loadcnt 0x1
	s_delay_alu instid0(VALU_DEP_1) | instskip(SKIP_1) | instid1(VALU_DEP_1)
	v_fmac_f64_e32 v[144:145], v[126:127], v[120:121]
	s_wait_dscnt 0x0
	v_fmac_f64_e32 v[144:145], v[128:129], v[110:111]
	s_wait_loadcnt 0x0
	s_delay_alu instid0(VALU_DEP_1) | instskip(NEXT) | instid1(VALU_DEP_1)
	v_fmac_f64_e32 v[144:145], v[134:135], v[112:113]
	v_add_f64_e64 v[2:3], v[108:109], -v[144:145]
	scratch_store_b64 off, v[2:3], off offset:40
	s_wait_xcnt 0x0
	v_cmpx_lt_u32_e32 4, v0
	s_cbranch_execz .LBB115_313
; %bb.312:
	scratch_load_b64 v[2:3], off, off offset:32
	v_mov_b64_e32 v[108:109], 0
	scratch_store_b64 off, v[108:109], off offset:32
	s_wait_loadcnt 0x0
	ds_store_b64 v1, v[2:3]
.LBB115_313:
	s_wait_xcnt 0x0
	s_or_b32 exec_lo, exec_lo, s0
	s_wait_storecnt_dscnt 0x0
	s_barrier_signal -1
	s_barrier_wait -1
	s_clause 0x5
	scratch_load_b128 v[108:111], off, off offset:32
	scratch_load_b128 v[112:115], off, off offset:48
	;; [unrolled: 1-line block ×6, first 2 shown]
	v_mov_b32_e32 v2, 0
	ds_load_2addr_b64 v[132:135], v2 offset0:57 offset1:58
	ds_load_2addr_b64 v[136:139], v2 offset0:59 offset1:60
	scratch_load_b128 v[140:143], off, off offset:128
	s_mov_b32 s0, exec_lo
	s_wait_loadcnt_dscnt 0x601
	v_fma_f64 v[144:145], v[110:111], v[132:133], 0
	s_wait_loadcnt 0x5
	s_delay_alu instid0(VALU_DEP_1) | instskip(SKIP_4) | instid1(VALU_DEP_1)
	v_fmac_f64_e32 v[144:145], v[112:113], v[134:135]
	scratch_load_b128 v[110:113], off, off offset:144
	s_wait_dscnt 0x0
	v_fmac_f64_e32 v[144:145], v[114:115], v[136:137]
	s_wait_loadcnt 0x5
	v_fmac_f64_e32 v[144:145], v[116:117], v[138:139]
	ds_load_2addr_b64 v[114:117], v2 offset0:61 offset1:62
	ds_load_2addr_b64 v[132:135], v2 offset0:63 offset1:64
	scratch_load_b128 v[136:139], off, off offset:160
	s_wait_dscnt 0x1
	v_fmac_f64_e32 v[144:145], v[118:119], v[114:115]
	s_wait_loadcnt 0x5
	s_delay_alu instid0(VALU_DEP_1) | instskip(SKIP_4) | instid1(VALU_DEP_1)
	v_fmac_f64_e32 v[144:145], v[120:121], v[116:117]
	scratch_load_b128 v[114:117], off, off offset:176
	s_wait_dscnt 0x0
	v_fmac_f64_e32 v[144:145], v[122:123], v[132:133]
	s_wait_loadcnt 0x5
	v_fmac_f64_e32 v[144:145], v[124:125], v[134:135]
	ds_load_2addr_b64 v[118:121], v2 offset0:65 offset1:66
	ds_load_2addr_b64 v[122:125], v2 offset0:67 offset1:68
	scratch_load_b128 v[132:135], off, off offset:192
	s_wait_dscnt 0x1
	v_fmac_f64_e32 v[144:145], v[126:127], v[118:119]
	s_wait_loadcnt 0x5
	s_delay_alu instid0(VALU_DEP_1) | instskip(SKIP_4) | instid1(VALU_DEP_1)
	v_fmac_f64_e32 v[144:145], v[128:129], v[120:121]
	scratch_load_b128 v[118:121], off, off offset:208
	s_wait_dscnt 0x0
	v_fmac_f64_e32 v[144:145], v[130:131], v[122:123]
	s_wait_loadcnt 0x5
	v_fmac_f64_e32 v[144:145], v[140:141], v[124:125]
	ds_load_2addr_b64 v[122:125], v2 offset0:69 offset1:70
	ds_load_2addr_b64 v[126:129], v2 offset0:71 offset1:72
	s_wait_dscnt 0x1
	v_fmac_f64_e32 v[144:145], v[142:143], v[122:123]
	scratch_load_b128 v[140:143], off, off offset:224
	s_wait_loadcnt 0x5
	v_fmac_f64_e32 v[144:145], v[110:111], v[124:125]
	s_wait_dscnt 0x0
	s_delay_alu instid0(VALU_DEP_1)
	v_fmac_f64_e32 v[144:145], v[112:113], v[126:127]
	scratch_load_b128 v[110:113], off, off offset:240
	s_wait_loadcnt 0x5
	v_fmac_f64_e32 v[144:145], v[136:137], v[128:129]
	ds_load_2addr_b64 v[122:125], v2 offset0:73 offset1:74
	ds_load_2addr_b64 v[126:129], v2 offset0:75 offset1:76
	s_wait_dscnt 0x1
	v_fmac_f64_e32 v[144:145], v[138:139], v[122:123]
	scratch_load_b128 v[136:139], off, off offset:256
	s_wait_loadcnt 0x5
	v_fmac_f64_e32 v[144:145], v[114:115], v[124:125]
	s_wait_dscnt 0x0
	s_delay_alu instid0(VALU_DEP_1)
	v_fmac_f64_e32 v[144:145], v[116:117], v[126:127]
	scratch_load_b128 v[114:117], off, off offset:272
	s_wait_loadcnt 0x5
	v_fmac_f64_e32 v[144:145], v[132:133], v[128:129]
	ds_load_2addr_b64 v[122:125], v2 offset0:77 offset1:78
	ds_load_2addr_b64 v[126:129], v2 offset0:79 offset1:80
	scratch_load_b128 v[130:133], off, off offset:288
	s_wait_dscnt 0x1
	v_fmac_f64_e32 v[144:145], v[134:135], v[122:123]
	s_wait_loadcnt 0x5
	s_delay_alu instid0(VALU_DEP_1) | instskip(SKIP_1) | instid1(VALU_DEP_1)
	v_fmac_f64_e32 v[144:145], v[118:119], v[124:125]
	s_wait_dscnt 0x0
	v_fmac_f64_e32 v[144:145], v[120:121], v[126:127]
	scratch_load_b128 v[118:121], off, off offset:304
	s_wait_loadcnt 0x5
	v_fmac_f64_e32 v[144:145], v[140:141], v[128:129]
	ds_load_2addr_b64 v[122:125], v2 offset0:81 offset1:82
	ds_load_2addr_b64 v[126:129], v2 offset0:83 offset1:84
	s_wait_dscnt 0x1
	v_fmac_f64_e32 v[144:145], v[142:143], v[122:123]
	scratch_load_b128 v[140:143], off, off offset:320
	s_wait_loadcnt 0x5
	v_fmac_f64_e32 v[144:145], v[110:111], v[124:125]
	s_wait_dscnt 0x0
	s_delay_alu instid0(VALU_DEP_1)
	v_fmac_f64_e32 v[144:145], v[112:113], v[126:127]
	scratch_load_b128 v[110:113], off, off offset:336
	s_wait_loadcnt 0x5
	v_fmac_f64_e32 v[144:145], v[136:137], v[128:129]
	ds_load_2addr_b64 v[122:125], v2 offset0:85 offset1:86
	ds_load_2addr_b64 v[126:129], v2 offset0:87 offset1:88
	s_wait_dscnt 0x1
	v_fmac_f64_e32 v[144:145], v[138:139], v[122:123]
	s_wait_loadcnt 0x4
	s_delay_alu instid0(VALU_DEP_1)
	v_fmac_f64_e32 v[144:145], v[114:115], v[124:125]
	scratch_load_b128 v[122:125], off, off offset:352
	s_wait_dscnt 0x0
	v_fmac_f64_e32 v[144:145], v[116:117], v[126:127]
	scratch_load_b128 v[114:117], off, off offset:368
	s_wait_loadcnt 0x5
	v_fmac_f64_e32 v[144:145], v[130:131], v[128:129]
	ds_load_2addr_b64 v[126:129], v2 offset0:89 offset1:90
	ds_load_2addr_b64 v[134:137], v2 offset0:91 offset1:92
	s_wait_dscnt 0x1
	v_fmac_f64_e32 v[144:145], v[132:133], v[126:127]
	s_wait_loadcnt 0x4
	s_delay_alu instid0(VALU_DEP_1)
	v_fmac_f64_e32 v[144:145], v[118:119], v[128:129]
	scratch_load_b128 v[126:129], off, off offset:384
	s_wait_dscnt 0x0
	v_fmac_f64_e32 v[144:145], v[120:121], v[134:135]
	scratch_load_b128 v[118:121], off, off offset:400
	s_wait_loadcnt 0x5
	v_fmac_f64_e32 v[144:145], v[140:141], v[136:137]
	ds_load_2addr_b64 v[130:133], v2 offset0:93 offset1:94
	ds_load_2addr_b64 v[134:137], v2 offset0:95 offset1:96
	s_wait_dscnt 0x1
	v_fmac_f64_e32 v[144:145], v[142:143], v[130:131]
	s_wait_loadcnt 0x4
	s_delay_alu instid0(VALU_DEP_1) | instskip(SKIP_1) | instid1(VALU_DEP_1)
	v_fmac_f64_e32 v[144:145], v[110:111], v[132:133]
	s_wait_dscnt 0x0
	v_fmac_f64_e32 v[144:145], v[112:113], v[134:135]
	ds_load_2addr_b64 v[110:113], v2 offset0:97 offset1:98
	ds_load_2addr_b64 v[130:133], v2 offset0:99 offset1:100
	s_wait_loadcnt 0x3
	v_fmac_f64_e32 v[144:145], v[122:123], v[136:137]
	s_wait_dscnt 0x1
	s_delay_alu instid0(VALU_DEP_1) | instskip(SKIP_1) | instid1(VALU_DEP_1)
	v_fmac_f64_e32 v[144:145], v[124:125], v[110:111]
	s_wait_loadcnt 0x2
	v_fmac_f64_e32 v[144:145], v[114:115], v[112:113]
	ds_load_2addr_b64 v[110:113], v2 offset0:101 offset1:102
	ds_load_b64 v[114:115], v2 offset:824
	s_wait_dscnt 0x2
	v_fmac_f64_e32 v[144:145], v[116:117], v[130:131]
	s_wait_loadcnt 0x1
	s_delay_alu instid0(VALU_DEP_1) | instskip(SKIP_1) | instid1(VALU_DEP_1)
	v_fmac_f64_e32 v[144:145], v[126:127], v[132:133]
	s_wait_dscnt 0x1
	v_fmac_f64_e32 v[144:145], v[128:129], v[110:111]
	s_wait_loadcnt 0x0
	s_delay_alu instid0(VALU_DEP_1) | instskip(SKIP_1) | instid1(VALU_DEP_1)
	v_fmac_f64_e32 v[144:145], v[118:119], v[112:113]
	s_wait_dscnt 0x0
	v_fmac_f64_e32 v[144:145], v[120:121], v[114:115]
	s_delay_alu instid0(VALU_DEP_1)
	v_add_f64_e64 v[108:109], v[108:109], -v[144:145]
	scratch_store_b64 off, v[108:109], off offset:32
	s_wait_xcnt 0x0
	v_cmpx_lt_u32_e32 3, v0
	s_cbranch_execz .LBB115_315
; %bb.314:
	scratch_load_b64 v[108:109], off, off offset:24
	v_mov_b64_e32 v[110:111], 0
	scratch_store_b64 off, v[110:111], off offset:24
	s_wait_loadcnt 0x0
	ds_store_b64 v1, v[108:109]
.LBB115_315:
	s_wait_xcnt 0x0
	s_or_b32 exec_lo, exec_lo, s0
	s_wait_storecnt_dscnt 0x0
	s_barrier_signal -1
	s_barrier_wait -1
	s_clause 0x5
	scratch_load_b128 v[108:111], off, off offset:24
	scratch_load_b128 v[112:115], off, off offset:40
	;; [unrolled: 1-line block ×6, first 2 shown]
	ds_load_b128 v[132:135], v2 offset:448
	ds_load_b128 v[136:139], v2 offset:464
	scratch_load_b128 v[140:143], off, off offset:120
	s_mov_b32 s0, exec_lo
	s_wait_loadcnt_dscnt 0x601
	v_fma_f64 v[144:145], v[110:111], v[132:133], 0
	s_wait_loadcnt 0x5
	s_delay_alu instid0(VALU_DEP_1) | instskip(SKIP_4) | instid1(VALU_DEP_1)
	v_fmac_f64_e32 v[144:145], v[112:113], v[134:135]
	scratch_load_b128 v[110:113], off, off offset:136
	s_wait_dscnt 0x0
	v_fmac_f64_e32 v[144:145], v[114:115], v[136:137]
	s_wait_loadcnt 0x5
	v_fmac_f64_e32 v[144:145], v[116:117], v[138:139]
	ds_load_b128 v[114:117], v2 offset:480
	ds_load_b128 v[132:135], v2 offset:496
	scratch_load_b128 v[136:139], off, off offset:152
	s_wait_dscnt 0x1
	v_fmac_f64_e32 v[144:145], v[118:119], v[114:115]
	s_wait_loadcnt 0x5
	s_delay_alu instid0(VALU_DEP_1) | instskip(SKIP_4) | instid1(VALU_DEP_1)
	v_fmac_f64_e32 v[144:145], v[120:121], v[116:117]
	scratch_load_b128 v[114:117], off, off offset:168
	s_wait_dscnt 0x0
	v_fmac_f64_e32 v[144:145], v[122:123], v[132:133]
	s_wait_loadcnt 0x5
	v_fmac_f64_e32 v[144:145], v[124:125], v[134:135]
	ds_load_b128 v[118:121], v2 offset:512
	ds_load_b128 v[122:125], v2 offset:528
	scratch_load_b128 v[132:135], off, off offset:184
	s_wait_dscnt 0x1
	v_fmac_f64_e32 v[144:145], v[126:127], v[118:119]
	s_wait_loadcnt 0x5
	s_delay_alu instid0(VALU_DEP_1) | instskip(SKIP_4) | instid1(VALU_DEP_1)
	v_fmac_f64_e32 v[144:145], v[128:129], v[120:121]
	scratch_load_b128 v[118:121], off, off offset:200
	s_wait_dscnt 0x0
	v_fmac_f64_e32 v[144:145], v[130:131], v[122:123]
	s_wait_loadcnt 0x5
	v_fmac_f64_e32 v[144:145], v[140:141], v[124:125]
	ds_load_b128 v[122:125], v2 offset:544
	ds_load_b128 v[126:129], v2 offset:560
	s_wait_dscnt 0x1
	v_fmac_f64_e32 v[144:145], v[142:143], v[122:123]
	scratch_load_b128 v[140:143], off, off offset:216
	s_wait_loadcnt 0x5
	v_fmac_f64_e32 v[144:145], v[110:111], v[124:125]
	s_wait_dscnt 0x0
	s_delay_alu instid0(VALU_DEP_1)
	v_fmac_f64_e32 v[144:145], v[112:113], v[126:127]
	scratch_load_b128 v[110:113], off, off offset:232
	s_wait_loadcnt 0x5
	v_fmac_f64_e32 v[144:145], v[136:137], v[128:129]
	ds_load_b128 v[122:125], v2 offset:576
	ds_load_b128 v[126:129], v2 offset:592
	s_wait_dscnt 0x1
	v_fmac_f64_e32 v[144:145], v[138:139], v[122:123]
	scratch_load_b128 v[136:139], off, off offset:248
	s_wait_loadcnt 0x5
	v_fmac_f64_e32 v[144:145], v[114:115], v[124:125]
	s_wait_dscnt 0x0
	s_delay_alu instid0(VALU_DEP_1)
	v_fmac_f64_e32 v[144:145], v[116:117], v[126:127]
	scratch_load_b128 v[114:117], off, off offset:264
	s_wait_loadcnt 0x5
	v_fmac_f64_e32 v[144:145], v[132:133], v[128:129]
	ds_load_b128 v[122:125], v2 offset:608
	ds_load_b128 v[126:129], v2 offset:624
	scratch_load_b128 v[130:133], off, off offset:280
	s_wait_dscnt 0x1
	v_fmac_f64_e32 v[144:145], v[134:135], v[122:123]
	s_wait_loadcnt 0x5
	s_delay_alu instid0(VALU_DEP_1) | instskip(SKIP_1) | instid1(VALU_DEP_1)
	v_fmac_f64_e32 v[144:145], v[118:119], v[124:125]
	s_wait_dscnt 0x0
	v_fmac_f64_e32 v[144:145], v[120:121], v[126:127]
	scratch_load_b128 v[118:121], off, off offset:296
	s_wait_loadcnt 0x5
	v_fmac_f64_e32 v[144:145], v[140:141], v[128:129]
	ds_load_b128 v[122:125], v2 offset:640
	ds_load_b128 v[126:129], v2 offset:656
	s_wait_dscnt 0x1
	v_fmac_f64_e32 v[144:145], v[142:143], v[122:123]
	scratch_load_b128 v[140:143], off, off offset:312
	s_wait_loadcnt 0x5
	v_fmac_f64_e32 v[144:145], v[110:111], v[124:125]
	s_wait_dscnt 0x0
	s_delay_alu instid0(VALU_DEP_1)
	v_fmac_f64_e32 v[144:145], v[112:113], v[126:127]
	scratch_load_b128 v[110:113], off, off offset:328
	s_wait_loadcnt 0x5
	v_fmac_f64_e32 v[144:145], v[136:137], v[128:129]
	ds_load_b128 v[122:125], v2 offset:672
	ds_load_b128 v[126:129], v2 offset:688
	s_wait_dscnt 0x1
	v_fmac_f64_e32 v[144:145], v[138:139], v[122:123]
	s_wait_loadcnt 0x4
	s_delay_alu instid0(VALU_DEP_1)
	v_fmac_f64_e32 v[144:145], v[114:115], v[124:125]
	scratch_load_b128 v[122:125], off, off offset:344
	s_wait_dscnt 0x0
	v_fmac_f64_e32 v[144:145], v[116:117], v[126:127]
	scratch_load_b128 v[114:117], off, off offset:360
	s_wait_loadcnt 0x5
	v_fmac_f64_e32 v[144:145], v[130:131], v[128:129]
	ds_load_b128 v[126:129], v2 offset:704
	ds_load_b128 v[134:137], v2 offset:720
	s_wait_dscnt 0x1
	v_fmac_f64_e32 v[144:145], v[132:133], v[126:127]
	s_wait_loadcnt 0x4
	s_delay_alu instid0(VALU_DEP_1)
	v_fmac_f64_e32 v[144:145], v[118:119], v[128:129]
	scratch_load_b128 v[126:129], off, off offset:376
	s_wait_dscnt 0x0
	v_fmac_f64_e32 v[144:145], v[120:121], v[134:135]
	scratch_load_b128 v[118:121], off, off offset:392
	s_wait_loadcnt 0x5
	v_fmac_f64_e32 v[144:145], v[140:141], v[136:137]
	ds_load_b128 v[130:133], v2 offset:736
	ds_load_b128 v[134:137], v2 offset:752
	scratch_load_b64 v[138:139], off, off offset:408
	s_wait_dscnt 0x1
	v_fmac_f64_e32 v[144:145], v[142:143], v[130:131]
	s_wait_loadcnt 0x5
	s_delay_alu instid0(VALU_DEP_1) | instskip(SKIP_1) | instid1(VALU_DEP_1)
	v_fmac_f64_e32 v[144:145], v[110:111], v[132:133]
	s_wait_dscnt 0x0
	v_fmac_f64_e32 v[144:145], v[112:113], v[134:135]
	ds_load_b128 v[110:113], v2 offset:768
	ds_load_b128 v[130:133], v2 offset:784
	s_wait_loadcnt 0x4
	v_fmac_f64_e32 v[144:145], v[122:123], v[136:137]
	s_wait_dscnt 0x1
	s_delay_alu instid0(VALU_DEP_1) | instskip(SKIP_1) | instid1(VALU_DEP_1)
	v_fmac_f64_e32 v[144:145], v[124:125], v[110:111]
	s_wait_loadcnt 0x3
	v_fmac_f64_e32 v[144:145], v[114:115], v[112:113]
	s_wait_dscnt 0x0
	s_delay_alu instid0(VALU_DEP_1)
	v_fmac_f64_e32 v[144:145], v[116:117], v[130:131]
	ds_load_b128 v[110:113], v2 offset:800
	ds_load_b128 v[114:117], v2 offset:816
	s_wait_loadcnt 0x2
	v_fmac_f64_e32 v[144:145], v[126:127], v[132:133]
	s_wait_dscnt 0x1
	s_delay_alu instid0(VALU_DEP_1) | instskip(SKIP_1) | instid1(VALU_DEP_1)
	v_fmac_f64_e32 v[144:145], v[128:129], v[110:111]
	s_wait_loadcnt 0x1
	v_fmac_f64_e32 v[144:145], v[118:119], v[112:113]
	s_wait_dscnt 0x0
	s_delay_alu instid0(VALU_DEP_1) | instskip(SKIP_1) | instid1(VALU_DEP_1)
	v_fmac_f64_e32 v[144:145], v[120:121], v[114:115]
	s_wait_loadcnt 0x0
	v_fmac_f64_e32 v[144:145], v[138:139], v[116:117]
	s_delay_alu instid0(VALU_DEP_1)
	v_add_f64_e64 v[2:3], v[108:109], -v[144:145]
	scratch_store_b64 off, v[2:3], off offset:24
	s_wait_xcnt 0x0
	v_cmpx_lt_u32_e32 2, v0
	s_cbranch_execz .LBB115_317
; %bb.316:
	scratch_load_b64 v[2:3], off, off offset:16
	v_mov_b64_e32 v[108:109], 0
	scratch_store_b64 off, v[108:109], off offset:16
	s_wait_loadcnt 0x0
	ds_store_b64 v1, v[2:3]
.LBB115_317:
	s_wait_xcnt 0x0
	s_or_b32 exec_lo, exec_lo, s0
	s_wait_storecnt_dscnt 0x0
	s_barrier_signal -1
	s_barrier_wait -1
	s_clause 0x5
	scratch_load_b128 v[108:111], off, off offset:16
	scratch_load_b128 v[112:115], off, off offset:32
	;; [unrolled: 1-line block ×6, first 2 shown]
	v_mov_b32_e32 v2, 0
	ds_load_2addr_b64 v[132:135], v2 offset0:55 offset1:56
	ds_load_2addr_b64 v[136:139], v2 offset0:57 offset1:58
	scratch_load_b128 v[140:143], off, off offset:112
	s_mov_b32 s0, exec_lo
	s_wait_loadcnt_dscnt 0x601
	v_fma_f64 v[144:145], v[110:111], v[132:133], 0
	s_wait_loadcnt 0x5
	s_delay_alu instid0(VALU_DEP_1) | instskip(SKIP_4) | instid1(VALU_DEP_1)
	v_fmac_f64_e32 v[144:145], v[112:113], v[134:135]
	scratch_load_b128 v[110:113], off, off offset:128
	s_wait_dscnt 0x0
	v_fmac_f64_e32 v[144:145], v[114:115], v[136:137]
	s_wait_loadcnt 0x5
	v_fmac_f64_e32 v[144:145], v[116:117], v[138:139]
	ds_load_2addr_b64 v[114:117], v2 offset0:59 offset1:60
	ds_load_2addr_b64 v[132:135], v2 offset0:61 offset1:62
	scratch_load_b128 v[136:139], off, off offset:144
	s_wait_dscnt 0x1
	v_fmac_f64_e32 v[144:145], v[118:119], v[114:115]
	s_wait_loadcnt 0x5
	s_delay_alu instid0(VALU_DEP_1) | instskip(SKIP_4) | instid1(VALU_DEP_1)
	v_fmac_f64_e32 v[144:145], v[120:121], v[116:117]
	scratch_load_b128 v[114:117], off, off offset:160
	s_wait_dscnt 0x0
	v_fmac_f64_e32 v[144:145], v[122:123], v[132:133]
	s_wait_loadcnt 0x5
	v_fmac_f64_e32 v[144:145], v[124:125], v[134:135]
	ds_load_2addr_b64 v[118:121], v2 offset0:63 offset1:64
	ds_load_2addr_b64 v[122:125], v2 offset0:65 offset1:66
	scratch_load_b128 v[132:135], off, off offset:176
	s_wait_dscnt 0x1
	v_fmac_f64_e32 v[144:145], v[126:127], v[118:119]
	s_wait_loadcnt 0x5
	s_delay_alu instid0(VALU_DEP_1) | instskip(SKIP_4) | instid1(VALU_DEP_1)
	v_fmac_f64_e32 v[144:145], v[128:129], v[120:121]
	scratch_load_b128 v[118:121], off, off offset:192
	s_wait_dscnt 0x0
	v_fmac_f64_e32 v[144:145], v[130:131], v[122:123]
	s_wait_loadcnt 0x5
	v_fmac_f64_e32 v[144:145], v[140:141], v[124:125]
	ds_load_2addr_b64 v[122:125], v2 offset0:67 offset1:68
	ds_load_2addr_b64 v[126:129], v2 offset0:69 offset1:70
	s_wait_dscnt 0x1
	v_fmac_f64_e32 v[144:145], v[142:143], v[122:123]
	scratch_load_b128 v[140:143], off, off offset:208
	s_wait_loadcnt 0x5
	v_fmac_f64_e32 v[144:145], v[110:111], v[124:125]
	s_wait_dscnt 0x0
	s_delay_alu instid0(VALU_DEP_1)
	v_fmac_f64_e32 v[144:145], v[112:113], v[126:127]
	scratch_load_b128 v[110:113], off, off offset:224
	s_wait_loadcnt 0x5
	v_fmac_f64_e32 v[144:145], v[136:137], v[128:129]
	ds_load_2addr_b64 v[122:125], v2 offset0:71 offset1:72
	ds_load_2addr_b64 v[126:129], v2 offset0:73 offset1:74
	s_wait_dscnt 0x1
	v_fmac_f64_e32 v[144:145], v[138:139], v[122:123]
	scratch_load_b128 v[136:139], off, off offset:240
	s_wait_loadcnt 0x5
	v_fmac_f64_e32 v[144:145], v[114:115], v[124:125]
	s_wait_dscnt 0x0
	s_delay_alu instid0(VALU_DEP_1)
	v_fmac_f64_e32 v[144:145], v[116:117], v[126:127]
	scratch_load_b128 v[114:117], off, off offset:256
	s_wait_loadcnt 0x5
	v_fmac_f64_e32 v[144:145], v[132:133], v[128:129]
	ds_load_2addr_b64 v[122:125], v2 offset0:75 offset1:76
	ds_load_2addr_b64 v[126:129], v2 offset0:77 offset1:78
	scratch_load_b128 v[130:133], off, off offset:272
	s_wait_dscnt 0x1
	v_fmac_f64_e32 v[144:145], v[134:135], v[122:123]
	s_wait_loadcnt 0x5
	s_delay_alu instid0(VALU_DEP_1) | instskip(SKIP_1) | instid1(VALU_DEP_1)
	v_fmac_f64_e32 v[144:145], v[118:119], v[124:125]
	s_wait_dscnt 0x0
	v_fmac_f64_e32 v[144:145], v[120:121], v[126:127]
	scratch_load_b128 v[118:121], off, off offset:288
	s_wait_loadcnt 0x5
	v_fmac_f64_e32 v[144:145], v[140:141], v[128:129]
	ds_load_2addr_b64 v[122:125], v2 offset0:79 offset1:80
	ds_load_2addr_b64 v[126:129], v2 offset0:81 offset1:82
	s_wait_dscnt 0x1
	v_fmac_f64_e32 v[144:145], v[142:143], v[122:123]
	scratch_load_b128 v[140:143], off, off offset:304
	s_wait_loadcnt 0x5
	v_fmac_f64_e32 v[144:145], v[110:111], v[124:125]
	s_wait_dscnt 0x0
	s_delay_alu instid0(VALU_DEP_1)
	v_fmac_f64_e32 v[144:145], v[112:113], v[126:127]
	scratch_load_b128 v[110:113], off, off offset:320
	s_wait_loadcnt 0x5
	v_fmac_f64_e32 v[144:145], v[136:137], v[128:129]
	ds_load_2addr_b64 v[122:125], v2 offset0:83 offset1:84
	ds_load_2addr_b64 v[126:129], v2 offset0:85 offset1:86
	s_wait_dscnt 0x1
	v_fmac_f64_e32 v[144:145], v[138:139], v[122:123]
	s_wait_loadcnt 0x4
	s_delay_alu instid0(VALU_DEP_1)
	v_fmac_f64_e32 v[144:145], v[114:115], v[124:125]
	scratch_load_b128 v[122:125], off, off offset:336
	s_wait_dscnt 0x0
	v_fmac_f64_e32 v[144:145], v[116:117], v[126:127]
	scratch_load_b128 v[114:117], off, off offset:352
	s_wait_loadcnt 0x5
	v_fmac_f64_e32 v[144:145], v[130:131], v[128:129]
	ds_load_2addr_b64 v[126:129], v2 offset0:87 offset1:88
	ds_load_2addr_b64 v[134:137], v2 offset0:89 offset1:90
	s_wait_dscnt 0x1
	v_fmac_f64_e32 v[144:145], v[132:133], v[126:127]
	s_wait_loadcnt 0x4
	s_delay_alu instid0(VALU_DEP_1)
	v_fmac_f64_e32 v[144:145], v[118:119], v[128:129]
	scratch_load_b128 v[126:129], off, off offset:368
	s_wait_dscnt 0x0
	v_fmac_f64_e32 v[144:145], v[120:121], v[134:135]
	scratch_load_b128 v[118:121], off, off offset:384
	s_wait_loadcnt 0x5
	v_fmac_f64_e32 v[144:145], v[140:141], v[136:137]
	ds_load_2addr_b64 v[130:133], v2 offset0:91 offset1:92
	ds_load_2addr_b64 v[134:137], v2 offset0:93 offset1:94
	s_wait_dscnt 0x1
	v_fmac_f64_e32 v[144:145], v[142:143], v[130:131]
	s_wait_loadcnt 0x4
	s_delay_alu instid0(VALU_DEP_1) | instskip(SKIP_4) | instid1(VALU_DEP_1)
	v_fmac_f64_e32 v[144:145], v[110:111], v[132:133]
	scratch_load_b128 v[130:133], off, off offset:400
	s_wait_dscnt 0x0
	v_fmac_f64_e32 v[144:145], v[112:113], v[134:135]
	s_wait_loadcnt 0x4
	v_fmac_f64_e32 v[144:145], v[122:123], v[136:137]
	ds_load_2addr_b64 v[110:113], v2 offset0:95 offset1:96
	ds_load_2addr_b64 v[134:137], v2 offset0:97 offset1:98
	s_wait_dscnt 0x1
	v_fmac_f64_e32 v[144:145], v[124:125], v[110:111]
	s_wait_loadcnt 0x3
	s_delay_alu instid0(VALU_DEP_1) | instskip(SKIP_1) | instid1(VALU_DEP_1)
	v_fmac_f64_e32 v[144:145], v[114:115], v[112:113]
	s_wait_dscnt 0x0
	v_fmac_f64_e32 v[144:145], v[116:117], v[134:135]
	ds_load_2addr_b64 v[110:113], v2 offset0:99 offset1:100
	ds_load_2addr_b64 v[114:117], v2 offset0:101 offset1:102
	s_wait_loadcnt 0x2
	v_fmac_f64_e32 v[144:145], v[126:127], v[136:137]
	s_wait_dscnt 0x1
	s_delay_alu instid0(VALU_DEP_1) | instskip(SKIP_4) | instid1(VALU_DEP_1)
	v_fmac_f64_e32 v[144:145], v[128:129], v[110:111]
	ds_load_b64 v[110:111], v2 offset:824
	s_wait_loadcnt 0x1
	v_fmac_f64_e32 v[144:145], v[118:119], v[112:113]
	s_wait_dscnt 0x1
	v_fmac_f64_e32 v[144:145], v[120:121], v[114:115]
	s_wait_loadcnt 0x0
	s_delay_alu instid0(VALU_DEP_1) | instskip(SKIP_1) | instid1(VALU_DEP_1)
	v_fmac_f64_e32 v[144:145], v[130:131], v[116:117]
	s_wait_dscnt 0x0
	v_fmac_f64_e32 v[144:145], v[132:133], v[110:111]
	s_delay_alu instid0(VALU_DEP_1)
	v_add_f64_e64 v[108:109], v[108:109], -v[144:145]
	scratch_store_b64 off, v[108:109], off offset:16
	s_wait_xcnt 0x0
	v_cmpx_lt_u32_e32 1, v0
	s_cbranch_execz .LBB115_319
; %bb.318:
	scratch_load_b64 v[108:109], off, off offset:8
	v_mov_b64_e32 v[110:111], 0
	scratch_store_b64 off, v[110:111], off offset:8
	s_wait_loadcnt 0x0
	ds_store_b64 v1, v[108:109]
.LBB115_319:
	s_wait_xcnt 0x0
	s_or_b32 exec_lo, exec_lo, s0
	s_wait_storecnt_dscnt 0x0
	s_barrier_signal -1
	s_barrier_wait -1
	s_clause 0x5
	scratch_load_b128 v[108:111], off, off offset:8
	scratch_load_b128 v[112:115], off, off offset:24
	;; [unrolled: 1-line block ×6, first 2 shown]
	ds_load_b128 v[132:135], v2 offset:432
	ds_load_b128 v[136:139], v2 offset:448
	scratch_load_b128 v[140:143], off, off offset:104
	v_dual_ashrrev_i32 v9, 31, v8 :: v_dual_ashrrev_i32 v11, 31, v10
	v_dual_ashrrev_i32 v13, 31, v12 :: v_dual_ashrrev_i32 v15, 31, v14
	v_dual_ashrrev_i32 v17, 31, v16 :: v_dual_ashrrev_i32 v19, 31, v18
	v_dual_ashrrev_i32 v21, 31, v20 :: v_dual_ashrrev_i32 v23, 31, v22
	v_dual_ashrrev_i32 v25, 31, v24 :: v_dual_ashrrev_i32 v27, 31, v26
	v_dual_ashrrev_i32 v29, 31, v28 :: v_dual_ashrrev_i32 v31, 31, v30
	v_dual_ashrrev_i32 v33, 31, v32 :: v_dual_ashrrev_i32 v35, 31, v34
	v_dual_ashrrev_i32 v37, 31, v36 :: v_dual_ashrrev_i32 v39, 31, v38
	v_dual_ashrrev_i32 v41, 31, v40 :: v_dual_ashrrev_i32 v43, 31, v42
	v_dual_ashrrev_i32 v45, 31, v44 :: v_dual_ashrrev_i32 v47, 31, v46
	v_dual_ashrrev_i32 v49, 31, v48 :: v_dual_ashrrev_i32 v51, 31, v50
	v_dual_ashrrev_i32 v53, 31, v52 :: v_dual_ashrrev_i32 v55, 31, v54
	v_dual_ashrrev_i32 v57, 31, v56 :: v_dual_ashrrev_i32 v63, 31, v62
	v_dual_ashrrev_i32 v61, 31, v60 :: v_dual_ashrrev_i32 v67, 31, v66
	v_dual_ashrrev_i32 v65, 31, v64 :: v_dual_ashrrev_i32 v71, 31, v70
	v_dual_ashrrev_i32 v69, 31, v68 :: v_dual_ashrrev_i32 v75, 31, v74
	v_dual_ashrrev_i32 v73, 31, v72 :: v_dual_ashrrev_i32 v79, 31, v78
	v_dual_ashrrev_i32 v77, 31, v76 :: v_dual_ashrrev_i32 v83, 31, v82
	v_dual_ashrrev_i32 v81, 31, v80 :: v_dual_ashrrev_i32 v87, 31, v86
	v_dual_ashrrev_i32 v85, 31, v84 :: v_dual_ashrrev_i32 v91, 31, v90
	v_dual_ashrrev_i32 v89, 31, v88 :: v_dual_ashrrev_i32 v95, 31, v94
	v_dual_ashrrev_i32 v93, 31, v92 :: v_dual_ashrrev_i32 v99, 31, v98
	v_dual_ashrrev_i32 v97, 31, v96 :: v_dual_ashrrev_i32 v103, 31, v102
	v_dual_ashrrev_i32 v101, 31, v100 :: v_dual_ashrrev_i32 v107, 31, v106
	v_ashrrev_i32_e32 v105, 31, v104
	s_mov_b32 s0, exec_lo
	v_ashrrev_i32_e32 v59, 31, v58
	s_wait_loadcnt_dscnt 0x601
	v_fma_f64 v[144:145], v[110:111], v[132:133], 0
	s_wait_loadcnt 0x5
	s_delay_alu instid0(VALU_DEP_1) | instskip(SKIP_4) | instid1(VALU_DEP_1)
	v_fmac_f64_e32 v[144:145], v[112:113], v[134:135]
	scratch_load_b128 v[110:113], off, off offset:120
	s_wait_dscnt 0x0
	v_fmac_f64_e32 v[144:145], v[114:115], v[136:137]
	s_wait_loadcnt 0x5
	v_fmac_f64_e32 v[144:145], v[116:117], v[138:139]
	ds_load_b128 v[114:117], v2 offset:464
	ds_load_b128 v[132:135], v2 offset:480
	scratch_load_b128 v[136:139], off, off offset:136
	s_wait_dscnt 0x1
	v_fmac_f64_e32 v[144:145], v[118:119], v[114:115]
	s_wait_loadcnt 0x5
	s_delay_alu instid0(VALU_DEP_1) | instskip(SKIP_4) | instid1(VALU_DEP_1)
	v_fmac_f64_e32 v[144:145], v[120:121], v[116:117]
	scratch_load_b128 v[114:117], off, off offset:152
	s_wait_dscnt 0x0
	v_fmac_f64_e32 v[144:145], v[122:123], v[132:133]
	s_wait_loadcnt 0x5
	v_fmac_f64_e32 v[144:145], v[124:125], v[134:135]
	ds_load_b128 v[118:121], v2 offset:496
	ds_load_b128 v[122:125], v2 offset:512
	scratch_load_b128 v[132:135], off, off offset:168
	s_wait_dscnt 0x1
	v_fmac_f64_e32 v[144:145], v[126:127], v[118:119]
	s_wait_loadcnt 0x5
	s_delay_alu instid0(VALU_DEP_1) | instskip(SKIP_4) | instid1(VALU_DEP_1)
	v_fmac_f64_e32 v[144:145], v[128:129], v[120:121]
	scratch_load_b128 v[118:121], off, off offset:184
	s_wait_dscnt 0x0
	v_fmac_f64_e32 v[144:145], v[130:131], v[122:123]
	s_wait_loadcnt 0x5
	v_fmac_f64_e32 v[144:145], v[140:141], v[124:125]
	ds_load_b128 v[122:125], v2 offset:528
	ds_load_b128 v[126:129], v2 offset:544
	s_wait_dscnt 0x1
	v_fmac_f64_e32 v[144:145], v[142:143], v[122:123]
	scratch_load_b128 v[140:143], off, off offset:200
	s_wait_loadcnt 0x5
	v_fmac_f64_e32 v[144:145], v[110:111], v[124:125]
	s_wait_dscnt 0x0
	s_delay_alu instid0(VALU_DEP_1)
	v_fmac_f64_e32 v[144:145], v[112:113], v[126:127]
	scratch_load_b128 v[110:113], off, off offset:216
	s_wait_loadcnt 0x5
	v_fmac_f64_e32 v[144:145], v[136:137], v[128:129]
	ds_load_b128 v[122:125], v2 offset:560
	ds_load_b128 v[126:129], v2 offset:576
	s_wait_dscnt 0x1
	v_fmac_f64_e32 v[144:145], v[138:139], v[122:123]
	scratch_load_b128 v[136:139], off, off offset:232
	s_wait_loadcnt 0x5
	v_fmac_f64_e32 v[144:145], v[114:115], v[124:125]
	s_wait_dscnt 0x0
	s_delay_alu instid0(VALU_DEP_1)
	v_fmac_f64_e32 v[144:145], v[116:117], v[126:127]
	scratch_load_b128 v[114:117], off, off offset:248
	s_wait_loadcnt 0x5
	v_fmac_f64_e32 v[144:145], v[132:133], v[128:129]
	ds_load_b128 v[122:125], v2 offset:592
	ds_load_b128 v[126:129], v2 offset:608
	scratch_load_b128 v[130:133], off, off offset:264
	s_wait_dscnt 0x1
	v_fmac_f64_e32 v[144:145], v[134:135], v[122:123]
	s_wait_loadcnt 0x5
	s_delay_alu instid0(VALU_DEP_1) | instskip(SKIP_1) | instid1(VALU_DEP_1)
	v_fmac_f64_e32 v[144:145], v[118:119], v[124:125]
	s_wait_dscnt 0x0
	v_fmac_f64_e32 v[144:145], v[120:121], v[126:127]
	scratch_load_b128 v[118:121], off, off offset:280
	s_wait_loadcnt 0x5
	v_fmac_f64_e32 v[144:145], v[140:141], v[128:129]
	ds_load_b128 v[122:125], v2 offset:624
	ds_load_b128 v[126:129], v2 offset:640
	s_wait_dscnt 0x1
	v_fmac_f64_e32 v[144:145], v[142:143], v[122:123]
	scratch_load_b128 v[140:143], off, off offset:296
	s_wait_loadcnt 0x5
	v_fmac_f64_e32 v[144:145], v[110:111], v[124:125]
	s_wait_dscnt 0x0
	s_delay_alu instid0(VALU_DEP_1)
	v_fmac_f64_e32 v[144:145], v[112:113], v[126:127]
	scratch_load_b128 v[110:113], off, off offset:312
	s_wait_loadcnt 0x5
	v_fmac_f64_e32 v[144:145], v[136:137], v[128:129]
	ds_load_b128 v[122:125], v2 offset:656
	ds_load_b128 v[126:129], v2 offset:672
	s_wait_dscnt 0x1
	v_fmac_f64_e32 v[144:145], v[138:139], v[122:123]
	s_wait_loadcnt 0x4
	s_delay_alu instid0(VALU_DEP_1)
	v_fmac_f64_e32 v[144:145], v[114:115], v[124:125]
	scratch_load_b128 v[122:125], off, off offset:328
	s_wait_dscnt 0x0
	v_fmac_f64_e32 v[144:145], v[116:117], v[126:127]
	scratch_load_b128 v[114:117], off, off offset:344
	s_wait_loadcnt 0x5
	v_fmac_f64_e32 v[144:145], v[130:131], v[128:129]
	ds_load_b128 v[126:129], v2 offset:688
	ds_load_b128 v[134:137], v2 offset:704
	s_wait_dscnt 0x1
	v_fmac_f64_e32 v[144:145], v[132:133], v[126:127]
	s_wait_loadcnt 0x4
	s_delay_alu instid0(VALU_DEP_1)
	v_fmac_f64_e32 v[144:145], v[118:119], v[128:129]
	scratch_load_b128 v[126:129], off, off offset:360
	s_wait_dscnt 0x0
	v_fmac_f64_e32 v[144:145], v[120:121], v[134:135]
	scratch_load_b128 v[118:121], off, off offset:376
	s_wait_loadcnt 0x5
	v_fmac_f64_e32 v[144:145], v[140:141], v[136:137]
	ds_load_b128 v[130:133], v2 offset:720
	ds_load_b128 v[134:137], v2 offset:736
	scratch_load_b64 v[138:139], off, off offset:408
	s_wait_dscnt 0x1
	v_fmac_f64_e32 v[144:145], v[142:143], v[130:131]
	s_wait_loadcnt 0x5
	s_delay_alu instid0(VALU_DEP_1) | instskip(SKIP_4) | instid1(VALU_DEP_1)
	v_fmac_f64_e32 v[144:145], v[110:111], v[132:133]
	scratch_load_b128 v[130:133], off, off offset:392
	s_wait_dscnt 0x0
	v_fmac_f64_e32 v[144:145], v[112:113], v[134:135]
	s_wait_loadcnt 0x5
	v_fmac_f64_e32 v[144:145], v[122:123], v[136:137]
	ds_load_b128 v[110:113], v2 offset:752
	ds_load_b128 v[134:137], v2 offset:768
	s_wait_dscnt 0x1
	v_fmac_f64_e32 v[144:145], v[124:125], v[110:111]
	s_wait_loadcnt 0x4
	s_delay_alu instid0(VALU_DEP_1) | instskip(SKIP_1) | instid1(VALU_DEP_1)
	v_fmac_f64_e32 v[144:145], v[114:115], v[112:113]
	s_wait_dscnt 0x0
	v_fmac_f64_e32 v[144:145], v[116:117], v[134:135]
	ds_load_b128 v[110:113], v2 offset:784
	ds_load_b128 v[114:117], v2 offset:800
	s_wait_loadcnt 0x3
	v_fmac_f64_e32 v[144:145], v[126:127], v[136:137]
	s_wait_dscnt 0x1
	s_delay_alu instid0(VALU_DEP_1) | instskip(SKIP_1) | instid1(VALU_DEP_1)
	v_fmac_f64_e32 v[144:145], v[128:129], v[110:111]
	s_wait_loadcnt 0x2
	v_fmac_f64_e32 v[144:145], v[118:119], v[112:113]
	ds_load_b128 v[110:113], v2 offset:816
	s_wait_dscnt 0x1
	v_fmac_f64_e32 v[144:145], v[120:121], v[114:115]
	s_wait_loadcnt 0x0
	s_delay_alu instid0(VALU_DEP_1) | instskip(SKIP_1) | instid1(VALU_DEP_1)
	v_fmac_f64_e32 v[144:145], v[130:131], v[116:117]
	s_wait_dscnt 0x0
	v_fmac_f64_e32 v[144:145], v[132:133], v[110:111]
	s_delay_alu instid0(VALU_DEP_1) | instskip(NEXT) | instid1(VALU_DEP_1)
	v_fmac_f64_e32 v[144:145], v[138:139], v[112:113]
	v_add_f64_e64 v[2:3], v[108:109], -v[144:145]
	scratch_store_b64 off, v[2:3], off offset:8
	s_wait_xcnt 0x0
	v_cmpx_ne_u32_e32 0, v0
	s_cbranch_execz .LBB115_321
; %bb.320:
	scratch_load_b64 v[2:3], off, off
	v_mov_b64_e32 v[108:109], 0
	scratch_store_b64 off, v[108:109], off
	s_wait_loadcnt 0x0
	ds_store_b64 v1, v[2:3]
.LBB115_321:
	s_wait_xcnt 0x0
	s_or_b32 exec_lo, exec_lo, s0
	s_wait_storecnt_dscnt 0x0
	s_barrier_signal -1
	s_barrier_wait -1
	s_clause 0x5
	scratch_load_b128 v[112:115], off, off
	scratch_load_b128 v[0:3], off, off offset:16
	scratch_load_b128 v[116:119], off, off offset:32
	;; [unrolled: 1-line block ×5, first 2 shown]
	v_mov_b32_e32 v110, 0
	scratch_load_b128 v[136:139], off, off offset:96
	s_and_b32 vcc_lo, exec_lo, s12
	ds_load_2addr_b64 v[132:135], v110 offset0:53 offset1:54
	s_wait_loadcnt_dscnt 0x600
	v_fma_f64 v[108:109], v[114:115], v[132:133], 0
	s_wait_loadcnt 0x5
	s_delay_alu instid0(VALU_DEP_1)
	v_fmac_f64_e32 v[108:109], v[0:1], v[134:135]
	ds_load_2addr_b64 v[132:135], v110 offset0:55 offset1:56
	s_wait_dscnt 0x0
	v_fmac_f64_e32 v[108:109], v[2:3], v[132:133]
	scratch_load_b128 v[0:3], off, off offset:112
	s_wait_loadcnt 0x5
	v_fmac_f64_e32 v[108:109], v[116:117], v[134:135]
	ds_load_2addr_b64 v[114:117], v110 offset0:57 offset1:58
	scratch_load_b128 v[132:135], off, off offset:128
	s_wait_dscnt 0x0
	v_fmac_f64_e32 v[108:109], v[118:119], v[114:115]
	s_wait_loadcnt 0x5
	s_delay_alu instid0(VALU_DEP_1)
	v_fmac_f64_e32 v[108:109], v[120:121], v[116:117]
	ds_load_2addr_b64 v[114:117], v110 offset0:59 offset1:60
	scratch_load_b128 v[118:121], off, off offset:144
	s_wait_dscnt 0x0
	v_fmac_f64_e32 v[108:109], v[122:123], v[114:115]
	s_wait_loadcnt 0x5
	s_delay_alu instid0(VALU_DEP_1)
	;; [unrolled: 7-line block ×4, first 2 shown]
	v_fmac_f64_e32 v[108:109], v[136:137], v[116:117]
	ds_load_2addr_b64 v[114:117], v110 offset0:65 offset1:66
	s_wait_dscnt 0x0
	v_fmac_f64_e32 v[108:109], v[138:139], v[114:115]
	scratch_load_b128 v[136:139], off, off offset:192
	s_wait_loadcnt 0x5
	v_fmac_f64_e32 v[108:109], v[0:1], v[116:117]
	ds_load_2addr_b64 v[114:117], v110 offset0:67 offset1:68
	s_wait_dscnt 0x0
	v_fmac_f64_e32 v[108:109], v[2:3], v[114:115]
	scratch_load_b128 v[0:3], off, off offset:208
	s_wait_loadcnt 0x5
	v_fmac_f64_e32 v[108:109], v[132:133], v[116:117]
	ds_load_2addr_b64 v[114:117], v110 offset0:69 offset1:70
	scratch_load_b128 v[130:133], off, off offset:224
	s_wait_dscnt 0x0
	v_fmac_f64_e32 v[108:109], v[134:135], v[114:115]
	s_wait_loadcnt 0x5
	s_delay_alu instid0(VALU_DEP_1)
	v_fmac_f64_e32 v[108:109], v[118:119], v[116:117]
	ds_load_2addr_b64 v[114:117], v110 offset0:71 offset1:72
	s_wait_dscnt 0x0
	v_fmac_f64_e32 v[108:109], v[120:121], v[114:115]
	scratch_load_b128 v[118:121], off, off offset:240
	s_wait_loadcnt 0x5
	v_fmac_f64_e32 v[108:109], v[122:123], v[116:117]
	ds_load_2addr_b64 v[114:117], v110 offset0:73 offset1:74
	s_wait_dscnt 0x0
	v_fmac_f64_e32 v[108:109], v[124:125], v[114:115]
	scratch_load_b128 v[122:125], off, off offset:256
	s_wait_loadcnt 0x5
	;; [unrolled: 6-line block ×3, first 2 shown]
	v_fmac_f64_e32 v[108:109], v[136:137], v[116:117]
	ds_load_2addr_b64 v[114:117], v110 offset0:77 offset1:78
	scratch_load_b128 v[134:137], off, off offset:288
	s_wait_dscnt 0x0
	v_fmac_f64_e32 v[108:109], v[138:139], v[114:115]
	s_wait_loadcnt 0x5
	s_delay_alu instid0(VALU_DEP_1)
	v_fmac_f64_e32 v[108:109], v[0:1], v[116:117]
	ds_load_2addr_b64 v[114:117], v110 offset0:79 offset1:80
	s_wait_dscnt 0x0
	v_fmac_f64_e32 v[108:109], v[2:3], v[114:115]
	scratch_load_b128 v[0:3], off, off offset:304
	s_wait_loadcnt 0x5
	v_fmac_f64_e32 v[108:109], v[130:131], v[116:117]
	ds_load_2addr_b64 v[114:117], v110 offset0:81 offset1:82
	s_wait_dscnt 0x0
	v_fmac_f64_e32 v[108:109], v[132:133], v[114:115]
	scratch_load_b128 v[130:133], off, off offset:320
	s_wait_loadcnt 0x5
	;; [unrolled: 6-line block ×7, first 2 shown]
	v_fmac_f64_e32 v[108:109], v[130:131], v[116:117]
	ds_load_2addr_b64 v[114:117], v110 offset0:93 offset1:94
	s_wait_dscnt 0x0
	v_fmac_f64_e32 v[108:109], v[132:133], v[114:115]
	s_wait_loadcnt 0x4
	s_delay_alu instid0(VALU_DEP_1) | instskip(SKIP_4) | instid1(VALU_DEP_1)
	v_fmac_f64_e32 v[108:109], v[118:119], v[116:117]
	ds_load_2addr_b64 v[114:117], v110 offset0:95 offset1:96
	s_wait_dscnt 0x0
	v_fmac_f64_e32 v[108:109], v[120:121], v[114:115]
	s_wait_loadcnt 0x3
	v_fmac_f64_e32 v[108:109], v[122:123], v[116:117]
	ds_load_2addr_b64 v[114:117], v110 offset0:97 offset1:98
	s_wait_dscnt 0x0
	v_fmac_f64_e32 v[108:109], v[124:125], v[114:115]
	s_wait_loadcnt 0x2
	s_delay_alu instid0(VALU_DEP_1) | instskip(SKIP_4) | instid1(VALU_DEP_1)
	v_fmac_f64_e32 v[108:109], v[126:127], v[116:117]
	ds_load_2addr_b64 v[114:117], v110 offset0:99 offset1:100
	s_wait_dscnt 0x0
	v_fmac_f64_e32 v[108:109], v[128:129], v[114:115]
	s_wait_loadcnt 0x1
	v_fmac_f64_e32 v[108:109], v[134:135], v[116:117]
	ds_load_2addr_b64 v[114:117], v110 offset0:101 offset1:102
	s_wait_dscnt 0x0
	v_fmac_f64_e32 v[108:109], v[136:137], v[114:115]
	ds_load_b64 v[114:115], v110 offset:824
	s_wait_loadcnt 0x0
	v_fmac_f64_e32 v[108:109], v[0:1], v[116:117]
	s_wait_dscnt 0x0
	s_delay_alu instid0(VALU_DEP_1) | instskip(NEXT) | instid1(VALU_DEP_1)
	v_fmac_f64_e32 v[108:109], v[2:3], v[114:115]
	v_add_f64_e64 v[108:109], v[112:113], -v[108:109]
	scratch_store_b64 off, v[108:109], off
	s_cbranch_vccz .LBB115_424
; %bb.322:
	global_load_b32 v2, v110, s[8:9] offset:200
	s_wait_loadcnt 0x0
	v_cmp_ne_u32_e32 vcc_lo, 51, v2
	s_cbranch_vccz .LBB115_324
; %bb.323:
	v_lshlrev_b32_e32 v2, 3, v2
	s_wait_xcnt 0x1
	s_delay_alu instid0(VALU_DEP_1)
	v_mov_b32_e32 v108, v2
	scratch_load_b64 v[2:3], v108, off offset:-8
	s_wait_loadcnt 0x0
	scratch_store_b64 off, v[2:3], off offset:400
	scratch_store_b64 v108, v[0:1], off offset:-8
.LBB115_324:
	s_wait_xcnt 0x0
	v_mov_b32_e32 v0, 0
	global_load_b32 v1, v0, s[8:9] offset:196
	s_wait_loadcnt 0x0
	v_cmp_eq_u32_e32 vcc_lo, 50, v1
	s_cbranch_vccnz .LBB115_326
; %bb.325:
	v_lshlrev_b32_e32 v1, 3, v1
	scratch_load_b64 v[2:3], v1, off offset:-8
	scratch_load_b64 v[108:109], off, off offset:392
	s_wait_loadcnt 0x1
	scratch_store_b64 off, v[2:3], off offset:392
	s_wait_loadcnt 0x0
	scratch_store_b64 v1, v[108:109], off offset:-8
.LBB115_326:
	global_load_b32 v0, v0, s[8:9] offset:192
	s_wait_loadcnt 0x0
	v_cmp_eq_u32_e32 vcc_lo, 49, v0
	s_cbranch_vccnz .LBB115_328
; %bb.327:
	s_wait_xcnt 0x0
	v_lshlrev_b32_e32 v0, 3, v0
	s_delay_alu instid0(VALU_DEP_1)
	v_mov_b32_e32 v108, v0
	scratch_load_b64 v[0:1], v108, off offset:-8
	scratch_load_b64 v[2:3], off, off offset:384
	s_wait_loadcnt 0x1
	scratch_store_b64 off, v[0:1], off offset:384
	s_wait_loadcnt 0x0
	scratch_store_b64 v108, v[2:3], off offset:-8
.LBB115_328:
	s_wait_xcnt 0x0
	v_mov_b32_e32 v0, 0
	global_load_b32 v1, v0, s[8:9] offset:188
	s_wait_loadcnt 0x0
	v_cmp_eq_u32_e32 vcc_lo, 48, v1
	s_cbranch_vccnz .LBB115_330
; %bb.329:
	v_lshlrev_b32_e32 v1, 3, v1
	scratch_load_b64 v[2:3], v1, off offset:-8
	scratch_load_b64 v[108:109], off, off offset:376
	s_wait_loadcnt 0x1
	scratch_store_b64 off, v[2:3], off offset:376
	s_wait_loadcnt 0x0
	scratch_store_b64 v1, v[108:109], off offset:-8
.LBB115_330:
	global_load_b32 v0, v0, s[8:9] offset:184
	s_wait_loadcnt 0x0
	v_cmp_eq_u32_e32 vcc_lo, 47, v0
	s_cbranch_vccnz .LBB115_332
; %bb.331:
	s_wait_xcnt 0x0
	v_lshlrev_b32_e32 v0, 3, v0
	s_delay_alu instid0(VALU_DEP_1)
	v_mov_b32_e32 v108, v0
	scratch_load_b64 v[0:1], v108, off offset:-8
	scratch_load_b64 v[2:3], off, off offset:368
	s_wait_loadcnt 0x1
	scratch_store_b64 off, v[0:1], off offset:368
	s_wait_loadcnt 0x0
	scratch_store_b64 v108, v[2:3], off offset:-8
.LBB115_332:
	s_wait_xcnt 0x0
	v_mov_b32_e32 v0, 0
	global_load_b32 v1, v0, s[8:9] offset:180
	s_wait_loadcnt 0x0
	v_cmp_eq_u32_e32 vcc_lo, 46, v1
	s_cbranch_vccnz .LBB115_334
; %bb.333:
	v_lshlrev_b32_e32 v1, 3, v1
	scratch_load_b64 v[2:3], v1, off offset:-8
	scratch_load_b64 v[108:109], off, off offset:360
	s_wait_loadcnt 0x1
	scratch_store_b64 off, v[2:3], off offset:360
	s_wait_loadcnt 0x0
	scratch_store_b64 v1, v[108:109], off offset:-8
.LBB115_334:
	global_load_b32 v0, v0, s[8:9] offset:176
	s_wait_loadcnt 0x0
	v_cmp_eq_u32_e32 vcc_lo, 45, v0
	s_cbranch_vccnz .LBB115_336
; %bb.335:
	s_wait_xcnt 0x0
	v_lshlrev_b32_e32 v0, 3, v0
	s_delay_alu instid0(VALU_DEP_1)
	v_mov_b32_e32 v108, v0
	scratch_load_b64 v[0:1], v108, off offset:-8
	scratch_load_b64 v[2:3], off, off offset:352
	s_wait_loadcnt 0x1
	scratch_store_b64 off, v[0:1], off offset:352
	s_wait_loadcnt 0x0
	scratch_store_b64 v108, v[2:3], off offset:-8
.LBB115_336:
	s_wait_xcnt 0x0
	v_mov_b32_e32 v0, 0
	global_load_b32 v1, v0, s[8:9] offset:172
	s_wait_loadcnt 0x0
	v_cmp_eq_u32_e32 vcc_lo, 44, v1
	s_cbranch_vccnz .LBB115_338
; %bb.337:
	v_lshlrev_b32_e32 v1, 3, v1
	scratch_load_b64 v[2:3], v1, off offset:-8
	scratch_load_b64 v[108:109], off, off offset:344
	s_wait_loadcnt 0x1
	scratch_store_b64 off, v[2:3], off offset:344
	s_wait_loadcnt 0x0
	scratch_store_b64 v1, v[108:109], off offset:-8
.LBB115_338:
	global_load_b32 v0, v0, s[8:9] offset:168
	s_wait_loadcnt 0x0
	v_cmp_eq_u32_e32 vcc_lo, 43, v0
	s_cbranch_vccnz .LBB115_340
; %bb.339:
	s_wait_xcnt 0x0
	v_lshlrev_b32_e32 v0, 3, v0
	s_delay_alu instid0(VALU_DEP_1)
	v_mov_b32_e32 v108, v0
	scratch_load_b64 v[0:1], v108, off offset:-8
	scratch_load_b64 v[2:3], off, off offset:336
	s_wait_loadcnt 0x1
	scratch_store_b64 off, v[0:1], off offset:336
	s_wait_loadcnt 0x0
	scratch_store_b64 v108, v[2:3], off offset:-8
.LBB115_340:
	s_wait_xcnt 0x0
	v_mov_b32_e32 v0, 0
	global_load_b32 v1, v0, s[8:9] offset:164
	s_wait_loadcnt 0x0
	v_cmp_eq_u32_e32 vcc_lo, 42, v1
	s_cbranch_vccnz .LBB115_342
; %bb.341:
	v_lshlrev_b32_e32 v1, 3, v1
	scratch_load_b64 v[2:3], v1, off offset:-8
	scratch_load_b64 v[108:109], off, off offset:328
	s_wait_loadcnt 0x1
	scratch_store_b64 off, v[2:3], off offset:328
	s_wait_loadcnt 0x0
	scratch_store_b64 v1, v[108:109], off offset:-8
.LBB115_342:
	global_load_b32 v0, v0, s[8:9] offset:160
	s_wait_loadcnt 0x0
	v_cmp_eq_u32_e32 vcc_lo, 41, v0
	s_cbranch_vccnz .LBB115_344
; %bb.343:
	s_wait_xcnt 0x0
	v_lshlrev_b32_e32 v0, 3, v0
	s_delay_alu instid0(VALU_DEP_1)
	v_mov_b32_e32 v108, v0
	scratch_load_b64 v[0:1], v108, off offset:-8
	scratch_load_b64 v[2:3], off, off offset:320
	s_wait_loadcnt 0x1
	scratch_store_b64 off, v[0:1], off offset:320
	s_wait_loadcnt 0x0
	scratch_store_b64 v108, v[2:3], off offset:-8
.LBB115_344:
	s_wait_xcnt 0x0
	v_mov_b32_e32 v0, 0
	global_load_b32 v1, v0, s[8:9] offset:156
	s_wait_loadcnt 0x0
	v_cmp_eq_u32_e32 vcc_lo, 40, v1
	s_cbranch_vccnz .LBB115_346
; %bb.345:
	v_lshlrev_b32_e32 v1, 3, v1
	scratch_load_b64 v[2:3], v1, off offset:-8
	scratch_load_b64 v[108:109], off, off offset:312
	s_wait_loadcnt 0x1
	scratch_store_b64 off, v[2:3], off offset:312
	s_wait_loadcnt 0x0
	scratch_store_b64 v1, v[108:109], off offset:-8
.LBB115_346:
	global_load_b32 v0, v0, s[8:9] offset:152
	s_wait_loadcnt 0x0
	v_cmp_eq_u32_e32 vcc_lo, 39, v0
	s_cbranch_vccnz .LBB115_348
; %bb.347:
	s_wait_xcnt 0x0
	v_lshlrev_b32_e32 v0, 3, v0
	s_delay_alu instid0(VALU_DEP_1)
	v_mov_b32_e32 v108, v0
	scratch_load_b64 v[0:1], v108, off offset:-8
	scratch_load_b64 v[2:3], off, off offset:304
	s_wait_loadcnt 0x1
	scratch_store_b64 off, v[0:1], off offset:304
	s_wait_loadcnt 0x0
	scratch_store_b64 v108, v[2:3], off offset:-8
.LBB115_348:
	s_wait_xcnt 0x0
	v_mov_b32_e32 v0, 0
	global_load_b32 v1, v0, s[8:9] offset:148
	s_wait_loadcnt 0x0
	v_cmp_eq_u32_e32 vcc_lo, 38, v1
	s_cbranch_vccnz .LBB115_350
; %bb.349:
	v_lshlrev_b32_e32 v1, 3, v1
	scratch_load_b64 v[2:3], v1, off offset:-8
	scratch_load_b64 v[108:109], off, off offset:296
	s_wait_loadcnt 0x1
	scratch_store_b64 off, v[2:3], off offset:296
	s_wait_loadcnt 0x0
	scratch_store_b64 v1, v[108:109], off offset:-8
.LBB115_350:
	global_load_b32 v0, v0, s[8:9] offset:144
	s_wait_loadcnt 0x0
	v_cmp_eq_u32_e32 vcc_lo, 37, v0
	s_cbranch_vccnz .LBB115_352
; %bb.351:
	s_wait_xcnt 0x0
	v_lshlrev_b32_e32 v0, 3, v0
	s_delay_alu instid0(VALU_DEP_1)
	v_mov_b32_e32 v108, v0
	scratch_load_b64 v[0:1], v108, off offset:-8
	scratch_load_b64 v[2:3], off, off offset:288
	s_wait_loadcnt 0x1
	scratch_store_b64 off, v[0:1], off offset:288
	s_wait_loadcnt 0x0
	scratch_store_b64 v108, v[2:3], off offset:-8
.LBB115_352:
	s_wait_xcnt 0x0
	v_mov_b32_e32 v0, 0
	global_load_b32 v1, v0, s[8:9] offset:140
	s_wait_loadcnt 0x0
	v_cmp_eq_u32_e32 vcc_lo, 36, v1
	s_cbranch_vccnz .LBB115_354
; %bb.353:
	v_lshlrev_b32_e32 v1, 3, v1
	scratch_load_b64 v[2:3], v1, off offset:-8
	scratch_load_b64 v[108:109], off, off offset:280
	s_wait_loadcnt 0x1
	scratch_store_b64 off, v[2:3], off offset:280
	s_wait_loadcnt 0x0
	scratch_store_b64 v1, v[108:109], off offset:-8
.LBB115_354:
	global_load_b32 v0, v0, s[8:9] offset:136
	s_wait_loadcnt 0x0
	v_cmp_eq_u32_e32 vcc_lo, 35, v0
	s_cbranch_vccnz .LBB115_356
; %bb.355:
	s_wait_xcnt 0x0
	v_lshlrev_b32_e32 v0, 3, v0
	s_delay_alu instid0(VALU_DEP_1)
	v_mov_b32_e32 v108, v0
	scratch_load_b64 v[0:1], v108, off offset:-8
	scratch_load_b64 v[2:3], off, off offset:272
	s_wait_loadcnt 0x1
	scratch_store_b64 off, v[0:1], off offset:272
	s_wait_loadcnt 0x0
	scratch_store_b64 v108, v[2:3], off offset:-8
.LBB115_356:
	s_wait_xcnt 0x0
	v_mov_b32_e32 v0, 0
	global_load_b32 v1, v0, s[8:9] offset:132
	s_wait_loadcnt 0x0
	v_cmp_eq_u32_e32 vcc_lo, 34, v1
	s_cbranch_vccnz .LBB115_358
; %bb.357:
	v_lshlrev_b32_e32 v1, 3, v1
	scratch_load_b64 v[2:3], v1, off offset:-8
	scratch_load_b64 v[108:109], off, off offset:264
	s_wait_loadcnt 0x1
	scratch_store_b64 off, v[2:3], off offset:264
	s_wait_loadcnt 0x0
	scratch_store_b64 v1, v[108:109], off offset:-8
.LBB115_358:
	global_load_b32 v0, v0, s[8:9] offset:128
	s_wait_loadcnt 0x0
	v_cmp_eq_u32_e32 vcc_lo, 33, v0
	s_cbranch_vccnz .LBB115_360
; %bb.359:
	s_wait_xcnt 0x0
	v_lshlrev_b32_e32 v0, 3, v0
	s_delay_alu instid0(VALU_DEP_1)
	v_mov_b32_e32 v108, v0
	scratch_load_b64 v[0:1], v108, off offset:-8
	scratch_load_b64 v[2:3], off, off offset:256
	s_wait_loadcnt 0x1
	scratch_store_b64 off, v[0:1], off offset:256
	s_wait_loadcnt 0x0
	scratch_store_b64 v108, v[2:3], off offset:-8
.LBB115_360:
	s_wait_xcnt 0x0
	v_mov_b32_e32 v0, 0
	global_load_b32 v1, v0, s[8:9] offset:124
	s_wait_loadcnt 0x0
	v_cmp_eq_u32_e32 vcc_lo, 32, v1
	s_cbranch_vccnz .LBB115_362
; %bb.361:
	v_lshlrev_b32_e32 v1, 3, v1
	scratch_load_b64 v[2:3], v1, off offset:-8
	scratch_load_b64 v[108:109], off, off offset:248
	s_wait_loadcnt 0x1
	scratch_store_b64 off, v[2:3], off offset:248
	s_wait_loadcnt 0x0
	scratch_store_b64 v1, v[108:109], off offset:-8
.LBB115_362:
	global_load_b32 v0, v0, s[8:9] offset:120
	s_wait_loadcnt 0x0
	v_cmp_eq_u32_e32 vcc_lo, 31, v0
	s_cbranch_vccnz .LBB115_364
; %bb.363:
	s_wait_xcnt 0x0
	v_lshlrev_b32_e32 v0, 3, v0
	s_delay_alu instid0(VALU_DEP_1)
	v_mov_b32_e32 v108, v0
	scratch_load_b64 v[0:1], v108, off offset:-8
	scratch_load_b64 v[2:3], off, off offset:240
	s_wait_loadcnt 0x1
	scratch_store_b64 off, v[0:1], off offset:240
	s_wait_loadcnt 0x0
	scratch_store_b64 v108, v[2:3], off offset:-8
.LBB115_364:
	s_wait_xcnt 0x0
	v_mov_b32_e32 v0, 0
	global_load_b32 v1, v0, s[8:9] offset:116
	s_wait_loadcnt 0x0
	v_cmp_eq_u32_e32 vcc_lo, 30, v1
	s_cbranch_vccnz .LBB115_366
; %bb.365:
	v_lshlrev_b32_e32 v1, 3, v1
	scratch_load_b64 v[2:3], v1, off offset:-8
	scratch_load_b64 v[108:109], off, off offset:232
	s_wait_loadcnt 0x1
	scratch_store_b64 off, v[2:3], off offset:232
	s_wait_loadcnt 0x0
	scratch_store_b64 v1, v[108:109], off offset:-8
.LBB115_366:
	global_load_b32 v0, v0, s[8:9] offset:112
	s_wait_loadcnt 0x0
	v_cmp_eq_u32_e32 vcc_lo, 29, v0
	s_cbranch_vccnz .LBB115_368
; %bb.367:
	s_wait_xcnt 0x0
	v_lshlrev_b32_e32 v0, 3, v0
	s_delay_alu instid0(VALU_DEP_1)
	v_mov_b32_e32 v108, v0
	scratch_load_b64 v[0:1], v108, off offset:-8
	scratch_load_b64 v[2:3], off, off offset:224
	s_wait_loadcnt 0x1
	scratch_store_b64 off, v[0:1], off offset:224
	s_wait_loadcnt 0x0
	scratch_store_b64 v108, v[2:3], off offset:-8
.LBB115_368:
	s_wait_xcnt 0x0
	v_mov_b32_e32 v0, 0
	global_load_b32 v1, v0, s[8:9] offset:108
	s_wait_loadcnt 0x0
	v_cmp_eq_u32_e32 vcc_lo, 28, v1
	s_cbranch_vccnz .LBB115_370
; %bb.369:
	v_lshlrev_b32_e32 v1, 3, v1
	scratch_load_b64 v[2:3], v1, off offset:-8
	scratch_load_b64 v[108:109], off, off offset:216
	s_wait_loadcnt 0x1
	scratch_store_b64 off, v[2:3], off offset:216
	s_wait_loadcnt 0x0
	scratch_store_b64 v1, v[108:109], off offset:-8
.LBB115_370:
	global_load_b32 v0, v0, s[8:9] offset:104
	s_wait_loadcnt 0x0
	v_cmp_eq_u32_e32 vcc_lo, 27, v0
	s_cbranch_vccnz .LBB115_372
; %bb.371:
	s_wait_xcnt 0x0
	v_lshlrev_b32_e32 v0, 3, v0
	s_delay_alu instid0(VALU_DEP_1)
	v_mov_b32_e32 v108, v0
	scratch_load_b64 v[0:1], v108, off offset:-8
	scratch_load_b64 v[2:3], off, off offset:208
	s_wait_loadcnt 0x1
	scratch_store_b64 off, v[0:1], off offset:208
	s_wait_loadcnt 0x0
	scratch_store_b64 v108, v[2:3], off offset:-8
.LBB115_372:
	s_wait_xcnt 0x0
	v_mov_b32_e32 v0, 0
	global_load_b32 v1, v0, s[8:9] offset:100
	s_wait_loadcnt 0x0
	v_cmp_eq_u32_e32 vcc_lo, 26, v1
	s_cbranch_vccnz .LBB115_374
; %bb.373:
	v_lshlrev_b32_e32 v1, 3, v1
	scratch_load_b64 v[2:3], v1, off offset:-8
	scratch_load_b64 v[108:109], off, off offset:200
	s_wait_loadcnt 0x1
	scratch_store_b64 off, v[2:3], off offset:200
	s_wait_loadcnt 0x0
	scratch_store_b64 v1, v[108:109], off offset:-8
.LBB115_374:
	global_load_b32 v0, v0, s[8:9] offset:96
	s_wait_loadcnt 0x0
	v_cmp_eq_u32_e32 vcc_lo, 25, v0
	s_cbranch_vccnz .LBB115_376
; %bb.375:
	s_wait_xcnt 0x0
	v_lshlrev_b32_e32 v0, 3, v0
	s_delay_alu instid0(VALU_DEP_1)
	v_mov_b32_e32 v108, v0
	scratch_load_b64 v[0:1], v108, off offset:-8
	scratch_load_b64 v[2:3], off, off offset:192
	s_wait_loadcnt 0x1
	scratch_store_b64 off, v[0:1], off offset:192
	s_wait_loadcnt 0x0
	scratch_store_b64 v108, v[2:3], off offset:-8
.LBB115_376:
	s_wait_xcnt 0x0
	v_mov_b32_e32 v0, 0
	global_load_b32 v1, v0, s[8:9] offset:92
	s_wait_loadcnt 0x0
	v_cmp_eq_u32_e32 vcc_lo, 24, v1
	s_cbranch_vccnz .LBB115_378
; %bb.377:
	v_lshlrev_b32_e32 v1, 3, v1
	scratch_load_b64 v[2:3], v1, off offset:-8
	scratch_load_b64 v[108:109], off, off offset:184
	s_wait_loadcnt 0x1
	scratch_store_b64 off, v[2:3], off offset:184
	s_wait_loadcnt 0x0
	scratch_store_b64 v1, v[108:109], off offset:-8
.LBB115_378:
	global_load_b32 v0, v0, s[8:9] offset:88
	s_wait_loadcnt 0x0
	v_cmp_eq_u32_e32 vcc_lo, 23, v0
	s_cbranch_vccnz .LBB115_380
; %bb.379:
	s_wait_xcnt 0x0
	v_lshlrev_b32_e32 v0, 3, v0
	s_delay_alu instid0(VALU_DEP_1)
	v_mov_b32_e32 v108, v0
	scratch_load_b64 v[0:1], v108, off offset:-8
	scratch_load_b64 v[2:3], off, off offset:176
	s_wait_loadcnt 0x1
	scratch_store_b64 off, v[0:1], off offset:176
	s_wait_loadcnt 0x0
	scratch_store_b64 v108, v[2:3], off offset:-8
.LBB115_380:
	s_wait_xcnt 0x0
	v_mov_b32_e32 v0, 0
	global_load_b32 v1, v0, s[8:9] offset:84
	s_wait_loadcnt 0x0
	v_cmp_eq_u32_e32 vcc_lo, 22, v1
	s_cbranch_vccnz .LBB115_382
; %bb.381:
	v_lshlrev_b32_e32 v1, 3, v1
	scratch_load_b64 v[2:3], v1, off offset:-8
	scratch_load_b64 v[108:109], off, off offset:168
	s_wait_loadcnt 0x1
	scratch_store_b64 off, v[2:3], off offset:168
	s_wait_loadcnt 0x0
	scratch_store_b64 v1, v[108:109], off offset:-8
.LBB115_382:
	global_load_b32 v0, v0, s[8:9] offset:80
	s_wait_loadcnt 0x0
	v_cmp_eq_u32_e32 vcc_lo, 21, v0
	s_cbranch_vccnz .LBB115_384
; %bb.383:
	s_wait_xcnt 0x0
	v_lshlrev_b32_e32 v0, 3, v0
	s_delay_alu instid0(VALU_DEP_1)
	v_mov_b32_e32 v108, v0
	scratch_load_b64 v[0:1], v108, off offset:-8
	scratch_load_b64 v[2:3], off, off offset:160
	s_wait_loadcnt 0x1
	scratch_store_b64 off, v[0:1], off offset:160
	s_wait_loadcnt 0x0
	scratch_store_b64 v108, v[2:3], off offset:-8
.LBB115_384:
	s_wait_xcnt 0x0
	v_mov_b32_e32 v0, 0
	global_load_b32 v1, v0, s[8:9] offset:76
	s_wait_loadcnt 0x0
	v_cmp_eq_u32_e32 vcc_lo, 20, v1
	s_cbranch_vccnz .LBB115_386
; %bb.385:
	v_lshlrev_b32_e32 v1, 3, v1
	scratch_load_b64 v[2:3], v1, off offset:-8
	scratch_load_b64 v[108:109], off, off offset:152
	s_wait_loadcnt 0x1
	scratch_store_b64 off, v[2:3], off offset:152
	s_wait_loadcnt 0x0
	scratch_store_b64 v1, v[108:109], off offset:-8
.LBB115_386:
	global_load_b32 v0, v0, s[8:9] offset:72
	s_wait_loadcnt 0x0
	v_cmp_eq_u32_e32 vcc_lo, 19, v0
	s_cbranch_vccnz .LBB115_388
; %bb.387:
	s_wait_xcnt 0x0
	v_lshlrev_b32_e32 v0, 3, v0
	s_delay_alu instid0(VALU_DEP_1)
	v_mov_b32_e32 v108, v0
	scratch_load_b64 v[0:1], v108, off offset:-8
	scratch_load_b64 v[2:3], off, off offset:144
	s_wait_loadcnt 0x1
	scratch_store_b64 off, v[0:1], off offset:144
	s_wait_loadcnt 0x0
	scratch_store_b64 v108, v[2:3], off offset:-8
.LBB115_388:
	s_wait_xcnt 0x0
	v_mov_b32_e32 v0, 0
	global_load_b32 v1, v0, s[8:9] offset:68
	s_wait_loadcnt 0x0
	v_cmp_eq_u32_e32 vcc_lo, 18, v1
	s_cbranch_vccnz .LBB115_390
; %bb.389:
	v_lshlrev_b32_e32 v1, 3, v1
	scratch_load_b64 v[2:3], v1, off offset:-8
	scratch_load_b64 v[108:109], off, off offset:136
	s_wait_loadcnt 0x1
	scratch_store_b64 off, v[2:3], off offset:136
	s_wait_loadcnt 0x0
	scratch_store_b64 v1, v[108:109], off offset:-8
.LBB115_390:
	global_load_b32 v0, v0, s[8:9] offset:64
	s_wait_loadcnt 0x0
	v_cmp_eq_u32_e32 vcc_lo, 17, v0
	s_cbranch_vccnz .LBB115_392
; %bb.391:
	s_wait_xcnt 0x0
	v_lshlrev_b32_e32 v0, 3, v0
	s_delay_alu instid0(VALU_DEP_1)
	v_mov_b32_e32 v108, v0
	scratch_load_b64 v[0:1], v108, off offset:-8
	scratch_load_b64 v[2:3], off, off offset:128
	s_wait_loadcnt 0x1
	scratch_store_b64 off, v[0:1], off offset:128
	s_wait_loadcnt 0x0
	scratch_store_b64 v108, v[2:3], off offset:-8
.LBB115_392:
	s_wait_xcnt 0x0
	v_mov_b32_e32 v0, 0
	global_load_b32 v1, v0, s[8:9] offset:60
	s_wait_loadcnt 0x0
	v_cmp_eq_u32_e32 vcc_lo, 16, v1
	s_cbranch_vccnz .LBB115_394
; %bb.393:
	v_lshlrev_b32_e32 v1, 3, v1
	scratch_load_b64 v[2:3], v1, off offset:-8
	scratch_load_b64 v[108:109], off, off offset:120
	s_wait_loadcnt 0x1
	scratch_store_b64 off, v[2:3], off offset:120
	s_wait_loadcnt 0x0
	scratch_store_b64 v1, v[108:109], off offset:-8
.LBB115_394:
	global_load_b32 v0, v0, s[8:9] offset:56
	s_wait_loadcnt 0x0
	v_cmp_eq_u32_e32 vcc_lo, 15, v0
	s_cbranch_vccnz .LBB115_396
; %bb.395:
	s_wait_xcnt 0x0
	v_lshlrev_b32_e32 v0, 3, v0
	s_delay_alu instid0(VALU_DEP_1)
	v_mov_b32_e32 v108, v0
	scratch_load_b64 v[0:1], v108, off offset:-8
	scratch_load_b64 v[2:3], off, off offset:112
	s_wait_loadcnt 0x1
	scratch_store_b64 off, v[0:1], off offset:112
	s_wait_loadcnt 0x0
	scratch_store_b64 v108, v[2:3], off offset:-8
.LBB115_396:
	s_wait_xcnt 0x0
	v_mov_b32_e32 v0, 0
	global_load_b32 v1, v0, s[8:9] offset:52
	s_wait_loadcnt 0x0
	v_cmp_eq_u32_e32 vcc_lo, 14, v1
	s_cbranch_vccnz .LBB115_398
; %bb.397:
	v_lshlrev_b32_e32 v1, 3, v1
	scratch_load_b64 v[2:3], v1, off offset:-8
	scratch_load_b64 v[108:109], off, off offset:104
	s_wait_loadcnt 0x1
	scratch_store_b64 off, v[2:3], off offset:104
	s_wait_loadcnt 0x0
	scratch_store_b64 v1, v[108:109], off offset:-8
.LBB115_398:
	global_load_b32 v0, v0, s[8:9] offset:48
	s_wait_loadcnt 0x0
	v_cmp_eq_u32_e32 vcc_lo, 13, v0
	s_cbranch_vccnz .LBB115_400
; %bb.399:
	s_wait_xcnt 0x0
	v_lshlrev_b32_e32 v0, 3, v0
	s_delay_alu instid0(VALU_DEP_1)
	v_mov_b32_e32 v108, v0
	scratch_load_b64 v[0:1], v108, off offset:-8
	scratch_load_b64 v[2:3], off, off offset:96
	s_wait_loadcnt 0x1
	scratch_store_b64 off, v[0:1], off offset:96
	s_wait_loadcnt 0x0
	scratch_store_b64 v108, v[2:3], off offset:-8
.LBB115_400:
	s_wait_xcnt 0x0
	v_mov_b32_e32 v0, 0
	global_load_b32 v1, v0, s[8:9] offset:44
	s_wait_loadcnt 0x0
	v_cmp_eq_u32_e32 vcc_lo, 12, v1
	s_cbranch_vccnz .LBB115_402
; %bb.401:
	v_lshlrev_b32_e32 v1, 3, v1
	scratch_load_b64 v[2:3], v1, off offset:-8
	scratch_load_b64 v[108:109], off, off offset:88
	s_wait_loadcnt 0x1
	scratch_store_b64 off, v[2:3], off offset:88
	s_wait_loadcnt 0x0
	scratch_store_b64 v1, v[108:109], off offset:-8
.LBB115_402:
	global_load_b32 v0, v0, s[8:9] offset:40
	s_wait_loadcnt 0x0
	v_cmp_eq_u32_e32 vcc_lo, 11, v0
	s_cbranch_vccnz .LBB115_404
; %bb.403:
	s_wait_xcnt 0x0
	v_lshlrev_b32_e32 v0, 3, v0
	s_delay_alu instid0(VALU_DEP_1)
	v_mov_b32_e32 v108, v0
	scratch_load_b64 v[0:1], v108, off offset:-8
	scratch_load_b64 v[2:3], off, off offset:80
	s_wait_loadcnt 0x1
	scratch_store_b64 off, v[0:1], off offset:80
	s_wait_loadcnt 0x0
	scratch_store_b64 v108, v[2:3], off offset:-8
.LBB115_404:
	s_wait_xcnt 0x0
	v_mov_b32_e32 v0, 0
	global_load_b32 v1, v0, s[8:9] offset:36
	s_wait_loadcnt 0x0
	v_cmp_eq_u32_e32 vcc_lo, 10, v1
	s_cbranch_vccnz .LBB115_406
; %bb.405:
	v_lshlrev_b32_e32 v1, 3, v1
	scratch_load_b64 v[2:3], v1, off offset:-8
	scratch_load_b64 v[108:109], off, off offset:72
	s_wait_loadcnt 0x1
	scratch_store_b64 off, v[2:3], off offset:72
	s_wait_loadcnt 0x0
	scratch_store_b64 v1, v[108:109], off offset:-8
.LBB115_406:
	global_load_b32 v0, v0, s[8:9] offset:32
	s_wait_loadcnt 0x0
	v_cmp_eq_u32_e32 vcc_lo, 9, v0
	s_cbranch_vccnz .LBB115_408
; %bb.407:
	s_wait_xcnt 0x0
	v_lshlrev_b32_e32 v0, 3, v0
	s_delay_alu instid0(VALU_DEP_1)
	v_mov_b32_e32 v108, v0
	scratch_load_b64 v[0:1], v108, off offset:-8
	scratch_load_b64 v[2:3], off, off offset:64
	s_wait_loadcnt 0x1
	scratch_store_b64 off, v[0:1], off offset:64
	s_wait_loadcnt 0x0
	scratch_store_b64 v108, v[2:3], off offset:-8
.LBB115_408:
	s_wait_xcnt 0x0
	v_mov_b32_e32 v0, 0
	global_load_b32 v1, v0, s[8:9] offset:28
	s_wait_loadcnt 0x0
	v_cmp_eq_u32_e32 vcc_lo, 8, v1
	s_cbranch_vccnz .LBB115_410
; %bb.409:
	v_lshlrev_b32_e32 v1, 3, v1
	scratch_load_b64 v[2:3], v1, off offset:-8
	scratch_load_b64 v[108:109], off, off offset:56
	s_wait_loadcnt 0x1
	scratch_store_b64 off, v[2:3], off offset:56
	s_wait_loadcnt 0x0
	scratch_store_b64 v1, v[108:109], off offset:-8
.LBB115_410:
	global_load_b32 v0, v0, s[8:9] offset:24
	s_wait_loadcnt 0x0
	v_cmp_eq_u32_e32 vcc_lo, 7, v0
	s_cbranch_vccnz .LBB115_412
; %bb.411:
	s_wait_xcnt 0x0
	v_lshlrev_b32_e32 v0, 3, v0
	s_delay_alu instid0(VALU_DEP_1)
	v_mov_b32_e32 v108, v0
	scratch_load_b64 v[0:1], v108, off offset:-8
	scratch_load_b64 v[2:3], off, off offset:48
	s_wait_loadcnt 0x1
	scratch_store_b64 off, v[0:1], off offset:48
	s_wait_loadcnt 0x0
	scratch_store_b64 v108, v[2:3], off offset:-8
.LBB115_412:
	s_wait_xcnt 0x0
	v_mov_b32_e32 v0, 0
	global_load_b32 v1, v0, s[8:9] offset:20
	s_wait_loadcnt 0x0
	v_cmp_eq_u32_e32 vcc_lo, 6, v1
	s_cbranch_vccnz .LBB115_414
; %bb.413:
	v_lshlrev_b32_e32 v1, 3, v1
	scratch_load_b64 v[2:3], v1, off offset:-8
	scratch_load_b64 v[108:109], off, off offset:40
	s_wait_loadcnt 0x1
	scratch_store_b64 off, v[2:3], off offset:40
	s_wait_loadcnt 0x0
	scratch_store_b64 v1, v[108:109], off offset:-8
.LBB115_414:
	global_load_b32 v0, v0, s[8:9] offset:16
	s_wait_loadcnt 0x0
	v_cmp_eq_u32_e32 vcc_lo, 5, v0
	s_cbranch_vccnz .LBB115_416
; %bb.415:
	s_wait_xcnt 0x0
	v_lshlrev_b32_e32 v0, 3, v0
	s_delay_alu instid0(VALU_DEP_1)
	v_mov_b32_e32 v108, v0
	scratch_load_b64 v[0:1], v108, off offset:-8
	scratch_load_b64 v[2:3], off, off offset:32
	s_wait_loadcnt 0x1
	scratch_store_b64 off, v[0:1], off offset:32
	s_wait_loadcnt 0x0
	scratch_store_b64 v108, v[2:3], off offset:-8
.LBB115_416:
	s_wait_xcnt 0x0
	v_mov_b32_e32 v0, 0
	global_load_b32 v1, v0, s[8:9] offset:12
	s_wait_loadcnt 0x0
	v_cmp_eq_u32_e32 vcc_lo, 4, v1
	s_cbranch_vccnz .LBB115_418
; %bb.417:
	v_lshlrev_b32_e32 v1, 3, v1
	scratch_load_b64 v[2:3], v1, off offset:-8
	scratch_load_b64 v[108:109], off, off offset:24
	s_wait_loadcnt 0x1
	scratch_store_b64 off, v[2:3], off offset:24
	s_wait_loadcnt 0x0
	scratch_store_b64 v1, v[108:109], off offset:-8
.LBB115_418:
	global_load_b32 v0, v0, s[8:9] offset:8
	s_wait_loadcnt 0x0
	v_cmp_eq_u32_e32 vcc_lo, 3, v0
	s_cbranch_vccnz .LBB115_420
; %bb.419:
	s_wait_xcnt 0x0
	v_lshlrev_b32_e32 v0, 3, v0
	s_delay_alu instid0(VALU_DEP_1)
	v_mov_b32_e32 v108, v0
	scratch_load_b64 v[0:1], v108, off offset:-8
	scratch_load_b64 v[2:3], off, off offset:16
	s_wait_loadcnt 0x1
	scratch_store_b64 off, v[0:1], off offset:16
	s_wait_loadcnt 0x0
	scratch_store_b64 v108, v[2:3], off offset:-8
.LBB115_420:
	s_wait_xcnt 0x0
	v_mov_b32_e32 v0, 0
	global_load_b32 v1, v0, s[8:9] offset:4
	s_wait_loadcnt 0x0
	v_cmp_eq_u32_e32 vcc_lo, 2, v1
	s_cbranch_vccnz .LBB115_422
; %bb.421:
	v_lshlrev_b32_e32 v1, 3, v1
	scratch_load_b64 v[2:3], v1, off offset:-8
	scratch_load_b64 v[108:109], off, off offset:8
	s_wait_loadcnt 0x1
	scratch_store_b64 off, v[2:3], off offset:8
	s_wait_loadcnt 0x0
	scratch_store_b64 v1, v[108:109], off offset:-8
.LBB115_422:
	global_load_b32 v0, v0, s[8:9]
	scratch_load_b64 v[108:109], off, off
	s_wait_loadcnt 0x1
	v_cmp_eq_u32_e32 vcc_lo, 1, v0
	s_cbranch_vccnz .LBB115_424
; %bb.423:
	s_wait_xcnt 0x1
	v_lshlrev_b32_e32 v0, 3, v0
	s_delay_alu instid0(VALU_DEP_1)
	v_mov_b32_e32 v2, v0
	scratch_load_b64 v[0:1], v2, off offset:-8
	s_wait_loadcnt 0x0
	scratch_store_b64 off, v[0:1], off
	scratch_store_b64 v2, v[108:109], off offset:-8
	scratch_load_b64 v[108:109], off, off
.LBB115_424:
	s_wait_loadcnt 0x0
	flat_store_b64 v[4:5], v[108:109]
	scratch_load_b64 v[4:5], off, off offset:8
	v_lshl_add_u64 v[156:157], v[8:9], 3, s[2:3]
	v_lshl_add_u64 v[154:155], v[10:11], 3, s[2:3]
	;; [unrolled: 1-line block ×50, first 2 shown]
	s_wait_loadcnt 0x0
	flat_store_b64 v[6:7], v[4:5]
	scratch_load_b64 v[4:5], off, off offset:16
	s_wait_loadcnt 0x0
	flat_store_b64 v[156:157], v[4:5]
	scratch_load_b64 v[4:5], off, off offset:24
	;; [unrolled: 3-line block ×50, first 2 shown]
	s_wait_loadcnt 0x0
	flat_store_b64 v[0:1], v[2:3]
	s_sendmsg sendmsg(MSG_DEALLOC_VGPRS)
	s_endpgm
	.section	.rodata,"a",@progbits
	.p2align	6, 0x0
	.amdhsa_kernel _ZN9rocsolver6v33100L18getri_kernel_smallILi52EdPKPdEEvT1_iilPiilS6_bb
		.amdhsa_group_segment_fixed_size 840
		.amdhsa_private_segment_fixed_size 432
		.amdhsa_kernarg_size 60
		.amdhsa_user_sgpr_count 2
		.amdhsa_user_sgpr_dispatch_ptr 0
		.amdhsa_user_sgpr_queue_ptr 0
		.amdhsa_user_sgpr_kernarg_segment_ptr 1
		.amdhsa_user_sgpr_dispatch_id 0
		.amdhsa_user_sgpr_kernarg_preload_length 0
		.amdhsa_user_sgpr_kernarg_preload_offset 0
		.amdhsa_user_sgpr_private_segment_size 0
		.amdhsa_wavefront_size32 1
		.amdhsa_uses_dynamic_stack 0
		.amdhsa_enable_private_segment 1
		.amdhsa_system_sgpr_workgroup_id_x 1
		.amdhsa_system_sgpr_workgroup_id_y 0
		.amdhsa_system_sgpr_workgroup_id_z 0
		.amdhsa_system_sgpr_workgroup_info 0
		.amdhsa_system_vgpr_workitem_id 0
		.amdhsa_next_free_vgpr 158
		.amdhsa_next_free_sgpr 19
		.amdhsa_named_barrier_count 0
		.amdhsa_reserve_vcc 1
		.amdhsa_float_round_mode_32 0
		.amdhsa_float_round_mode_16_64 0
		.amdhsa_float_denorm_mode_32 3
		.amdhsa_float_denorm_mode_16_64 3
		.amdhsa_fp16_overflow 0
		.amdhsa_memory_ordered 1
		.amdhsa_forward_progress 1
		.amdhsa_inst_pref_size 255
		.amdhsa_round_robin_scheduling 0
		.amdhsa_exception_fp_ieee_invalid_op 0
		.amdhsa_exception_fp_denorm_src 0
		.amdhsa_exception_fp_ieee_div_zero 0
		.amdhsa_exception_fp_ieee_overflow 0
		.amdhsa_exception_fp_ieee_underflow 0
		.amdhsa_exception_fp_ieee_inexact 0
		.amdhsa_exception_int_div_zero 0
	.end_amdhsa_kernel
	.section	.text._ZN9rocsolver6v33100L18getri_kernel_smallILi52EdPKPdEEvT1_iilPiilS6_bb,"axG",@progbits,_ZN9rocsolver6v33100L18getri_kernel_smallILi52EdPKPdEEvT1_iilPiilS6_bb,comdat
.Lfunc_end115:
	.size	_ZN9rocsolver6v33100L18getri_kernel_smallILi52EdPKPdEEvT1_iilPiilS6_bb, .Lfunc_end115-_ZN9rocsolver6v33100L18getri_kernel_smallILi52EdPKPdEEvT1_iilPiilS6_bb
                                        ; -- End function
	.set _ZN9rocsolver6v33100L18getri_kernel_smallILi52EdPKPdEEvT1_iilPiilS6_bb.num_vgpr, 158
	.set _ZN9rocsolver6v33100L18getri_kernel_smallILi52EdPKPdEEvT1_iilPiilS6_bb.num_agpr, 0
	.set _ZN9rocsolver6v33100L18getri_kernel_smallILi52EdPKPdEEvT1_iilPiilS6_bb.numbered_sgpr, 19
	.set _ZN9rocsolver6v33100L18getri_kernel_smallILi52EdPKPdEEvT1_iilPiilS6_bb.num_named_barrier, 0
	.set _ZN9rocsolver6v33100L18getri_kernel_smallILi52EdPKPdEEvT1_iilPiilS6_bb.private_seg_size, 432
	.set _ZN9rocsolver6v33100L18getri_kernel_smallILi52EdPKPdEEvT1_iilPiilS6_bb.uses_vcc, 1
	.set _ZN9rocsolver6v33100L18getri_kernel_smallILi52EdPKPdEEvT1_iilPiilS6_bb.uses_flat_scratch, 1
	.set _ZN9rocsolver6v33100L18getri_kernel_smallILi52EdPKPdEEvT1_iilPiilS6_bb.has_dyn_sized_stack, 0
	.set _ZN9rocsolver6v33100L18getri_kernel_smallILi52EdPKPdEEvT1_iilPiilS6_bb.has_recursion, 0
	.set _ZN9rocsolver6v33100L18getri_kernel_smallILi52EdPKPdEEvT1_iilPiilS6_bb.has_indirect_call, 0
	.section	.AMDGPU.csdata,"",@progbits
; Kernel info:
; codeLenInByte = 51248
; TotalNumSgprs: 21
; NumVgprs: 158
; ScratchSize: 432
; MemoryBound: 0
; FloatMode: 240
; IeeeMode: 1
; LDSByteSize: 840 bytes/workgroup (compile time only)
; SGPRBlocks: 0
; VGPRBlocks: 9
; NumSGPRsForWavesPerEU: 21
; NumVGPRsForWavesPerEU: 158
; NamedBarCnt: 0
; Occupancy: 6
; WaveLimiterHint : 1
; COMPUTE_PGM_RSRC2:SCRATCH_EN: 1
; COMPUTE_PGM_RSRC2:USER_SGPR: 2
; COMPUTE_PGM_RSRC2:TRAP_HANDLER: 0
; COMPUTE_PGM_RSRC2:TGID_X_EN: 1
; COMPUTE_PGM_RSRC2:TGID_Y_EN: 0
; COMPUTE_PGM_RSRC2:TGID_Z_EN: 0
; COMPUTE_PGM_RSRC2:TIDIG_COMP_CNT: 0
	.section	.text._ZN9rocsolver6v33100L18getri_kernel_smallILi53EdPKPdEEvT1_iilPiilS6_bb,"axG",@progbits,_ZN9rocsolver6v33100L18getri_kernel_smallILi53EdPKPdEEvT1_iilPiilS6_bb,comdat
	.globl	_ZN9rocsolver6v33100L18getri_kernel_smallILi53EdPKPdEEvT1_iilPiilS6_bb ; -- Begin function _ZN9rocsolver6v33100L18getri_kernel_smallILi53EdPKPdEEvT1_iilPiilS6_bb
	.p2align	8
	.type	_ZN9rocsolver6v33100L18getri_kernel_smallILi53EdPKPdEEvT1_iilPiilS6_bb,@function
_ZN9rocsolver6v33100L18getri_kernel_smallILi53EdPKPdEEvT1_iilPiilS6_bb: ; @_ZN9rocsolver6v33100L18getri_kernel_smallILi53EdPKPdEEvT1_iilPiilS6_bb
; %bb.0:
	s_mov_b32 s2, exec_lo
	v_cmpx_gt_u32_e32 53, v0
	s_cbranch_execz .LBB116_222
; %bb.1:
	s_clause 0x1
	s_load_b32 s13, s[0:1], 0x38
	s_load_b64 s[2:3], s[0:1], 0x0
	s_getreg_b32 s6, hwreg(HW_REG_IB_STS2, 6, 4)
	s_wait_kmcnt 0x0
	s_bitcmp1_b32 s13, 8
	s_cselect_b32 s12, -1, 0
	s_bfe_u32 s4, ttmp6, 0x4000c
	s_and_b32 s5, ttmp6, 15
	s_add_co_i32 s4, s4, 1
	s_delay_alu instid0(SALU_CYCLE_1) | instskip(NEXT) | instid1(SALU_CYCLE_1)
	s_mul_i32 s4, ttmp9, s4
	s_add_co_i32 s5, s5, s4
	s_cmp_eq_u32 s6, 0
	s_cselect_b32 s10, ttmp9, s5
	s_load_b128 s[4:7], s[0:1], 0x28
	s_ashr_i32 s11, s10, 31
	s_delay_alu instid0(SALU_CYCLE_1) | instskip(NEXT) | instid1(SALU_CYCLE_1)
	s_lshl_b64 s[8:9], s[10:11], 3
	s_add_nc_u64 s[2:3], s[2:3], s[8:9]
	s_bfe_u32 s8, s13, 0x10008
	s_load_b64 s[2:3], s[2:3], 0x0
	s_cmp_eq_u32 s8, 0
                                        ; implicit-def: $sgpr8_sgpr9
	s_cbranch_scc1 .LBB116_3
; %bb.2:
	s_load_b96 s[16:18], s[0:1], 0x18
	s_wait_kmcnt 0x0
	s_mul_u64 s[4:5], s[4:5], s[10:11]
	s_delay_alu instid0(SALU_CYCLE_1) | instskip(SKIP_4) | instid1(SALU_CYCLE_1)
	s_lshl_b64 s[4:5], s[4:5], 2
	s_ashr_i32 s9, s18, 31
	s_mov_b32 s8, s18
	s_add_nc_u64 s[4:5], s[16:17], s[4:5]
	s_lshl_b64 s[8:9], s[8:9], 2
	s_add_nc_u64 s[8:9], s[4:5], s[8:9]
.LBB116_3:
	s_wait_kmcnt 0x0
	s_clause 0x1
	s_load_b64 s[4:5], s[0:1], 0x8
	s_load_b32 s13, s[0:1], 0x38
	v_dual_mov_b32 v3, 0 :: v_dual_lshlrev_b32 v2, 3, v0
	s_wait_kmcnt 0x0
	s_ashr_i32 s1, s4, 31
	s_mov_b32 s0, s4
	s_delay_alu instid0(SALU_CYCLE_1) | instskip(NEXT) | instid1(SALU_CYCLE_1)
	s_lshl_b64 s[0:1], s[0:1], 3
	s_add_nc_u64 s[2:3], s[2:3], s[0:1]
	s_ashr_i32 s1, s5, 31
	flat_load_b64 v[8:9], v0, s[2:3] scale_offset
	v_add_nc_u64_e32 v[4:5], s[2:3], v[2:3]
	s_mov_b32 s0, s5
	s_bitcmp0_b32 s13, 0
	s_delay_alu instid0(VALU_DEP_1)
	v_lshl_add_u64 v[6:7], s[0:1], 3, v[4:5]
	s_mov_b32 s1, -1
	s_wait_loadcnt_dscnt 0x0
	scratch_store_b64 off, v[8:9], off
	flat_load_b64 v[10:11], v[6:7]
	s_wait_xcnt 0x1
	v_add3_u32 v8, s5, s5, v0
	s_wait_loadcnt_dscnt 0x0
	scratch_store_b64 off, v[10:11], off offset:8
	flat_load_b64 v[12:13], v8, s[2:3] scale_offset
	s_wait_xcnt 0x1
	v_add_nc_u32_e32 v10, s5, v8
	s_wait_loadcnt_dscnt 0x0
	scratch_store_b64 off, v[12:13], off offset:16
	flat_load_b64 v[14:15], v10, s[2:3] scale_offset
	s_wait_xcnt 0x1
	v_add_nc_u32_e32 v12, s5, v10
	;; [unrolled: 5-line block ×50, first 2 shown]
	s_wait_loadcnt_dscnt 0x0
	scratch_store_b64 off, v[110:111], off offset:408
	flat_load_b64 v[110:111], v108, s[2:3] scale_offset
	s_wait_loadcnt_dscnt 0x0
	scratch_store_b64 off, v[110:111], off offset:416
	s_cbranch_scc1 .LBB116_220
; %bb.4:
	v_cmp_eq_u32_e64 s0, 0, v0
	s_wait_xcnt 0x0
	s_and_saveexec_b32 s1, s0
; %bb.5:
	v_mov_b32_e32 v1, 0
	ds_store_b32 v1, v1 offset:424
; %bb.6:
	s_or_b32 exec_lo, exec_lo, s1
	s_wait_storecnt_dscnt 0x0
	s_barrier_signal -1
	s_barrier_wait -1
	scratch_load_b64 v[110:111], v0, off scale_offset
	s_mov_b32 s4, exec_lo
	s_wait_loadcnt 0x0
	v_cmpx_eq_f64_e32 0, v[110:111]
	s_cbranch_execz .LBB116_10
; %bb.7:
	v_mov_b32_e32 v1, 0
	s_mov_b32 s5, 0
	ds_load_b32 v3, v1 offset:424
	s_wait_dscnt 0x0
	v_readfirstlane_b32 s1, v3
	v_add_nc_u32_e32 v3, 1, v0
	s_cmp_eq_u32 s1, 0
	s_delay_alu instid0(VALU_DEP_1) | instskip(SKIP_1) | instid1(SALU_CYCLE_1)
	v_cmp_gt_i32_e32 vcc_lo, s1, v3
	s_cselect_b32 s13, -1, 0
	s_or_b32 s13, s13, vcc_lo
	s_delay_alu instid0(SALU_CYCLE_1)
	s_and_b32 exec_lo, exec_lo, s13
	s_cbranch_execz .LBB116_10
; %bb.8:
	v_mov_b32_e32 v9, s1
.LBB116_9:                              ; =>This Inner Loop Header: Depth=1
	ds_cmpstore_rtn_b32 v9, v1, v3, v9 offset:424
	s_wait_dscnt 0x0
	v_cmp_ne_u32_e32 vcc_lo, 0, v9
	v_cmp_le_i32_e64 s1, v9, v3
	s_and_b32 s1, vcc_lo, s1
	s_delay_alu instid0(SALU_CYCLE_1) | instskip(NEXT) | instid1(SALU_CYCLE_1)
	s_and_b32 s1, exec_lo, s1
	s_or_b32 s5, s1, s5
	s_delay_alu instid0(SALU_CYCLE_1)
	s_and_not1_b32 exec_lo, exec_lo, s5
	s_cbranch_execnz .LBB116_9
.LBB116_10:
	s_or_b32 exec_lo, exec_lo, s4
	v_mov_b32_e32 v1, 0
	s_barrier_signal -1
	s_barrier_wait -1
	ds_load_b32 v3, v1 offset:424
	s_and_saveexec_b32 s1, s0
	s_cbranch_execz .LBB116_12
; %bb.11:
	s_lshl_b64 s[4:5], s[10:11], 2
	s_delay_alu instid0(SALU_CYCLE_1)
	s_add_nc_u64 s[4:5], s[6:7], s[4:5]
	s_wait_dscnt 0x0
	global_store_b32 v1, v3, s[4:5]
.LBB116_12:
	s_wait_xcnt 0x0
	s_or_b32 exec_lo, exec_lo, s1
	s_wait_dscnt 0x0
	v_cmp_ne_u32_e32 vcc_lo, 0, v3
	s_mov_b32 s1, 0
	s_cbranch_vccnz .LBB116_220
; %bb.13:
	v_lshl_add_u32 v3, v0, 3, 0
	v_add_nc_u32_e32 v1, 0x1b0, v2
	scratch_load_b64 v[110:111], v3, off
	s_wait_loadcnt 0x0
	v_div_scale_f64 v[112:113], null, v[110:111], v[110:111], 1.0
	v_div_scale_f64 v[118:119], vcc_lo, 1.0, v[110:111], 1.0
	s_delay_alu instid0(VALU_DEP_2) | instskip(SKIP_1) | instid1(TRANS32_DEP_1)
	v_rcp_f64_e32 v[114:115], v[112:113]
	v_nop
	v_fma_f64 v[116:117], -v[112:113], v[114:115], 1.0
	s_delay_alu instid0(VALU_DEP_1) | instskip(NEXT) | instid1(VALU_DEP_1)
	v_fmac_f64_e32 v[114:115], v[114:115], v[116:117]
	v_fma_f64 v[116:117], -v[112:113], v[114:115], 1.0
	s_delay_alu instid0(VALU_DEP_1) | instskip(NEXT) | instid1(VALU_DEP_1)
	v_fmac_f64_e32 v[114:115], v[114:115], v[116:117]
	v_mul_f64_e32 v[116:117], v[118:119], v[114:115]
	s_delay_alu instid0(VALU_DEP_1) | instskip(NEXT) | instid1(VALU_DEP_1)
	v_fma_f64 v[112:113], -v[112:113], v[116:117], v[118:119]
	v_div_fmas_f64 v[112:113], v[112:113], v[114:115], v[116:117]
	s_delay_alu instid0(VALU_DEP_1)
	v_div_fixup_f64 v[110:111], v[112:113], v[110:111], 1.0
	scratch_store_b64 v3, v[110:111], off
	scratch_load_b64 v[112:113], off, off offset:8
	s_wait_xcnt 0x1
	v_xor_b32_e32 v111, 0x80000000, v111
	s_wait_loadcnt 0x0
	ds_store_2addr_b64 v2, v[110:111], v[112:113] offset1:54
	s_wait_storecnt_dscnt 0x0
	s_barrier_signal -1
	s_barrier_wait -1
	s_wait_xcnt 0x0
	s_and_saveexec_b32 s1, s0
	s_cbranch_execz .LBB116_15
; %bb.14:
	scratch_load_b64 v[110:111], v3, off
	ds_load_b64 v[112:113], v1
	s_wait_loadcnt_dscnt 0x0
	v_fma_f64 v[110:111], v[110:111], v[112:113], 0
	v_mov_b32_e32 v9, 0
	ds_load_b64 v[114:115], v9 offset:8
	s_wait_dscnt 0x0
	v_mul_f64_e32 v[110:111], v[110:111], v[114:115]
	scratch_store_b64 off, v[110:111], off offset:8
.LBB116_15:
	s_wait_xcnt 0x0
	s_or_b32 exec_lo, exec_lo, s1
	s_wait_storecnt 0x0
	s_barrier_signal -1
	s_barrier_wait -1
	scratch_load_b64 v[110:111], off, off offset:16
	s_mov_b32 s1, exec_lo
	s_wait_loadcnt 0x0
	ds_store_b64 v1, v[110:111]
	s_wait_dscnt 0x0
	s_barrier_signal -1
	s_barrier_wait -1
	v_cmpx_gt_u32_e32 2, v0
	s_cbranch_execz .LBB116_19
; %bb.16:
	scratch_load_b64 v[110:111], v3, off
	ds_load_b64 v[112:113], v1
	s_wait_loadcnt_dscnt 0x0
	v_fma_f64 v[110:111], v[110:111], v[112:113], 0
	s_and_saveexec_b32 s4, s0
	s_cbranch_execz .LBB116_18
; %bb.17:
	scratch_load_b64 v[112:113], off, off offset:8
	v_mov_b32_e32 v3, 0
	ds_load_b64 v[114:115], v3 offset:440
	s_wait_loadcnt_dscnt 0x0
	v_fmac_f64_e32 v[110:111], v[112:113], v[114:115]
.LBB116_18:
	s_or_b32 exec_lo, exec_lo, s4
	v_mov_b32_e32 v3, 0
	ds_load_b64 v[112:113], v3 offset:16
	s_wait_dscnt 0x0
	v_mul_f64_e32 v[110:111], v[110:111], v[112:113]
	scratch_store_b64 off, v[110:111], off offset:16
.LBB116_19:
	s_wait_xcnt 0x0
	s_or_b32 exec_lo, exec_lo, s1
	s_wait_storecnt 0x0
	s_barrier_signal -1
	s_barrier_wait -1
	scratch_load_b64 v[110:111], off, off offset:24
	v_add_nc_u32_e32 v3, -1, v0
	s_mov_b32 s0, exec_lo
	s_wait_loadcnt 0x0
	ds_store_b64 v1, v[110:111]
	s_wait_dscnt 0x0
	s_barrier_signal -1
	s_barrier_wait -1
	v_cmpx_gt_u32_e32 3, v0
	s_cbranch_execz .LBB116_23
; %bb.20:
	v_mov_b64_e32 v[110:111], 0
	v_dual_add_nc_u32 v9, -1, v0 :: v_dual_mov_b32 v13, v2
	v_add_nc_u32_e32 v11, 0x1b0, v2
	s_mov_b32 s1, 0
.LBB116_21:                             ; =>This Inner Loop Header: Depth=1
	scratch_load_b64 v[112:113], v13, off
	ds_load_b64 v[114:115], v11
	v_dual_add_nc_u32 v9, 1, v9 :: v_dual_add_nc_u32 v11, 8, v11
	s_wait_xcnt 0x0
	v_add_nc_u32_e32 v13, 8, v13
	s_delay_alu instid0(VALU_DEP_2)
	v_cmp_lt_u32_e32 vcc_lo, 1, v9
	s_or_b32 s1, vcc_lo, s1
	s_wait_loadcnt_dscnt 0x0
	v_fmac_f64_e32 v[110:111], v[112:113], v[114:115]
	s_and_not1_b32 exec_lo, exec_lo, s1
	s_cbranch_execnz .LBB116_21
; %bb.22:
	s_or_b32 exec_lo, exec_lo, s1
	v_mov_b32_e32 v9, 0
	ds_load_b64 v[112:113], v9 offset:24
	s_wait_dscnt 0x0
	v_mul_f64_e32 v[110:111], v[110:111], v[112:113]
	scratch_store_b64 off, v[110:111], off offset:24
.LBB116_23:
	s_wait_xcnt 0x0
	s_or_b32 exec_lo, exec_lo, s0
	s_wait_storecnt 0x0
	s_barrier_signal -1
	s_barrier_wait -1
	scratch_load_b64 v[110:111], off, off offset:32
	s_mov_b32 s0, exec_lo
	s_wait_loadcnt 0x0
	ds_store_b64 v1, v[110:111]
	s_wait_dscnt 0x0
	s_barrier_signal -1
	s_barrier_wait -1
	v_cmpx_gt_u32_e32 4, v0
	s_cbranch_execz .LBB116_27
; %bb.24:
	v_mov_b64_e32 v[110:111], 0
	v_dual_add_nc_u32 v9, -1, v0 :: v_dual_mov_b32 v13, v2
	v_add_nc_u32_e32 v11, 0x1b0, v2
	s_mov_b32 s1, 0
.LBB116_25:                             ; =>This Inner Loop Header: Depth=1
	scratch_load_b64 v[112:113], v13, off
	ds_load_b64 v[114:115], v11
	v_dual_add_nc_u32 v9, 1, v9 :: v_dual_add_nc_u32 v11, 8, v11
	s_wait_xcnt 0x0
	v_add_nc_u32_e32 v13, 8, v13
	s_delay_alu instid0(VALU_DEP_2)
	v_cmp_lt_u32_e32 vcc_lo, 2, v9
	s_or_b32 s1, vcc_lo, s1
	s_wait_loadcnt_dscnt 0x0
	v_fmac_f64_e32 v[110:111], v[112:113], v[114:115]
	s_and_not1_b32 exec_lo, exec_lo, s1
	s_cbranch_execnz .LBB116_25
; %bb.26:
	s_or_b32 exec_lo, exec_lo, s1
	v_mov_b32_e32 v9, 0
	ds_load_b64 v[112:113], v9 offset:32
	s_wait_dscnt 0x0
	v_mul_f64_e32 v[110:111], v[110:111], v[112:113]
	scratch_store_b64 off, v[110:111], off offset:32
.LBB116_27:
	s_wait_xcnt 0x0
	s_or_b32 exec_lo, exec_lo, s0
	s_wait_storecnt 0x0
	s_barrier_signal -1
	s_barrier_wait -1
	scratch_load_b64 v[110:111], off, off offset:40
	;; [unrolled: 40-line block ×20, first 2 shown]
	s_mov_b32 s0, exec_lo
	s_wait_loadcnt 0x0
	ds_store_b64 v1, v[110:111]
	s_wait_dscnt 0x0
	s_barrier_signal -1
	s_barrier_wait -1
	v_cmpx_gt_u32_e32 23, v0
	s_cbranch_execz .LBB116_103
; %bb.100:
	v_mov_b64_e32 v[110:111], 0
	v_dual_add_nc_u32 v9, -1, v0 :: v_dual_mov_b32 v13, v2
	v_add_nc_u32_e32 v11, 0x1b0, v2
	s_mov_b32 s1, 0
.LBB116_101:                            ; =>This Inner Loop Header: Depth=1
	scratch_load_b64 v[112:113], v13, off
	ds_load_b64 v[114:115], v11
	v_dual_add_nc_u32 v9, 1, v9 :: v_dual_add_nc_u32 v11, 8, v11
	s_wait_xcnt 0x0
	v_add_nc_u32_e32 v13, 8, v13
	s_delay_alu instid0(VALU_DEP_2)
	v_cmp_lt_u32_e32 vcc_lo, 21, v9
	s_or_b32 s1, vcc_lo, s1
	s_wait_loadcnt_dscnt 0x0
	v_fmac_f64_e32 v[110:111], v[112:113], v[114:115]
	s_and_not1_b32 exec_lo, exec_lo, s1
	s_cbranch_execnz .LBB116_101
; %bb.102:
	s_or_b32 exec_lo, exec_lo, s1
	v_mov_b32_e32 v9, 0
	ds_load_b64 v[112:113], v9 offset:184
	s_wait_dscnt 0x0
	v_mul_f64_e32 v[110:111], v[110:111], v[112:113]
	scratch_store_b64 off, v[110:111], off offset:184
.LBB116_103:
	s_wait_xcnt 0x0
	s_or_b32 exec_lo, exec_lo, s0
	s_wait_storecnt 0x0
	s_barrier_signal -1
	s_barrier_wait -1
	scratch_load_b64 v[110:111], off, off offset:192
	s_mov_b32 s0, exec_lo
	s_wait_loadcnt 0x0
	ds_store_b64 v1, v[110:111]
	s_wait_dscnt 0x0
	s_barrier_signal -1
	s_barrier_wait -1
	v_cmpx_gt_u32_e32 24, v0
	s_cbranch_execz .LBB116_107
; %bb.104:
	v_mov_b64_e32 v[110:111], 0
	v_dual_add_nc_u32 v9, -1, v0 :: v_dual_mov_b32 v13, v2
	v_add_nc_u32_e32 v11, 0x1b0, v2
	s_mov_b32 s1, 0
.LBB116_105:                            ; =>This Inner Loop Header: Depth=1
	scratch_load_b64 v[112:113], v13, off
	ds_load_b64 v[114:115], v11
	v_dual_add_nc_u32 v9, 1, v9 :: v_dual_add_nc_u32 v11, 8, v11
	s_wait_xcnt 0x0
	v_add_nc_u32_e32 v13, 8, v13
	s_delay_alu instid0(VALU_DEP_2)
	v_cmp_lt_u32_e32 vcc_lo, 22, v9
	s_or_b32 s1, vcc_lo, s1
	s_wait_loadcnt_dscnt 0x0
	v_fmac_f64_e32 v[110:111], v[112:113], v[114:115]
	s_and_not1_b32 exec_lo, exec_lo, s1
	s_cbranch_execnz .LBB116_105
; %bb.106:
	s_or_b32 exec_lo, exec_lo, s1
	v_mov_b32_e32 v9, 0
	ds_load_b64 v[112:113], v9 offset:192
	s_wait_dscnt 0x0
	v_mul_f64_e32 v[110:111], v[110:111], v[112:113]
	scratch_store_b64 off, v[110:111], off offset:192
.LBB116_107:
	s_wait_xcnt 0x0
	s_or_b32 exec_lo, exec_lo, s0
	s_wait_storecnt 0x0
	s_barrier_signal -1
	s_barrier_wait -1
	scratch_load_b64 v[110:111], off, off offset:200
	;; [unrolled: 40-line block ×29, first 2 shown]
	s_mov_b32 s0, exec_lo
	s_wait_loadcnt 0x0
	ds_store_b64 v1, v[110:111]
	s_wait_dscnt 0x0
	s_barrier_signal -1
	s_barrier_wait -1
	v_cmpx_ne_u32_e32 52, v0
	s_cbranch_execz .LBB116_219
; %bb.216:
	v_mov_b64_e32 v[110:111], 0
	s_mov_b32 s1, 0
.LBB116_217:                            ; =>This Inner Loop Header: Depth=1
	scratch_load_b64 v[112:113], v2, off
	ds_load_b64 v[114:115], v1
	v_dual_add_nc_u32 v3, 1, v3 :: v_dual_add_nc_u32 v1, 8, v1
	s_wait_xcnt 0x0
	v_add_nc_u32_e32 v2, 8, v2
	s_delay_alu instid0(VALU_DEP_2)
	v_cmp_lt_u32_e32 vcc_lo, 50, v3
	s_or_b32 s1, vcc_lo, s1
	s_wait_loadcnt_dscnt 0x0
	v_fmac_f64_e32 v[110:111], v[112:113], v[114:115]
	s_and_not1_b32 exec_lo, exec_lo, s1
	s_cbranch_execnz .LBB116_217
; %bb.218:
	s_or_b32 exec_lo, exec_lo, s1
	v_mov_b32_e32 v1, 0
	ds_load_b64 v[2:3], v1 offset:416
	s_wait_dscnt 0x0
	v_mul_f64_e32 v[2:3], v[110:111], v[2:3]
	scratch_store_b64 off, v[2:3], off offset:416
.LBB116_219:
	s_wait_xcnt 0x0
	s_or_b32 exec_lo, exec_lo, s0
	s_mov_b32 s1, -1
	s_wait_storecnt 0x0
	s_barrier_signal -1
	s_barrier_wait -1
.LBB116_220:
	s_and_b32 vcc_lo, exec_lo, s1
	s_cbranch_vccz .LBB116_222
; %bb.221:
	v_mov_b32_e32 v1, 0
	s_lshl_b64 s[0:1], s[10:11], 2
	s_delay_alu instid0(SALU_CYCLE_1)
	s_add_nc_u64 s[0:1], s[6:7], s[0:1]
	global_load_b32 v1, v1, s[0:1]
	s_wait_loadcnt 0x0
	v_cmp_ne_u32_e32 vcc_lo, 0, v1
	s_cbranch_vccz .LBB116_223
.LBB116_222:
	s_sendmsg sendmsg(MSG_DEALLOC_VGPRS)
	s_endpgm
.LBB116_223:
	s_wait_xcnt 0x0
	v_lshl_add_u32 v1, v0, 3, 0x1b0
	s_mov_b32 s0, exec_lo
	v_cmpx_eq_u32_e32 52, v0
	s_cbranch_execz .LBB116_225
; %bb.224:
	scratch_load_b64 v[2:3], off, off offset:408
	v_mov_b64_e32 v[110:111], 0
	scratch_store_b64 off, v[110:111], off offset:408
	s_wait_loadcnt 0x0
	ds_store_b64 v1, v[2:3]
.LBB116_225:
	s_wait_xcnt 0x0
	s_or_b32 exec_lo, exec_lo, s0
	s_wait_storecnt_dscnt 0x0
	s_barrier_signal -1
	s_barrier_wait -1
	scratch_load_b128 v[110:113], off, off offset:408
	v_mov_b32_e32 v2, 0
	s_mov_b32 s0, exec_lo
	ds_load_b64 v[114:115], v2 offset:848
	s_wait_loadcnt_dscnt 0x0
	v_fma_f64 v[112:113], v[112:113], v[114:115], 0
	s_delay_alu instid0(VALU_DEP_1)
	v_add_f64_e64 v[110:111], v[110:111], -v[112:113]
	scratch_store_b64 off, v[110:111], off offset:408
	s_wait_xcnt 0x0
	v_cmpx_lt_u32_e32 50, v0
	s_cbranch_execz .LBB116_227
; %bb.226:
	scratch_load_b64 v[110:111], off, off offset:400
	v_mov_b64_e32 v[112:113], 0
	scratch_store_b64 off, v[112:113], off offset:400
	s_wait_loadcnt 0x0
	ds_store_b64 v1, v[110:111]
.LBB116_227:
	s_wait_xcnt 0x0
	s_or_b32 exec_lo, exec_lo, s0
	s_wait_storecnt_dscnt 0x0
	s_barrier_signal -1
	s_barrier_wait -1
	s_clause 0x1
	scratch_load_b128 v[110:113], off, off offset:400
	scratch_load_b64 v[118:119], off, off offset:416
	ds_load_2addr_b64 v[114:117], v2 offset0:105 offset1:106
	s_mov_b32 s0, exec_lo
	s_wait_loadcnt_dscnt 0x100
	v_fma_f64 v[2:3], v[112:113], v[114:115], 0
	s_wait_loadcnt 0x0
	s_delay_alu instid0(VALU_DEP_1) | instskip(NEXT) | instid1(VALU_DEP_1)
	v_fmac_f64_e32 v[2:3], v[118:119], v[116:117]
	v_add_f64_e64 v[2:3], v[110:111], -v[2:3]
	scratch_store_b64 off, v[2:3], off offset:400
	s_wait_xcnt 0x0
	v_cmpx_lt_u32_e32 49, v0
	s_cbranch_execz .LBB116_229
; %bb.228:
	scratch_load_b64 v[2:3], off, off offset:392
	v_mov_b64_e32 v[110:111], 0
	scratch_store_b64 off, v[110:111], off offset:392
	s_wait_loadcnt 0x0
	ds_store_b64 v1, v[2:3]
.LBB116_229:
	s_wait_xcnt 0x0
	s_or_b32 exec_lo, exec_lo, s0
	s_wait_storecnt_dscnt 0x0
	s_barrier_signal -1
	s_barrier_wait -1
	s_clause 0x1
	scratch_load_b128 v[110:113], off, off offset:392
	scratch_load_b128 v[114:117], off, off offset:408
	v_mov_b32_e32 v2, 0
	ds_load_b128 v[118:121], v2 offset:832
	ds_load_b64 v[122:123], v2 offset:848
	s_mov_b32 s0, exec_lo
	s_wait_loadcnt_dscnt 0x101
	v_fma_f64 v[112:113], v[112:113], v[118:119], 0
	s_wait_loadcnt 0x0
	s_delay_alu instid0(VALU_DEP_1) | instskip(SKIP_1) | instid1(VALU_DEP_1)
	v_fmac_f64_e32 v[112:113], v[114:115], v[120:121]
	s_wait_dscnt 0x0
	v_fmac_f64_e32 v[112:113], v[116:117], v[122:123]
	s_delay_alu instid0(VALU_DEP_1)
	v_add_f64_e64 v[110:111], v[110:111], -v[112:113]
	scratch_store_b64 off, v[110:111], off offset:392
	s_wait_xcnt 0x0
	v_cmpx_lt_u32_e32 48, v0
	s_cbranch_execz .LBB116_231
; %bb.230:
	scratch_load_b64 v[110:111], off, off offset:384
	v_mov_b64_e32 v[112:113], 0
	scratch_store_b64 off, v[112:113], off offset:384
	s_wait_loadcnt 0x0
	ds_store_b64 v1, v[110:111]
.LBB116_231:
	s_wait_xcnt 0x0
	s_or_b32 exec_lo, exec_lo, s0
	s_wait_storecnt_dscnt 0x0
	s_barrier_signal -1
	s_barrier_wait -1
	s_clause 0x2
	scratch_load_b128 v[110:113], off, off offset:384
	scratch_load_b128 v[114:117], off, off offset:400
	scratch_load_b64 v[126:127], off, off offset:416
	ds_load_2addr_b64 v[118:121], v2 offset0:103 offset1:104
	ds_load_2addr_b64 v[122:125], v2 offset0:105 offset1:106
	s_mov_b32 s0, exec_lo
	s_wait_loadcnt_dscnt 0x201
	v_fma_f64 v[2:3], v[112:113], v[118:119], 0
	s_wait_loadcnt 0x1
	s_delay_alu instid0(VALU_DEP_1) | instskip(SKIP_1) | instid1(VALU_DEP_1)
	v_fmac_f64_e32 v[2:3], v[114:115], v[120:121]
	s_wait_dscnt 0x0
	v_fmac_f64_e32 v[2:3], v[116:117], v[122:123]
	s_wait_loadcnt 0x0
	s_delay_alu instid0(VALU_DEP_1) | instskip(NEXT) | instid1(VALU_DEP_1)
	v_fmac_f64_e32 v[2:3], v[126:127], v[124:125]
	v_add_f64_e64 v[2:3], v[110:111], -v[2:3]
	scratch_store_b64 off, v[2:3], off offset:384
	s_wait_xcnt 0x0
	v_cmpx_lt_u32_e32 47, v0
	s_cbranch_execz .LBB116_233
; %bb.232:
	scratch_load_b64 v[2:3], off, off offset:376
	v_mov_b64_e32 v[110:111], 0
	scratch_store_b64 off, v[110:111], off offset:376
	s_wait_loadcnt 0x0
	ds_store_b64 v1, v[2:3]
.LBB116_233:
	s_wait_xcnt 0x0
	s_or_b32 exec_lo, exec_lo, s0
	s_wait_storecnt_dscnt 0x0
	s_barrier_signal -1
	s_barrier_wait -1
	s_clause 0x2
	scratch_load_b128 v[110:113], off, off offset:376
	scratch_load_b128 v[114:117], off, off offset:392
	;; [unrolled: 1-line block ×3, first 2 shown]
	v_mov_b32_e32 v2, 0
	ds_load_b128 v[122:125], v2 offset:816
	ds_load_b128 v[126:129], v2 offset:832
	s_mov_b32 s0, exec_lo
	s_wait_loadcnt_dscnt 0x201
	v_fma_f64 v[112:113], v[112:113], v[122:123], 0
	s_wait_loadcnt 0x1
	s_delay_alu instid0(VALU_DEP_1) | instskip(SKIP_4) | instid1(VALU_DEP_1)
	v_fmac_f64_e32 v[112:113], v[114:115], v[124:125]
	ds_load_b64 v[114:115], v2 offset:848
	s_wait_dscnt 0x1
	v_fmac_f64_e32 v[112:113], v[116:117], v[126:127]
	s_wait_loadcnt 0x0
	v_fmac_f64_e32 v[112:113], v[118:119], v[128:129]
	s_wait_dscnt 0x0
	s_delay_alu instid0(VALU_DEP_1) | instskip(NEXT) | instid1(VALU_DEP_1)
	v_fmac_f64_e32 v[112:113], v[120:121], v[114:115]
	v_add_f64_e64 v[110:111], v[110:111], -v[112:113]
	scratch_store_b64 off, v[110:111], off offset:376
	s_wait_xcnt 0x0
	v_cmpx_lt_u32_e32 46, v0
	s_cbranch_execz .LBB116_235
; %bb.234:
	scratch_load_b64 v[110:111], off, off offset:368
	v_mov_b64_e32 v[112:113], 0
	scratch_store_b64 off, v[112:113], off offset:368
	s_wait_loadcnt 0x0
	ds_store_b64 v1, v[110:111]
.LBB116_235:
	s_wait_xcnt 0x0
	s_or_b32 exec_lo, exec_lo, s0
	s_wait_storecnt_dscnt 0x0
	s_barrier_signal -1
	s_barrier_wait -1
	s_clause 0x3
	scratch_load_b128 v[110:113], off, off offset:368
	scratch_load_b128 v[114:117], off, off offset:384
	;; [unrolled: 1-line block ×3, first 2 shown]
	scratch_load_b64 v[130:131], off, off offset:416
	ds_load_2addr_b64 v[122:125], v2 offset0:101 offset1:102
	ds_load_2addr_b64 v[126:129], v2 offset0:103 offset1:104
	s_mov_b32 s0, exec_lo
	s_wait_loadcnt_dscnt 0x301
	v_fma_f64 v[122:123], v[112:113], v[122:123], 0
	s_wait_loadcnt 0x2
	s_delay_alu instid0(VALU_DEP_1) | instskip(SKIP_4) | instid1(VALU_DEP_1)
	v_fmac_f64_e32 v[122:123], v[114:115], v[124:125]
	ds_load_2addr_b64 v[112:115], v2 offset0:105 offset1:106
	s_wait_dscnt 0x1
	v_fmac_f64_e32 v[122:123], v[116:117], v[126:127]
	s_wait_loadcnt 0x1
	v_fmac_f64_e32 v[122:123], v[118:119], v[128:129]
	s_wait_dscnt 0x0
	s_delay_alu instid0(VALU_DEP_1) | instskip(SKIP_1) | instid1(VALU_DEP_1)
	v_fmac_f64_e32 v[122:123], v[120:121], v[112:113]
	s_wait_loadcnt 0x0
	v_fmac_f64_e32 v[122:123], v[130:131], v[114:115]
	s_delay_alu instid0(VALU_DEP_1)
	v_add_f64_e64 v[2:3], v[110:111], -v[122:123]
	scratch_store_b64 off, v[2:3], off offset:368
	s_wait_xcnt 0x0
	v_cmpx_lt_u32_e32 45, v0
	s_cbranch_execz .LBB116_237
; %bb.236:
	scratch_load_b64 v[2:3], off, off offset:360
	v_mov_b64_e32 v[110:111], 0
	scratch_store_b64 off, v[110:111], off offset:360
	s_wait_loadcnt 0x0
	ds_store_b64 v1, v[2:3]
.LBB116_237:
	s_wait_xcnt 0x0
	s_or_b32 exec_lo, exec_lo, s0
	s_wait_storecnt_dscnt 0x0
	s_barrier_signal -1
	s_barrier_wait -1
	s_clause 0x3
	scratch_load_b128 v[110:113], off, off offset:360
	scratch_load_b128 v[114:117], off, off offset:376
	;; [unrolled: 1-line block ×4, first 2 shown]
	v_mov_b32_e32 v2, 0
	ds_load_b128 v[126:129], v2 offset:800
	ds_load_b128 v[130:133], v2 offset:816
	s_mov_b32 s0, exec_lo
	s_wait_loadcnt_dscnt 0x301
	v_fma_f64 v[126:127], v[112:113], v[126:127], 0
	s_wait_loadcnt 0x2
	s_delay_alu instid0(VALU_DEP_1) | instskip(SKIP_1) | instid1(VALU_DEP_1)
	v_fmac_f64_e32 v[126:127], v[114:115], v[128:129]
	s_wait_dscnt 0x0
	v_fmac_f64_e32 v[126:127], v[116:117], v[130:131]
	ds_load_b128 v[112:115], v2 offset:832
	ds_load_b64 v[116:117], v2 offset:848
	s_wait_loadcnt 0x1
	v_fmac_f64_e32 v[126:127], v[118:119], v[132:133]
	s_wait_dscnt 0x1
	s_delay_alu instid0(VALU_DEP_1) | instskip(SKIP_1) | instid1(VALU_DEP_1)
	v_fmac_f64_e32 v[126:127], v[120:121], v[112:113]
	s_wait_loadcnt 0x0
	v_fmac_f64_e32 v[126:127], v[122:123], v[114:115]
	s_wait_dscnt 0x0
	s_delay_alu instid0(VALU_DEP_1) | instskip(NEXT) | instid1(VALU_DEP_1)
	v_fmac_f64_e32 v[126:127], v[124:125], v[116:117]
	v_add_f64_e64 v[110:111], v[110:111], -v[126:127]
	scratch_store_b64 off, v[110:111], off offset:360
	s_wait_xcnt 0x0
	v_cmpx_lt_u32_e32 44, v0
	s_cbranch_execz .LBB116_239
; %bb.238:
	scratch_load_b64 v[110:111], off, off offset:352
	v_mov_b64_e32 v[112:113], 0
	scratch_store_b64 off, v[112:113], off offset:352
	s_wait_loadcnt 0x0
	ds_store_b64 v1, v[110:111]
.LBB116_239:
	s_wait_xcnt 0x0
	s_or_b32 exec_lo, exec_lo, s0
	s_wait_storecnt_dscnt 0x0
	s_barrier_signal -1
	s_barrier_wait -1
	s_clause 0x4
	scratch_load_b128 v[110:113], off, off offset:352
	scratch_load_b128 v[114:117], off, off offset:368
	;; [unrolled: 1-line block ×4, first 2 shown]
	scratch_load_b64 v[134:135], off, off offset:416
	ds_load_2addr_b64 v[126:129], v2 offset0:99 offset1:100
	ds_load_2addr_b64 v[130:133], v2 offset0:101 offset1:102
	s_mov_b32 s0, exec_lo
	s_wait_loadcnt_dscnt 0x401
	v_fma_f64 v[126:127], v[112:113], v[126:127], 0
	s_wait_loadcnt 0x3
	s_delay_alu instid0(VALU_DEP_1) | instskip(SKIP_1) | instid1(VALU_DEP_1)
	v_fmac_f64_e32 v[126:127], v[114:115], v[128:129]
	s_wait_dscnt 0x0
	v_fmac_f64_e32 v[126:127], v[116:117], v[130:131]
	s_wait_loadcnt 0x2
	s_delay_alu instid0(VALU_DEP_1)
	v_fmac_f64_e32 v[126:127], v[118:119], v[132:133]
	ds_load_2addr_b64 v[112:115], v2 offset0:103 offset1:104
	ds_load_2addr_b64 v[116:119], v2 offset0:105 offset1:106
	s_wait_dscnt 0x1
	v_fmac_f64_e32 v[126:127], v[120:121], v[112:113]
	s_wait_loadcnt 0x1
	s_delay_alu instid0(VALU_DEP_1) | instskip(SKIP_1) | instid1(VALU_DEP_1)
	v_fmac_f64_e32 v[126:127], v[122:123], v[114:115]
	s_wait_dscnt 0x0
	v_fmac_f64_e32 v[126:127], v[124:125], v[116:117]
	s_wait_loadcnt 0x0
	s_delay_alu instid0(VALU_DEP_1) | instskip(NEXT) | instid1(VALU_DEP_1)
	v_fmac_f64_e32 v[126:127], v[134:135], v[118:119]
	v_add_f64_e64 v[2:3], v[110:111], -v[126:127]
	scratch_store_b64 off, v[2:3], off offset:352
	s_wait_xcnt 0x0
	v_cmpx_lt_u32_e32 43, v0
	s_cbranch_execz .LBB116_241
; %bb.240:
	scratch_load_b64 v[2:3], off, off offset:344
	v_mov_b64_e32 v[110:111], 0
	scratch_store_b64 off, v[110:111], off offset:344
	s_wait_loadcnt 0x0
	ds_store_b64 v1, v[2:3]
.LBB116_241:
	s_wait_xcnt 0x0
	s_or_b32 exec_lo, exec_lo, s0
	s_wait_storecnt_dscnt 0x0
	s_barrier_signal -1
	s_barrier_wait -1
	s_clause 0x4
	scratch_load_b128 v[110:113], off, off offset:344
	scratch_load_b128 v[114:117], off, off offset:360
	;; [unrolled: 1-line block ×5, first 2 shown]
	v_mov_b32_e32 v2, 0
	ds_load_b128 v[130:133], v2 offset:784
	ds_load_b128 v[134:137], v2 offset:800
	s_mov_b32 s0, exec_lo
	s_wait_loadcnt_dscnt 0x401
	v_fma_f64 v[130:131], v[112:113], v[130:131], 0
	s_wait_loadcnt 0x3
	s_delay_alu instid0(VALU_DEP_1) | instskip(SKIP_1) | instid1(VALU_DEP_1)
	v_fmac_f64_e32 v[130:131], v[114:115], v[132:133]
	s_wait_dscnt 0x0
	v_fmac_f64_e32 v[130:131], v[116:117], v[134:135]
	s_wait_loadcnt 0x2
	s_delay_alu instid0(VALU_DEP_1)
	v_fmac_f64_e32 v[130:131], v[118:119], v[136:137]
	ds_load_b128 v[112:115], v2 offset:816
	ds_load_b128 v[116:119], v2 offset:832
	s_wait_dscnt 0x1
	v_fmac_f64_e32 v[130:131], v[120:121], v[112:113]
	ds_load_b64 v[112:113], v2 offset:848
	s_wait_loadcnt 0x1
	v_fmac_f64_e32 v[130:131], v[122:123], v[114:115]
	s_wait_dscnt 0x1
	s_delay_alu instid0(VALU_DEP_1) | instskip(SKIP_1) | instid1(VALU_DEP_1)
	v_fmac_f64_e32 v[130:131], v[124:125], v[116:117]
	s_wait_loadcnt 0x0
	v_fmac_f64_e32 v[130:131], v[126:127], v[118:119]
	s_wait_dscnt 0x0
	s_delay_alu instid0(VALU_DEP_1) | instskip(NEXT) | instid1(VALU_DEP_1)
	v_fmac_f64_e32 v[130:131], v[128:129], v[112:113]
	v_add_f64_e64 v[110:111], v[110:111], -v[130:131]
	scratch_store_b64 off, v[110:111], off offset:344
	s_wait_xcnt 0x0
	v_cmpx_lt_u32_e32 42, v0
	s_cbranch_execz .LBB116_243
; %bb.242:
	scratch_load_b64 v[110:111], off, off offset:336
	v_mov_b64_e32 v[112:113], 0
	scratch_store_b64 off, v[112:113], off offset:336
	s_wait_loadcnt 0x0
	ds_store_b64 v1, v[110:111]
.LBB116_243:
	s_wait_xcnt 0x0
	s_or_b32 exec_lo, exec_lo, s0
	s_wait_storecnt_dscnt 0x0
	s_barrier_signal -1
	s_barrier_wait -1
	s_clause 0x5
	scratch_load_b128 v[110:113], off, off offset:336
	scratch_load_b128 v[114:117], off, off offset:352
	;; [unrolled: 1-line block ×5, first 2 shown]
	scratch_load_b64 v[138:139], off, off offset:416
	ds_load_2addr_b64 v[130:133], v2 offset0:97 offset1:98
	ds_load_2addr_b64 v[134:137], v2 offset0:99 offset1:100
	s_mov_b32 s0, exec_lo
	s_wait_loadcnt_dscnt 0x501
	v_fma_f64 v[130:131], v[112:113], v[130:131], 0
	s_wait_loadcnt 0x4
	s_delay_alu instid0(VALU_DEP_1) | instskip(SKIP_1) | instid1(VALU_DEP_1)
	v_fmac_f64_e32 v[130:131], v[114:115], v[132:133]
	s_wait_dscnt 0x0
	v_fmac_f64_e32 v[130:131], v[116:117], v[134:135]
	s_wait_loadcnt 0x3
	s_delay_alu instid0(VALU_DEP_1)
	v_fmac_f64_e32 v[130:131], v[118:119], v[136:137]
	ds_load_2addr_b64 v[112:115], v2 offset0:101 offset1:102
	ds_load_2addr_b64 v[116:119], v2 offset0:103 offset1:104
	s_wait_dscnt 0x1
	v_fmac_f64_e32 v[130:131], v[120:121], v[112:113]
	s_wait_loadcnt 0x2
	s_delay_alu instid0(VALU_DEP_1) | instskip(SKIP_4) | instid1(VALU_DEP_1)
	v_fmac_f64_e32 v[130:131], v[122:123], v[114:115]
	ds_load_2addr_b64 v[112:115], v2 offset0:105 offset1:106
	s_wait_dscnt 0x1
	v_fmac_f64_e32 v[130:131], v[124:125], v[116:117]
	s_wait_loadcnt 0x1
	v_fmac_f64_e32 v[130:131], v[126:127], v[118:119]
	s_wait_dscnt 0x0
	s_delay_alu instid0(VALU_DEP_1) | instskip(SKIP_1) | instid1(VALU_DEP_1)
	v_fmac_f64_e32 v[130:131], v[128:129], v[112:113]
	s_wait_loadcnt 0x0
	v_fmac_f64_e32 v[130:131], v[138:139], v[114:115]
	s_delay_alu instid0(VALU_DEP_1)
	v_add_f64_e64 v[2:3], v[110:111], -v[130:131]
	scratch_store_b64 off, v[2:3], off offset:336
	s_wait_xcnt 0x0
	v_cmpx_lt_u32_e32 41, v0
	s_cbranch_execz .LBB116_245
; %bb.244:
	scratch_load_b64 v[2:3], off, off offset:328
	v_mov_b64_e32 v[110:111], 0
	scratch_store_b64 off, v[110:111], off offset:328
	s_wait_loadcnt 0x0
	ds_store_b64 v1, v[2:3]
.LBB116_245:
	s_wait_xcnt 0x0
	s_or_b32 exec_lo, exec_lo, s0
	s_wait_storecnt_dscnt 0x0
	s_barrier_signal -1
	s_barrier_wait -1
	s_clause 0x5
	scratch_load_b128 v[110:113], off, off offset:328
	scratch_load_b128 v[114:117], off, off offset:344
	;; [unrolled: 1-line block ×6, first 2 shown]
	v_mov_b32_e32 v2, 0
	ds_load_b128 v[134:137], v2 offset:768
	ds_load_b128 v[138:141], v2 offset:784
	s_mov_b32 s0, exec_lo
	s_wait_loadcnt_dscnt 0x501
	v_fma_f64 v[134:135], v[112:113], v[134:135], 0
	s_wait_loadcnt 0x4
	s_delay_alu instid0(VALU_DEP_1) | instskip(SKIP_1) | instid1(VALU_DEP_1)
	v_fmac_f64_e32 v[134:135], v[114:115], v[136:137]
	s_wait_dscnt 0x0
	v_fmac_f64_e32 v[134:135], v[116:117], v[138:139]
	s_wait_loadcnt 0x3
	s_delay_alu instid0(VALU_DEP_1)
	v_fmac_f64_e32 v[134:135], v[118:119], v[140:141]
	ds_load_b128 v[112:115], v2 offset:800
	ds_load_b128 v[116:119], v2 offset:816
	s_wait_dscnt 0x1
	v_fmac_f64_e32 v[134:135], v[120:121], v[112:113]
	s_wait_loadcnt 0x2
	s_delay_alu instid0(VALU_DEP_1) | instskip(SKIP_1) | instid1(VALU_DEP_1)
	v_fmac_f64_e32 v[134:135], v[122:123], v[114:115]
	s_wait_dscnt 0x0
	v_fmac_f64_e32 v[134:135], v[124:125], v[116:117]
	ds_load_b128 v[112:115], v2 offset:832
	ds_load_b64 v[116:117], v2 offset:848
	s_wait_loadcnt 0x1
	v_fmac_f64_e32 v[134:135], v[126:127], v[118:119]
	s_wait_dscnt 0x1
	s_delay_alu instid0(VALU_DEP_1) | instskip(SKIP_1) | instid1(VALU_DEP_1)
	v_fmac_f64_e32 v[134:135], v[128:129], v[112:113]
	s_wait_loadcnt 0x0
	v_fmac_f64_e32 v[134:135], v[130:131], v[114:115]
	s_wait_dscnt 0x0
	s_delay_alu instid0(VALU_DEP_1) | instskip(NEXT) | instid1(VALU_DEP_1)
	v_fmac_f64_e32 v[134:135], v[132:133], v[116:117]
	v_add_f64_e64 v[110:111], v[110:111], -v[134:135]
	scratch_store_b64 off, v[110:111], off offset:328
	s_wait_xcnt 0x0
	v_cmpx_lt_u32_e32 40, v0
	s_cbranch_execz .LBB116_247
; %bb.246:
	scratch_load_b64 v[110:111], off, off offset:320
	v_mov_b64_e32 v[112:113], 0
	scratch_store_b64 off, v[112:113], off offset:320
	s_wait_loadcnt 0x0
	ds_store_b64 v1, v[110:111]
.LBB116_247:
	s_wait_xcnt 0x0
	s_or_b32 exec_lo, exec_lo, s0
	s_wait_storecnt_dscnt 0x0
	s_barrier_signal -1
	s_barrier_wait -1
	s_clause 0x5
	scratch_load_b128 v[110:113], off, off offset:320
	scratch_load_b128 v[114:117], off, off offset:336
	;; [unrolled: 1-line block ×6, first 2 shown]
	ds_load_2addr_b64 v[134:137], v2 offset0:95 offset1:96
	ds_load_2addr_b64 v[138:141], v2 offset0:97 offset1:98
	s_mov_b32 s0, exec_lo
	s_wait_loadcnt_dscnt 0x501
	v_fma_f64 v[134:135], v[112:113], v[134:135], 0
	s_wait_loadcnt 0x4
	s_delay_alu instid0(VALU_DEP_1) | instskip(SKIP_4) | instid1(VALU_DEP_1)
	v_fmac_f64_e32 v[134:135], v[114:115], v[136:137]
	scratch_load_b64 v[136:137], off, off offset:416
	s_wait_dscnt 0x0
	v_fmac_f64_e32 v[134:135], v[116:117], v[138:139]
	s_wait_loadcnt 0x4
	v_fmac_f64_e32 v[134:135], v[118:119], v[140:141]
	ds_load_2addr_b64 v[112:115], v2 offset0:99 offset1:100
	ds_load_2addr_b64 v[116:119], v2 offset0:101 offset1:102
	s_wait_dscnt 0x1
	v_fmac_f64_e32 v[134:135], v[120:121], v[112:113]
	s_wait_loadcnt 0x3
	s_delay_alu instid0(VALU_DEP_1) | instskip(SKIP_1) | instid1(VALU_DEP_1)
	v_fmac_f64_e32 v[134:135], v[122:123], v[114:115]
	s_wait_dscnt 0x0
	v_fmac_f64_e32 v[134:135], v[124:125], v[116:117]
	s_wait_loadcnt 0x2
	s_delay_alu instid0(VALU_DEP_1)
	v_fmac_f64_e32 v[134:135], v[126:127], v[118:119]
	ds_load_2addr_b64 v[112:115], v2 offset0:103 offset1:104
	ds_load_2addr_b64 v[116:119], v2 offset0:105 offset1:106
	s_wait_dscnt 0x1
	v_fmac_f64_e32 v[134:135], v[128:129], v[112:113]
	s_wait_loadcnt 0x1
	s_delay_alu instid0(VALU_DEP_1) | instskip(SKIP_1) | instid1(VALU_DEP_1)
	v_fmac_f64_e32 v[134:135], v[130:131], v[114:115]
	s_wait_dscnt 0x0
	v_fmac_f64_e32 v[134:135], v[132:133], v[116:117]
	s_wait_loadcnt 0x0
	s_delay_alu instid0(VALU_DEP_1) | instskip(NEXT) | instid1(VALU_DEP_1)
	v_fmac_f64_e32 v[134:135], v[136:137], v[118:119]
	v_add_f64_e64 v[2:3], v[110:111], -v[134:135]
	scratch_store_b64 off, v[2:3], off offset:320
	s_wait_xcnt 0x0
	v_cmpx_lt_u32_e32 39, v0
	s_cbranch_execz .LBB116_249
; %bb.248:
	scratch_load_b64 v[2:3], off, off offset:312
	v_mov_b64_e32 v[110:111], 0
	scratch_store_b64 off, v[110:111], off offset:312
	s_wait_loadcnt 0x0
	ds_store_b64 v1, v[2:3]
.LBB116_249:
	s_wait_xcnt 0x0
	s_or_b32 exec_lo, exec_lo, s0
	s_wait_storecnt_dscnt 0x0
	s_barrier_signal -1
	s_barrier_wait -1
	s_clause 0x5
	scratch_load_b128 v[110:113], off, off offset:312
	scratch_load_b128 v[114:117], off, off offset:328
	;; [unrolled: 1-line block ×6, first 2 shown]
	v_mov_b32_e32 v2, 0
	ds_load_b128 v[134:137], v2 offset:752
	ds_load_b128 v[138:141], v2 offset:768
	s_mov_b32 s0, exec_lo
	s_wait_loadcnt_dscnt 0x501
	v_fma_f64 v[142:143], v[112:113], v[134:135], 0
	s_wait_loadcnt 0x4
	s_delay_alu instid0(VALU_DEP_1) | instskip(SKIP_4) | instid1(VALU_DEP_1)
	v_fmac_f64_e32 v[142:143], v[114:115], v[136:137]
	scratch_load_b128 v[112:115], off, off offset:408
	s_wait_dscnt 0x0
	v_fmac_f64_e32 v[142:143], v[116:117], v[138:139]
	s_wait_loadcnt 0x4
	v_fmac_f64_e32 v[142:143], v[118:119], v[140:141]
	ds_load_b128 v[116:119], v2 offset:784
	ds_load_b128 v[134:137], v2 offset:800
	s_wait_dscnt 0x1
	v_fmac_f64_e32 v[142:143], v[120:121], v[116:117]
	s_wait_loadcnt 0x3
	s_delay_alu instid0(VALU_DEP_1)
	v_fmac_f64_e32 v[142:143], v[122:123], v[118:119]
	ds_load_b128 v[116:119], v2 offset:816
	ds_load_b128 v[120:123], v2 offset:832
	s_wait_dscnt 0x2
	v_fmac_f64_e32 v[142:143], v[124:125], v[134:135]
	s_wait_loadcnt 0x2
	s_delay_alu instid0(VALU_DEP_1) | instskip(SKIP_1) | instid1(VALU_DEP_1)
	v_fmac_f64_e32 v[142:143], v[126:127], v[136:137]
	s_wait_dscnt 0x1
	v_fmac_f64_e32 v[142:143], v[128:129], v[116:117]
	s_wait_loadcnt 0x1
	s_delay_alu instid0(VALU_DEP_1) | instskip(SKIP_1) | instid1(VALU_DEP_1)
	v_fmac_f64_e32 v[142:143], v[130:131], v[118:119]
	s_wait_dscnt 0x0
	v_fmac_f64_e32 v[142:143], v[132:133], v[120:121]
	s_wait_loadcnt 0x0
	s_delay_alu instid0(VALU_DEP_1) | instskip(SKIP_3) | instid1(VALU_DEP_1)
	v_fmac_f64_e32 v[142:143], v[112:113], v[122:123]
	ds_load_b64 v[112:113], v2 offset:848
	s_wait_dscnt 0x0
	v_fmac_f64_e32 v[142:143], v[114:115], v[112:113]
	v_add_f64_e64 v[110:111], v[110:111], -v[142:143]
	scratch_store_b64 off, v[110:111], off offset:312
	s_wait_xcnt 0x0
	v_cmpx_lt_u32_e32 38, v0
	s_cbranch_execz .LBB116_251
; %bb.250:
	scratch_load_b64 v[110:111], off, off offset:304
	v_mov_b64_e32 v[112:113], 0
	scratch_store_b64 off, v[112:113], off offset:304
	s_wait_loadcnt 0x0
	ds_store_b64 v1, v[110:111]
.LBB116_251:
	s_wait_xcnt 0x0
	s_or_b32 exec_lo, exec_lo, s0
	s_wait_storecnt_dscnt 0x0
	s_barrier_signal -1
	s_barrier_wait -1
	s_clause 0x5
	scratch_load_b128 v[110:113], off, off offset:304
	scratch_load_b128 v[114:117], off, off offset:320
	;; [unrolled: 1-line block ×6, first 2 shown]
	ds_load_2addr_b64 v[134:137], v2 offset0:93 offset1:94
	ds_load_2addr_b64 v[138:141], v2 offset0:95 offset1:96
	s_mov_b32 s0, exec_lo
	s_wait_loadcnt_dscnt 0x501
	v_fma_f64 v[142:143], v[112:113], v[134:135], 0
	s_wait_loadcnt 0x4
	s_delay_alu instid0(VALU_DEP_1)
	v_fmac_f64_e32 v[142:143], v[114:115], v[136:137]
	scratch_load_b128 v[112:115], off, off offset:400
	s_wait_dscnt 0x0
	v_fmac_f64_e32 v[142:143], v[116:117], v[138:139]
	scratch_load_b64 v[138:139], off, off offset:416
	s_wait_loadcnt 0x5
	v_fmac_f64_e32 v[142:143], v[118:119], v[140:141]
	ds_load_2addr_b64 v[116:119], v2 offset0:97 offset1:98
	ds_load_2addr_b64 v[134:137], v2 offset0:99 offset1:100
	s_wait_dscnt 0x1
	v_fmac_f64_e32 v[142:143], v[120:121], v[116:117]
	s_wait_loadcnt 0x4
	s_delay_alu instid0(VALU_DEP_1)
	v_fmac_f64_e32 v[142:143], v[122:123], v[118:119]
	ds_load_2addr_b64 v[116:119], v2 offset0:101 offset1:102
	ds_load_2addr_b64 v[120:123], v2 offset0:103 offset1:104
	s_wait_dscnt 0x2
	v_fmac_f64_e32 v[142:143], v[124:125], v[134:135]
	s_wait_loadcnt 0x3
	s_delay_alu instid0(VALU_DEP_1) | instskip(SKIP_1) | instid1(VALU_DEP_1)
	v_fmac_f64_e32 v[142:143], v[126:127], v[136:137]
	s_wait_dscnt 0x1
	v_fmac_f64_e32 v[142:143], v[128:129], v[116:117]
	s_wait_loadcnt 0x2
	s_delay_alu instid0(VALU_DEP_1) | instskip(SKIP_4) | instid1(VALU_DEP_1)
	v_fmac_f64_e32 v[142:143], v[130:131], v[118:119]
	ds_load_2addr_b64 v[116:119], v2 offset0:105 offset1:106
	s_wait_dscnt 0x1
	v_fmac_f64_e32 v[142:143], v[132:133], v[120:121]
	s_wait_loadcnt 0x1
	v_fmac_f64_e32 v[142:143], v[112:113], v[122:123]
	s_wait_dscnt 0x0
	s_delay_alu instid0(VALU_DEP_1) | instskip(SKIP_1) | instid1(VALU_DEP_1)
	v_fmac_f64_e32 v[142:143], v[114:115], v[116:117]
	s_wait_loadcnt 0x0
	v_fmac_f64_e32 v[142:143], v[138:139], v[118:119]
	s_delay_alu instid0(VALU_DEP_1)
	v_add_f64_e64 v[2:3], v[110:111], -v[142:143]
	scratch_store_b64 off, v[2:3], off offset:304
	s_wait_xcnt 0x0
	v_cmpx_lt_u32_e32 37, v0
	s_cbranch_execz .LBB116_253
; %bb.252:
	scratch_load_b64 v[2:3], off, off offset:296
	v_mov_b64_e32 v[110:111], 0
	scratch_store_b64 off, v[110:111], off offset:296
	s_wait_loadcnt 0x0
	ds_store_b64 v1, v[2:3]
.LBB116_253:
	s_wait_xcnt 0x0
	s_or_b32 exec_lo, exec_lo, s0
	s_wait_storecnt_dscnt 0x0
	s_barrier_signal -1
	s_barrier_wait -1
	s_clause 0x5
	scratch_load_b128 v[110:113], off, off offset:296
	scratch_load_b128 v[114:117], off, off offset:312
	;; [unrolled: 1-line block ×6, first 2 shown]
	v_mov_b32_e32 v2, 0
	ds_load_b128 v[134:137], v2 offset:736
	ds_load_b128 v[138:141], v2 offset:752
	s_mov_b32 s0, exec_lo
	s_wait_loadcnt_dscnt 0x501
	v_fma_f64 v[142:143], v[112:113], v[134:135], 0
	s_wait_loadcnt 0x4
	s_delay_alu instid0(VALU_DEP_1) | instskip(SKIP_4) | instid1(VALU_DEP_1)
	v_fmac_f64_e32 v[142:143], v[114:115], v[136:137]
	scratch_load_b128 v[112:115], off, off offset:392
	s_wait_dscnt 0x0
	v_fmac_f64_e32 v[142:143], v[116:117], v[138:139]
	s_wait_loadcnt 0x4
	v_fmac_f64_e32 v[142:143], v[118:119], v[140:141]
	scratch_load_b128 v[116:119], off, off offset:408
	ds_load_b128 v[134:137], v2 offset:768
	ds_load_b128 v[138:141], v2 offset:784
	s_wait_dscnt 0x1
	v_fmac_f64_e32 v[142:143], v[120:121], v[134:135]
	s_wait_loadcnt 0x4
	s_delay_alu instid0(VALU_DEP_1) | instskip(SKIP_1) | instid1(VALU_DEP_1)
	v_fmac_f64_e32 v[142:143], v[122:123], v[136:137]
	s_wait_dscnt 0x0
	v_fmac_f64_e32 v[142:143], v[124:125], v[138:139]
	s_wait_loadcnt 0x3
	s_delay_alu instid0(VALU_DEP_1)
	v_fmac_f64_e32 v[142:143], v[126:127], v[140:141]
	ds_load_b128 v[120:123], v2 offset:800
	ds_load_b128 v[124:127], v2 offset:816
	s_wait_dscnt 0x1
	v_fmac_f64_e32 v[142:143], v[128:129], v[120:121]
	s_wait_loadcnt 0x2
	s_delay_alu instid0(VALU_DEP_1) | instskip(SKIP_1) | instid1(VALU_DEP_1)
	v_fmac_f64_e32 v[142:143], v[130:131], v[122:123]
	s_wait_dscnt 0x0
	v_fmac_f64_e32 v[142:143], v[132:133], v[124:125]
	s_wait_loadcnt 0x1
	s_delay_alu instid0(VALU_DEP_1)
	v_fmac_f64_e32 v[142:143], v[112:113], v[126:127]
	ds_load_b128 v[120:123], v2 offset:832
	ds_load_b64 v[112:113], v2 offset:848
	s_wait_dscnt 0x1
	v_fmac_f64_e32 v[142:143], v[114:115], v[120:121]
	s_wait_loadcnt 0x0
	s_delay_alu instid0(VALU_DEP_1) | instskip(SKIP_1) | instid1(VALU_DEP_1)
	v_fmac_f64_e32 v[142:143], v[116:117], v[122:123]
	s_wait_dscnt 0x0
	v_fmac_f64_e32 v[142:143], v[118:119], v[112:113]
	s_delay_alu instid0(VALU_DEP_1)
	v_add_f64_e64 v[110:111], v[110:111], -v[142:143]
	scratch_store_b64 off, v[110:111], off offset:296
	s_wait_xcnt 0x0
	v_cmpx_lt_u32_e32 36, v0
	s_cbranch_execz .LBB116_255
; %bb.254:
	scratch_load_b64 v[110:111], off, off offset:288
	v_mov_b64_e32 v[112:113], 0
	scratch_store_b64 off, v[112:113], off offset:288
	s_wait_loadcnt 0x0
	ds_store_b64 v1, v[110:111]
.LBB116_255:
	s_wait_xcnt 0x0
	s_or_b32 exec_lo, exec_lo, s0
	s_wait_storecnt_dscnt 0x0
	s_barrier_signal -1
	s_barrier_wait -1
	s_clause 0x5
	scratch_load_b128 v[110:113], off, off offset:288
	scratch_load_b128 v[114:117], off, off offset:304
	;; [unrolled: 1-line block ×6, first 2 shown]
	ds_load_2addr_b64 v[134:137], v2 offset0:91 offset1:92
	ds_load_2addr_b64 v[138:141], v2 offset0:93 offset1:94
	s_mov_b32 s0, exec_lo
	s_wait_loadcnt_dscnt 0x501
	v_fma_f64 v[142:143], v[112:113], v[134:135], 0
	s_wait_loadcnt 0x4
	s_delay_alu instid0(VALU_DEP_1) | instskip(SKIP_4) | instid1(VALU_DEP_1)
	v_fmac_f64_e32 v[142:143], v[114:115], v[136:137]
	scratch_load_b128 v[112:115], off, off offset:384
	s_wait_dscnt 0x0
	v_fmac_f64_e32 v[142:143], v[116:117], v[138:139]
	s_wait_loadcnt 0x4
	v_fmac_f64_e32 v[142:143], v[118:119], v[140:141]
	scratch_load_b128 v[116:119], off, off offset:400
	ds_load_2addr_b64 v[134:137], v2 offset0:95 offset1:96
	ds_load_2addr_b64 v[138:141], v2 offset0:97 offset1:98
	s_wait_dscnt 0x1
	v_fmac_f64_e32 v[142:143], v[120:121], v[134:135]
	scratch_load_b64 v[134:135], off, off offset:416
	s_wait_loadcnt 0x5
	v_fmac_f64_e32 v[142:143], v[122:123], v[136:137]
	s_wait_dscnt 0x0
	s_delay_alu instid0(VALU_DEP_1) | instskip(SKIP_1) | instid1(VALU_DEP_1)
	v_fmac_f64_e32 v[142:143], v[124:125], v[138:139]
	s_wait_loadcnt 0x4
	v_fmac_f64_e32 v[142:143], v[126:127], v[140:141]
	ds_load_2addr_b64 v[120:123], v2 offset0:99 offset1:100
	ds_load_2addr_b64 v[124:127], v2 offset0:101 offset1:102
	s_wait_dscnt 0x1
	v_fmac_f64_e32 v[142:143], v[128:129], v[120:121]
	s_wait_loadcnt 0x3
	s_delay_alu instid0(VALU_DEP_1) | instskip(SKIP_1) | instid1(VALU_DEP_1)
	v_fmac_f64_e32 v[142:143], v[130:131], v[122:123]
	s_wait_dscnt 0x0
	v_fmac_f64_e32 v[142:143], v[132:133], v[124:125]
	s_wait_loadcnt 0x2
	s_delay_alu instid0(VALU_DEP_1)
	v_fmac_f64_e32 v[142:143], v[112:113], v[126:127]
	ds_load_2addr_b64 v[120:123], v2 offset0:103 offset1:104
	ds_load_2addr_b64 v[124:127], v2 offset0:105 offset1:106
	s_wait_dscnt 0x1
	v_fmac_f64_e32 v[142:143], v[114:115], v[120:121]
	s_wait_loadcnt 0x1
	s_delay_alu instid0(VALU_DEP_1) | instskip(SKIP_1) | instid1(VALU_DEP_1)
	v_fmac_f64_e32 v[142:143], v[116:117], v[122:123]
	s_wait_dscnt 0x0
	v_fmac_f64_e32 v[142:143], v[118:119], v[124:125]
	s_wait_loadcnt 0x0
	s_delay_alu instid0(VALU_DEP_1) | instskip(NEXT) | instid1(VALU_DEP_1)
	v_fmac_f64_e32 v[142:143], v[134:135], v[126:127]
	v_add_f64_e64 v[2:3], v[110:111], -v[142:143]
	scratch_store_b64 off, v[2:3], off offset:288
	s_wait_xcnt 0x0
	v_cmpx_lt_u32_e32 35, v0
	s_cbranch_execz .LBB116_257
; %bb.256:
	scratch_load_b64 v[2:3], off, off offset:280
	v_mov_b64_e32 v[110:111], 0
	scratch_store_b64 off, v[110:111], off offset:280
	s_wait_loadcnt 0x0
	ds_store_b64 v1, v[2:3]
.LBB116_257:
	s_wait_xcnt 0x0
	s_or_b32 exec_lo, exec_lo, s0
	s_wait_storecnt_dscnt 0x0
	s_barrier_signal -1
	s_barrier_wait -1
	s_clause 0x5
	scratch_load_b128 v[110:113], off, off offset:280
	scratch_load_b128 v[114:117], off, off offset:296
	;; [unrolled: 1-line block ×6, first 2 shown]
	v_mov_b32_e32 v2, 0
	ds_load_b128 v[134:137], v2 offset:720
	ds_load_b128 v[138:141], v2 offset:736
	s_mov_b32 s0, exec_lo
	s_wait_loadcnt_dscnt 0x501
	v_fma_f64 v[142:143], v[112:113], v[134:135], 0
	s_wait_loadcnt 0x4
	s_delay_alu instid0(VALU_DEP_1) | instskip(SKIP_4) | instid1(VALU_DEP_1)
	v_fmac_f64_e32 v[142:143], v[114:115], v[136:137]
	scratch_load_b128 v[112:115], off, off offset:376
	s_wait_dscnt 0x0
	v_fmac_f64_e32 v[142:143], v[116:117], v[138:139]
	s_wait_loadcnt 0x4
	v_fmac_f64_e32 v[142:143], v[118:119], v[140:141]
	scratch_load_b128 v[116:119], off, off offset:392
	ds_load_b128 v[134:137], v2 offset:752
	ds_load_b128 v[138:141], v2 offset:768
	s_wait_dscnt 0x1
	v_fmac_f64_e32 v[142:143], v[120:121], v[134:135]
	s_wait_loadcnt 0x4
	s_delay_alu instid0(VALU_DEP_1) | instskip(SKIP_4) | instid1(VALU_DEP_1)
	v_fmac_f64_e32 v[142:143], v[122:123], v[136:137]
	scratch_load_b128 v[120:123], off, off offset:408
	s_wait_dscnt 0x0
	v_fmac_f64_e32 v[142:143], v[124:125], v[138:139]
	s_wait_loadcnt 0x4
	v_fmac_f64_e32 v[142:143], v[126:127], v[140:141]
	ds_load_b128 v[124:127], v2 offset:784
	ds_load_b128 v[134:137], v2 offset:800
	s_wait_dscnt 0x1
	v_fmac_f64_e32 v[142:143], v[128:129], v[124:125]
	s_wait_loadcnt 0x3
	s_delay_alu instid0(VALU_DEP_1)
	v_fmac_f64_e32 v[142:143], v[130:131], v[126:127]
	ds_load_b128 v[124:127], v2 offset:816
	ds_load_b128 v[128:131], v2 offset:832
	s_wait_dscnt 0x2
	v_fmac_f64_e32 v[142:143], v[132:133], v[134:135]
	s_wait_loadcnt 0x2
	s_delay_alu instid0(VALU_DEP_1) | instskip(SKIP_4) | instid1(VALU_DEP_1)
	v_fmac_f64_e32 v[142:143], v[112:113], v[136:137]
	ds_load_b64 v[112:113], v2 offset:848
	s_wait_dscnt 0x2
	v_fmac_f64_e32 v[142:143], v[114:115], v[124:125]
	s_wait_loadcnt 0x1
	v_fmac_f64_e32 v[142:143], v[116:117], v[126:127]
	s_wait_dscnt 0x1
	s_delay_alu instid0(VALU_DEP_1) | instskip(SKIP_1) | instid1(VALU_DEP_1)
	v_fmac_f64_e32 v[142:143], v[118:119], v[128:129]
	s_wait_loadcnt 0x0
	v_fmac_f64_e32 v[142:143], v[120:121], v[130:131]
	s_wait_dscnt 0x0
	s_delay_alu instid0(VALU_DEP_1) | instskip(NEXT) | instid1(VALU_DEP_1)
	v_fmac_f64_e32 v[142:143], v[122:123], v[112:113]
	v_add_f64_e64 v[110:111], v[110:111], -v[142:143]
	scratch_store_b64 off, v[110:111], off offset:280
	s_wait_xcnt 0x0
	v_cmpx_lt_u32_e32 34, v0
	s_cbranch_execz .LBB116_259
; %bb.258:
	scratch_load_b64 v[110:111], off, off offset:272
	v_mov_b64_e32 v[112:113], 0
	scratch_store_b64 off, v[112:113], off offset:272
	s_wait_loadcnt 0x0
	ds_store_b64 v1, v[110:111]
.LBB116_259:
	s_wait_xcnt 0x0
	s_or_b32 exec_lo, exec_lo, s0
	s_wait_storecnt_dscnt 0x0
	s_barrier_signal -1
	s_barrier_wait -1
	s_clause 0x5
	scratch_load_b128 v[110:113], off, off offset:272
	scratch_load_b128 v[114:117], off, off offset:288
	;; [unrolled: 1-line block ×6, first 2 shown]
	ds_load_2addr_b64 v[134:137], v2 offset0:89 offset1:90
	ds_load_2addr_b64 v[138:141], v2 offset0:91 offset1:92
	s_mov_b32 s0, exec_lo
	s_wait_loadcnt_dscnt 0x501
	v_fma_f64 v[142:143], v[112:113], v[134:135], 0
	s_wait_loadcnt 0x4
	s_delay_alu instid0(VALU_DEP_1) | instskip(SKIP_4) | instid1(VALU_DEP_1)
	v_fmac_f64_e32 v[142:143], v[114:115], v[136:137]
	scratch_load_b128 v[112:115], off, off offset:368
	s_wait_dscnt 0x0
	v_fmac_f64_e32 v[142:143], v[116:117], v[138:139]
	s_wait_loadcnt 0x4
	v_fmac_f64_e32 v[142:143], v[118:119], v[140:141]
	scratch_load_b128 v[116:119], off, off offset:384
	ds_load_2addr_b64 v[134:137], v2 offset0:93 offset1:94
	ds_load_2addr_b64 v[138:141], v2 offset0:95 offset1:96
	s_wait_dscnt 0x1
	v_fmac_f64_e32 v[142:143], v[120:121], v[134:135]
	s_wait_loadcnt 0x4
	s_delay_alu instid0(VALU_DEP_1)
	v_fmac_f64_e32 v[142:143], v[122:123], v[136:137]
	scratch_load_b128 v[120:123], off, off offset:400
	s_wait_dscnt 0x0
	v_fmac_f64_e32 v[142:143], v[124:125], v[138:139]
	scratch_load_b64 v[138:139], off, off offset:416
	s_wait_loadcnt 0x5
	v_fmac_f64_e32 v[142:143], v[126:127], v[140:141]
	ds_load_2addr_b64 v[124:127], v2 offset0:97 offset1:98
	ds_load_2addr_b64 v[134:137], v2 offset0:99 offset1:100
	s_wait_dscnt 0x1
	v_fmac_f64_e32 v[142:143], v[128:129], v[124:125]
	s_wait_loadcnt 0x4
	s_delay_alu instid0(VALU_DEP_1)
	v_fmac_f64_e32 v[142:143], v[130:131], v[126:127]
	ds_load_2addr_b64 v[124:127], v2 offset0:101 offset1:102
	ds_load_2addr_b64 v[128:131], v2 offset0:103 offset1:104
	s_wait_dscnt 0x2
	v_fmac_f64_e32 v[142:143], v[132:133], v[134:135]
	s_wait_loadcnt 0x3
	s_delay_alu instid0(VALU_DEP_1) | instskip(SKIP_1) | instid1(VALU_DEP_1)
	v_fmac_f64_e32 v[142:143], v[112:113], v[136:137]
	s_wait_dscnt 0x1
	v_fmac_f64_e32 v[142:143], v[114:115], v[124:125]
	ds_load_2addr_b64 v[112:115], v2 offset0:105 offset1:106
	s_wait_loadcnt 0x2
	v_fmac_f64_e32 v[142:143], v[116:117], v[126:127]
	s_wait_dscnt 0x1
	s_delay_alu instid0(VALU_DEP_1) | instskip(SKIP_1) | instid1(VALU_DEP_1)
	v_fmac_f64_e32 v[142:143], v[118:119], v[128:129]
	s_wait_loadcnt 0x1
	v_fmac_f64_e32 v[142:143], v[120:121], v[130:131]
	s_wait_dscnt 0x0
	s_delay_alu instid0(VALU_DEP_1) | instskip(SKIP_1) | instid1(VALU_DEP_1)
	v_fmac_f64_e32 v[142:143], v[122:123], v[112:113]
	s_wait_loadcnt 0x0
	v_fmac_f64_e32 v[142:143], v[138:139], v[114:115]
	s_delay_alu instid0(VALU_DEP_1)
	v_add_f64_e64 v[2:3], v[110:111], -v[142:143]
	scratch_store_b64 off, v[2:3], off offset:272
	s_wait_xcnt 0x0
	v_cmpx_lt_u32_e32 33, v0
	s_cbranch_execz .LBB116_261
; %bb.260:
	scratch_load_b64 v[2:3], off, off offset:264
	v_mov_b64_e32 v[110:111], 0
	scratch_store_b64 off, v[110:111], off offset:264
	s_wait_loadcnt 0x0
	ds_store_b64 v1, v[2:3]
.LBB116_261:
	s_wait_xcnt 0x0
	s_or_b32 exec_lo, exec_lo, s0
	s_wait_storecnt_dscnt 0x0
	s_barrier_signal -1
	s_barrier_wait -1
	s_clause 0x5
	scratch_load_b128 v[110:113], off, off offset:264
	scratch_load_b128 v[114:117], off, off offset:280
	;; [unrolled: 1-line block ×6, first 2 shown]
	v_mov_b32_e32 v2, 0
	ds_load_b128 v[134:137], v2 offset:704
	ds_load_b128 v[138:141], v2 offset:720
	s_mov_b32 s0, exec_lo
	s_wait_loadcnt_dscnt 0x501
	v_fma_f64 v[142:143], v[112:113], v[134:135], 0
	s_wait_loadcnt 0x4
	s_delay_alu instid0(VALU_DEP_1) | instskip(SKIP_4) | instid1(VALU_DEP_1)
	v_fmac_f64_e32 v[142:143], v[114:115], v[136:137]
	scratch_load_b128 v[112:115], off, off offset:360
	s_wait_dscnt 0x0
	v_fmac_f64_e32 v[142:143], v[116:117], v[138:139]
	s_wait_loadcnt 0x4
	v_fmac_f64_e32 v[142:143], v[118:119], v[140:141]
	scratch_load_b128 v[116:119], off, off offset:376
	ds_load_b128 v[134:137], v2 offset:736
	ds_load_b128 v[138:141], v2 offset:752
	s_wait_dscnt 0x1
	v_fmac_f64_e32 v[142:143], v[120:121], v[134:135]
	s_wait_loadcnt 0x4
	s_delay_alu instid0(VALU_DEP_1) | instskip(SKIP_4) | instid1(VALU_DEP_1)
	v_fmac_f64_e32 v[142:143], v[122:123], v[136:137]
	scratch_load_b128 v[120:123], off, off offset:392
	s_wait_dscnt 0x0
	v_fmac_f64_e32 v[142:143], v[124:125], v[138:139]
	s_wait_loadcnt 0x4
	v_fmac_f64_e32 v[142:143], v[126:127], v[140:141]
	scratch_load_b128 v[124:127], off, off offset:408
	ds_load_b128 v[134:137], v2 offset:768
	ds_load_b128 v[138:141], v2 offset:784
	s_wait_dscnt 0x1
	v_fmac_f64_e32 v[142:143], v[128:129], v[134:135]
	s_wait_loadcnt 0x4
	s_delay_alu instid0(VALU_DEP_1) | instskip(SKIP_1) | instid1(VALU_DEP_1)
	v_fmac_f64_e32 v[142:143], v[130:131], v[136:137]
	s_wait_dscnt 0x0
	v_fmac_f64_e32 v[142:143], v[132:133], v[138:139]
	ds_load_b128 v[128:131], v2 offset:800
	ds_load_b128 v[132:135], v2 offset:816
	s_wait_loadcnt 0x3
	v_fmac_f64_e32 v[142:143], v[112:113], v[140:141]
	s_wait_dscnt 0x1
	s_delay_alu instid0(VALU_DEP_1) | instskip(SKIP_1) | instid1(VALU_DEP_1)
	v_fmac_f64_e32 v[142:143], v[114:115], v[128:129]
	s_wait_loadcnt 0x2
	v_fmac_f64_e32 v[142:143], v[116:117], v[130:131]
	ds_load_b128 v[112:115], v2 offset:832
	ds_load_b64 v[116:117], v2 offset:848
	s_wait_dscnt 0x2
	v_fmac_f64_e32 v[142:143], v[118:119], v[132:133]
	s_wait_loadcnt 0x1
	s_delay_alu instid0(VALU_DEP_1) | instskip(SKIP_1) | instid1(VALU_DEP_1)
	v_fmac_f64_e32 v[142:143], v[120:121], v[134:135]
	s_wait_dscnt 0x1
	v_fmac_f64_e32 v[142:143], v[122:123], v[112:113]
	s_wait_loadcnt 0x0
	s_delay_alu instid0(VALU_DEP_1) | instskip(SKIP_1) | instid1(VALU_DEP_1)
	v_fmac_f64_e32 v[142:143], v[124:125], v[114:115]
	s_wait_dscnt 0x0
	v_fmac_f64_e32 v[142:143], v[126:127], v[116:117]
	s_delay_alu instid0(VALU_DEP_1)
	v_add_f64_e64 v[110:111], v[110:111], -v[142:143]
	scratch_store_b64 off, v[110:111], off offset:264
	s_wait_xcnt 0x0
	v_cmpx_lt_u32_e32 32, v0
	s_cbranch_execz .LBB116_263
; %bb.262:
	scratch_load_b64 v[110:111], off, off offset:256
	v_mov_b64_e32 v[112:113], 0
	scratch_store_b64 off, v[112:113], off offset:256
	s_wait_loadcnt 0x0
	ds_store_b64 v1, v[110:111]
.LBB116_263:
	s_wait_xcnt 0x0
	s_or_b32 exec_lo, exec_lo, s0
	s_wait_storecnt_dscnt 0x0
	s_barrier_signal -1
	s_barrier_wait -1
	s_clause 0x5
	scratch_load_b128 v[110:113], off, off offset:256
	scratch_load_b128 v[114:117], off, off offset:272
	;; [unrolled: 1-line block ×6, first 2 shown]
	ds_load_2addr_b64 v[134:137], v2 offset0:87 offset1:88
	ds_load_2addr_b64 v[138:141], v2 offset0:89 offset1:90
	s_mov_b32 s0, exec_lo
	s_wait_loadcnt_dscnt 0x501
	v_fma_f64 v[142:143], v[112:113], v[134:135], 0
	s_wait_loadcnt 0x4
	s_delay_alu instid0(VALU_DEP_1) | instskip(SKIP_4) | instid1(VALU_DEP_1)
	v_fmac_f64_e32 v[142:143], v[114:115], v[136:137]
	scratch_load_b128 v[112:115], off, off offset:352
	s_wait_dscnt 0x0
	v_fmac_f64_e32 v[142:143], v[116:117], v[138:139]
	s_wait_loadcnt 0x4
	v_fmac_f64_e32 v[142:143], v[118:119], v[140:141]
	scratch_load_b128 v[116:119], off, off offset:368
	ds_load_2addr_b64 v[134:137], v2 offset0:91 offset1:92
	ds_load_2addr_b64 v[138:141], v2 offset0:93 offset1:94
	s_wait_dscnt 0x1
	v_fmac_f64_e32 v[142:143], v[120:121], v[134:135]
	s_wait_loadcnt 0x4
	s_delay_alu instid0(VALU_DEP_1) | instskip(SKIP_4) | instid1(VALU_DEP_1)
	v_fmac_f64_e32 v[142:143], v[122:123], v[136:137]
	scratch_load_b128 v[120:123], off, off offset:384
	s_wait_dscnt 0x0
	v_fmac_f64_e32 v[142:143], v[124:125], v[138:139]
	s_wait_loadcnt 0x4
	v_fmac_f64_e32 v[142:143], v[126:127], v[140:141]
	scratch_load_b128 v[124:127], off, off offset:400
	ds_load_2addr_b64 v[134:137], v2 offset0:95 offset1:96
	ds_load_2addr_b64 v[138:141], v2 offset0:97 offset1:98
	s_wait_dscnt 0x1
	v_fmac_f64_e32 v[142:143], v[128:129], v[134:135]
	s_wait_loadcnt 0x4
	s_delay_alu instid0(VALU_DEP_1)
	v_fmac_f64_e32 v[142:143], v[130:131], v[136:137]
	scratch_load_b64 v[136:137], off, off offset:416
	s_wait_dscnt 0x0
	v_fmac_f64_e32 v[142:143], v[132:133], v[138:139]
	ds_load_2addr_b64 v[128:131], v2 offset0:99 offset1:100
	ds_load_2addr_b64 v[132:135], v2 offset0:101 offset1:102
	s_wait_loadcnt 0x4
	v_fmac_f64_e32 v[142:143], v[112:113], v[140:141]
	s_wait_dscnt 0x1
	s_delay_alu instid0(VALU_DEP_1) | instskip(SKIP_1) | instid1(VALU_DEP_1)
	v_fmac_f64_e32 v[142:143], v[114:115], v[128:129]
	s_wait_loadcnt 0x3
	v_fmac_f64_e32 v[142:143], v[116:117], v[130:131]
	s_wait_dscnt 0x0
	s_delay_alu instid0(VALU_DEP_1)
	v_fmac_f64_e32 v[142:143], v[118:119], v[132:133]
	ds_load_2addr_b64 v[112:115], v2 offset0:103 offset1:104
	ds_load_2addr_b64 v[116:119], v2 offset0:105 offset1:106
	s_wait_loadcnt 0x2
	v_fmac_f64_e32 v[142:143], v[120:121], v[134:135]
	s_wait_dscnt 0x1
	s_delay_alu instid0(VALU_DEP_1) | instskip(SKIP_1) | instid1(VALU_DEP_1)
	v_fmac_f64_e32 v[142:143], v[122:123], v[112:113]
	s_wait_loadcnt 0x1
	v_fmac_f64_e32 v[142:143], v[124:125], v[114:115]
	s_wait_dscnt 0x0
	s_delay_alu instid0(VALU_DEP_1) | instskip(SKIP_1) | instid1(VALU_DEP_1)
	v_fmac_f64_e32 v[142:143], v[126:127], v[116:117]
	s_wait_loadcnt 0x0
	v_fmac_f64_e32 v[142:143], v[136:137], v[118:119]
	s_delay_alu instid0(VALU_DEP_1)
	v_add_f64_e64 v[2:3], v[110:111], -v[142:143]
	scratch_store_b64 off, v[2:3], off offset:256
	s_wait_xcnt 0x0
	v_cmpx_lt_u32_e32 31, v0
	s_cbranch_execz .LBB116_265
; %bb.264:
	scratch_load_b64 v[2:3], off, off offset:248
	v_mov_b64_e32 v[110:111], 0
	scratch_store_b64 off, v[110:111], off offset:248
	s_wait_loadcnt 0x0
	ds_store_b64 v1, v[2:3]
.LBB116_265:
	s_wait_xcnt 0x0
	s_or_b32 exec_lo, exec_lo, s0
	s_wait_storecnt_dscnt 0x0
	s_barrier_signal -1
	s_barrier_wait -1
	s_clause 0x5
	scratch_load_b128 v[110:113], off, off offset:248
	scratch_load_b128 v[114:117], off, off offset:264
	;; [unrolled: 1-line block ×6, first 2 shown]
	v_mov_b32_e32 v2, 0
	ds_load_b128 v[134:137], v2 offset:688
	ds_load_b128 v[138:141], v2 offset:704
	s_mov_b32 s0, exec_lo
	s_wait_loadcnt_dscnt 0x501
	v_fma_f64 v[142:143], v[112:113], v[134:135], 0
	s_wait_loadcnt 0x4
	s_delay_alu instid0(VALU_DEP_1) | instskip(SKIP_4) | instid1(VALU_DEP_1)
	v_fmac_f64_e32 v[142:143], v[114:115], v[136:137]
	scratch_load_b128 v[112:115], off, off offset:344
	s_wait_dscnt 0x0
	v_fmac_f64_e32 v[142:143], v[116:117], v[138:139]
	s_wait_loadcnt 0x4
	v_fmac_f64_e32 v[142:143], v[118:119], v[140:141]
	scratch_load_b128 v[116:119], off, off offset:360
	ds_load_b128 v[134:137], v2 offset:720
	ds_load_b128 v[138:141], v2 offset:736
	s_wait_dscnt 0x1
	v_fmac_f64_e32 v[142:143], v[120:121], v[134:135]
	s_wait_loadcnt 0x4
	s_delay_alu instid0(VALU_DEP_1) | instskip(SKIP_4) | instid1(VALU_DEP_1)
	v_fmac_f64_e32 v[142:143], v[122:123], v[136:137]
	scratch_load_b128 v[120:123], off, off offset:376
	s_wait_dscnt 0x0
	v_fmac_f64_e32 v[142:143], v[124:125], v[138:139]
	s_wait_loadcnt 0x4
	v_fmac_f64_e32 v[142:143], v[126:127], v[140:141]
	scratch_load_b128 v[124:127], off, off offset:392
	ds_load_b128 v[134:137], v2 offset:752
	ds_load_b128 v[138:141], v2 offset:768
	s_wait_dscnt 0x1
	v_fmac_f64_e32 v[142:143], v[128:129], v[134:135]
	s_wait_loadcnt 0x4
	s_delay_alu instid0(VALU_DEP_1)
	v_fmac_f64_e32 v[142:143], v[130:131], v[136:137]
	scratch_load_b128 v[128:131], off, off offset:408
	s_wait_dscnt 0x0
	v_fmac_f64_e32 v[142:143], v[132:133], v[138:139]
	ds_load_b128 v[132:135], v2 offset:784
	ds_load_b128 v[136:139], v2 offset:800
	s_wait_loadcnt 0x4
	v_fmac_f64_e32 v[142:143], v[112:113], v[140:141]
	s_wait_dscnt 0x1
	s_delay_alu instid0(VALU_DEP_1) | instskip(SKIP_1) | instid1(VALU_DEP_1)
	v_fmac_f64_e32 v[142:143], v[114:115], v[132:133]
	s_wait_loadcnt 0x3
	v_fmac_f64_e32 v[142:143], v[116:117], v[134:135]
	s_wait_dscnt 0x0
	s_delay_alu instid0(VALU_DEP_1)
	v_fmac_f64_e32 v[142:143], v[118:119], v[136:137]
	ds_load_b128 v[112:115], v2 offset:816
	ds_load_b128 v[116:119], v2 offset:832
	s_wait_loadcnt 0x2
	v_fmac_f64_e32 v[142:143], v[120:121], v[138:139]
	s_wait_dscnt 0x1
	s_delay_alu instid0(VALU_DEP_1) | instskip(SKIP_4) | instid1(VALU_DEP_1)
	v_fmac_f64_e32 v[142:143], v[122:123], v[112:113]
	ds_load_b64 v[112:113], v2 offset:848
	s_wait_loadcnt 0x1
	v_fmac_f64_e32 v[142:143], v[124:125], v[114:115]
	s_wait_dscnt 0x1
	v_fmac_f64_e32 v[142:143], v[126:127], v[116:117]
	s_wait_loadcnt 0x0
	s_delay_alu instid0(VALU_DEP_1) | instskip(SKIP_1) | instid1(VALU_DEP_1)
	v_fmac_f64_e32 v[142:143], v[128:129], v[118:119]
	s_wait_dscnt 0x0
	v_fmac_f64_e32 v[142:143], v[130:131], v[112:113]
	s_delay_alu instid0(VALU_DEP_1)
	v_add_f64_e64 v[110:111], v[110:111], -v[142:143]
	scratch_store_b64 off, v[110:111], off offset:248
	s_wait_xcnt 0x0
	v_cmpx_lt_u32_e32 30, v0
	s_cbranch_execz .LBB116_267
; %bb.266:
	scratch_load_b64 v[110:111], off, off offset:240
	v_mov_b64_e32 v[112:113], 0
	scratch_store_b64 off, v[112:113], off offset:240
	s_wait_loadcnt 0x0
	ds_store_b64 v1, v[110:111]
.LBB116_267:
	s_wait_xcnt 0x0
	s_or_b32 exec_lo, exec_lo, s0
	s_wait_storecnt_dscnt 0x0
	s_barrier_signal -1
	s_barrier_wait -1
	s_clause 0x5
	scratch_load_b128 v[110:113], off, off offset:240
	scratch_load_b128 v[114:117], off, off offset:256
	;; [unrolled: 1-line block ×6, first 2 shown]
	ds_load_2addr_b64 v[134:137], v2 offset0:85 offset1:86
	ds_load_2addr_b64 v[138:141], v2 offset0:87 offset1:88
	scratch_load_b128 v[142:145], off, off offset:336
	s_mov_b32 s0, exec_lo
	s_wait_loadcnt_dscnt 0x601
	v_fma_f64 v[146:147], v[112:113], v[134:135], 0
	s_wait_loadcnt 0x5
	s_delay_alu instid0(VALU_DEP_1) | instskip(SKIP_4) | instid1(VALU_DEP_1)
	v_fmac_f64_e32 v[146:147], v[114:115], v[136:137]
	scratch_load_b128 v[112:115], off, off offset:352
	s_wait_dscnt 0x0
	v_fmac_f64_e32 v[146:147], v[116:117], v[138:139]
	s_wait_loadcnt 0x5
	v_fmac_f64_e32 v[146:147], v[118:119], v[140:141]
	ds_load_2addr_b64 v[116:119], v2 offset0:89 offset1:90
	ds_load_2addr_b64 v[134:137], v2 offset0:91 offset1:92
	s_wait_dscnt 0x1
	v_fmac_f64_e32 v[146:147], v[120:121], v[116:117]
	s_wait_loadcnt 0x4
	s_delay_alu instid0(VALU_DEP_1)
	v_fmac_f64_e32 v[146:147], v[122:123], v[118:119]
	s_clause 0x1
	scratch_load_b128 v[116:119], off, off offset:368
	scratch_load_b128 v[120:123], off, off offset:384
	s_wait_dscnt 0x0
	v_fmac_f64_e32 v[146:147], v[124:125], v[134:135]
	s_wait_loadcnt 0x5
	s_delay_alu instid0(VALU_DEP_1)
	v_fmac_f64_e32 v[146:147], v[126:127], v[136:137]
	ds_load_2addr_b64 v[124:127], v2 offset0:93 offset1:94
	ds_load_2addr_b64 v[134:137], v2 offset0:95 offset1:96
	s_wait_dscnt 0x1
	v_fmac_f64_e32 v[146:147], v[128:129], v[124:125]
	s_wait_loadcnt 0x4
	s_delay_alu instid0(VALU_DEP_1) | instskip(SKIP_4) | instid1(VALU_DEP_1)
	v_fmac_f64_e32 v[146:147], v[130:131], v[126:127]
	scratch_load_b128 v[124:127], off, off offset:400
	s_wait_dscnt 0x0
	v_fmac_f64_e32 v[146:147], v[132:133], v[134:135]
	s_wait_loadcnt 0x4
	v_fmac_f64_e32 v[146:147], v[142:143], v[136:137]
	scratch_load_b64 v[136:137], off, off offset:416
	ds_load_2addr_b64 v[128:131], v2 offset0:97 offset1:98
	ds_load_2addr_b64 v[132:135], v2 offset0:99 offset1:100
	s_wait_dscnt 0x1
	v_fmac_f64_e32 v[146:147], v[144:145], v[128:129]
	s_wait_loadcnt 0x4
	s_delay_alu instid0(VALU_DEP_1) | instskip(SKIP_1) | instid1(VALU_DEP_1)
	v_fmac_f64_e32 v[146:147], v[112:113], v[130:131]
	s_wait_dscnt 0x0
	v_fmac_f64_e32 v[146:147], v[114:115], v[132:133]
	ds_load_2addr_b64 v[112:115], v2 offset0:101 offset1:102
	ds_load_2addr_b64 v[128:131], v2 offset0:103 offset1:104
	s_wait_loadcnt 0x3
	v_fmac_f64_e32 v[146:147], v[116:117], v[134:135]
	s_wait_dscnt 0x1
	s_delay_alu instid0(VALU_DEP_1) | instskip(SKIP_1) | instid1(VALU_DEP_1)
	v_fmac_f64_e32 v[146:147], v[118:119], v[112:113]
	s_wait_loadcnt 0x2
	v_fmac_f64_e32 v[146:147], v[120:121], v[114:115]
	ds_load_2addr_b64 v[112:115], v2 offset0:105 offset1:106
	s_wait_dscnt 0x1
	v_fmac_f64_e32 v[146:147], v[122:123], v[128:129]
	s_wait_loadcnt 0x1
	s_delay_alu instid0(VALU_DEP_1) | instskip(SKIP_1) | instid1(VALU_DEP_1)
	v_fmac_f64_e32 v[146:147], v[124:125], v[130:131]
	s_wait_dscnt 0x0
	v_fmac_f64_e32 v[146:147], v[126:127], v[112:113]
	s_wait_loadcnt 0x0
	s_delay_alu instid0(VALU_DEP_1) | instskip(NEXT) | instid1(VALU_DEP_1)
	v_fmac_f64_e32 v[146:147], v[136:137], v[114:115]
	v_add_f64_e64 v[2:3], v[110:111], -v[146:147]
	scratch_store_b64 off, v[2:3], off offset:240
	s_wait_xcnt 0x0
	v_cmpx_lt_u32_e32 29, v0
	s_cbranch_execz .LBB116_269
; %bb.268:
	scratch_load_b64 v[2:3], off, off offset:232
	v_mov_b64_e32 v[110:111], 0
	scratch_store_b64 off, v[110:111], off offset:232
	s_wait_loadcnt 0x0
	ds_store_b64 v1, v[2:3]
.LBB116_269:
	s_wait_xcnt 0x0
	s_or_b32 exec_lo, exec_lo, s0
	s_wait_storecnt_dscnt 0x0
	s_barrier_signal -1
	s_barrier_wait -1
	s_clause 0x5
	scratch_load_b128 v[110:113], off, off offset:232
	scratch_load_b128 v[114:117], off, off offset:248
	;; [unrolled: 1-line block ×6, first 2 shown]
	v_mov_b32_e32 v2, 0
	ds_load_b128 v[134:137], v2 offset:672
	ds_load_b128 v[138:141], v2 offset:688
	scratch_load_b128 v[142:145], off, off offset:328
	s_mov_b32 s0, exec_lo
	s_wait_loadcnt_dscnt 0x601
	v_fma_f64 v[146:147], v[112:113], v[134:135], 0
	s_wait_loadcnt 0x5
	s_delay_alu instid0(VALU_DEP_1) | instskip(SKIP_4) | instid1(VALU_DEP_1)
	v_fmac_f64_e32 v[146:147], v[114:115], v[136:137]
	scratch_load_b128 v[112:115], off, off offset:344
	s_wait_dscnt 0x0
	v_fmac_f64_e32 v[146:147], v[116:117], v[138:139]
	s_wait_loadcnt 0x5
	v_fmac_f64_e32 v[146:147], v[118:119], v[140:141]
	ds_load_b128 v[116:119], v2 offset:704
	ds_load_b128 v[134:137], v2 offset:720
	s_wait_dscnt 0x1
	v_fmac_f64_e32 v[146:147], v[120:121], v[116:117]
	s_wait_loadcnt 0x4
	s_delay_alu instid0(VALU_DEP_1)
	v_fmac_f64_e32 v[146:147], v[122:123], v[118:119]
	s_clause 0x1
	scratch_load_b128 v[116:119], off, off offset:360
	scratch_load_b128 v[120:123], off, off offset:376
	s_wait_dscnt 0x0
	v_fmac_f64_e32 v[146:147], v[124:125], v[134:135]
	s_wait_loadcnt 0x5
	s_delay_alu instid0(VALU_DEP_1)
	v_fmac_f64_e32 v[146:147], v[126:127], v[136:137]
	ds_load_b128 v[124:127], v2 offset:736
	ds_load_b128 v[134:137], v2 offset:752
	s_wait_dscnt 0x1
	v_fmac_f64_e32 v[146:147], v[128:129], v[124:125]
	s_wait_loadcnt 0x4
	s_delay_alu instid0(VALU_DEP_1)
	v_fmac_f64_e32 v[146:147], v[130:131], v[126:127]
	s_clause 0x1
	scratch_load_b128 v[124:127], off, off offset:392
	scratch_load_b128 v[128:131], off, off offset:408
	s_wait_dscnt 0x0
	v_fmac_f64_e32 v[146:147], v[132:133], v[134:135]
	s_wait_loadcnt 0x5
	s_delay_alu instid0(VALU_DEP_1)
	v_fmac_f64_e32 v[146:147], v[142:143], v[136:137]
	ds_load_b128 v[132:135], v2 offset:768
	ds_load_b128 v[136:139], v2 offset:784
	s_wait_dscnt 0x1
	v_fmac_f64_e32 v[146:147], v[144:145], v[132:133]
	s_wait_loadcnt 0x4
	s_delay_alu instid0(VALU_DEP_1) | instskip(SKIP_1) | instid1(VALU_DEP_1)
	v_fmac_f64_e32 v[146:147], v[112:113], v[134:135]
	s_wait_dscnt 0x0
	v_fmac_f64_e32 v[146:147], v[114:115], v[136:137]
	ds_load_b128 v[112:115], v2 offset:800
	ds_load_b128 v[132:135], v2 offset:816
	s_wait_loadcnt 0x3
	v_fmac_f64_e32 v[146:147], v[116:117], v[138:139]
	s_wait_dscnt 0x1
	s_delay_alu instid0(VALU_DEP_1) | instskip(SKIP_1) | instid1(VALU_DEP_1)
	v_fmac_f64_e32 v[146:147], v[118:119], v[112:113]
	s_wait_loadcnt 0x2
	v_fmac_f64_e32 v[146:147], v[120:121], v[114:115]
	ds_load_b128 v[112:115], v2 offset:832
	ds_load_b64 v[116:117], v2 offset:848
	s_wait_dscnt 0x2
	v_fmac_f64_e32 v[146:147], v[122:123], v[132:133]
	s_wait_loadcnt 0x1
	s_delay_alu instid0(VALU_DEP_1) | instskip(SKIP_1) | instid1(VALU_DEP_1)
	v_fmac_f64_e32 v[146:147], v[124:125], v[134:135]
	s_wait_dscnt 0x1
	v_fmac_f64_e32 v[146:147], v[126:127], v[112:113]
	s_wait_loadcnt 0x0
	s_delay_alu instid0(VALU_DEP_1) | instskip(SKIP_1) | instid1(VALU_DEP_1)
	v_fmac_f64_e32 v[146:147], v[128:129], v[114:115]
	s_wait_dscnt 0x0
	v_fmac_f64_e32 v[146:147], v[130:131], v[116:117]
	s_delay_alu instid0(VALU_DEP_1)
	v_add_f64_e64 v[110:111], v[110:111], -v[146:147]
	scratch_store_b64 off, v[110:111], off offset:232
	s_wait_xcnt 0x0
	v_cmpx_lt_u32_e32 28, v0
	s_cbranch_execz .LBB116_271
; %bb.270:
	scratch_load_b64 v[110:111], off, off offset:224
	v_mov_b64_e32 v[112:113], 0
	scratch_store_b64 off, v[112:113], off offset:224
	s_wait_loadcnt 0x0
	ds_store_b64 v1, v[110:111]
.LBB116_271:
	s_wait_xcnt 0x0
	s_or_b32 exec_lo, exec_lo, s0
	s_wait_storecnt_dscnt 0x0
	s_barrier_signal -1
	s_barrier_wait -1
	s_clause 0x5
	scratch_load_b128 v[110:113], off, off offset:224
	scratch_load_b128 v[114:117], off, off offset:240
	;; [unrolled: 1-line block ×6, first 2 shown]
	ds_load_2addr_b64 v[134:137], v2 offset0:83 offset1:84
	ds_load_2addr_b64 v[138:141], v2 offset0:85 offset1:86
	scratch_load_b128 v[142:145], off, off offset:320
	s_mov_b32 s0, exec_lo
	s_wait_loadcnt_dscnt 0x601
	v_fma_f64 v[146:147], v[112:113], v[134:135], 0
	s_wait_loadcnt 0x5
	s_delay_alu instid0(VALU_DEP_1) | instskip(SKIP_4) | instid1(VALU_DEP_1)
	v_fmac_f64_e32 v[146:147], v[114:115], v[136:137]
	scratch_load_b128 v[112:115], off, off offset:336
	s_wait_dscnt 0x0
	v_fmac_f64_e32 v[146:147], v[116:117], v[138:139]
	s_wait_loadcnt 0x5
	v_fmac_f64_e32 v[146:147], v[118:119], v[140:141]
	ds_load_2addr_b64 v[116:119], v2 offset0:87 offset1:88
	ds_load_2addr_b64 v[134:137], v2 offset0:89 offset1:90
	s_wait_dscnt 0x1
	v_fmac_f64_e32 v[146:147], v[120:121], v[116:117]
	s_wait_loadcnt 0x4
	s_delay_alu instid0(VALU_DEP_1)
	v_fmac_f64_e32 v[146:147], v[122:123], v[118:119]
	s_clause 0x1
	scratch_load_b128 v[116:119], off, off offset:352
	scratch_load_b128 v[120:123], off, off offset:368
	s_wait_dscnt 0x0
	v_fmac_f64_e32 v[146:147], v[124:125], v[134:135]
	s_wait_loadcnt 0x5
	s_delay_alu instid0(VALU_DEP_1)
	v_fmac_f64_e32 v[146:147], v[126:127], v[136:137]
	ds_load_2addr_b64 v[124:127], v2 offset0:91 offset1:92
	ds_load_2addr_b64 v[134:137], v2 offset0:93 offset1:94
	s_wait_dscnt 0x1
	v_fmac_f64_e32 v[146:147], v[128:129], v[124:125]
	s_wait_loadcnt 0x4
	s_delay_alu instid0(VALU_DEP_1)
	v_fmac_f64_e32 v[146:147], v[130:131], v[126:127]
	s_clause 0x1
	scratch_load_b128 v[124:127], off, off offset:384
	scratch_load_b128 v[128:131], off, off offset:400
	s_wait_dscnt 0x0
	v_fmac_f64_e32 v[146:147], v[132:133], v[134:135]
	s_wait_loadcnt 0x5
	s_delay_alu instid0(VALU_DEP_1)
	v_fmac_f64_e32 v[146:147], v[142:143], v[136:137]
	ds_load_2addr_b64 v[132:135], v2 offset0:95 offset1:96
	ds_load_2addr_b64 v[136:139], v2 offset0:97 offset1:98
	scratch_load_b64 v[140:141], off, off offset:416
	s_wait_dscnt 0x1
	v_fmac_f64_e32 v[146:147], v[144:145], v[132:133]
	s_wait_loadcnt 0x5
	s_delay_alu instid0(VALU_DEP_1) | instskip(SKIP_1) | instid1(VALU_DEP_1)
	v_fmac_f64_e32 v[146:147], v[112:113], v[134:135]
	s_wait_dscnt 0x0
	v_fmac_f64_e32 v[146:147], v[114:115], v[136:137]
	ds_load_2addr_b64 v[112:115], v2 offset0:99 offset1:100
	ds_load_2addr_b64 v[132:135], v2 offset0:101 offset1:102
	s_wait_loadcnt 0x4
	v_fmac_f64_e32 v[146:147], v[116:117], v[138:139]
	s_wait_dscnt 0x1
	s_delay_alu instid0(VALU_DEP_1) | instskip(SKIP_1) | instid1(VALU_DEP_1)
	v_fmac_f64_e32 v[146:147], v[118:119], v[112:113]
	s_wait_loadcnt 0x3
	v_fmac_f64_e32 v[146:147], v[120:121], v[114:115]
	ds_load_2addr_b64 v[112:115], v2 offset0:103 offset1:104
	ds_load_2addr_b64 v[116:119], v2 offset0:105 offset1:106
	s_wait_dscnt 0x2
	v_fmac_f64_e32 v[146:147], v[122:123], v[132:133]
	s_wait_loadcnt 0x2
	s_delay_alu instid0(VALU_DEP_1) | instskip(SKIP_1) | instid1(VALU_DEP_1)
	v_fmac_f64_e32 v[146:147], v[124:125], v[134:135]
	s_wait_dscnt 0x1
	v_fmac_f64_e32 v[146:147], v[126:127], v[112:113]
	s_wait_loadcnt 0x1
	s_delay_alu instid0(VALU_DEP_1) | instskip(SKIP_1) | instid1(VALU_DEP_1)
	v_fmac_f64_e32 v[146:147], v[128:129], v[114:115]
	s_wait_dscnt 0x0
	v_fmac_f64_e32 v[146:147], v[130:131], v[116:117]
	s_wait_loadcnt 0x0
	s_delay_alu instid0(VALU_DEP_1) | instskip(NEXT) | instid1(VALU_DEP_1)
	v_fmac_f64_e32 v[146:147], v[140:141], v[118:119]
	v_add_f64_e64 v[2:3], v[110:111], -v[146:147]
	scratch_store_b64 off, v[2:3], off offset:224
	s_wait_xcnt 0x0
	v_cmpx_lt_u32_e32 27, v0
	s_cbranch_execz .LBB116_273
; %bb.272:
	scratch_load_b64 v[2:3], off, off offset:216
	v_mov_b64_e32 v[110:111], 0
	scratch_store_b64 off, v[110:111], off offset:216
	s_wait_loadcnt 0x0
	ds_store_b64 v1, v[2:3]
.LBB116_273:
	s_wait_xcnt 0x0
	s_or_b32 exec_lo, exec_lo, s0
	s_wait_storecnt_dscnt 0x0
	s_barrier_signal -1
	s_barrier_wait -1
	s_clause 0x5
	scratch_load_b128 v[110:113], off, off offset:216
	scratch_load_b128 v[114:117], off, off offset:232
	;; [unrolled: 1-line block ×6, first 2 shown]
	v_mov_b32_e32 v2, 0
	ds_load_b128 v[134:137], v2 offset:656
	ds_load_b128 v[138:141], v2 offset:672
	scratch_load_b128 v[142:145], off, off offset:312
	s_mov_b32 s0, exec_lo
	s_wait_loadcnt_dscnt 0x601
	v_fma_f64 v[146:147], v[112:113], v[134:135], 0
	s_wait_loadcnt 0x5
	s_delay_alu instid0(VALU_DEP_1) | instskip(SKIP_4) | instid1(VALU_DEP_1)
	v_fmac_f64_e32 v[146:147], v[114:115], v[136:137]
	scratch_load_b128 v[112:115], off, off offset:328
	s_wait_dscnt 0x0
	v_fmac_f64_e32 v[146:147], v[116:117], v[138:139]
	s_wait_loadcnt 0x5
	v_fmac_f64_e32 v[146:147], v[118:119], v[140:141]
	ds_load_b128 v[116:119], v2 offset:688
	ds_load_b128 v[134:137], v2 offset:704
	s_wait_dscnt 0x1
	v_fmac_f64_e32 v[146:147], v[120:121], v[116:117]
	s_wait_loadcnt 0x4
	s_delay_alu instid0(VALU_DEP_1)
	v_fmac_f64_e32 v[146:147], v[122:123], v[118:119]
	s_clause 0x1
	scratch_load_b128 v[116:119], off, off offset:344
	scratch_load_b128 v[120:123], off, off offset:360
	s_wait_dscnt 0x0
	v_fmac_f64_e32 v[146:147], v[124:125], v[134:135]
	s_wait_loadcnt 0x5
	s_delay_alu instid0(VALU_DEP_1)
	v_fmac_f64_e32 v[146:147], v[126:127], v[136:137]
	ds_load_b128 v[124:127], v2 offset:720
	ds_load_b128 v[134:137], v2 offset:736
	s_wait_dscnt 0x1
	v_fmac_f64_e32 v[146:147], v[128:129], v[124:125]
	s_wait_loadcnt 0x4
	s_delay_alu instid0(VALU_DEP_1)
	v_fmac_f64_e32 v[146:147], v[130:131], v[126:127]
	s_clause 0x1
	scratch_load_b128 v[124:127], off, off offset:376
	scratch_load_b128 v[128:131], off, off offset:392
	s_wait_dscnt 0x0
	v_fmac_f64_e32 v[146:147], v[132:133], v[134:135]
	s_wait_loadcnt 0x5
	s_delay_alu instid0(VALU_DEP_1)
	v_fmac_f64_e32 v[146:147], v[142:143], v[136:137]
	ds_load_b128 v[132:135], v2 offset:752
	ds_load_b128 v[136:139], v2 offset:768
	s_wait_dscnt 0x1
	v_fmac_f64_e32 v[146:147], v[144:145], v[132:133]
	s_wait_loadcnt 0x4
	s_delay_alu instid0(VALU_DEP_1) | instskip(SKIP_4) | instid1(VALU_DEP_1)
	v_fmac_f64_e32 v[146:147], v[112:113], v[134:135]
	scratch_load_b128 v[132:135], off, off offset:408
	s_wait_dscnt 0x0
	v_fmac_f64_e32 v[146:147], v[114:115], v[136:137]
	s_wait_loadcnt 0x4
	v_fmac_f64_e32 v[146:147], v[116:117], v[138:139]
	ds_load_b128 v[112:115], v2 offset:784
	ds_load_b128 v[136:139], v2 offset:800
	s_wait_dscnt 0x1
	v_fmac_f64_e32 v[146:147], v[118:119], v[112:113]
	s_wait_loadcnt 0x3
	s_delay_alu instid0(VALU_DEP_1)
	v_fmac_f64_e32 v[146:147], v[120:121], v[114:115]
	ds_load_b128 v[112:115], v2 offset:816
	ds_load_b128 v[116:119], v2 offset:832
	s_wait_dscnt 0x2
	v_fmac_f64_e32 v[146:147], v[122:123], v[136:137]
	s_wait_loadcnt 0x2
	s_delay_alu instid0(VALU_DEP_1) | instskip(SKIP_1) | instid1(VALU_DEP_1)
	v_fmac_f64_e32 v[146:147], v[124:125], v[138:139]
	s_wait_dscnt 0x1
	v_fmac_f64_e32 v[146:147], v[126:127], v[112:113]
	ds_load_b64 v[112:113], v2 offset:848
	s_wait_loadcnt 0x1
	v_fmac_f64_e32 v[146:147], v[128:129], v[114:115]
	s_wait_dscnt 0x1
	s_delay_alu instid0(VALU_DEP_1) | instskip(SKIP_1) | instid1(VALU_DEP_1)
	v_fmac_f64_e32 v[146:147], v[130:131], v[116:117]
	s_wait_loadcnt 0x0
	v_fmac_f64_e32 v[146:147], v[132:133], v[118:119]
	s_wait_dscnt 0x0
	s_delay_alu instid0(VALU_DEP_1) | instskip(NEXT) | instid1(VALU_DEP_1)
	v_fmac_f64_e32 v[146:147], v[134:135], v[112:113]
	v_add_f64_e64 v[110:111], v[110:111], -v[146:147]
	scratch_store_b64 off, v[110:111], off offset:216
	s_wait_xcnt 0x0
	v_cmpx_lt_u32_e32 26, v0
	s_cbranch_execz .LBB116_275
; %bb.274:
	scratch_load_b64 v[110:111], off, off offset:208
	v_mov_b64_e32 v[112:113], 0
	scratch_store_b64 off, v[112:113], off offset:208
	s_wait_loadcnt 0x0
	ds_store_b64 v1, v[110:111]
.LBB116_275:
	s_wait_xcnt 0x0
	s_or_b32 exec_lo, exec_lo, s0
	s_wait_storecnt_dscnt 0x0
	s_barrier_signal -1
	s_barrier_wait -1
	s_clause 0x5
	scratch_load_b128 v[110:113], off, off offset:208
	scratch_load_b128 v[114:117], off, off offset:224
	scratch_load_b128 v[118:121], off, off offset:240
	scratch_load_b128 v[122:125], off, off offset:256
	scratch_load_b128 v[126:129], off, off offset:272
	scratch_load_b128 v[130:133], off, off offset:288
	ds_load_2addr_b64 v[134:137], v2 offset0:81 offset1:82
	ds_load_2addr_b64 v[138:141], v2 offset0:83 offset1:84
	scratch_load_b128 v[142:145], off, off offset:304
	s_mov_b32 s0, exec_lo
	s_wait_loadcnt_dscnt 0x601
	v_fma_f64 v[146:147], v[112:113], v[134:135], 0
	s_wait_loadcnt 0x5
	s_delay_alu instid0(VALU_DEP_1) | instskip(SKIP_4) | instid1(VALU_DEP_1)
	v_fmac_f64_e32 v[146:147], v[114:115], v[136:137]
	scratch_load_b128 v[112:115], off, off offset:320
	s_wait_dscnt 0x0
	v_fmac_f64_e32 v[146:147], v[116:117], v[138:139]
	s_wait_loadcnt 0x5
	v_fmac_f64_e32 v[146:147], v[118:119], v[140:141]
	ds_load_2addr_b64 v[116:119], v2 offset0:85 offset1:86
	ds_load_2addr_b64 v[134:137], v2 offset0:87 offset1:88
	scratch_load_b128 v[138:141], off, off offset:336
	s_wait_dscnt 0x1
	v_fmac_f64_e32 v[146:147], v[120:121], v[116:117]
	s_wait_loadcnt 0x5
	s_delay_alu instid0(VALU_DEP_1) | instskip(SKIP_4) | instid1(VALU_DEP_1)
	v_fmac_f64_e32 v[146:147], v[122:123], v[118:119]
	scratch_load_b128 v[116:119], off, off offset:352
	s_wait_dscnt 0x0
	v_fmac_f64_e32 v[146:147], v[124:125], v[134:135]
	s_wait_loadcnt 0x5
	v_fmac_f64_e32 v[146:147], v[126:127], v[136:137]
	ds_load_2addr_b64 v[120:123], v2 offset0:89 offset1:90
	ds_load_2addr_b64 v[124:127], v2 offset0:91 offset1:92
	s_wait_dscnt 0x1
	v_fmac_f64_e32 v[146:147], v[128:129], v[120:121]
	s_wait_loadcnt 0x4
	s_delay_alu instid0(VALU_DEP_1) | instskip(SKIP_4) | instid1(VALU_DEP_1)
	v_fmac_f64_e32 v[146:147], v[130:131], v[122:123]
	scratch_load_b128 v[120:123], off, off offset:368
	s_wait_dscnt 0x0
	v_fmac_f64_e32 v[146:147], v[132:133], v[124:125]
	s_wait_loadcnt 0x4
	v_fmac_f64_e32 v[146:147], v[142:143], v[126:127]
	scratch_load_b128 v[124:127], off, off offset:384
	ds_load_2addr_b64 v[128:131], v2 offset0:93 offset1:94
	ds_load_2addr_b64 v[132:135], v2 offset0:95 offset1:96
	scratch_load_b64 v[136:137], off, off offset:416
	s_wait_dscnt 0x1
	v_fmac_f64_e32 v[146:147], v[144:145], v[128:129]
	s_wait_loadcnt 0x5
	s_delay_alu instid0(VALU_DEP_1) | instskip(SKIP_4) | instid1(VALU_DEP_1)
	v_fmac_f64_e32 v[146:147], v[112:113], v[130:131]
	scratch_load_b128 v[128:131], off, off offset:400
	s_wait_dscnt 0x0
	v_fmac_f64_e32 v[146:147], v[114:115], v[132:133]
	s_wait_loadcnt 0x5
	v_fmac_f64_e32 v[146:147], v[138:139], v[134:135]
	ds_load_2addr_b64 v[112:115], v2 offset0:97 offset1:98
	ds_load_2addr_b64 v[132:135], v2 offset0:99 offset1:100
	s_wait_dscnt 0x1
	v_fmac_f64_e32 v[146:147], v[140:141], v[112:113]
	s_wait_loadcnt 0x4
	s_delay_alu instid0(VALU_DEP_1) | instskip(SKIP_1) | instid1(VALU_DEP_1)
	v_fmac_f64_e32 v[146:147], v[116:117], v[114:115]
	s_wait_dscnt 0x0
	v_fmac_f64_e32 v[146:147], v[118:119], v[132:133]
	ds_load_2addr_b64 v[112:115], v2 offset0:101 offset1:102
	ds_load_2addr_b64 v[116:119], v2 offset0:103 offset1:104
	s_wait_loadcnt 0x3
	v_fmac_f64_e32 v[146:147], v[120:121], v[134:135]
	s_wait_dscnt 0x1
	s_delay_alu instid0(VALU_DEP_1) | instskip(SKIP_1) | instid1(VALU_DEP_1)
	v_fmac_f64_e32 v[146:147], v[122:123], v[112:113]
	s_wait_loadcnt 0x2
	v_fmac_f64_e32 v[146:147], v[124:125], v[114:115]
	ds_load_2addr_b64 v[112:115], v2 offset0:105 offset1:106
	s_wait_dscnt 0x1
	v_fmac_f64_e32 v[146:147], v[126:127], v[116:117]
	s_wait_loadcnt 0x0
	s_delay_alu instid0(VALU_DEP_1) | instskip(SKIP_1) | instid1(VALU_DEP_1)
	v_fmac_f64_e32 v[146:147], v[128:129], v[118:119]
	s_wait_dscnt 0x0
	v_fmac_f64_e32 v[146:147], v[130:131], v[112:113]
	s_delay_alu instid0(VALU_DEP_1) | instskip(NEXT) | instid1(VALU_DEP_1)
	v_fmac_f64_e32 v[146:147], v[136:137], v[114:115]
	v_add_f64_e64 v[2:3], v[110:111], -v[146:147]
	scratch_store_b64 off, v[2:3], off offset:208
	s_wait_xcnt 0x0
	v_cmpx_lt_u32_e32 25, v0
	s_cbranch_execz .LBB116_277
; %bb.276:
	scratch_load_b64 v[2:3], off, off offset:200
	v_mov_b64_e32 v[110:111], 0
	scratch_store_b64 off, v[110:111], off offset:200
	s_wait_loadcnt 0x0
	ds_store_b64 v1, v[2:3]
.LBB116_277:
	s_wait_xcnt 0x0
	s_or_b32 exec_lo, exec_lo, s0
	s_wait_storecnt_dscnt 0x0
	s_barrier_signal -1
	s_barrier_wait -1
	s_clause 0x5
	scratch_load_b128 v[110:113], off, off offset:200
	scratch_load_b128 v[114:117], off, off offset:216
	;; [unrolled: 1-line block ×6, first 2 shown]
	v_mov_b32_e32 v2, 0
	ds_load_b128 v[134:137], v2 offset:640
	ds_load_b128 v[138:141], v2 offset:656
	scratch_load_b128 v[142:145], off, off offset:296
	s_mov_b32 s0, exec_lo
	s_wait_loadcnt_dscnt 0x601
	v_fma_f64 v[146:147], v[112:113], v[134:135], 0
	s_wait_loadcnt 0x5
	s_delay_alu instid0(VALU_DEP_1) | instskip(SKIP_4) | instid1(VALU_DEP_1)
	v_fmac_f64_e32 v[146:147], v[114:115], v[136:137]
	scratch_load_b128 v[112:115], off, off offset:312
	s_wait_dscnt 0x0
	v_fmac_f64_e32 v[146:147], v[116:117], v[138:139]
	s_wait_loadcnt 0x5
	v_fmac_f64_e32 v[146:147], v[118:119], v[140:141]
	ds_load_b128 v[116:119], v2 offset:672
	ds_load_b128 v[134:137], v2 offset:688
	scratch_load_b128 v[138:141], off, off offset:328
	s_wait_dscnt 0x1
	v_fmac_f64_e32 v[146:147], v[120:121], v[116:117]
	s_wait_loadcnt 0x5
	s_delay_alu instid0(VALU_DEP_1) | instskip(SKIP_4) | instid1(VALU_DEP_1)
	v_fmac_f64_e32 v[146:147], v[122:123], v[118:119]
	scratch_load_b128 v[116:119], off, off offset:344
	s_wait_dscnt 0x0
	v_fmac_f64_e32 v[146:147], v[124:125], v[134:135]
	s_wait_loadcnt 0x5
	v_fmac_f64_e32 v[146:147], v[126:127], v[136:137]
	ds_load_b128 v[120:123], v2 offset:704
	ds_load_b128 v[124:127], v2 offset:720
	s_wait_dscnt 0x1
	v_fmac_f64_e32 v[146:147], v[128:129], v[120:121]
	s_wait_loadcnt 0x4
	s_delay_alu instid0(VALU_DEP_1) | instskip(SKIP_4) | instid1(VALU_DEP_1)
	v_fmac_f64_e32 v[146:147], v[130:131], v[122:123]
	scratch_load_b128 v[120:123], off, off offset:360
	s_wait_dscnt 0x0
	v_fmac_f64_e32 v[146:147], v[132:133], v[124:125]
	s_wait_loadcnt 0x4
	v_fmac_f64_e32 v[146:147], v[142:143], v[126:127]
	scratch_load_b128 v[124:127], off, off offset:376
	ds_load_b128 v[128:131], v2 offset:736
	ds_load_b128 v[132:135], v2 offset:752
	s_wait_dscnt 0x1
	v_fmac_f64_e32 v[146:147], v[144:145], v[128:129]
	s_wait_loadcnt 0x4
	s_delay_alu instid0(VALU_DEP_1)
	v_fmac_f64_e32 v[146:147], v[112:113], v[130:131]
	scratch_load_b128 v[128:131], off, off offset:392
	s_wait_dscnt 0x0
	v_fmac_f64_e32 v[146:147], v[114:115], v[132:133]
	scratch_load_b128 v[112:115], off, off offset:408
	s_wait_loadcnt 0x5
	v_fmac_f64_e32 v[146:147], v[138:139], v[134:135]
	ds_load_b128 v[132:135], v2 offset:768
	ds_load_b128 v[136:139], v2 offset:784
	s_wait_dscnt 0x1
	v_fmac_f64_e32 v[146:147], v[140:141], v[132:133]
	s_wait_loadcnt 0x4
	s_delay_alu instid0(VALU_DEP_1) | instskip(SKIP_1) | instid1(VALU_DEP_1)
	v_fmac_f64_e32 v[146:147], v[116:117], v[134:135]
	s_wait_dscnt 0x0
	v_fmac_f64_e32 v[146:147], v[118:119], v[136:137]
	ds_load_b128 v[116:119], v2 offset:800
	ds_load_b128 v[132:135], v2 offset:816
	s_wait_loadcnt 0x3
	v_fmac_f64_e32 v[146:147], v[120:121], v[138:139]
	s_wait_dscnt 0x1
	s_delay_alu instid0(VALU_DEP_1) | instskip(SKIP_1) | instid1(VALU_DEP_1)
	v_fmac_f64_e32 v[146:147], v[122:123], v[116:117]
	s_wait_loadcnt 0x2
	v_fmac_f64_e32 v[146:147], v[124:125], v[118:119]
	ds_load_b128 v[116:119], v2 offset:832
	ds_load_b64 v[120:121], v2 offset:848
	s_wait_dscnt 0x2
	v_fmac_f64_e32 v[146:147], v[126:127], v[132:133]
	s_wait_loadcnt 0x1
	s_delay_alu instid0(VALU_DEP_1) | instskip(SKIP_1) | instid1(VALU_DEP_1)
	v_fmac_f64_e32 v[146:147], v[128:129], v[134:135]
	s_wait_dscnt 0x1
	v_fmac_f64_e32 v[146:147], v[130:131], v[116:117]
	s_wait_loadcnt 0x0
	s_delay_alu instid0(VALU_DEP_1) | instskip(SKIP_1) | instid1(VALU_DEP_1)
	v_fmac_f64_e32 v[146:147], v[112:113], v[118:119]
	s_wait_dscnt 0x0
	v_fmac_f64_e32 v[146:147], v[114:115], v[120:121]
	s_delay_alu instid0(VALU_DEP_1)
	v_add_f64_e64 v[110:111], v[110:111], -v[146:147]
	scratch_store_b64 off, v[110:111], off offset:200
	s_wait_xcnt 0x0
	v_cmpx_lt_u32_e32 24, v0
	s_cbranch_execz .LBB116_279
; %bb.278:
	scratch_load_b64 v[110:111], off, off offset:192
	v_mov_b64_e32 v[112:113], 0
	scratch_store_b64 off, v[112:113], off offset:192
	s_wait_loadcnt 0x0
	ds_store_b64 v1, v[110:111]
.LBB116_279:
	s_wait_xcnt 0x0
	s_or_b32 exec_lo, exec_lo, s0
	s_wait_storecnt_dscnt 0x0
	s_barrier_signal -1
	s_barrier_wait -1
	s_clause 0x5
	scratch_load_b128 v[110:113], off, off offset:192
	scratch_load_b128 v[114:117], off, off offset:208
	;; [unrolled: 1-line block ×6, first 2 shown]
	ds_load_2addr_b64 v[134:137], v2 offset0:79 offset1:80
	ds_load_2addr_b64 v[138:141], v2 offset0:81 offset1:82
	scratch_load_b128 v[142:145], off, off offset:288
	s_mov_b32 s0, exec_lo
	s_wait_loadcnt_dscnt 0x601
	v_fma_f64 v[146:147], v[112:113], v[134:135], 0
	s_wait_loadcnt 0x5
	s_delay_alu instid0(VALU_DEP_1) | instskip(SKIP_4) | instid1(VALU_DEP_1)
	v_fmac_f64_e32 v[146:147], v[114:115], v[136:137]
	scratch_load_b128 v[112:115], off, off offset:304
	s_wait_dscnt 0x0
	v_fmac_f64_e32 v[146:147], v[116:117], v[138:139]
	s_wait_loadcnt 0x5
	v_fmac_f64_e32 v[146:147], v[118:119], v[140:141]
	ds_load_2addr_b64 v[116:119], v2 offset0:83 offset1:84
	ds_load_2addr_b64 v[134:137], v2 offset0:85 offset1:86
	scratch_load_b128 v[138:141], off, off offset:320
	s_wait_dscnt 0x1
	v_fmac_f64_e32 v[146:147], v[120:121], v[116:117]
	s_wait_loadcnt 0x5
	s_delay_alu instid0(VALU_DEP_1) | instskip(SKIP_4) | instid1(VALU_DEP_1)
	v_fmac_f64_e32 v[146:147], v[122:123], v[118:119]
	scratch_load_b128 v[116:119], off, off offset:336
	s_wait_dscnt 0x0
	v_fmac_f64_e32 v[146:147], v[124:125], v[134:135]
	s_wait_loadcnt 0x5
	v_fmac_f64_e32 v[146:147], v[126:127], v[136:137]
	ds_load_2addr_b64 v[120:123], v2 offset0:87 offset1:88
	ds_load_2addr_b64 v[124:127], v2 offset0:89 offset1:90
	s_wait_dscnt 0x1
	v_fmac_f64_e32 v[146:147], v[128:129], v[120:121]
	s_wait_loadcnt 0x4
	s_delay_alu instid0(VALU_DEP_1) | instskip(SKIP_4) | instid1(VALU_DEP_1)
	v_fmac_f64_e32 v[146:147], v[130:131], v[122:123]
	scratch_load_b128 v[120:123], off, off offset:352
	s_wait_dscnt 0x0
	v_fmac_f64_e32 v[146:147], v[132:133], v[124:125]
	s_wait_loadcnt 0x4
	v_fmac_f64_e32 v[146:147], v[142:143], v[126:127]
	scratch_load_b128 v[124:127], off, off offset:368
	ds_load_2addr_b64 v[128:131], v2 offset0:91 offset1:92
	ds_load_2addr_b64 v[132:135], v2 offset0:93 offset1:94
	s_wait_dscnt 0x1
	v_fmac_f64_e32 v[146:147], v[144:145], v[128:129]
	s_wait_loadcnt 0x4
	s_delay_alu instid0(VALU_DEP_1)
	v_fmac_f64_e32 v[146:147], v[112:113], v[130:131]
	scratch_load_b128 v[128:131], off, off offset:384
	s_wait_dscnt 0x0
	v_fmac_f64_e32 v[146:147], v[114:115], v[132:133]
	scratch_load_b128 v[112:115], off, off offset:400
	s_wait_loadcnt 0x5
	v_fmac_f64_e32 v[146:147], v[138:139], v[134:135]
	ds_load_2addr_b64 v[132:135], v2 offset0:95 offset1:96
	ds_load_2addr_b64 v[136:139], v2 offset0:97 offset1:98
	s_wait_dscnt 0x1
	v_fmac_f64_e32 v[146:147], v[140:141], v[132:133]
	scratch_load_b64 v[140:141], off, off offset:416
	s_wait_loadcnt 0x5
	v_fmac_f64_e32 v[146:147], v[116:117], v[134:135]
	s_wait_dscnt 0x0
	s_delay_alu instid0(VALU_DEP_1)
	v_fmac_f64_e32 v[146:147], v[118:119], v[136:137]
	ds_load_2addr_b64 v[116:119], v2 offset0:99 offset1:100
	ds_load_2addr_b64 v[132:135], v2 offset0:101 offset1:102
	s_wait_loadcnt 0x4
	v_fmac_f64_e32 v[146:147], v[120:121], v[138:139]
	s_wait_dscnt 0x1
	s_delay_alu instid0(VALU_DEP_1) | instskip(SKIP_1) | instid1(VALU_DEP_1)
	v_fmac_f64_e32 v[146:147], v[122:123], v[116:117]
	s_wait_loadcnt 0x3
	v_fmac_f64_e32 v[146:147], v[124:125], v[118:119]
	ds_load_2addr_b64 v[116:119], v2 offset0:103 offset1:104
	ds_load_2addr_b64 v[120:123], v2 offset0:105 offset1:106
	s_wait_dscnt 0x2
	v_fmac_f64_e32 v[146:147], v[126:127], v[132:133]
	s_wait_loadcnt 0x2
	s_delay_alu instid0(VALU_DEP_1) | instskip(SKIP_1) | instid1(VALU_DEP_1)
	v_fmac_f64_e32 v[146:147], v[128:129], v[134:135]
	s_wait_dscnt 0x1
	v_fmac_f64_e32 v[146:147], v[130:131], v[116:117]
	s_wait_loadcnt 0x1
	s_delay_alu instid0(VALU_DEP_1) | instskip(SKIP_1) | instid1(VALU_DEP_1)
	v_fmac_f64_e32 v[146:147], v[112:113], v[118:119]
	s_wait_dscnt 0x0
	v_fmac_f64_e32 v[146:147], v[114:115], v[120:121]
	s_wait_loadcnt 0x0
	s_delay_alu instid0(VALU_DEP_1) | instskip(NEXT) | instid1(VALU_DEP_1)
	v_fmac_f64_e32 v[146:147], v[140:141], v[122:123]
	v_add_f64_e64 v[2:3], v[110:111], -v[146:147]
	scratch_store_b64 off, v[2:3], off offset:192
	s_wait_xcnt 0x0
	v_cmpx_lt_u32_e32 23, v0
	s_cbranch_execz .LBB116_281
; %bb.280:
	scratch_load_b64 v[2:3], off, off offset:184
	v_mov_b64_e32 v[110:111], 0
	scratch_store_b64 off, v[110:111], off offset:184
	s_wait_loadcnt 0x0
	ds_store_b64 v1, v[2:3]
.LBB116_281:
	s_wait_xcnt 0x0
	s_or_b32 exec_lo, exec_lo, s0
	s_wait_storecnt_dscnt 0x0
	s_barrier_signal -1
	s_barrier_wait -1
	s_clause 0x5
	scratch_load_b128 v[110:113], off, off offset:184
	scratch_load_b128 v[114:117], off, off offset:200
	;; [unrolled: 1-line block ×6, first 2 shown]
	v_mov_b32_e32 v2, 0
	ds_load_b128 v[134:137], v2 offset:624
	ds_load_b128 v[138:141], v2 offset:640
	scratch_load_b128 v[142:145], off, off offset:280
	s_mov_b32 s0, exec_lo
	s_wait_loadcnt_dscnt 0x601
	v_fma_f64 v[146:147], v[112:113], v[134:135], 0
	s_wait_loadcnt 0x5
	s_delay_alu instid0(VALU_DEP_1) | instskip(SKIP_4) | instid1(VALU_DEP_1)
	v_fmac_f64_e32 v[146:147], v[114:115], v[136:137]
	scratch_load_b128 v[112:115], off, off offset:296
	s_wait_dscnt 0x0
	v_fmac_f64_e32 v[146:147], v[116:117], v[138:139]
	s_wait_loadcnt 0x5
	v_fmac_f64_e32 v[146:147], v[118:119], v[140:141]
	ds_load_b128 v[116:119], v2 offset:656
	ds_load_b128 v[134:137], v2 offset:672
	scratch_load_b128 v[138:141], off, off offset:312
	s_wait_dscnt 0x1
	v_fmac_f64_e32 v[146:147], v[120:121], v[116:117]
	s_wait_loadcnt 0x5
	s_delay_alu instid0(VALU_DEP_1) | instskip(SKIP_4) | instid1(VALU_DEP_1)
	v_fmac_f64_e32 v[146:147], v[122:123], v[118:119]
	scratch_load_b128 v[116:119], off, off offset:328
	s_wait_dscnt 0x0
	v_fmac_f64_e32 v[146:147], v[124:125], v[134:135]
	s_wait_loadcnt 0x5
	v_fmac_f64_e32 v[146:147], v[126:127], v[136:137]
	ds_load_b128 v[120:123], v2 offset:688
	ds_load_b128 v[124:127], v2 offset:704
	s_wait_dscnt 0x1
	v_fmac_f64_e32 v[146:147], v[128:129], v[120:121]
	s_wait_loadcnt 0x4
	s_delay_alu instid0(VALU_DEP_1) | instskip(SKIP_4) | instid1(VALU_DEP_1)
	v_fmac_f64_e32 v[146:147], v[130:131], v[122:123]
	scratch_load_b128 v[120:123], off, off offset:344
	s_wait_dscnt 0x0
	v_fmac_f64_e32 v[146:147], v[132:133], v[124:125]
	s_wait_loadcnt 0x4
	v_fmac_f64_e32 v[146:147], v[142:143], v[126:127]
	scratch_load_b128 v[124:127], off, off offset:360
	ds_load_b128 v[128:131], v2 offset:720
	ds_load_b128 v[132:135], v2 offset:736
	s_wait_dscnt 0x1
	v_fmac_f64_e32 v[146:147], v[144:145], v[128:129]
	s_wait_loadcnt 0x4
	s_delay_alu instid0(VALU_DEP_1)
	v_fmac_f64_e32 v[146:147], v[112:113], v[130:131]
	scratch_load_b128 v[128:131], off, off offset:376
	s_wait_dscnt 0x0
	v_fmac_f64_e32 v[146:147], v[114:115], v[132:133]
	scratch_load_b128 v[112:115], off, off offset:392
	s_wait_loadcnt 0x5
	v_fmac_f64_e32 v[146:147], v[138:139], v[134:135]
	ds_load_b128 v[132:135], v2 offset:752
	ds_load_b128 v[136:139], v2 offset:768
	s_wait_dscnt 0x1
	v_fmac_f64_e32 v[146:147], v[140:141], v[132:133]
	s_wait_loadcnt 0x4
	s_delay_alu instid0(VALU_DEP_1) | instskip(SKIP_4) | instid1(VALU_DEP_1)
	v_fmac_f64_e32 v[146:147], v[116:117], v[134:135]
	scratch_load_b128 v[132:135], off, off offset:408
	s_wait_dscnt 0x0
	v_fmac_f64_e32 v[146:147], v[118:119], v[136:137]
	s_wait_loadcnt 0x4
	v_fmac_f64_e32 v[146:147], v[120:121], v[138:139]
	ds_load_b128 v[116:119], v2 offset:784
	ds_load_b128 v[136:139], v2 offset:800
	s_wait_dscnt 0x1
	v_fmac_f64_e32 v[146:147], v[122:123], v[116:117]
	s_wait_loadcnt 0x3
	s_delay_alu instid0(VALU_DEP_1)
	v_fmac_f64_e32 v[146:147], v[124:125], v[118:119]
	ds_load_b128 v[116:119], v2 offset:816
	ds_load_b128 v[120:123], v2 offset:832
	s_wait_dscnt 0x2
	v_fmac_f64_e32 v[146:147], v[126:127], v[136:137]
	s_wait_loadcnt 0x2
	s_delay_alu instid0(VALU_DEP_1) | instskip(SKIP_1) | instid1(VALU_DEP_1)
	v_fmac_f64_e32 v[146:147], v[128:129], v[138:139]
	s_wait_dscnt 0x1
	v_fmac_f64_e32 v[146:147], v[130:131], v[116:117]
	s_wait_loadcnt 0x1
	s_delay_alu instid0(VALU_DEP_1) | instskip(SKIP_4) | instid1(VALU_DEP_1)
	v_fmac_f64_e32 v[146:147], v[112:113], v[118:119]
	ds_load_b64 v[112:113], v2 offset:848
	s_wait_dscnt 0x1
	v_fmac_f64_e32 v[146:147], v[114:115], v[120:121]
	s_wait_loadcnt 0x0
	v_fmac_f64_e32 v[146:147], v[132:133], v[122:123]
	s_wait_dscnt 0x0
	s_delay_alu instid0(VALU_DEP_1) | instskip(NEXT) | instid1(VALU_DEP_1)
	v_fmac_f64_e32 v[146:147], v[134:135], v[112:113]
	v_add_f64_e64 v[110:111], v[110:111], -v[146:147]
	scratch_store_b64 off, v[110:111], off offset:184
	s_wait_xcnt 0x0
	v_cmpx_lt_u32_e32 22, v0
	s_cbranch_execz .LBB116_283
; %bb.282:
	scratch_load_b64 v[110:111], off, off offset:176
	v_mov_b64_e32 v[112:113], 0
	scratch_store_b64 off, v[112:113], off offset:176
	s_wait_loadcnt 0x0
	ds_store_b64 v1, v[110:111]
.LBB116_283:
	s_wait_xcnt 0x0
	s_or_b32 exec_lo, exec_lo, s0
	s_wait_storecnt_dscnt 0x0
	s_barrier_signal -1
	s_barrier_wait -1
	s_clause 0x5
	scratch_load_b128 v[110:113], off, off offset:176
	scratch_load_b128 v[114:117], off, off offset:192
	;; [unrolled: 1-line block ×6, first 2 shown]
	ds_load_2addr_b64 v[134:137], v2 offset0:77 offset1:78
	ds_load_2addr_b64 v[138:141], v2 offset0:79 offset1:80
	scratch_load_b128 v[142:145], off, off offset:272
	s_mov_b32 s0, exec_lo
	s_wait_loadcnt_dscnt 0x601
	v_fma_f64 v[146:147], v[112:113], v[134:135], 0
	s_wait_loadcnt 0x5
	s_delay_alu instid0(VALU_DEP_1) | instskip(SKIP_4) | instid1(VALU_DEP_1)
	v_fmac_f64_e32 v[146:147], v[114:115], v[136:137]
	scratch_load_b128 v[112:115], off, off offset:288
	s_wait_dscnt 0x0
	v_fmac_f64_e32 v[146:147], v[116:117], v[138:139]
	s_wait_loadcnt 0x5
	v_fmac_f64_e32 v[146:147], v[118:119], v[140:141]
	ds_load_2addr_b64 v[116:119], v2 offset0:81 offset1:82
	ds_load_2addr_b64 v[134:137], v2 offset0:83 offset1:84
	scratch_load_b128 v[138:141], off, off offset:304
	s_wait_dscnt 0x1
	v_fmac_f64_e32 v[146:147], v[120:121], v[116:117]
	s_wait_loadcnt 0x5
	s_delay_alu instid0(VALU_DEP_1) | instskip(SKIP_4) | instid1(VALU_DEP_1)
	v_fmac_f64_e32 v[146:147], v[122:123], v[118:119]
	scratch_load_b128 v[116:119], off, off offset:320
	s_wait_dscnt 0x0
	v_fmac_f64_e32 v[146:147], v[124:125], v[134:135]
	s_wait_loadcnt 0x5
	v_fmac_f64_e32 v[146:147], v[126:127], v[136:137]
	ds_load_2addr_b64 v[120:123], v2 offset0:85 offset1:86
	ds_load_2addr_b64 v[124:127], v2 offset0:87 offset1:88
	scratch_load_b128 v[134:137], off, off offset:336
	s_wait_dscnt 0x1
	v_fmac_f64_e32 v[146:147], v[128:129], v[120:121]
	s_wait_loadcnt 0x5
	s_delay_alu instid0(VALU_DEP_1) | instskip(SKIP_4) | instid1(VALU_DEP_1)
	v_fmac_f64_e32 v[146:147], v[130:131], v[122:123]
	scratch_load_b128 v[120:123], off, off offset:352
	s_wait_dscnt 0x0
	v_fmac_f64_e32 v[146:147], v[132:133], v[124:125]
	s_wait_loadcnt 0x5
	v_fmac_f64_e32 v[146:147], v[142:143], v[126:127]
	ds_load_2addr_b64 v[124:127], v2 offset0:89 offset1:90
	ds_load_2addr_b64 v[128:131], v2 offset0:91 offset1:92
	s_wait_dscnt 0x1
	v_fmac_f64_e32 v[146:147], v[144:145], v[124:125]
	s_wait_loadcnt 0x4
	s_delay_alu instid0(VALU_DEP_1)
	v_fmac_f64_e32 v[146:147], v[112:113], v[126:127]
	scratch_load_b128 v[124:127], off, off offset:368
	s_wait_dscnt 0x0
	v_fmac_f64_e32 v[146:147], v[114:115], v[128:129]
	scratch_load_b128 v[112:115], off, off offset:384
	s_wait_loadcnt 0x5
	v_fmac_f64_e32 v[146:147], v[138:139], v[130:131]
	ds_load_2addr_b64 v[128:131], v2 offset0:93 offset1:94
	ds_load_2addr_b64 v[142:145], v2 offset0:95 offset1:96
	scratch_load_b64 v[138:139], off, off offset:416
	s_wait_dscnt 0x1
	v_fmac_f64_e32 v[146:147], v[140:141], v[128:129]
	s_wait_loadcnt 0x5
	s_delay_alu instid0(VALU_DEP_1) | instskip(SKIP_4) | instid1(VALU_DEP_1)
	v_fmac_f64_e32 v[146:147], v[116:117], v[130:131]
	scratch_load_b128 v[128:131], off, off offset:400
	s_wait_dscnt 0x0
	v_fmac_f64_e32 v[146:147], v[118:119], v[142:143]
	s_wait_loadcnt 0x5
	v_fmac_f64_e32 v[146:147], v[134:135], v[144:145]
	ds_load_2addr_b64 v[116:119], v2 offset0:97 offset1:98
	ds_load_2addr_b64 v[132:135], v2 offset0:99 offset1:100
	s_wait_dscnt 0x1
	v_fmac_f64_e32 v[146:147], v[136:137], v[116:117]
	s_wait_loadcnt 0x4
	s_delay_alu instid0(VALU_DEP_1) | instskip(SKIP_1) | instid1(VALU_DEP_1)
	v_fmac_f64_e32 v[146:147], v[120:121], v[118:119]
	s_wait_dscnt 0x0
	v_fmac_f64_e32 v[146:147], v[122:123], v[132:133]
	ds_load_2addr_b64 v[116:119], v2 offset0:101 offset1:102
	ds_load_2addr_b64 v[120:123], v2 offset0:103 offset1:104
	s_wait_loadcnt 0x3
	v_fmac_f64_e32 v[146:147], v[124:125], v[134:135]
	s_wait_dscnt 0x1
	s_delay_alu instid0(VALU_DEP_1) | instskip(SKIP_1) | instid1(VALU_DEP_1)
	v_fmac_f64_e32 v[146:147], v[126:127], v[116:117]
	s_wait_loadcnt 0x2
	v_fmac_f64_e32 v[146:147], v[112:113], v[118:119]
	s_wait_dscnt 0x0
	s_delay_alu instid0(VALU_DEP_1) | instskip(SKIP_4) | instid1(VALU_DEP_1)
	v_fmac_f64_e32 v[146:147], v[114:115], v[120:121]
	ds_load_2addr_b64 v[112:115], v2 offset0:105 offset1:106
	s_wait_loadcnt 0x0
	v_fmac_f64_e32 v[146:147], v[128:129], v[122:123]
	s_wait_dscnt 0x0
	v_fmac_f64_e32 v[146:147], v[130:131], v[112:113]
	s_delay_alu instid0(VALU_DEP_1) | instskip(NEXT) | instid1(VALU_DEP_1)
	v_fmac_f64_e32 v[146:147], v[138:139], v[114:115]
	v_add_f64_e64 v[2:3], v[110:111], -v[146:147]
	scratch_store_b64 off, v[2:3], off offset:176
	s_wait_xcnt 0x0
	v_cmpx_lt_u32_e32 21, v0
	s_cbranch_execz .LBB116_285
; %bb.284:
	scratch_load_b64 v[2:3], off, off offset:168
	v_mov_b64_e32 v[110:111], 0
	scratch_store_b64 off, v[110:111], off offset:168
	s_wait_loadcnt 0x0
	ds_store_b64 v1, v[2:3]
.LBB116_285:
	s_wait_xcnt 0x0
	s_or_b32 exec_lo, exec_lo, s0
	s_wait_storecnt_dscnt 0x0
	s_barrier_signal -1
	s_barrier_wait -1
	s_clause 0x5
	scratch_load_b128 v[110:113], off, off offset:168
	scratch_load_b128 v[114:117], off, off offset:184
	;; [unrolled: 1-line block ×6, first 2 shown]
	v_mov_b32_e32 v2, 0
	ds_load_b128 v[134:137], v2 offset:608
	ds_load_b128 v[138:141], v2 offset:624
	scratch_load_b128 v[142:145], off, off offset:264
	s_mov_b32 s0, exec_lo
	s_wait_loadcnt_dscnt 0x601
	v_fma_f64 v[146:147], v[112:113], v[134:135], 0
	s_wait_loadcnt 0x5
	s_delay_alu instid0(VALU_DEP_1) | instskip(SKIP_4) | instid1(VALU_DEP_1)
	v_fmac_f64_e32 v[146:147], v[114:115], v[136:137]
	scratch_load_b128 v[112:115], off, off offset:280
	s_wait_dscnt 0x0
	v_fmac_f64_e32 v[146:147], v[116:117], v[138:139]
	s_wait_loadcnt 0x5
	v_fmac_f64_e32 v[146:147], v[118:119], v[140:141]
	ds_load_b128 v[116:119], v2 offset:640
	ds_load_b128 v[134:137], v2 offset:656
	scratch_load_b128 v[138:141], off, off offset:296
	s_wait_dscnt 0x1
	v_fmac_f64_e32 v[146:147], v[120:121], v[116:117]
	s_wait_loadcnt 0x5
	s_delay_alu instid0(VALU_DEP_1) | instskip(SKIP_4) | instid1(VALU_DEP_1)
	v_fmac_f64_e32 v[146:147], v[122:123], v[118:119]
	scratch_load_b128 v[116:119], off, off offset:312
	s_wait_dscnt 0x0
	v_fmac_f64_e32 v[146:147], v[124:125], v[134:135]
	s_wait_loadcnt 0x5
	v_fmac_f64_e32 v[146:147], v[126:127], v[136:137]
	ds_load_b128 v[120:123], v2 offset:672
	ds_load_b128 v[124:127], v2 offset:688
	scratch_load_b128 v[134:137], off, off offset:328
	s_wait_dscnt 0x1
	v_fmac_f64_e32 v[146:147], v[128:129], v[120:121]
	s_wait_loadcnt 0x5
	s_delay_alu instid0(VALU_DEP_1) | instskip(SKIP_4) | instid1(VALU_DEP_1)
	v_fmac_f64_e32 v[146:147], v[130:131], v[122:123]
	scratch_load_b128 v[120:123], off, off offset:344
	s_wait_dscnt 0x0
	v_fmac_f64_e32 v[146:147], v[132:133], v[124:125]
	s_wait_loadcnt 0x5
	v_fmac_f64_e32 v[146:147], v[142:143], v[126:127]
	ds_load_b128 v[124:127], v2 offset:704
	ds_load_b128 v[128:131], v2 offset:720
	s_wait_dscnt 0x1
	v_fmac_f64_e32 v[146:147], v[144:145], v[124:125]
	s_wait_loadcnt 0x4
	s_delay_alu instid0(VALU_DEP_1)
	v_fmac_f64_e32 v[146:147], v[112:113], v[126:127]
	scratch_load_b128 v[124:127], off, off offset:360
	s_wait_dscnt 0x0
	v_fmac_f64_e32 v[146:147], v[114:115], v[128:129]
	scratch_load_b128 v[112:115], off, off offset:376
	s_wait_loadcnt 0x5
	v_fmac_f64_e32 v[146:147], v[138:139], v[130:131]
	ds_load_b128 v[128:131], v2 offset:736
	ds_load_b128 v[142:145], v2 offset:752
	s_wait_dscnt 0x1
	v_fmac_f64_e32 v[146:147], v[140:141], v[128:129]
	s_wait_loadcnt 0x4
	s_delay_alu instid0(VALU_DEP_1)
	v_fmac_f64_e32 v[146:147], v[116:117], v[130:131]
	scratch_load_b128 v[128:131], off, off offset:392
	s_wait_dscnt 0x0
	v_fmac_f64_e32 v[146:147], v[118:119], v[142:143]
	scratch_load_b128 v[116:119], off, off offset:408
	s_wait_loadcnt 0x5
	v_fmac_f64_e32 v[146:147], v[134:135], v[144:145]
	ds_load_b128 v[132:135], v2 offset:768
	ds_load_b128 v[138:141], v2 offset:784
	s_wait_dscnt 0x1
	v_fmac_f64_e32 v[146:147], v[136:137], v[132:133]
	s_wait_loadcnt 0x4
	s_delay_alu instid0(VALU_DEP_1) | instskip(SKIP_1) | instid1(VALU_DEP_1)
	v_fmac_f64_e32 v[146:147], v[120:121], v[134:135]
	s_wait_dscnt 0x0
	v_fmac_f64_e32 v[146:147], v[122:123], v[138:139]
	ds_load_b128 v[120:123], v2 offset:800
	ds_load_b128 v[132:135], v2 offset:816
	s_wait_loadcnt 0x3
	v_fmac_f64_e32 v[146:147], v[124:125], v[140:141]
	s_wait_dscnt 0x1
	s_delay_alu instid0(VALU_DEP_1) | instskip(SKIP_1) | instid1(VALU_DEP_1)
	v_fmac_f64_e32 v[146:147], v[126:127], v[120:121]
	s_wait_loadcnt 0x2
	v_fmac_f64_e32 v[146:147], v[112:113], v[122:123]
	s_wait_dscnt 0x0
	s_delay_alu instid0(VALU_DEP_1)
	v_fmac_f64_e32 v[146:147], v[114:115], v[132:133]
	ds_load_b128 v[112:115], v2 offset:832
	ds_load_b64 v[120:121], v2 offset:848
	s_wait_loadcnt 0x1
	v_fmac_f64_e32 v[146:147], v[128:129], v[134:135]
	s_wait_dscnt 0x1
	s_delay_alu instid0(VALU_DEP_1) | instskip(SKIP_1) | instid1(VALU_DEP_1)
	v_fmac_f64_e32 v[146:147], v[130:131], v[112:113]
	s_wait_loadcnt 0x0
	v_fmac_f64_e32 v[146:147], v[116:117], v[114:115]
	s_wait_dscnt 0x0
	s_delay_alu instid0(VALU_DEP_1) | instskip(NEXT) | instid1(VALU_DEP_1)
	v_fmac_f64_e32 v[146:147], v[118:119], v[120:121]
	v_add_f64_e64 v[110:111], v[110:111], -v[146:147]
	scratch_store_b64 off, v[110:111], off offset:168
	s_wait_xcnt 0x0
	v_cmpx_lt_u32_e32 20, v0
	s_cbranch_execz .LBB116_287
; %bb.286:
	scratch_load_b64 v[110:111], off, off offset:160
	v_mov_b64_e32 v[112:113], 0
	scratch_store_b64 off, v[112:113], off offset:160
	s_wait_loadcnt 0x0
	ds_store_b64 v1, v[110:111]
.LBB116_287:
	s_wait_xcnt 0x0
	s_or_b32 exec_lo, exec_lo, s0
	s_wait_storecnt_dscnt 0x0
	s_barrier_signal -1
	s_barrier_wait -1
	s_clause 0x5
	scratch_load_b128 v[110:113], off, off offset:160
	scratch_load_b128 v[114:117], off, off offset:176
	;; [unrolled: 1-line block ×6, first 2 shown]
	ds_load_2addr_b64 v[134:137], v2 offset0:75 offset1:76
	ds_load_2addr_b64 v[138:141], v2 offset0:77 offset1:78
	scratch_load_b128 v[142:145], off, off offset:256
	s_mov_b32 s0, exec_lo
	s_wait_loadcnt_dscnt 0x601
	v_fma_f64 v[146:147], v[112:113], v[134:135], 0
	s_wait_loadcnt 0x5
	s_delay_alu instid0(VALU_DEP_1) | instskip(SKIP_4) | instid1(VALU_DEP_1)
	v_fmac_f64_e32 v[146:147], v[114:115], v[136:137]
	scratch_load_b128 v[112:115], off, off offset:272
	s_wait_dscnt 0x0
	v_fmac_f64_e32 v[146:147], v[116:117], v[138:139]
	s_wait_loadcnt 0x5
	v_fmac_f64_e32 v[146:147], v[118:119], v[140:141]
	ds_load_2addr_b64 v[116:119], v2 offset0:79 offset1:80
	ds_load_2addr_b64 v[134:137], v2 offset0:81 offset1:82
	scratch_load_b128 v[138:141], off, off offset:288
	s_wait_dscnt 0x1
	v_fmac_f64_e32 v[146:147], v[120:121], v[116:117]
	s_wait_loadcnt 0x5
	s_delay_alu instid0(VALU_DEP_1) | instskip(SKIP_4) | instid1(VALU_DEP_1)
	v_fmac_f64_e32 v[146:147], v[122:123], v[118:119]
	scratch_load_b128 v[116:119], off, off offset:304
	s_wait_dscnt 0x0
	v_fmac_f64_e32 v[146:147], v[124:125], v[134:135]
	s_wait_loadcnt 0x5
	v_fmac_f64_e32 v[146:147], v[126:127], v[136:137]
	ds_load_2addr_b64 v[120:123], v2 offset0:83 offset1:84
	ds_load_2addr_b64 v[124:127], v2 offset0:85 offset1:86
	scratch_load_b128 v[134:137], off, off offset:320
	s_wait_dscnt 0x1
	v_fmac_f64_e32 v[146:147], v[128:129], v[120:121]
	s_wait_loadcnt 0x5
	s_delay_alu instid0(VALU_DEP_1) | instskip(SKIP_4) | instid1(VALU_DEP_1)
	v_fmac_f64_e32 v[146:147], v[130:131], v[122:123]
	scratch_load_b128 v[120:123], off, off offset:336
	s_wait_dscnt 0x0
	v_fmac_f64_e32 v[146:147], v[132:133], v[124:125]
	s_wait_loadcnt 0x5
	v_fmac_f64_e32 v[146:147], v[142:143], v[126:127]
	ds_load_2addr_b64 v[124:127], v2 offset0:87 offset1:88
	ds_load_2addr_b64 v[128:131], v2 offset0:89 offset1:90
	s_wait_dscnt 0x1
	v_fmac_f64_e32 v[146:147], v[144:145], v[124:125]
	s_wait_loadcnt 0x4
	s_delay_alu instid0(VALU_DEP_1)
	v_fmac_f64_e32 v[146:147], v[112:113], v[126:127]
	scratch_load_b128 v[124:127], off, off offset:352
	s_wait_dscnt 0x0
	v_fmac_f64_e32 v[146:147], v[114:115], v[128:129]
	scratch_load_b128 v[112:115], off, off offset:368
	s_wait_loadcnt 0x5
	v_fmac_f64_e32 v[146:147], v[138:139], v[130:131]
	ds_load_2addr_b64 v[128:131], v2 offset0:91 offset1:92
	ds_load_2addr_b64 v[142:145], v2 offset0:93 offset1:94
	s_wait_dscnt 0x1
	v_fmac_f64_e32 v[146:147], v[140:141], v[128:129]
	s_wait_loadcnt 0x4
	s_delay_alu instid0(VALU_DEP_1)
	v_fmac_f64_e32 v[146:147], v[116:117], v[130:131]
	scratch_load_b128 v[128:131], off, off offset:384
	s_wait_dscnt 0x0
	v_fmac_f64_e32 v[146:147], v[118:119], v[142:143]
	scratch_load_b128 v[116:119], off, off offset:400
	s_wait_loadcnt 0x5
	v_fmac_f64_e32 v[146:147], v[134:135], v[144:145]
	ds_load_2addr_b64 v[132:135], v2 offset0:95 offset1:96
	ds_load_2addr_b64 v[138:141], v2 offset0:97 offset1:98
	s_wait_dscnt 0x1
	v_fmac_f64_e32 v[146:147], v[136:137], v[132:133]
	scratch_load_b64 v[136:137], off, off offset:416
	s_wait_loadcnt 0x5
	v_fmac_f64_e32 v[146:147], v[120:121], v[134:135]
	s_wait_dscnt 0x0
	s_delay_alu instid0(VALU_DEP_1)
	v_fmac_f64_e32 v[146:147], v[122:123], v[138:139]
	ds_load_2addr_b64 v[120:123], v2 offset0:99 offset1:100
	ds_load_2addr_b64 v[132:135], v2 offset0:101 offset1:102
	s_wait_loadcnt 0x4
	v_fmac_f64_e32 v[146:147], v[124:125], v[140:141]
	s_wait_dscnt 0x1
	s_delay_alu instid0(VALU_DEP_1) | instskip(SKIP_1) | instid1(VALU_DEP_1)
	v_fmac_f64_e32 v[146:147], v[126:127], v[120:121]
	s_wait_loadcnt 0x3
	v_fmac_f64_e32 v[146:147], v[112:113], v[122:123]
	s_wait_dscnt 0x0
	s_delay_alu instid0(VALU_DEP_1)
	v_fmac_f64_e32 v[146:147], v[114:115], v[132:133]
	ds_load_2addr_b64 v[112:115], v2 offset0:103 offset1:104
	ds_load_2addr_b64 v[120:123], v2 offset0:105 offset1:106
	s_wait_loadcnt 0x2
	v_fmac_f64_e32 v[146:147], v[128:129], v[134:135]
	s_wait_dscnt 0x1
	s_delay_alu instid0(VALU_DEP_1) | instskip(SKIP_1) | instid1(VALU_DEP_1)
	v_fmac_f64_e32 v[146:147], v[130:131], v[112:113]
	s_wait_loadcnt 0x1
	v_fmac_f64_e32 v[146:147], v[116:117], v[114:115]
	s_wait_dscnt 0x0
	s_delay_alu instid0(VALU_DEP_1) | instskip(SKIP_1) | instid1(VALU_DEP_1)
	v_fmac_f64_e32 v[146:147], v[118:119], v[120:121]
	s_wait_loadcnt 0x0
	v_fmac_f64_e32 v[146:147], v[136:137], v[122:123]
	s_delay_alu instid0(VALU_DEP_1)
	v_add_f64_e64 v[2:3], v[110:111], -v[146:147]
	scratch_store_b64 off, v[2:3], off offset:160
	s_wait_xcnt 0x0
	v_cmpx_lt_u32_e32 19, v0
	s_cbranch_execz .LBB116_289
; %bb.288:
	scratch_load_b64 v[2:3], off, off offset:152
	v_mov_b64_e32 v[110:111], 0
	scratch_store_b64 off, v[110:111], off offset:152
	s_wait_loadcnt 0x0
	ds_store_b64 v1, v[2:3]
.LBB116_289:
	s_wait_xcnt 0x0
	s_or_b32 exec_lo, exec_lo, s0
	s_wait_storecnt_dscnt 0x0
	s_barrier_signal -1
	s_barrier_wait -1
	s_clause 0x5
	scratch_load_b128 v[110:113], off, off offset:152
	scratch_load_b128 v[114:117], off, off offset:168
	scratch_load_b128 v[118:121], off, off offset:184
	scratch_load_b128 v[122:125], off, off offset:200
	scratch_load_b128 v[126:129], off, off offset:216
	scratch_load_b128 v[130:133], off, off offset:232
	v_mov_b32_e32 v2, 0
	ds_load_b128 v[134:137], v2 offset:592
	ds_load_b128 v[138:141], v2 offset:608
	scratch_load_b128 v[142:145], off, off offset:248
	s_mov_b32 s0, exec_lo
	s_wait_loadcnt_dscnt 0x601
	v_fma_f64 v[146:147], v[112:113], v[134:135], 0
	s_wait_loadcnt 0x5
	s_delay_alu instid0(VALU_DEP_1) | instskip(SKIP_4) | instid1(VALU_DEP_1)
	v_fmac_f64_e32 v[146:147], v[114:115], v[136:137]
	scratch_load_b128 v[112:115], off, off offset:264
	s_wait_dscnt 0x0
	v_fmac_f64_e32 v[146:147], v[116:117], v[138:139]
	s_wait_loadcnt 0x5
	v_fmac_f64_e32 v[146:147], v[118:119], v[140:141]
	ds_load_b128 v[116:119], v2 offset:624
	ds_load_b128 v[134:137], v2 offset:640
	scratch_load_b128 v[138:141], off, off offset:280
	s_wait_dscnt 0x1
	v_fmac_f64_e32 v[146:147], v[120:121], v[116:117]
	s_wait_loadcnt 0x5
	s_delay_alu instid0(VALU_DEP_1) | instskip(SKIP_4) | instid1(VALU_DEP_1)
	v_fmac_f64_e32 v[146:147], v[122:123], v[118:119]
	scratch_load_b128 v[116:119], off, off offset:296
	s_wait_dscnt 0x0
	v_fmac_f64_e32 v[146:147], v[124:125], v[134:135]
	s_wait_loadcnt 0x5
	v_fmac_f64_e32 v[146:147], v[126:127], v[136:137]
	ds_load_b128 v[120:123], v2 offset:656
	ds_load_b128 v[124:127], v2 offset:672
	scratch_load_b128 v[134:137], off, off offset:312
	s_wait_dscnt 0x1
	v_fmac_f64_e32 v[146:147], v[128:129], v[120:121]
	s_wait_loadcnt 0x5
	s_delay_alu instid0(VALU_DEP_1) | instskip(SKIP_4) | instid1(VALU_DEP_1)
	v_fmac_f64_e32 v[146:147], v[130:131], v[122:123]
	scratch_load_b128 v[120:123], off, off offset:328
	s_wait_dscnt 0x0
	v_fmac_f64_e32 v[146:147], v[132:133], v[124:125]
	s_wait_loadcnt 0x5
	v_fmac_f64_e32 v[146:147], v[142:143], v[126:127]
	ds_load_b128 v[124:127], v2 offset:688
	ds_load_b128 v[128:131], v2 offset:704
	s_wait_dscnt 0x1
	v_fmac_f64_e32 v[146:147], v[144:145], v[124:125]
	s_wait_loadcnt 0x4
	s_delay_alu instid0(VALU_DEP_1)
	v_fmac_f64_e32 v[146:147], v[112:113], v[126:127]
	scratch_load_b128 v[124:127], off, off offset:344
	s_wait_dscnt 0x0
	v_fmac_f64_e32 v[146:147], v[114:115], v[128:129]
	scratch_load_b128 v[112:115], off, off offset:360
	s_wait_loadcnt 0x5
	v_fmac_f64_e32 v[146:147], v[138:139], v[130:131]
	ds_load_b128 v[128:131], v2 offset:720
	ds_load_b128 v[142:145], v2 offset:736
	s_wait_dscnt 0x1
	v_fmac_f64_e32 v[146:147], v[140:141], v[128:129]
	s_wait_loadcnt 0x4
	s_delay_alu instid0(VALU_DEP_1)
	v_fmac_f64_e32 v[146:147], v[116:117], v[130:131]
	scratch_load_b128 v[128:131], off, off offset:376
	s_wait_dscnt 0x0
	v_fmac_f64_e32 v[146:147], v[118:119], v[142:143]
	scratch_load_b128 v[116:119], off, off offset:392
	s_wait_loadcnt 0x5
	v_fmac_f64_e32 v[146:147], v[134:135], v[144:145]
	ds_load_b128 v[132:135], v2 offset:752
	ds_load_b128 v[138:141], v2 offset:768
	s_wait_dscnt 0x1
	v_fmac_f64_e32 v[146:147], v[136:137], v[132:133]
	s_wait_loadcnt 0x4
	s_delay_alu instid0(VALU_DEP_1)
	v_fmac_f64_e32 v[146:147], v[120:121], v[134:135]
	scratch_load_b128 v[132:135], off, off offset:408
	s_wait_dscnt 0x0
	v_fmac_f64_e32 v[146:147], v[122:123], v[138:139]
	ds_load_b128 v[120:123], v2 offset:784
	ds_load_b128 v[136:139], v2 offset:800
	s_wait_loadcnt 0x4
	v_fmac_f64_e32 v[146:147], v[124:125], v[140:141]
	s_wait_dscnt 0x1
	s_delay_alu instid0(VALU_DEP_1) | instskip(SKIP_1) | instid1(VALU_DEP_1)
	v_fmac_f64_e32 v[146:147], v[126:127], v[120:121]
	s_wait_loadcnt 0x3
	v_fmac_f64_e32 v[146:147], v[112:113], v[122:123]
	s_wait_dscnt 0x0
	s_delay_alu instid0(VALU_DEP_1)
	v_fmac_f64_e32 v[146:147], v[114:115], v[136:137]
	ds_load_b128 v[112:115], v2 offset:816
	ds_load_b128 v[120:123], v2 offset:832
	s_wait_loadcnt 0x2
	v_fmac_f64_e32 v[146:147], v[128:129], v[138:139]
	s_wait_dscnt 0x1
	s_delay_alu instid0(VALU_DEP_1) | instskip(SKIP_4) | instid1(VALU_DEP_1)
	v_fmac_f64_e32 v[146:147], v[130:131], v[112:113]
	ds_load_b64 v[112:113], v2 offset:848
	s_wait_loadcnt 0x1
	v_fmac_f64_e32 v[146:147], v[116:117], v[114:115]
	s_wait_dscnt 0x1
	v_fmac_f64_e32 v[146:147], v[118:119], v[120:121]
	s_wait_loadcnt 0x0
	s_delay_alu instid0(VALU_DEP_1) | instskip(SKIP_1) | instid1(VALU_DEP_1)
	v_fmac_f64_e32 v[146:147], v[132:133], v[122:123]
	s_wait_dscnt 0x0
	v_fmac_f64_e32 v[146:147], v[134:135], v[112:113]
	s_delay_alu instid0(VALU_DEP_1)
	v_add_f64_e64 v[110:111], v[110:111], -v[146:147]
	scratch_store_b64 off, v[110:111], off offset:152
	s_wait_xcnt 0x0
	v_cmpx_lt_u32_e32 18, v0
	s_cbranch_execz .LBB116_291
; %bb.290:
	scratch_load_b64 v[110:111], off, off offset:144
	v_mov_b64_e32 v[112:113], 0
	scratch_store_b64 off, v[112:113], off offset:144
	s_wait_loadcnt 0x0
	ds_store_b64 v1, v[110:111]
.LBB116_291:
	s_wait_xcnt 0x0
	s_or_b32 exec_lo, exec_lo, s0
	s_wait_storecnt_dscnt 0x0
	s_barrier_signal -1
	s_barrier_wait -1
	s_clause 0x5
	scratch_load_b128 v[110:113], off, off offset:144
	scratch_load_b128 v[114:117], off, off offset:160
	;; [unrolled: 1-line block ×6, first 2 shown]
	ds_load_2addr_b64 v[134:137], v2 offset0:73 offset1:74
	ds_load_2addr_b64 v[138:141], v2 offset0:75 offset1:76
	scratch_load_b128 v[142:145], off, off offset:240
	s_mov_b32 s0, exec_lo
	s_wait_loadcnt_dscnt 0x601
	v_fma_f64 v[146:147], v[112:113], v[134:135], 0
	s_wait_loadcnt 0x5
	s_delay_alu instid0(VALU_DEP_1) | instskip(SKIP_4) | instid1(VALU_DEP_1)
	v_fmac_f64_e32 v[146:147], v[114:115], v[136:137]
	scratch_load_b128 v[112:115], off, off offset:256
	s_wait_dscnt 0x0
	v_fmac_f64_e32 v[146:147], v[116:117], v[138:139]
	s_wait_loadcnt 0x5
	v_fmac_f64_e32 v[146:147], v[118:119], v[140:141]
	ds_load_2addr_b64 v[116:119], v2 offset0:77 offset1:78
	ds_load_2addr_b64 v[134:137], v2 offset0:79 offset1:80
	scratch_load_b128 v[138:141], off, off offset:272
	s_wait_dscnt 0x1
	v_fmac_f64_e32 v[146:147], v[120:121], v[116:117]
	s_wait_loadcnt 0x5
	s_delay_alu instid0(VALU_DEP_1) | instskip(SKIP_4) | instid1(VALU_DEP_1)
	v_fmac_f64_e32 v[146:147], v[122:123], v[118:119]
	scratch_load_b128 v[116:119], off, off offset:288
	s_wait_dscnt 0x0
	v_fmac_f64_e32 v[146:147], v[124:125], v[134:135]
	s_wait_loadcnt 0x5
	v_fmac_f64_e32 v[146:147], v[126:127], v[136:137]
	ds_load_2addr_b64 v[120:123], v2 offset0:81 offset1:82
	ds_load_2addr_b64 v[124:127], v2 offset0:83 offset1:84
	scratch_load_b128 v[134:137], off, off offset:304
	s_wait_dscnt 0x1
	v_fmac_f64_e32 v[146:147], v[128:129], v[120:121]
	s_wait_loadcnt 0x5
	s_delay_alu instid0(VALU_DEP_1) | instskip(SKIP_4) | instid1(VALU_DEP_1)
	v_fmac_f64_e32 v[146:147], v[130:131], v[122:123]
	scratch_load_b128 v[120:123], off, off offset:320
	s_wait_dscnt 0x0
	v_fmac_f64_e32 v[146:147], v[132:133], v[124:125]
	s_wait_loadcnt 0x5
	v_fmac_f64_e32 v[146:147], v[142:143], v[126:127]
	ds_load_2addr_b64 v[124:127], v2 offset0:85 offset1:86
	ds_load_2addr_b64 v[128:131], v2 offset0:87 offset1:88
	s_wait_dscnt 0x1
	v_fmac_f64_e32 v[146:147], v[144:145], v[124:125]
	scratch_load_b128 v[142:145], off, off offset:336
	s_wait_loadcnt 0x5
	v_fmac_f64_e32 v[146:147], v[112:113], v[126:127]
	s_wait_dscnt 0x0
	s_delay_alu instid0(VALU_DEP_1)
	v_fmac_f64_e32 v[146:147], v[114:115], v[128:129]
	scratch_load_b128 v[112:115], off, off offset:352
	s_wait_loadcnt 0x5
	v_fmac_f64_e32 v[146:147], v[138:139], v[130:131]
	ds_load_2addr_b64 v[124:127], v2 offset0:89 offset1:90
	ds_load_2addr_b64 v[128:131], v2 offset0:91 offset1:92
	s_wait_dscnt 0x1
	v_fmac_f64_e32 v[146:147], v[140:141], v[124:125]
	s_wait_loadcnt 0x4
	s_delay_alu instid0(VALU_DEP_1)
	v_fmac_f64_e32 v[146:147], v[116:117], v[126:127]
	scratch_load_b128 v[124:127], off, off offset:368
	s_wait_dscnt 0x0
	v_fmac_f64_e32 v[146:147], v[118:119], v[128:129]
	scratch_load_b128 v[116:119], off, off offset:384
	s_wait_loadcnt 0x5
	v_fmac_f64_e32 v[146:147], v[134:135], v[130:131]
	ds_load_2addr_b64 v[128:131], v2 offset0:93 offset1:94
	ds_load_2addr_b64 v[132:135], v2 offset0:95 offset1:96
	s_wait_dscnt 0x1
	v_fmac_f64_e32 v[146:147], v[136:137], v[128:129]
	scratch_load_b64 v[136:137], off, off offset:416
	s_wait_loadcnt 0x5
	v_fmac_f64_e32 v[146:147], v[120:121], v[130:131]
	scratch_load_b128 v[128:131], off, off offset:400
	s_wait_dscnt 0x0
	v_fmac_f64_e32 v[146:147], v[122:123], v[132:133]
	s_wait_loadcnt 0x5
	s_delay_alu instid0(VALU_DEP_1)
	v_fmac_f64_e32 v[146:147], v[142:143], v[134:135]
	ds_load_2addr_b64 v[120:123], v2 offset0:97 offset1:98
	ds_load_2addr_b64 v[132:135], v2 offset0:99 offset1:100
	s_wait_dscnt 0x1
	v_fmac_f64_e32 v[146:147], v[144:145], v[120:121]
	s_wait_loadcnt 0x4
	s_delay_alu instid0(VALU_DEP_1) | instskip(SKIP_1) | instid1(VALU_DEP_1)
	v_fmac_f64_e32 v[146:147], v[112:113], v[122:123]
	s_wait_dscnt 0x0
	v_fmac_f64_e32 v[146:147], v[114:115], v[132:133]
	ds_load_2addr_b64 v[112:115], v2 offset0:101 offset1:102
	ds_load_2addr_b64 v[120:123], v2 offset0:103 offset1:104
	s_wait_loadcnt 0x3
	v_fmac_f64_e32 v[146:147], v[124:125], v[134:135]
	s_wait_dscnt 0x1
	s_delay_alu instid0(VALU_DEP_1) | instskip(SKIP_1) | instid1(VALU_DEP_1)
	v_fmac_f64_e32 v[146:147], v[126:127], v[112:113]
	s_wait_loadcnt 0x2
	v_fmac_f64_e32 v[146:147], v[116:117], v[114:115]
	ds_load_2addr_b64 v[112:115], v2 offset0:105 offset1:106
	s_wait_dscnt 0x1
	v_fmac_f64_e32 v[146:147], v[118:119], v[120:121]
	s_wait_loadcnt 0x0
	s_delay_alu instid0(VALU_DEP_1) | instskip(SKIP_1) | instid1(VALU_DEP_1)
	v_fmac_f64_e32 v[146:147], v[128:129], v[122:123]
	s_wait_dscnt 0x0
	v_fmac_f64_e32 v[146:147], v[130:131], v[112:113]
	s_delay_alu instid0(VALU_DEP_1) | instskip(NEXT) | instid1(VALU_DEP_1)
	v_fmac_f64_e32 v[146:147], v[136:137], v[114:115]
	v_add_f64_e64 v[2:3], v[110:111], -v[146:147]
	scratch_store_b64 off, v[2:3], off offset:144
	s_wait_xcnt 0x0
	v_cmpx_lt_u32_e32 17, v0
	s_cbranch_execz .LBB116_293
; %bb.292:
	scratch_load_b64 v[2:3], off, off offset:136
	v_mov_b64_e32 v[110:111], 0
	scratch_store_b64 off, v[110:111], off offset:136
	s_wait_loadcnt 0x0
	ds_store_b64 v1, v[2:3]
.LBB116_293:
	s_wait_xcnt 0x0
	s_or_b32 exec_lo, exec_lo, s0
	s_wait_storecnt_dscnt 0x0
	s_barrier_signal -1
	s_barrier_wait -1
	s_clause 0x5
	scratch_load_b128 v[110:113], off, off offset:136
	scratch_load_b128 v[114:117], off, off offset:152
	;; [unrolled: 1-line block ×6, first 2 shown]
	v_mov_b32_e32 v2, 0
	ds_load_b128 v[134:137], v2 offset:576
	ds_load_b128 v[138:141], v2 offset:592
	scratch_load_b128 v[142:145], off, off offset:232
	s_mov_b32 s0, exec_lo
	s_wait_loadcnt_dscnt 0x601
	v_fma_f64 v[146:147], v[112:113], v[134:135], 0
	s_wait_loadcnt 0x5
	s_delay_alu instid0(VALU_DEP_1) | instskip(SKIP_4) | instid1(VALU_DEP_1)
	v_fmac_f64_e32 v[146:147], v[114:115], v[136:137]
	scratch_load_b128 v[112:115], off, off offset:248
	s_wait_dscnt 0x0
	v_fmac_f64_e32 v[146:147], v[116:117], v[138:139]
	s_wait_loadcnt 0x5
	v_fmac_f64_e32 v[146:147], v[118:119], v[140:141]
	ds_load_b128 v[116:119], v2 offset:608
	ds_load_b128 v[134:137], v2 offset:624
	scratch_load_b128 v[138:141], off, off offset:264
	s_wait_dscnt 0x1
	v_fmac_f64_e32 v[146:147], v[120:121], v[116:117]
	s_wait_loadcnt 0x5
	s_delay_alu instid0(VALU_DEP_1) | instskip(SKIP_4) | instid1(VALU_DEP_1)
	v_fmac_f64_e32 v[146:147], v[122:123], v[118:119]
	scratch_load_b128 v[116:119], off, off offset:280
	s_wait_dscnt 0x0
	v_fmac_f64_e32 v[146:147], v[124:125], v[134:135]
	s_wait_loadcnt 0x5
	v_fmac_f64_e32 v[146:147], v[126:127], v[136:137]
	ds_load_b128 v[120:123], v2 offset:640
	ds_load_b128 v[124:127], v2 offset:656
	scratch_load_b128 v[134:137], off, off offset:296
	s_wait_dscnt 0x1
	v_fmac_f64_e32 v[146:147], v[128:129], v[120:121]
	s_wait_loadcnt 0x5
	s_delay_alu instid0(VALU_DEP_1) | instskip(SKIP_4) | instid1(VALU_DEP_1)
	v_fmac_f64_e32 v[146:147], v[130:131], v[122:123]
	scratch_load_b128 v[120:123], off, off offset:312
	s_wait_dscnt 0x0
	v_fmac_f64_e32 v[146:147], v[132:133], v[124:125]
	s_wait_loadcnt 0x5
	v_fmac_f64_e32 v[146:147], v[142:143], v[126:127]
	ds_load_b128 v[124:127], v2 offset:672
	ds_load_b128 v[128:131], v2 offset:688
	s_wait_dscnt 0x1
	v_fmac_f64_e32 v[146:147], v[144:145], v[124:125]
	scratch_load_b128 v[142:145], off, off offset:328
	s_wait_loadcnt 0x5
	v_fmac_f64_e32 v[146:147], v[112:113], v[126:127]
	s_wait_dscnt 0x0
	s_delay_alu instid0(VALU_DEP_1)
	v_fmac_f64_e32 v[146:147], v[114:115], v[128:129]
	scratch_load_b128 v[112:115], off, off offset:344
	s_wait_loadcnt 0x5
	v_fmac_f64_e32 v[146:147], v[138:139], v[130:131]
	ds_load_b128 v[124:127], v2 offset:704
	ds_load_b128 v[128:131], v2 offset:720
	s_wait_dscnt 0x1
	v_fmac_f64_e32 v[146:147], v[140:141], v[124:125]
	s_wait_loadcnt 0x4
	s_delay_alu instid0(VALU_DEP_1)
	v_fmac_f64_e32 v[146:147], v[116:117], v[126:127]
	scratch_load_b128 v[124:127], off, off offset:360
	s_wait_dscnt 0x0
	v_fmac_f64_e32 v[146:147], v[118:119], v[128:129]
	scratch_load_b128 v[116:119], off, off offset:376
	s_wait_loadcnt 0x5
	v_fmac_f64_e32 v[146:147], v[134:135], v[130:131]
	ds_load_b128 v[128:131], v2 offset:736
	ds_load_b128 v[132:135], v2 offset:752
	s_wait_dscnt 0x1
	v_fmac_f64_e32 v[146:147], v[136:137], v[128:129]
	s_wait_loadcnt 0x4
	s_delay_alu instid0(VALU_DEP_1)
	v_fmac_f64_e32 v[146:147], v[120:121], v[130:131]
	scratch_load_b128 v[128:131], off, off offset:392
	s_wait_dscnt 0x0
	v_fmac_f64_e32 v[146:147], v[122:123], v[132:133]
	scratch_load_b128 v[120:123], off, off offset:408
	s_wait_loadcnt 0x5
	v_fmac_f64_e32 v[146:147], v[142:143], v[134:135]
	ds_load_b128 v[132:135], v2 offset:768
	ds_load_b128 v[136:139], v2 offset:784
	s_wait_dscnt 0x1
	v_fmac_f64_e32 v[146:147], v[144:145], v[132:133]
	s_wait_loadcnt 0x4
	s_delay_alu instid0(VALU_DEP_1) | instskip(SKIP_1) | instid1(VALU_DEP_1)
	v_fmac_f64_e32 v[146:147], v[112:113], v[134:135]
	s_wait_dscnt 0x0
	v_fmac_f64_e32 v[146:147], v[114:115], v[136:137]
	ds_load_b128 v[112:115], v2 offset:800
	ds_load_b128 v[132:135], v2 offset:816
	s_wait_loadcnt 0x3
	v_fmac_f64_e32 v[146:147], v[124:125], v[138:139]
	s_wait_dscnt 0x1
	s_delay_alu instid0(VALU_DEP_1) | instskip(SKIP_1) | instid1(VALU_DEP_1)
	v_fmac_f64_e32 v[146:147], v[126:127], v[112:113]
	s_wait_loadcnt 0x2
	v_fmac_f64_e32 v[146:147], v[116:117], v[114:115]
	ds_load_b128 v[112:115], v2 offset:832
	ds_load_b64 v[116:117], v2 offset:848
	s_wait_dscnt 0x2
	v_fmac_f64_e32 v[146:147], v[118:119], v[132:133]
	s_wait_loadcnt 0x1
	s_delay_alu instid0(VALU_DEP_1) | instskip(SKIP_1) | instid1(VALU_DEP_1)
	v_fmac_f64_e32 v[146:147], v[128:129], v[134:135]
	s_wait_dscnt 0x1
	v_fmac_f64_e32 v[146:147], v[130:131], v[112:113]
	s_wait_loadcnt 0x0
	s_delay_alu instid0(VALU_DEP_1) | instskip(SKIP_1) | instid1(VALU_DEP_1)
	v_fmac_f64_e32 v[146:147], v[120:121], v[114:115]
	s_wait_dscnt 0x0
	v_fmac_f64_e32 v[146:147], v[122:123], v[116:117]
	s_delay_alu instid0(VALU_DEP_1)
	v_add_f64_e64 v[110:111], v[110:111], -v[146:147]
	scratch_store_b64 off, v[110:111], off offset:136
	s_wait_xcnt 0x0
	v_cmpx_lt_u32_e32 16, v0
	s_cbranch_execz .LBB116_295
; %bb.294:
	scratch_load_b64 v[110:111], off, off offset:128
	v_mov_b64_e32 v[112:113], 0
	scratch_store_b64 off, v[112:113], off offset:128
	s_wait_loadcnt 0x0
	ds_store_b64 v1, v[110:111]
.LBB116_295:
	s_wait_xcnt 0x0
	s_or_b32 exec_lo, exec_lo, s0
	s_wait_storecnt_dscnt 0x0
	s_barrier_signal -1
	s_barrier_wait -1
	s_clause 0x5
	scratch_load_b128 v[110:113], off, off offset:128
	scratch_load_b128 v[114:117], off, off offset:144
	;; [unrolled: 1-line block ×6, first 2 shown]
	ds_load_2addr_b64 v[134:137], v2 offset0:71 offset1:72
	ds_load_2addr_b64 v[138:141], v2 offset0:73 offset1:74
	scratch_load_b128 v[142:145], off, off offset:224
	s_mov_b32 s0, exec_lo
	s_wait_loadcnt_dscnt 0x601
	v_fma_f64 v[146:147], v[112:113], v[134:135], 0
	s_wait_loadcnt 0x5
	s_delay_alu instid0(VALU_DEP_1) | instskip(SKIP_4) | instid1(VALU_DEP_1)
	v_fmac_f64_e32 v[146:147], v[114:115], v[136:137]
	scratch_load_b128 v[112:115], off, off offset:240
	s_wait_dscnt 0x0
	v_fmac_f64_e32 v[146:147], v[116:117], v[138:139]
	s_wait_loadcnt 0x5
	v_fmac_f64_e32 v[146:147], v[118:119], v[140:141]
	ds_load_2addr_b64 v[116:119], v2 offset0:75 offset1:76
	ds_load_2addr_b64 v[134:137], v2 offset0:77 offset1:78
	scratch_load_b128 v[138:141], off, off offset:256
	s_wait_dscnt 0x1
	v_fmac_f64_e32 v[146:147], v[120:121], v[116:117]
	s_wait_loadcnt 0x5
	s_delay_alu instid0(VALU_DEP_1) | instskip(SKIP_4) | instid1(VALU_DEP_1)
	v_fmac_f64_e32 v[146:147], v[122:123], v[118:119]
	scratch_load_b128 v[116:119], off, off offset:272
	s_wait_dscnt 0x0
	v_fmac_f64_e32 v[146:147], v[124:125], v[134:135]
	s_wait_loadcnt 0x5
	v_fmac_f64_e32 v[146:147], v[126:127], v[136:137]
	ds_load_2addr_b64 v[120:123], v2 offset0:79 offset1:80
	ds_load_2addr_b64 v[124:127], v2 offset0:81 offset1:82
	scratch_load_b128 v[134:137], off, off offset:288
	s_wait_dscnt 0x1
	v_fmac_f64_e32 v[146:147], v[128:129], v[120:121]
	s_wait_loadcnt 0x5
	s_delay_alu instid0(VALU_DEP_1) | instskip(SKIP_4) | instid1(VALU_DEP_1)
	v_fmac_f64_e32 v[146:147], v[130:131], v[122:123]
	scratch_load_b128 v[120:123], off, off offset:304
	s_wait_dscnt 0x0
	v_fmac_f64_e32 v[146:147], v[132:133], v[124:125]
	s_wait_loadcnt 0x5
	v_fmac_f64_e32 v[146:147], v[142:143], v[126:127]
	ds_load_2addr_b64 v[124:127], v2 offset0:83 offset1:84
	ds_load_2addr_b64 v[128:131], v2 offset0:85 offset1:86
	s_wait_dscnt 0x1
	v_fmac_f64_e32 v[146:147], v[144:145], v[124:125]
	scratch_load_b128 v[142:145], off, off offset:320
	s_wait_loadcnt 0x5
	v_fmac_f64_e32 v[146:147], v[112:113], v[126:127]
	s_wait_dscnt 0x0
	s_delay_alu instid0(VALU_DEP_1)
	v_fmac_f64_e32 v[146:147], v[114:115], v[128:129]
	scratch_load_b128 v[112:115], off, off offset:336
	s_wait_loadcnt 0x5
	v_fmac_f64_e32 v[146:147], v[138:139], v[130:131]
	ds_load_2addr_b64 v[124:127], v2 offset0:87 offset1:88
	ds_load_2addr_b64 v[128:131], v2 offset0:89 offset1:90
	s_wait_dscnt 0x1
	v_fmac_f64_e32 v[146:147], v[140:141], v[124:125]
	s_wait_loadcnt 0x4
	s_delay_alu instid0(VALU_DEP_1)
	v_fmac_f64_e32 v[146:147], v[116:117], v[126:127]
	scratch_load_b128 v[124:127], off, off offset:352
	s_wait_dscnt 0x0
	v_fmac_f64_e32 v[146:147], v[118:119], v[128:129]
	scratch_load_b128 v[116:119], off, off offset:368
	s_wait_loadcnt 0x5
	v_fmac_f64_e32 v[146:147], v[134:135], v[130:131]
	ds_load_2addr_b64 v[128:131], v2 offset0:91 offset1:92
	ds_load_2addr_b64 v[132:135], v2 offset0:93 offset1:94
	s_wait_dscnt 0x1
	v_fmac_f64_e32 v[146:147], v[136:137], v[128:129]
	s_wait_loadcnt 0x4
	s_delay_alu instid0(VALU_DEP_1)
	v_fmac_f64_e32 v[146:147], v[120:121], v[130:131]
	scratch_load_b128 v[128:131], off, off offset:384
	s_wait_dscnt 0x0
	v_fmac_f64_e32 v[146:147], v[122:123], v[132:133]
	scratch_load_b128 v[120:123], off, off offset:400
	s_wait_loadcnt 0x5
	v_fmac_f64_e32 v[146:147], v[142:143], v[134:135]
	ds_load_2addr_b64 v[132:135], v2 offset0:95 offset1:96
	ds_load_2addr_b64 v[136:139], v2 offset0:97 offset1:98
	scratch_load_b64 v[140:141], off, off offset:416
	s_wait_dscnt 0x1
	v_fmac_f64_e32 v[146:147], v[144:145], v[132:133]
	s_wait_loadcnt 0x5
	s_delay_alu instid0(VALU_DEP_1) | instskip(SKIP_1) | instid1(VALU_DEP_1)
	v_fmac_f64_e32 v[146:147], v[112:113], v[134:135]
	s_wait_dscnt 0x0
	v_fmac_f64_e32 v[146:147], v[114:115], v[136:137]
	ds_load_2addr_b64 v[112:115], v2 offset0:99 offset1:100
	ds_load_2addr_b64 v[132:135], v2 offset0:101 offset1:102
	s_wait_loadcnt 0x4
	v_fmac_f64_e32 v[146:147], v[124:125], v[138:139]
	s_wait_dscnt 0x1
	s_delay_alu instid0(VALU_DEP_1) | instskip(SKIP_1) | instid1(VALU_DEP_1)
	v_fmac_f64_e32 v[146:147], v[126:127], v[112:113]
	s_wait_loadcnt 0x3
	v_fmac_f64_e32 v[146:147], v[116:117], v[114:115]
	s_wait_dscnt 0x0
	s_delay_alu instid0(VALU_DEP_1)
	v_fmac_f64_e32 v[146:147], v[118:119], v[132:133]
	ds_load_2addr_b64 v[112:115], v2 offset0:103 offset1:104
	ds_load_2addr_b64 v[116:119], v2 offset0:105 offset1:106
	s_wait_loadcnt 0x2
	v_fmac_f64_e32 v[146:147], v[128:129], v[134:135]
	s_wait_dscnt 0x1
	s_delay_alu instid0(VALU_DEP_1) | instskip(SKIP_1) | instid1(VALU_DEP_1)
	v_fmac_f64_e32 v[146:147], v[130:131], v[112:113]
	s_wait_loadcnt 0x1
	v_fmac_f64_e32 v[146:147], v[120:121], v[114:115]
	s_wait_dscnt 0x0
	s_delay_alu instid0(VALU_DEP_1) | instskip(SKIP_1) | instid1(VALU_DEP_1)
	v_fmac_f64_e32 v[146:147], v[122:123], v[116:117]
	s_wait_loadcnt 0x0
	v_fmac_f64_e32 v[146:147], v[140:141], v[118:119]
	s_delay_alu instid0(VALU_DEP_1)
	v_add_f64_e64 v[2:3], v[110:111], -v[146:147]
	scratch_store_b64 off, v[2:3], off offset:128
	s_wait_xcnt 0x0
	v_cmpx_lt_u32_e32 15, v0
	s_cbranch_execz .LBB116_297
; %bb.296:
	scratch_load_b64 v[2:3], off, off offset:120
	v_mov_b64_e32 v[110:111], 0
	scratch_store_b64 off, v[110:111], off offset:120
	s_wait_loadcnt 0x0
	ds_store_b64 v1, v[2:3]
.LBB116_297:
	s_wait_xcnt 0x0
	s_or_b32 exec_lo, exec_lo, s0
	s_wait_storecnt_dscnt 0x0
	s_barrier_signal -1
	s_barrier_wait -1
	s_clause 0x5
	scratch_load_b128 v[110:113], off, off offset:120
	scratch_load_b128 v[114:117], off, off offset:136
	;; [unrolled: 1-line block ×6, first 2 shown]
	v_mov_b32_e32 v2, 0
	ds_load_b128 v[134:137], v2 offset:560
	ds_load_b128 v[138:141], v2 offset:576
	scratch_load_b128 v[142:145], off, off offset:216
	s_mov_b32 s0, exec_lo
	s_wait_loadcnt_dscnt 0x601
	v_fma_f64 v[146:147], v[112:113], v[134:135], 0
	s_wait_loadcnt 0x5
	s_delay_alu instid0(VALU_DEP_1) | instskip(SKIP_4) | instid1(VALU_DEP_1)
	v_fmac_f64_e32 v[146:147], v[114:115], v[136:137]
	scratch_load_b128 v[112:115], off, off offset:232
	s_wait_dscnt 0x0
	v_fmac_f64_e32 v[146:147], v[116:117], v[138:139]
	s_wait_loadcnt 0x5
	v_fmac_f64_e32 v[146:147], v[118:119], v[140:141]
	ds_load_b128 v[116:119], v2 offset:592
	ds_load_b128 v[134:137], v2 offset:608
	scratch_load_b128 v[138:141], off, off offset:248
	s_wait_dscnt 0x1
	v_fmac_f64_e32 v[146:147], v[120:121], v[116:117]
	s_wait_loadcnt 0x5
	s_delay_alu instid0(VALU_DEP_1) | instskip(SKIP_4) | instid1(VALU_DEP_1)
	v_fmac_f64_e32 v[146:147], v[122:123], v[118:119]
	scratch_load_b128 v[116:119], off, off offset:264
	s_wait_dscnt 0x0
	v_fmac_f64_e32 v[146:147], v[124:125], v[134:135]
	s_wait_loadcnt 0x5
	v_fmac_f64_e32 v[146:147], v[126:127], v[136:137]
	ds_load_b128 v[120:123], v2 offset:624
	ds_load_b128 v[124:127], v2 offset:640
	scratch_load_b128 v[134:137], off, off offset:280
	s_wait_dscnt 0x1
	v_fmac_f64_e32 v[146:147], v[128:129], v[120:121]
	s_wait_loadcnt 0x5
	s_delay_alu instid0(VALU_DEP_1) | instskip(SKIP_4) | instid1(VALU_DEP_1)
	v_fmac_f64_e32 v[146:147], v[130:131], v[122:123]
	scratch_load_b128 v[120:123], off, off offset:296
	s_wait_dscnt 0x0
	v_fmac_f64_e32 v[146:147], v[132:133], v[124:125]
	s_wait_loadcnt 0x5
	v_fmac_f64_e32 v[146:147], v[142:143], v[126:127]
	ds_load_b128 v[124:127], v2 offset:656
	ds_load_b128 v[128:131], v2 offset:672
	s_wait_dscnt 0x1
	v_fmac_f64_e32 v[146:147], v[144:145], v[124:125]
	scratch_load_b128 v[142:145], off, off offset:312
	s_wait_loadcnt 0x5
	v_fmac_f64_e32 v[146:147], v[112:113], v[126:127]
	s_wait_dscnt 0x0
	s_delay_alu instid0(VALU_DEP_1)
	v_fmac_f64_e32 v[146:147], v[114:115], v[128:129]
	scratch_load_b128 v[112:115], off, off offset:328
	s_wait_loadcnt 0x5
	v_fmac_f64_e32 v[146:147], v[138:139], v[130:131]
	ds_load_b128 v[124:127], v2 offset:688
	ds_load_b128 v[128:131], v2 offset:704
	s_wait_dscnt 0x1
	v_fmac_f64_e32 v[146:147], v[140:141], v[124:125]
	s_wait_loadcnt 0x4
	s_delay_alu instid0(VALU_DEP_1)
	v_fmac_f64_e32 v[146:147], v[116:117], v[126:127]
	scratch_load_b128 v[124:127], off, off offset:344
	s_wait_dscnt 0x0
	v_fmac_f64_e32 v[146:147], v[118:119], v[128:129]
	scratch_load_b128 v[116:119], off, off offset:360
	s_wait_loadcnt 0x5
	v_fmac_f64_e32 v[146:147], v[134:135], v[130:131]
	ds_load_b128 v[128:131], v2 offset:720
	ds_load_b128 v[132:135], v2 offset:736
	s_wait_dscnt 0x1
	v_fmac_f64_e32 v[146:147], v[136:137], v[128:129]
	s_wait_loadcnt 0x4
	s_delay_alu instid0(VALU_DEP_1)
	v_fmac_f64_e32 v[146:147], v[120:121], v[130:131]
	scratch_load_b128 v[128:131], off, off offset:376
	s_wait_dscnt 0x0
	v_fmac_f64_e32 v[146:147], v[122:123], v[132:133]
	scratch_load_b128 v[120:123], off, off offset:392
	s_wait_loadcnt 0x5
	v_fmac_f64_e32 v[146:147], v[142:143], v[134:135]
	ds_load_b128 v[132:135], v2 offset:752
	ds_load_b128 v[136:139], v2 offset:768
	s_wait_dscnt 0x1
	v_fmac_f64_e32 v[146:147], v[144:145], v[132:133]
	s_wait_loadcnt 0x4
	s_delay_alu instid0(VALU_DEP_1) | instskip(SKIP_4) | instid1(VALU_DEP_1)
	v_fmac_f64_e32 v[146:147], v[112:113], v[134:135]
	scratch_load_b128 v[132:135], off, off offset:408
	s_wait_dscnt 0x0
	v_fmac_f64_e32 v[146:147], v[114:115], v[136:137]
	s_wait_loadcnt 0x4
	v_fmac_f64_e32 v[146:147], v[124:125], v[138:139]
	ds_load_b128 v[112:115], v2 offset:784
	ds_load_b128 v[136:139], v2 offset:800
	s_wait_dscnt 0x1
	v_fmac_f64_e32 v[146:147], v[126:127], v[112:113]
	s_wait_loadcnt 0x3
	s_delay_alu instid0(VALU_DEP_1) | instskip(SKIP_1) | instid1(VALU_DEP_1)
	v_fmac_f64_e32 v[146:147], v[116:117], v[114:115]
	s_wait_dscnt 0x0
	v_fmac_f64_e32 v[146:147], v[118:119], v[136:137]
	ds_load_b128 v[112:115], v2 offset:816
	ds_load_b128 v[116:119], v2 offset:832
	s_wait_loadcnt 0x2
	v_fmac_f64_e32 v[146:147], v[128:129], v[138:139]
	s_wait_dscnt 0x1
	s_delay_alu instid0(VALU_DEP_1) | instskip(SKIP_4) | instid1(VALU_DEP_1)
	v_fmac_f64_e32 v[146:147], v[130:131], v[112:113]
	ds_load_b64 v[112:113], v2 offset:848
	s_wait_loadcnt 0x1
	v_fmac_f64_e32 v[146:147], v[120:121], v[114:115]
	s_wait_dscnt 0x1
	v_fmac_f64_e32 v[146:147], v[122:123], v[116:117]
	s_wait_loadcnt 0x0
	s_delay_alu instid0(VALU_DEP_1) | instskip(SKIP_1) | instid1(VALU_DEP_1)
	v_fmac_f64_e32 v[146:147], v[132:133], v[118:119]
	s_wait_dscnt 0x0
	v_fmac_f64_e32 v[146:147], v[134:135], v[112:113]
	s_delay_alu instid0(VALU_DEP_1)
	v_add_f64_e64 v[110:111], v[110:111], -v[146:147]
	scratch_store_b64 off, v[110:111], off offset:120
	s_wait_xcnt 0x0
	v_cmpx_lt_u32_e32 14, v0
	s_cbranch_execz .LBB116_299
; %bb.298:
	scratch_load_b64 v[110:111], off, off offset:112
	v_mov_b64_e32 v[112:113], 0
	scratch_store_b64 off, v[112:113], off offset:112
	s_wait_loadcnt 0x0
	ds_store_b64 v1, v[110:111]
.LBB116_299:
	s_wait_xcnt 0x0
	s_or_b32 exec_lo, exec_lo, s0
	s_wait_storecnt_dscnt 0x0
	s_barrier_signal -1
	s_barrier_wait -1
	s_clause 0x5
	scratch_load_b128 v[110:113], off, off offset:112
	scratch_load_b128 v[114:117], off, off offset:128
	;; [unrolled: 1-line block ×6, first 2 shown]
	ds_load_2addr_b64 v[134:137], v2 offset0:69 offset1:70
	ds_load_2addr_b64 v[138:141], v2 offset0:71 offset1:72
	scratch_load_b128 v[142:145], off, off offset:208
	s_mov_b32 s0, exec_lo
	s_wait_loadcnt_dscnt 0x601
	v_fma_f64 v[146:147], v[112:113], v[134:135], 0
	s_wait_loadcnt 0x5
	s_delay_alu instid0(VALU_DEP_1) | instskip(SKIP_4) | instid1(VALU_DEP_1)
	v_fmac_f64_e32 v[146:147], v[114:115], v[136:137]
	scratch_load_b128 v[112:115], off, off offset:224
	s_wait_dscnt 0x0
	v_fmac_f64_e32 v[146:147], v[116:117], v[138:139]
	s_wait_loadcnt 0x5
	v_fmac_f64_e32 v[146:147], v[118:119], v[140:141]
	ds_load_2addr_b64 v[116:119], v2 offset0:73 offset1:74
	ds_load_2addr_b64 v[134:137], v2 offset0:75 offset1:76
	scratch_load_b128 v[138:141], off, off offset:240
	s_wait_dscnt 0x1
	v_fmac_f64_e32 v[146:147], v[120:121], v[116:117]
	s_wait_loadcnt 0x5
	s_delay_alu instid0(VALU_DEP_1) | instskip(SKIP_4) | instid1(VALU_DEP_1)
	v_fmac_f64_e32 v[146:147], v[122:123], v[118:119]
	scratch_load_b128 v[116:119], off, off offset:256
	s_wait_dscnt 0x0
	v_fmac_f64_e32 v[146:147], v[124:125], v[134:135]
	s_wait_loadcnt 0x5
	v_fmac_f64_e32 v[146:147], v[126:127], v[136:137]
	ds_load_2addr_b64 v[120:123], v2 offset0:77 offset1:78
	ds_load_2addr_b64 v[124:127], v2 offset0:79 offset1:80
	scratch_load_b128 v[134:137], off, off offset:272
	s_wait_dscnt 0x1
	v_fmac_f64_e32 v[146:147], v[128:129], v[120:121]
	s_wait_loadcnt 0x5
	s_delay_alu instid0(VALU_DEP_1) | instskip(SKIP_4) | instid1(VALU_DEP_1)
	v_fmac_f64_e32 v[146:147], v[130:131], v[122:123]
	scratch_load_b128 v[120:123], off, off offset:288
	s_wait_dscnt 0x0
	v_fmac_f64_e32 v[146:147], v[132:133], v[124:125]
	s_wait_loadcnt 0x5
	v_fmac_f64_e32 v[146:147], v[142:143], v[126:127]
	ds_load_2addr_b64 v[124:127], v2 offset0:81 offset1:82
	ds_load_2addr_b64 v[128:131], v2 offset0:83 offset1:84
	s_wait_dscnt 0x1
	v_fmac_f64_e32 v[146:147], v[144:145], v[124:125]
	scratch_load_b128 v[142:145], off, off offset:304
	s_wait_loadcnt 0x5
	v_fmac_f64_e32 v[146:147], v[112:113], v[126:127]
	s_wait_dscnt 0x0
	s_delay_alu instid0(VALU_DEP_1)
	v_fmac_f64_e32 v[146:147], v[114:115], v[128:129]
	scratch_load_b128 v[112:115], off, off offset:320
	s_wait_loadcnt 0x5
	v_fmac_f64_e32 v[146:147], v[138:139], v[130:131]
	ds_load_2addr_b64 v[124:127], v2 offset0:85 offset1:86
	ds_load_2addr_b64 v[128:131], v2 offset0:87 offset1:88
	s_wait_dscnt 0x1
	v_fmac_f64_e32 v[146:147], v[140:141], v[124:125]
	scratch_load_b128 v[138:141], off, off offset:336
	s_wait_loadcnt 0x5
	v_fmac_f64_e32 v[146:147], v[116:117], v[126:127]
	s_wait_dscnt 0x0
	s_delay_alu instid0(VALU_DEP_1)
	v_fmac_f64_e32 v[146:147], v[118:119], v[128:129]
	scratch_load_b128 v[116:119], off, off offset:352
	s_wait_loadcnt 0x5
	v_fmac_f64_e32 v[146:147], v[134:135], v[130:131]
	ds_load_2addr_b64 v[124:127], v2 offset0:89 offset1:90
	ds_load_2addr_b64 v[128:131], v2 offset0:91 offset1:92
	s_wait_dscnt 0x1
	v_fmac_f64_e32 v[146:147], v[136:137], v[124:125]
	s_wait_loadcnt 0x4
	s_delay_alu instid0(VALU_DEP_1)
	v_fmac_f64_e32 v[146:147], v[120:121], v[126:127]
	scratch_load_b128 v[124:127], off, off offset:368
	s_wait_dscnt 0x0
	v_fmac_f64_e32 v[146:147], v[122:123], v[128:129]
	scratch_load_b128 v[120:123], off, off offset:384
	s_wait_loadcnt 0x5
	v_fmac_f64_e32 v[146:147], v[142:143], v[130:131]
	ds_load_2addr_b64 v[128:131], v2 offset0:93 offset1:94
	ds_load_2addr_b64 v[132:135], v2 offset0:95 offset1:96
	scratch_load_b64 v[136:137], off, off offset:416
	s_wait_dscnt 0x1
	v_fmac_f64_e32 v[146:147], v[144:145], v[128:129]
	s_wait_loadcnt 0x5
	s_delay_alu instid0(VALU_DEP_1) | instskip(SKIP_4) | instid1(VALU_DEP_1)
	v_fmac_f64_e32 v[146:147], v[112:113], v[130:131]
	scratch_load_b128 v[128:131], off, off offset:400
	s_wait_dscnt 0x0
	v_fmac_f64_e32 v[146:147], v[114:115], v[132:133]
	s_wait_loadcnt 0x5
	v_fmac_f64_e32 v[146:147], v[138:139], v[134:135]
	ds_load_2addr_b64 v[112:115], v2 offset0:97 offset1:98
	ds_load_2addr_b64 v[132:135], v2 offset0:99 offset1:100
	s_wait_dscnt 0x1
	v_fmac_f64_e32 v[146:147], v[140:141], v[112:113]
	s_wait_loadcnt 0x4
	s_delay_alu instid0(VALU_DEP_1) | instskip(SKIP_1) | instid1(VALU_DEP_1)
	v_fmac_f64_e32 v[146:147], v[116:117], v[114:115]
	s_wait_dscnt 0x0
	v_fmac_f64_e32 v[146:147], v[118:119], v[132:133]
	ds_load_2addr_b64 v[112:115], v2 offset0:101 offset1:102
	ds_load_2addr_b64 v[116:119], v2 offset0:103 offset1:104
	s_wait_loadcnt 0x3
	v_fmac_f64_e32 v[146:147], v[124:125], v[134:135]
	s_wait_dscnt 0x1
	s_delay_alu instid0(VALU_DEP_1) | instskip(SKIP_1) | instid1(VALU_DEP_1)
	v_fmac_f64_e32 v[146:147], v[126:127], v[112:113]
	s_wait_loadcnt 0x2
	v_fmac_f64_e32 v[146:147], v[120:121], v[114:115]
	ds_load_2addr_b64 v[112:115], v2 offset0:105 offset1:106
	s_wait_dscnt 0x1
	v_fmac_f64_e32 v[146:147], v[122:123], v[116:117]
	s_wait_loadcnt 0x0
	s_delay_alu instid0(VALU_DEP_1) | instskip(SKIP_1) | instid1(VALU_DEP_1)
	v_fmac_f64_e32 v[146:147], v[128:129], v[118:119]
	s_wait_dscnt 0x0
	v_fmac_f64_e32 v[146:147], v[130:131], v[112:113]
	s_delay_alu instid0(VALU_DEP_1) | instskip(NEXT) | instid1(VALU_DEP_1)
	v_fmac_f64_e32 v[146:147], v[136:137], v[114:115]
	v_add_f64_e64 v[2:3], v[110:111], -v[146:147]
	scratch_store_b64 off, v[2:3], off offset:112
	s_wait_xcnt 0x0
	v_cmpx_lt_u32_e32 13, v0
	s_cbranch_execz .LBB116_301
; %bb.300:
	scratch_load_b64 v[2:3], off, off offset:104
	v_mov_b64_e32 v[110:111], 0
	scratch_store_b64 off, v[110:111], off offset:104
	s_wait_loadcnt 0x0
	ds_store_b64 v1, v[2:3]
.LBB116_301:
	s_wait_xcnt 0x0
	s_or_b32 exec_lo, exec_lo, s0
	s_wait_storecnt_dscnt 0x0
	s_barrier_signal -1
	s_barrier_wait -1
	s_clause 0x5
	scratch_load_b128 v[110:113], off, off offset:104
	scratch_load_b128 v[114:117], off, off offset:120
	;; [unrolled: 1-line block ×6, first 2 shown]
	v_mov_b32_e32 v2, 0
	ds_load_b128 v[134:137], v2 offset:544
	ds_load_b128 v[138:141], v2 offset:560
	scratch_load_b128 v[142:145], off, off offset:200
	s_mov_b32 s0, exec_lo
	s_wait_loadcnt_dscnt 0x601
	v_fma_f64 v[146:147], v[112:113], v[134:135], 0
	s_wait_loadcnt 0x5
	s_delay_alu instid0(VALU_DEP_1) | instskip(SKIP_4) | instid1(VALU_DEP_1)
	v_fmac_f64_e32 v[146:147], v[114:115], v[136:137]
	scratch_load_b128 v[112:115], off, off offset:216
	s_wait_dscnt 0x0
	v_fmac_f64_e32 v[146:147], v[116:117], v[138:139]
	s_wait_loadcnt 0x5
	v_fmac_f64_e32 v[146:147], v[118:119], v[140:141]
	ds_load_b128 v[116:119], v2 offset:576
	ds_load_b128 v[134:137], v2 offset:592
	scratch_load_b128 v[138:141], off, off offset:232
	s_wait_dscnt 0x1
	v_fmac_f64_e32 v[146:147], v[120:121], v[116:117]
	s_wait_loadcnt 0x5
	s_delay_alu instid0(VALU_DEP_1) | instskip(SKIP_4) | instid1(VALU_DEP_1)
	v_fmac_f64_e32 v[146:147], v[122:123], v[118:119]
	scratch_load_b128 v[116:119], off, off offset:248
	s_wait_dscnt 0x0
	v_fmac_f64_e32 v[146:147], v[124:125], v[134:135]
	s_wait_loadcnt 0x5
	v_fmac_f64_e32 v[146:147], v[126:127], v[136:137]
	ds_load_b128 v[120:123], v2 offset:608
	ds_load_b128 v[124:127], v2 offset:624
	scratch_load_b128 v[134:137], off, off offset:264
	s_wait_dscnt 0x1
	v_fmac_f64_e32 v[146:147], v[128:129], v[120:121]
	s_wait_loadcnt 0x5
	s_delay_alu instid0(VALU_DEP_1) | instskip(SKIP_4) | instid1(VALU_DEP_1)
	v_fmac_f64_e32 v[146:147], v[130:131], v[122:123]
	scratch_load_b128 v[120:123], off, off offset:280
	s_wait_dscnt 0x0
	v_fmac_f64_e32 v[146:147], v[132:133], v[124:125]
	s_wait_loadcnt 0x5
	v_fmac_f64_e32 v[146:147], v[142:143], v[126:127]
	ds_load_b128 v[124:127], v2 offset:640
	ds_load_b128 v[128:131], v2 offset:656
	s_wait_dscnt 0x1
	v_fmac_f64_e32 v[146:147], v[144:145], v[124:125]
	scratch_load_b128 v[142:145], off, off offset:296
	s_wait_loadcnt 0x5
	v_fmac_f64_e32 v[146:147], v[112:113], v[126:127]
	s_wait_dscnt 0x0
	s_delay_alu instid0(VALU_DEP_1)
	v_fmac_f64_e32 v[146:147], v[114:115], v[128:129]
	scratch_load_b128 v[112:115], off, off offset:312
	s_wait_loadcnt 0x5
	v_fmac_f64_e32 v[146:147], v[138:139], v[130:131]
	ds_load_b128 v[124:127], v2 offset:672
	ds_load_b128 v[128:131], v2 offset:688
	s_wait_dscnt 0x1
	v_fmac_f64_e32 v[146:147], v[140:141], v[124:125]
	scratch_load_b128 v[138:141], off, off offset:328
	s_wait_loadcnt 0x5
	v_fmac_f64_e32 v[146:147], v[116:117], v[126:127]
	s_wait_dscnt 0x0
	s_delay_alu instid0(VALU_DEP_1)
	v_fmac_f64_e32 v[146:147], v[118:119], v[128:129]
	scratch_load_b128 v[116:119], off, off offset:344
	s_wait_loadcnt 0x5
	v_fmac_f64_e32 v[146:147], v[134:135], v[130:131]
	ds_load_b128 v[124:127], v2 offset:704
	ds_load_b128 v[128:131], v2 offset:720
	s_wait_dscnt 0x1
	v_fmac_f64_e32 v[146:147], v[136:137], v[124:125]
	s_wait_loadcnt 0x4
	s_delay_alu instid0(VALU_DEP_1)
	v_fmac_f64_e32 v[146:147], v[120:121], v[126:127]
	scratch_load_b128 v[124:127], off, off offset:360
	s_wait_dscnt 0x0
	v_fmac_f64_e32 v[146:147], v[122:123], v[128:129]
	scratch_load_b128 v[120:123], off, off offset:376
	s_wait_loadcnt 0x5
	v_fmac_f64_e32 v[146:147], v[142:143], v[130:131]
	ds_load_b128 v[128:131], v2 offset:736
	ds_load_b128 v[132:135], v2 offset:752
	s_wait_dscnt 0x1
	v_fmac_f64_e32 v[146:147], v[144:145], v[128:129]
	s_wait_loadcnt 0x4
	s_delay_alu instid0(VALU_DEP_1)
	v_fmac_f64_e32 v[146:147], v[112:113], v[130:131]
	scratch_load_b128 v[128:131], off, off offset:392
	s_wait_dscnt 0x0
	v_fmac_f64_e32 v[146:147], v[114:115], v[132:133]
	scratch_load_b128 v[112:115], off, off offset:408
	s_wait_loadcnt 0x5
	v_fmac_f64_e32 v[146:147], v[138:139], v[134:135]
	ds_load_b128 v[132:135], v2 offset:768
	ds_load_b128 v[136:139], v2 offset:784
	s_wait_dscnt 0x1
	v_fmac_f64_e32 v[146:147], v[140:141], v[132:133]
	s_wait_loadcnt 0x4
	s_delay_alu instid0(VALU_DEP_1) | instskip(SKIP_1) | instid1(VALU_DEP_1)
	v_fmac_f64_e32 v[146:147], v[116:117], v[134:135]
	s_wait_dscnt 0x0
	v_fmac_f64_e32 v[146:147], v[118:119], v[136:137]
	ds_load_b128 v[116:119], v2 offset:800
	ds_load_b128 v[132:135], v2 offset:816
	s_wait_loadcnt 0x3
	v_fmac_f64_e32 v[146:147], v[124:125], v[138:139]
	s_wait_dscnt 0x1
	s_delay_alu instid0(VALU_DEP_1) | instskip(SKIP_1) | instid1(VALU_DEP_1)
	v_fmac_f64_e32 v[146:147], v[126:127], v[116:117]
	s_wait_loadcnt 0x2
	v_fmac_f64_e32 v[146:147], v[120:121], v[118:119]
	ds_load_b128 v[116:119], v2 offset:832
	ds_load_b64 v[120:121], v2 offset:848
	s_wait_dscnt 0x2
	v_fmac_f64_e32 v[146:147], v[122:123], v[132:133]
	s_wait_loadcnt 0x1
	s_delay_alu instid0(VALU_DEP_1) | instskip(SKIP_1) | instid1(VALU_DEP_1)
	v_fmac_f64_e32 v[146:147], v[128:129], v[134:135]
	s_wait_dscnt 0x1
	v_fmac_f64_e32 v[146:147], v[130:131], v[116:117]
	s_wait_loadcnt 0x0
	s_delay_alu instid0(VALU_DEP_1) | instskip(SKIP_1) | instid1(VALU_DEP_1)
	v_fmac_f64_e32 v[146:147], v[112:113], v[118:119]
	s_wait_dscnt 0x0
	v_fmac_f64_e32 v[146:147], v[114:115], v[120:121]
	s_delay_alu instid0(VALU_DEP_1)
	v_add_f64_e64 v[110:111], v[110:111], -v[146:147]
	scratch_store_b64 off, v[110:111], off offset:104
	s_wait_xcnt 0x0
	v_cmpx_lt_u32_e32 12, v0
	s_cbranch_execz .LBB116_303
; %bb.302:
	scratch_load_b64 v[110:111], off, off offset:96
	v_mov_b64_e32 v[112:113], 0
	scratch_store_b64 off, v[112:113], off offset:96
	s_wait_loadcnt 0x0
	ds_store_b64 v1, v[110:111]
.LBB116_303:
	s_wait_xcnt 0x0
	s_or_b32 exec_lo, exec_lo, s0
	s_wait_storecnt_dscnt 0x0
	s_barrier_signal -1
	s_barrier_wait -1
	s_clause 0x5
	scratch_load_b128 v[110:113], off, off offset:96
	scratch_load_b128 v[114:117], off, off offset:112
	;; [unrolled: 1-line block ×6, first 2 shown]
	ds_load_2addr_b64 v[134:137], v2 offset0:67 offset1:68
	ds_load_2addr_b64 v[138:141], v2 offset0:69 offset1:70
	scratch_load_b128 v[142:145], off, off offset:192
	s_mov_b32 s0, exec_lo
	s_wait_loadcnt_dscnt 0x601
	v_fma_f64 v[146:147], v[112:113], v[134:135], 0
	s_wait_loadcnt 0x5
	s_delay_alu instid0(VALU_DEP_1) | instskip(SKIP_4) | instid1(VALU_DEP_1)
	v_fmac_f64_e32 v[146:147], v[114:115], v[136:137]
	scratch_load_b128 v[112:115], off, off offset:208
	s_wait_dscnt 0x0
	v_fmac_f64_e32 v[146:147], v[116:117], v[138:139]
	s_wait_loadcnt 0x5
	v_fmac_f64_e32 v[146:147], v[118:119], v[140:141]
	ds_load_2addr_b64 v[116:119], v2 offset0:71 offset1:72
	ds_load_2addr_b64 v[134:137], v2 offset0:73 offset1:74
	scratch_load_b128 v[138:141], off, off offset:224
	s_wait_dscnt 0x1
	v_fmac_f64_e32 v[146:147], v[120:121], v[116:117]
	s_wait_loadcnt 0x5
	s_delay_alu instid0(VALU_DEP_1) | instskip(SKIP_4) | instid1(VALU_DEP_1)
	v_fmac_f64_e32 v[146:147], v[122:123], v[118:119]
	scratch_load_b128 v[116:119], off, off offset:240
	s_wait_dscnt 0x0
	v_fmac_f64_e32 v[146:147], v[124:125], v[134:135]
	s_wait_loadcnt 0x5
	v_fmac_f64_e32 v[146:147], v[126:127], v[136:137]
	ds_load_2addr_b64 v[120:123], v2 offset0:75 offset1:76
	ds_load_2addr_b64 v[124:127], v2 offset0:77 offset1:78
	scratch_load_b128 v[134:137], off, off offset:256
	s_wait_dscnt 0x1
	v_fmac_f64_e32 v[146:147], v[128:129], v[120:121]
	s_wait_loadcnt 0x5
	s_delay_alu instid0(VALU_DEP_1) | instskip(SKIP_4) | instid1(VALU_DEP_1)
	v_fmac_f64_e32 v[146:147], v[130:131], v[122:123]
	scratch_load_b128 v[120:123], off, off offset:272
	s_wait_dscnt 0x0
	v_fmac_f64_e32 v[146:147], v[132:133], v[124:125]
	s_wait_loadcnt 0x5
	v_fmac_f64_e32 v[146:147], v[142:143], v[126:127]
	ds_load_2addr_b64 v[124:127], v2 offset0:79 offset1:80
	ds_load_2addr_b64 v[128:131], v2 offset0:81 offset1:82
	s_wait_dscnt 0x1
	v_fmac_f64_e32 v[146:147], v[144:145], v[124:125]
	scratch_load_b128 v[142:145], off, off offset:288
	s_wait_loadcnt 0x5
	v_fmac_f64_e32 v[146:147], v[112:113], v[126:127]
	s_wait_dscnt 0x0
	s_delay_alu instid0(VALU_DEP_1)
	v_fmac_f64_e32 v[146:147], v[114:115], v[128:129]
	scratch_load_b128 v[112:115], off, off offset:304
	s_wait_loadcnt 0x5
	v_fmac_f64_e32 v[146:147], v[138:139], v[130:131]
	ds_load_2addr_b64 v[124:127], v2 offset0:83 offset1:84
	ds_load_2addr_b64 v[128:131], v2 offset0:85 offset1:86
	s_wait_dscnt 0x1
	v_fmac_f64_e32 v[146:147], v[140:141], v[124:125]
	scratch_load_b128 v[138:141], off, off offset:320
	s_wait_loadcnt 0x5
	v_fmac_f64_e32 v[146:147], v[116:117], v[126:127]
	s_wait_dscnt 0x0
	s_delay_alu instid0(VALU_DEP_1)
	v_fmac_f64_e32 v[146:147], v[118:119], v[128:129]
	scratch_load_b128 v[116:119], off, off offset:336
	s_wait_loadcnt 0x5
	v_fmac_f64_e32 v[146:147], v[134:135], v[130:131]
	ds_load_2addr_b64 v[124:127], v2 offset0:87 offset1:88
	ds_load_2addr_b64 v[128:131], v2 offset0:89 offset1:90
	s_wait_dscnt 0x1
	v_fmac_f64_e32 v[146:147], v[136:137], v[124:125]
	s_wait_loadcnt 0x4
	s_delay_alu instid0(VALU_DEP_1)
	v_fmac_f64_e32 v[146:147], v[120:121], v[126:127]
	scratch_load_b128 v[124:127], off, off offset:352
	s_wait_dscnt 0x0
	v_fmac_f64_e32 v[146:147], v[122:123], v[128:129]
	scratch_load_b128 v[120:123], off, off offset:368
	s_wait_loadcnt 0x5
	v_fmac_f64_e32 v[146:147], v[142:143], v[130:131]
	ds_load_2addr_b64 v[128:131], v2 offset0:91 offset1:92
	ds_load_2addr_b64 v[132:135], v2 offset0:93 offset1:94
	s_wait_dscnt 0x1
	v_fmac_f64_e32 v[146:147], v[144:145], v[128:129]
	s_wait_loadcnt 0x4
	s_delay_alu instid0(VALU_DEP_1)
	v_fmac_f64_e32 v[146:147], v[112:113], v[130:131]
	scratch_load_b128 v[128:131], off, off offset:384
	s_wait_dscnt 0x0
	v_fmac_f64_e32 v[146:147], v[114:115], v[132:133]
	scratch_load_b128 v[112:115], off, off offset:400
	s_wait_loadcnt 0x5
	v_fmac_f64_e32 v[146:147], v[138:139], v[134:135]
	ds_load_2addr_b64 v[132:135], v2 offset0:95 offset1:96
	ds_load_2addr_b64 v[136:139], v2 offset0:97 offset1:98
	s_wait_dscnt 0x1
	v_fmac_f64_e32 v[146:147], v[140:141], v[132:133]
	scratch_load_b64 v[140:141], off, off offset:416
	s_wait_loadcnt 0x5
	v_fmac_f64_e32 v[146:147], v[116:117], v[134:135]
	s_wait_dscnt 0x0
	s_delay_alu instid0(VALU_DEP_1)
	v_fmac_f64_e32 v[146:147], v[118:119], v[136:137]
	ds_load_2addr_b64 v[116:119], v2 offset0:99 offset1:100
	ds_load_2addr_b64 v[132:135], v2 offset0:101 offset1:102
	s_wait_loadcnt 0x4
	v_fmac_f64_e32 v[146:147], v[124:125], v[138:139]
	s_wait_dscnt 0x1
	s_delay_alu instid0(VALU_DEP_1) | instskip(SKIP_1) | instid1(VALU_DEP_1)
	v_fmac_f64_e32 v[146:147], v[126:127], v[116:117]
	s_wait_loadcnt 0x3
	v_fmac_f64_e32 v[146:147], v[120:121], v[118:119]
	s_wait_dscnt 0x0
	s_delay_alu instid0(VALU_DEP_1)
	v_fmac_f64_e32 v[146:147], v[122:123], v[132:133]
	ds_load_2addr_b64 v[116:119], v2 offset0:103 offset1:104
	ds_load_2addr_b64 v[120:123], v2 offset0:105 offset1:106
	s_wait_loadcnt 0x2
	v_fmac_f64_e32 v[146:147], v[128:129], v[134:135]
	s_wait_dscnt 0x1
	s_delay_alu instid0(VALU_DEP_1) | instskip(SKIP_1) | instid1(VALU_DEP_1)
	v_fmac_f64_e32 v[146:147], v[130:131], v[116:117]
	s_wait_loadcnt 0x1
	v_fmac_f64_e32 v[146:147], v[112:113], v[118:119]
	s_wait_dscnt 0x0
	s_delay_alu instid0(VALU_DEP_1) | instskip(SKIP_1) | instid1(VALU_DEP_1)
	v_fmac_f64_e32 v[146:147], v[114:115], v[120:121]
	s_wait_loadcnt 0x0
	v_fmac_f64_e32 v[146:147], v[140:141], v[122:123]
	s_delay_alu instid0(VALU_DEP_1)
	v_add_f64_e64 v[2:3], v[110:111], -v[146:147]
	scratch_store_b64 off, v[2:3], off offset:96
	s_wait_xcnt 0x0
	v_cmpx_lt_u32_e32 11, v0
	s_cbranch_execz .LBB116_305
; %bb.304:
	scratch_load_b64 v[2:3], off, off offset:88
	v_mov_b64_e32 v[110:111], 0
	scratch_store_b64 off, v[110:111], off offset:88
	s_wait_loadcnt 0x0
	ds_store_b64 v1, v[2:3]
.LBB116_305:
	s_wait_xcnt 0x0
	s_or_b32 exec_lo, exec_lo, s0
	s_wait_storecnt_dscnt 0x0
	s_barrier_signal -1
	s_barrier_wait -1
	s_clause 0x5
	scratch_load_b128 v[110:113], off, off offset:88
	scratch_load_b128 v[114:117], off, off offset:104
	scratch_load_b128 v[118:121], off, off offset:120
	scratch_load_b128 v[122:125], off, off offset:136
	scratch_load_b128 v[126:129], off, off offset:152
	scratch_load_b128 v[130:133], off, off offset:168
	v_mov_b32_e32 v2, 0
	ds_load_b128 v[134:137], v2 offset:528
	ds_load_b128 v[138:141], v2 offset:544
	scratch_load_b128 v[142:145], off, off offset:184
	s_mov_b32 s0, exec_lo
	s_wait_loadcnt_dscnt 0x601
	v_fma_f64 v[146:147], v[112:113], v[134:135], 0
	s_wait_loadcnt 0x5
	s_delay_alu instid0(VALU_DEP_1) | instskip(SKIP_4) | instid1(VALU_DEP_1)
	v_fmac_f64_e32 v[146:147], v[114:115], v[136:137]
	scratch_load_b128 v[112:115], off, off offset:200
	s_wait_dscnt 0x0
	v_fmac_f64_e32 v[146:147], v[116:117], v[138:139]
	s_wait_loadcnt 0x5
	v_fmac_f64_e32 v[146:147], v[118:119], v[140:141]
	ds_load_b128 v[116:119], v2 offset:560
	ds_load_b128 v[134:137], v2 offset:576
	scratch_load_b128 v[138:141], off, off offset:216
	s_wait_dscnt 0x1
	v_fmac_f64_e32 v[146:147], v[120:121], v[116:117]
	s_wait_loadcnt 0x5
	s_delay_alu instid0(VALU_DEP_1) | instskip(SKIP_4) | instid1(VALU_DEP_1)
	v_fmac_f64_e32 v[146:147], v[122:123], v[118:119]
	scratch_load_b128 v[116:119], off, off offset:232
	s_wait_dscnt 0x0
	v_fmac_f64_e32 v[146:147], v[124:125], v[134:135]
	s_wait_loadcnt 0x5
	v_fmac_f64_e32 v[146:147], v[126:127], v[136:137]
	ds_load_b128 v[120:123], v2 offset:592
	ds_load_b128 v[124:127], v2 offset:608
	scratch_load_b128 v[134:137], off, off offset:248
	s_wait_dscnt 0x1
	v_fmac_f64_e32 v[146:147], v[128:129], v[120:121]
	s_wait_loadcnt 0x5
	s_delay_alu instid0(VALU_DEP_1) | instskip(SKIP_4) | instid1(VALU_DEP_1)
	v_fmac_f64_e32 v[146:147], v[130:131], v[122:123]
	scratch_load_b128 v[120:123], off, off offset:264
	s_wait_dscnt 0x0
	v_fmac_f64_e32 v[146:147], v[132:133], v[124:125]
	s_wait_loadcnt 0x5
	v_fmac_f64_e32 v[146:147], v[142:143], v[126:127]
	ds_load_b128 v[124:127], v2 offset:624
	ds_load_b128 v[128:131], v2 offset:640
	s_wait_dscnt 0x1
	v_fmac_f64_e32 v[146:147], v[144:145], v[124:125]
	scratch_load_b128 v[142:145], off, off offset:280
	s_wait_loadcnt 0x5
	v_fmac_f64_e32 v[146:147], v[112:113], v[126:127]
	s_wait_dscnt 0x0
	s_delay_alu instid0(VALU_DEP_1)
	v_fmac_f64_e32 v[146:147], v[114:115], v[128:129]
	scratch_load_b128 v[112:115], off, off offset:296
	s_wait_loadcnt 0x5
	v_fmac_f64_e32 v[146:147], v[138:139], v[130:131]
	ds_load_b128 v[124:127], v2 offset:656
	ds_load_b128 v[128:131], v2 offset:672
	s_wait_dscnt 0x1
	v_fmac_f64_e32 v[146:147], v[140:141], v[124:125]
	scratch_load_b128 v[138:141], off, off offset:312
	s_wait_loadcnt 0x5
	v_fmac_f64_e32 v[146:147], v[116:117], v[126:127]
	s_wait_dscnt 0x0
	s_delay_alu instid0(VALU_DEP_1)
	v_fmac_f64_e32 v[146:147], v[118:119], v[128:129]
	scratch_load_b128 v[116:119], off, off offset:328
	s_wait_loadcnt 0x5
	v_fmac_f64_e32 v[146:147], v[134:135], v[130:131]
	ds_load_b128 v[124:127], v2 offset:688
	ds_load_b128 v[128:131], v2 offset:704
	s_wait_dscnt 0x1
	v_fmac_f64_e32 v[146:147], v[136:137], v[124:125]
	s_wait_loadcnt 0x4
	s_delay_alu instid0(VALU_DEP_1)
	v_fmac_f64_e32 v[146:147], v[120:121], v[126:127]
	scratch_load_b128 v[124:127], off, off offset:344
	s_wait_dscnt 0x0
	v_fmac_f64_e32 v[146:147], v[122:123], v[128:129]
	scratch_load_b128 v[120:123], off, off offset:360
	s_wait_loadcnt 0x5
	v_fmac_f64_e32 v[146:147], v[142:143], v[130:131]
	ds_load_b128 v[128:131], v2 offset:720
	ds_load_b128 v[132:135], v2 offset:736
	s_wait_dscnt 0x1
	v_fmac_f64_e32 v[146:147], v[144:145], v[128:129]
	s_wait_loadcnt 0x4
	s_delay_alu instid0(VALU_DEP_1)
	v_fmac_f64_e32 v[146:147], v[112:113], v[130:131]
	scratch_load_b128 v[128:131], off, off offset:376
	s_wait_dscnt 0x0
	v_fmac_f64_e32 v[146:147], v[114:115], v[132:133]
	scratch_load_b128 v[112:115], off, off offset:392
	s_wait_loadcnt 0x5
	v_fmac_f64_e32 v[146:147], v[138:139], v[134:135]
	ds_load_b128 v[132:135], v2 offset:752
	ds_load_b128 v[136:139], v2 offset:768
	s_wait_dscnt 0x1
	v_fmac_f64_e32 v[146:147], v[140:141], v[132:133]
	s_wait_loadcnt 0x4
	s_delay_alu instid0(VALU_DEP_1) | instskip(SKIP_4) | instid1(VALU_DEP_1)
	v_fmac_f64_e32 v[146:147], v[116:117], v[134:135]
	scratch_load_b128 v[132:135], off, off offset:408
	s_wait_dscnt 0x0
	v_fmac_f64_e32 v[146:147], v[118:119], v[136:137]
	s_wait_loadcnt 0x4
	v_fmac_f64_e32 v[146:147], v[124:125], v[138:139]
	ds_load_b128 v[116:119], v2 offset:784
	ds_load_b128 v[136:139], v2 offset:800
	s_wait_dscnt 0x1
	v_fmac_f64_e32 v[146:147], v[126:127], v[116:117]
	s_wait_loadcnt 0x3
	s_delay_alu instid0(VALU_DEP_1) | instskip(SKIP_1) | instid1(VALU_DEP_1)
	v_fmac_f64_e32 v[146:147], v[120:121], v[118:119]
	s_wait_dscnt 0x0
	v_fmac_f64_e32 v[146:147], v[122:123], v[136:137]
	ds_load_b128 v[116:119], v2 offset:816
	ds_load_b128 v[120:123], v2 offset:832
	s_wait_loadcnt 0x2
	v_fmac_f64_e32 v[146:147], v[128:129], v[138:139]
	s_wait_dscnt 0x1
	s_delay_alu instid0(VALU_DEP_1) | instskip(SKIP_1) | instid1(VALU_DEP_1)
	v_fmac_f64_e32 v[146:147], v[130:131], v[116:117]
	s_wait_loadcnt 0x1
	v_fmac_f64_e32 v[146:147], v[112:113], v[118:119]
	ds_load_b64 v[112:113], v2 offset:848
	s_wait_dscnt 0x1
	v_fmac_f64_e32 v[146:147], v[114:115], v[120:121]
	s_wait_loadcnt 0x0
	s_delay_alu instid0(VALU_DEP_1) | instskip(SKIP_1) | instid1(VALU_DEP_1)
	v_fmac_f64_e32 v[146:147], v[132:133], v[122:123]
	s_wait_dscnt 0x0
	v_fmac_f64_e32 v[146:147], v[134:135], v[112:113]
	s_delay_alu instid0(VALU_DEP_1)
	v_add_f64_e64 v[110:111], v[110:111], -v[146:147]
	scratch_store_b64 off, v[110:111], off offset:88
	s_wait_xcnt 0x0
	v_cmpx_lt_u32_e32 10, v0
	s_cbranch_execz .LBB116_307
; %bb.306:
	scratch_load_b64 v[110:111], off, off offset:80
	v_mov_b64_e32 v[112:113], 0
	scratch_store_b64 off, v[112:113], off offset:80
	s_wait_loadcnt 0x0
	ds_store_b64 v1, v[110:111]
.LBB116_307:
	s_wait_xcnt 0x0
	s_or_b32 exec_lo, exec_lo, s0
	s_wait_storecnt_dscnt 0x0
	s_barrier_signal -1
	s_barrier_wait -1
	s_clause 0x5
	scratch_load_b128 v[110:113], off, off offset:80
	scratch_load_b128 v[114:117], off, off offset:96
	;; [unrolled: 1-line block ×6, first 2 shown]
	ds_load_2addr_b64 v[134:137], v2 offset0:65 offset1:66
	ds_load_2addr_b64 v[138:141], v2 offset0:67 offset1:68
	scratch_load_b128 v[142:145], off, off offset:176
	s_mov_b32 s0, exec_lo
	s_wait_loadcnt_dscnt 0x601
	v_fma_f64 v[146:147], v[112:113], v[134:135], 0
	s_wait_loadcnt 0x5
	s_delay_alu instid0(VALU_DEP_1) | instskip(SKIP_4) | instid1(VALU_DEP_1)
	v_fmac_f64_e32 v[146:147], v[114:115], v[136:137]
	scratch_load_b128 v[112:115], off, off offset:192
	s_wait_dscnt 0x0
	v_fmac_f64_e32 v[146:147], v[116:117], v[138:139]
	s_wait_loadcnt 0x5
	v_fmac_f64_e32 v[146:147], v[118:119], v[140:141]
	ds_load_2addr_b64 v[116:119], v2 offset0:69 offset1:70
	ds_load_2addr_b64 v[134:137], v2 offset0:71 offset1:72
	scratch_load_b128 v[138:141], off, off offset:208
	s_wait_dscnt 0x1
	v_fmac_f64_e32 v[146:147], v[120:121], v[116:117]
	s_wait_loadcnt 0x5
	s_delay_alu instid0(VALU_DEP_1) | instskip(SKIP_4) | instid1(VALU_DEP_1)
	v_fmac_f64_e32 v[146:147], v[122:123], v[118:119]
	scratch_load_b128 v[116:119], off, off offset:224
	s_wait_dscnt 0x0
	v_fmac_f64_e32 v[146:147], v[124:125], v[134:135]
	s_wait_loadcnt 0x5
	v_fmac_f64_e32 v[146:147], v[126:127], v[136:137]
	ds_load_2addr_b64 v[120:123], v2 offset0:73 offset1:74
	ds_load_2addr_b64 v[124:127], v2 offset0:75 offset1:76
	scratch_load_b128 v[134:137], off, off offset:240
	s_wait_dscnt 0x1
	v_fmac_f64_e32 v[146:147], v[128:129], v[120:121]
	s_wait_loadcnt 0x5
	s_delay_alu instid0(VALU_DEP_1) | instskip(SKIP_4) | instid1(VALU_DEP_1)
	v_fmac_f64_e32 v[146:147], v[130:131], v[122:123]
	scratch_load_b128 v[120:123], off, off offset:256
	s_wait_dscnt 0x0
	v_fmac_f64_e32 v[146:147], v[132:133], v[124:125]
	s_wait_loadcnt 0x5
	v_fmac_f64_e32 v[146:147], v[142:143], v[126:127]
	ds_load_2addr_b64 v[124:127], v2 offset0:77 offset1:78
	ds_load_2addr_b64 v[128:131], v2 offset0:79 offset1:80
	s_wait_dscnt 0x1
	v_fmac_f64_e32 v[146:147], v[144:145], v[124:125]
	scratch_load_b128 v[142:145], off, off offset:272
	s_wait_loadcnt 0x5
	v_fmac_f64_e32 v[146:147], v[112:113], v[126:127]
	s_wait_dscnt 0x0
	s_delay_alu instid0(VALU_DEP_1)
	v_fmac_f64_e32 v[146:147], v[114:115], v[128:129]
	scratch_load_b128 v[112:115], off, off offset:288
	s_wait_loadcnt 0x5
	v_fmac_f64_e32 v[146:147], v[138:139], v[130:131]
	ds_load_2addr_b64 v[124:127], v2 offset0:81 offset1:82
	ds_load_2addr_b64 v[128:131], v2 offset0:83 offset1:84
	s_wait_dscnt 0x1
	v_fmac_f64_e32 v[146:147], v[140:141], v[124:125]
	scratch_load_b128 v[138:141], off, off offset:304
	s_wait_loadcnt 0x5
	v_fmac_f64_e32 v[146:147], v[116:117], v[126:127]
	s_wait_dscnt 0x0
	s_delay_alu instid0(VALU_DEP_1)
	v_fmac_f64_e32 v[146:147], v[118:119], v[128:129]
	scratch_load_b128 v[116:119], off, off offset:320
	s_wait_loadcnt 0x5
	v_fmac_f64_e32 v[146:147], v[134:135], v[130:131]
	ds_load_2addr_b64 v[124:127], v2 offset0:85 offset1:86
	ds_load_2addr_b64 v[128:131], v2 offset0:87 offset1:88
	scratch_load_b128 v[132:135], off, off offset:336
	s_wait_dscnt 0x1
	v_fmac_f64_e32 v[146:147], v[136:137], v[124:125]
	s_wait_loadcnt 0x5
	s_delay_alu instid0(VALU_DEP_1) | instskip(SKIP_1) | instid1(VALU_DEP_1)
	v_fmac_f64_e32 v[146:147], v[120:121], v[126:127]
	s_wait_dscnt 0x0
	v_fmac_f64_e32 v[146:147], v[122:123], v[128:129]
	scratch_load_b128 v[120:123], off, off offset:352
	s_wait_loadcnt 0x5
	v_fmac_f64_e32 v[146:147], v[142:143], v[130:131]
	ds_load_2addr_b64 v[124:127], v2 offset0:89 offset1:90
	ds_load_2addr_b64 v[128:131], v2 offset0:91 offset1:92
	s_wait_dscnt 0x1
	v_fmac_f64_e32 v[146:147], v[144:145], v[124:125]
	s_wait_loadcnt 0x4
	s_delay_alu instid0(VALU_DEP_1)
	v_fmac_f64_e32 v[146:147], v[112:113], v[126:127]
	scratch_load_b128 v[124:127], off, off offset:368
	s_wait_dscnt 0x0
	v_fmac_f64_e32 v[146:147], v[114:115], v[128:129]
	scratch_load_b128 v[112:115], off, off offset:384
	s_wait_loadcnt 0x5
	v_fmac_f64_e32 v[146:147], v[138:139], v[130:131]
	ds_load_2addr_b64 v[128:131], v2 offset0:93 offset1:94
	ds_load_2addr_b64 v[136:139], v2 offset0:95 offset1:96
	s_wait_dscnt 0x1
	v_fmac_f64_e32 v[146:147], v[140:141], v[128:129]
	s_wait_loadcnt 0x4
	s_delay_alu instid0(VALU_DEP_1) | instskip(SKIP_4) | instid1(VALU_DEP_1)
	v_fmac_f64_e32 v[146:147], v[116:117], v[130:131]
	scratch_load_b128 v[128:131], off, off offset:400
	s_wait_dscnt 0x0
	v_fmac_f64_e32 v[146:147], v[118:119], v[136:137]
	s_wait_loadcnt 0x4
	v_fmac_f64_e32 v[146:147], v[132:133], v[138:139]
	scratch_load_b64 v[132:133], off, off offset:416
	ds_load_2addr_b64 v[116:119], v2 offset0:97 offset1:98
	ds_load_2addr_b64 v[136:139], v2 offset0:99 offset1:100
	s_wait_dscnt 0x1
	v_fmac_f64_e32 v[146:147], v[134:135], v[116:117]
	s_wait_loadcnt 0x4
	s_delay_alu instid0(VALU_DEP_1) | instskip(SKIP_1) | instid1(VALU_DEP_1)
	v_fmac_f64_e32 v[146:147], v[120:121], v[118:119]
	s_wait_dscnt 0x0
	v_fmac_f64_e32 v[146:147], v[122:123], v[136:137]
	ds_load_2addr_b64 v[116:119], v2 offset0:101 offset1:102
	ds_load_2addr_b64 v[120:123], v2 offset0:103 offset1:104
	s_wait_loadcnt 0x3
	v_fmac_f64_e32 v[146:147], v[124:125], v[138:139]
	s_wait_dscnt 0x1
	s_delay_alu instid0(VALU_DEP_1) | instskip(SKIP_1) | instid1(VALU_DEP_1)
	v_fmac_f64_e32 v[146:147], v[126:127], v[116:117]
	s_wait_loadcnt 0x2
	v_fmac_f64_e32 v[146:147], v[112:113], v[118:119]
	s_wait_dscnt 0x0
	s_delay_alu instid0(VALU_DEP_1) | instskip(SKIP_4) | instid1(VALU_DEP_1)
	v_fmac_f64_e32 v[146:147], v[114:115], v[120:121]
	ds_load_2addr_b64 v[112:115], v2 offset0:105 offset1:106
	s_wait_loadcnt 0x1
	v_fmac_f64_e32 v[146:147], v[128:129], v[122:123]
	s_wait_dscnt 0x0
	v_fmac_f64_e32 v[146:147], v[130:131], v[112:113]
	s_wait_loadcnt 0x0
	s_delay_alu instid0(VALU_DEP_1) | instskip(NEXT) | instid1(VALU_DEP_1)
	v_fmac_f64_e32 v[146:147], v[132:133], v[114:115]
	v_add_f64_e64 v[2:3], v[110:111], -v[146:147]
	scratch_store_b64 off, v[2:3], off offset:80
	s_wait_xcnt 0x0
	v_cmpx_lt_u32_e32 9, v0
	s_cbranch_execz .LBB116_309
; %bb.308:
	scratch_load_b64 v[2:3], off, off offset:72
	v_mov_b64_e32 v[110:111], 0
	scratch_store_b64 off, v[110:111], off offset:72
	s_wait_loadcnt 0x0
	ds_store_b64 v1, v[2:3]
.LBB116_309:
	s_wait_xcnt 0x0
	s_or_b32 exec_lo, exec_lo, s0
	s_wait_storecnt_dscnt 0x0
	s_barrier_signal -1
	s_barrier_wait -1
	s_clause 0x5
	scratch_load_b128 v[110:113], off, off offset:72
	scratch_load_b128 v[114:117], off, off offset:88
	;; [unrolled: 1-line block ×6, first 2 shown]
	v_mov_b32_e32 v2, 0
	ds_load_b128 v[134:137], v2 offset:512
	ds_load_b128 v[138:141], v2 offset:528
	scratch_load_b128 v[142:145], off, off offset:168
	s_mov_b32 s0, exec_lo
	s_wait_loadcnt_dscnt 0x601
	v_fma_f64 v[146:147], v[112:113], v[134:135], 0
	s_wait_loadcnt 0x5
	s_delay_alu instid0(VALU_DEP_1) | instskip(SKIP_4) | instid1(VALU_DEP_1)
	v_fmac_f64_e32 v[146:147], v[114:115], v[136:137]
	scratch_load_b128 v[112:115], off, off offset:184
	s_wait_dscnt 0x0
	v_fmac_f64_e32 v[146:147], v[116:117], v[138:139]
	s_wait_loadcnt 0x5
	v_fmac_f64_e32 v[146:147], v[118:119], v[140:141]
	ds_load_b128 v[116:119], v2 offset:544
	ds_load_b128 v[134:137], v2 offset:560
	scratch_load_b128 v[138:141], off, off offset:200
	s_wait_dscnt 0x1
	v_fmac_f64_e32 v[146:147], v[120:121], v[116:117]
	s_wait_loadcnt 0x5
	s_delay_alu instid0(VALU_DEP_1) | instskip(SKIP_4) | instid1(VALU_DEP_1)
	v_fmac_f64_e32 v[146:147], v[122:123], v[118:119]
	scratch_load_b128 v[116:119], off, off offset:216
	s_wait_dscnt 0x0
	v_fmac_f64_e32 v[146:147], v[124:125], v[134:135]
	s_wait_loadcnt 0x5
	v_fmac_f64_e32 v[146:147], v[126:127], v[136:137]
	ds_load_b128 v[120:123], v2 offset:576
	ds_load_b128 v[124:127], v2 offset:592
	scratch_load_b128 v[134:137], off, off offset:232
	s_wait_dscnt 0x1
	v_fmac_f64_e32 v[146:147], v[128:129], v[120:121]
	s_wait_loadcnt 0x5
	s_delay_alu instid0(VALU_DEP_1) | instskip(SKIP_4) | instid1(VALU_DEP_1)
	v_fmac_f64_e32 v[146:147], v[130:131], v[122:123]
	scratch_load_b128 v[120:123], off, off offset:248
	s_wait_dscnt 0x0
	v_fmac_f64_e32 v[146:147], v[132:133], v[124:125]
	s_wait_loadcnt 0x5
	v_fmac_f64_e32 v[146:147], v[142:143], v[126:127]
	ds_load_b128 v[124:127], v2 offset:608
	ds_load_b128 v[128:131], v2 offset:624
	s_wait_dscnt 0x1
	v_fmac_f64_e32 v[146:147], v[144:145], v[124:125]
	scratch_load_b128 v[142:145], off, off offset:264
	s_wait_loadcnt 0x5
	v_fmac_f64_e32 v[146:147], v[112:113], v[126:127]
	s_wait_dscnt 0x0
	s_delay_alu instid0(VALU_DEP_1)
	v_fmac_f64_e32 v[146:147], v[114:115], v[128:129]
	scratch_load_b128 v[112:115], off, off offset:280
	s_wait_loadcnt 0x5
	v_fmac_f64_e32 v[146:147], v[138:139], v[130:131]
	ds_load_b128 v[124:127], v2 offset:640
	ds_load_b128 v[128:131], v2 offset:656
	s_wait_dscnt 0x1
	v_fmac_f64_e32 v[146:147], v[140:141], v[124:125]
	scratch_load_b128 v[138:141], off, off offset:296
	s_wait_loadcnt 0x5
	v_fmac_f64_e32 v[146:147], v[116:117], v[126:127]
	s_wait_dscnt 0x0
	s_delay_alu instid0(VALU_DEP_1)
	v_fmac_f64_e32 v[146:147], v[118:119], v[128:129]
	scratch_load_b128 v[116:119], off, off offset:312
	s_wait_loadcnt 0x5
	v_fmac_f64_e32 v[146:147], v[134:135], v[130:131]
	ds_load_b128 v[124:127], v2 offset:672
	ds_load_b128 v[128:131], v2 offset:688
	scratch_load_b128 v[132:135], off, off offset:328
	s_wait_dscnt 0x1
	v_fmac_f64_e32 v[146:147], v[136:137], v[124:125]
	s_wait_loadcnt 0x5
	s_delay_alu instid0(VALU_DEP_1) | instskip(SKIP_1) | instid1(VALU_DEP_1)
	v_fmac_f64_e32 v[146:147], v[120:121], v[126:127]
	s_wait_dscnt 0x0
	v_fmac_f64_e32 v[146:147], v[122:123], v[128:129]
	scratch_load_b128 v[120:123], off, off offset:344
	s_wait_loadcnt 0x5
	v_fmac_f64_e32 v[146:147], v[142:143], v[130:131]
	ds_load_b128 v[124:127], v2 offset:704
	ds_load_b128 v[128:131], v2 offset:720
	s_wait_dscnt 0x1
	v_fmac_f64_e32 v[146:147], v[144:145], v[124:125]
	s_wait_loadcnt 0x4
	s_delay_alu instid0(VALU_DEP_1)
	v_fmac_f64_e32 v[146:147], v[112:113], v[126:127]
	scratch_load_b128 v[124:127], off, off offset:360
	s_wait_dscnt 0x0
	v_fmac_f64_e32 v[146:147], v[114:115], v[128:129]
	scratch_load_b128 v[112:115], off, off offset:376
	s_wait_loadcnt 0x5
	v_fmac_f64_e32 v[146:147], v[138:139], v[130:131]
	ds_load_b128 v[128:131], v2 offset:736
	ds_load_b128 v[136:139], v2 offset:752
	s_wait_dscnt 0x1
	v_fmac_f64_e32 v[146:147], v[140:141], v[128:129]
	s_wait_loadcnt 0x4
	s_delay_alu instid0(VALU_DEP_1)
	v_fmac_f64_e32 v[146:147], v[116:117], v[130:131]
	scratch_load_b128 v[128:131], off, off offset:392
	s_wait_dscnt 0x0
	v_fmac_f64_e32 v[146:147], v[118:119], v[136:137]
	scratch_load_b128 v[116:119], off, off offset:408
	s_wait_loadcnt 0x5
	v_fmac_f64_e32 v[146:147], v[132:133], v[138:139]
	ds_load_b128 v[136:139], v2 offset:768
	ds_load_b128 v[140:143], v2 offset:784
	s_wait_dscnt 0x1
	v_fmac_f64_e32 v[146:147], v[134:135], v[136:137]
	s_wait_loadcnt 0x4
	s_delay_alu instid0(VALU_DEP_1) | instskip(SKIP_1) | instid1(VALU_DEP_1)
	v_fmac_f64_e32 v[146:147], v[120:121], v[138:139]
	s_wait_dscnt 0x0
	v_fmac_f64_e32 v[146:147], v[122:123], v[140:141]
	ds_load_b128 v[120:123], v2 offset:800
	ds_load_b128 v[132:135], v2 offset:816
	s_wait_loadcnt 0x3
	v_fmac_f64_e32 v[146:147], v[124:125], v[142:143]
	s_wait_dscnt 0x1
	s_delay_alu instid0(VALU_DEP_1) | instskip(SKIP_1) | instid1(VALU_DEP_1)
	v_fmac_f64_e32 v[146:147], v[126:127], v[120:121]
	s_wait_loadcnt 0x2
	v_fmac_f64_e32 v[146:147], v[112:113], v[122:123]
	s_wait_dscnt 0x0
	s_delay_alu instid0(VALU_DEP_1)
	v_fmac_f64_e32 v[146:147], v[114:115], v[132:133]
	ds_load_b128 v[112:115], v2 offset:832
	ds_load_b64 v[120:121], v2 offset:848
	s_wait_loadcnt 0x1
	v_fmac_f64_e32 v[146:147], v[128:129], v[134:135]
	s_wait_dscnt 0x1
	s_delay_alu instid0(VALU_DEP_1) | instskip(SKIP_1) | instid1(VALU_DEP_1)
	v_fmac_f64_e32 v[146:147], v[130:131], v[112:113]
	s_wait_loadcnt 0x0
	v_fmac_f64_e32 v[146:147], v[116:117], v[114:115]
	s_wait_dscnt 0x0
	s_delay_alu instid0(VALU_DEP_1) | instskip(NEXT) | instid1(VALU_DEP_1)
	v_fmac_f64_e32 v[146:147], v[118:119], v[120:121]
	v_add_f64_e64 v[110:111], v[110:111], -v[146:147]
	scratch_store_b64 off, v[110:111], off offset:72
	s_wait_xcnt 0x0
	v_cmpx_lt_u32_e32 8, v0
	s_cbranch_execz .LBB116_311
; %bb.310:
	scratch_load_b64 v[110:111], off, off offset:64
	v_mov_b64_e32 v[112:113], 0
	scratch_store_b64 off, v[112:113], off offset:64
	s_wait_loadcnt 0x0
	ds_store_b64 v1, v[110:111]
.LBB116_311:
	s_wait_xcnt 0x0
	s_or_b32 exec_lo, exec_lo, s0
	s_wait_storecnt_dscnt 0x0
	s_barrier_signal -1
	s_barrier_wait -1
	s_clause 0x5
	scratch_load_b128 v[110:113], off, off offset:64
	scratch_load_b128 v[114:117], off, off offset:80
	;; [unrolled: 1-line block ×6, first 2 shown]
	ds_load_2addr_b64 v[134:137], v2 offset0:63 offset1:64
	ds_load_2addr_b64 v[138:141], v2 offset0:65 offset1:66
	scratch_load_b128 v[142:145], off, off offset:160
	s_mov_b32 s0, exec_lo
	s_wait_loadcnt_dscnt 0x601
	v_fma_f64 v[146:147], v[112:113], v[134:135], 0
	s_wait_loadcnt 0x5
	s_delay_alu instid0(VALU_DEP_1) | instskip(SKIP_4) | instid1(VALU_DEP_1)
	v_fmac_f64_e32 v[146:147], v[114:115], v[136:137]
	scratch_load_b128 v[112:115], off, off offset:176
	s_wait_dscnt 0x0
	v_fmac_f64_e32 v[146:147], v[116:117], v[138:139]
	s_wait_loadcnt 0x5
	v_fmac_f64_e32 v[146:147], v[118:119], v[140:141]
	ds_load_2addr_b64 v[116:119], v2 offset0:67 offset1:68
	ds_load_2addr_b64 v[134:137], v2 offset0:69 offset1:70
	scratch_load_b128 v[138:141], off, off offset:192
	s_wait_dscnt 0x1
	v_fmac_f64_e32 v[146:147], v[120:121], v[116:117]
	s_wait_loadcnt 0x5
	s_delay_alu instid0(VALU_DEP_1) | instskip(SKIP_4) | instid1(VALU_DEP_1)
	v_fmac_f64_e32 v[146:147], v[122:123], v[118:119]
	scratch_load_b128 v[116:119], off, off offset:208
	s_wait_dscnt 0x0
	v_fmac_f64_e32 v[146:147], v[124:125], v[134:135]
	s_wait_loadcnt 0x5
	v_fmac_f64_e32 v[146:147], v[126:127], v[136:137]
	ds_load_2addr_b64 v[120:123], v2 offset0:71 offset1:72
	ds_load_2addr_b64 v[124:127], v2 offset0:73 offset1:74
	scratch_load_b128 v[134:137], off, off offset:224
	s_wait_dscnt 0x1
	v_fmac_f64_e32 v[146:147], v[128:129], v[120:121]
	s_wait_loadcnt 0x5
	s_delay_alu instid0(VALU_DEP_1) | instskip(SKIP_4) | instid1(VALU_DEP_1)
	v_fmac_f64_e32 v[146:147], v[130:131], v[122:123]
	scratch_load_b128 v[120:123], off, off offset:240
	s_wait_dscnt 0x0
	v_fmac_f64_e32 v[146:147], v[132:133], v[124:125]
	s_wait_loadcnt 0x5
	v_fmac_f64_e32 v[146:147], v[142:143], v[126:127]
	ds_load_2addr_b64 v[124:127], v2 offset0:75 offset1:76
	ds_load_2addr_b64 v[128:131], v2 offset0:77 offset1:78
	s_wait_dscnt 0x1
	v_fmac_f64_e32 v[146:147], v[144:145], v[124:125]
	scratch_load_b128 v[142:145], off, off offset:256
	s_wait_loadcnt 0x5
	v_fmac_f64_e32 v[146:147], v[112:113], v[126:127]
	s_wait_dscnt 0x0
	s_delay_alu instid0(VALU_DEP_1)
	v_fmac_f64_e32 v[146:147], v[114:115], v[128:129]
	scratch_load_b128 v[112:115], off, off offset:272
	s_wait_loadcnt 0x5
	v_fmac_f64_e32 v[146:147], v[138:139], v[130:131]
	ds_load_2addr_b64 v[124:127], v2 offset0:79 offset1:80
	ds_load_2addr_b64 v[128:131], v2 offset0:81 offset1:82
	s_wait_dscnt 0x1
	v_fmac_f64_e32 v[146:147], v[140:141], v[124:125]
	scratch_load_b128 v[138:141], off, off offset:288
	s_wait_loadcnt 0x5
	v_fmac_f64_e32 v[146:147], v[116:117], v[126:127]
	s_wait_dscnt 0x0
	s_delay_alu instid0(VALU_DEP_1)
	v_fmac_f64_e32 v[146:147], v[118:119], v[128:129]
	scratch_load_b128 v[116:119], off, off offset:304
	s_wait_loadcnt 0x5
	v_fmac_f64_e32 v[146:147], v[134:135], v[130:131]
	ds_load_2addr_b64 v[124:127], v2 offset0:83 offset1:84
	ds_load_2addr_b64 v[128:131], v2 offset0:85 offset1:86
	scratch_load_b128 v[132:135], off, off offset:320
	s_wait_dscnt 0x1
	v_fmac_f64_e32 v[146:147], v[136:137], v[124:125]
	s_wait_loadcnt 0x5
	s_delay_alu instid0(VALU_DEP_1) | instskip(SKIP_1) | instid1(VALU_DEP_1)
	v_fmac_f64_e32 v[146:147], v[120:121], v[126:127]
	s_wait_dscnt 0x0
	v_fmac_f64_e32 v[146:147], v[122:123], v[128:129]
	scratch_load_b128 v[120:123], off, off offset:336
	s_wait_loadcnt 0x5
	v_fmac_f64_e32 v[146:147], v[142:143], v[130:131]
	ds_load_2addr_b64 v[124:127], v2 offset0:87 offset1:88
	ds_load_2addr_b64 v[128:131], v2 offset0:89 offset1:90
	s_wait_dscnt 0x1
	v_fmac_f64_e32 v[146:147], v[144:145], v[124:125]
	s_wait_loadcnt 0x4
	s_delay_alu instid0(VALU_DEP_1)
	v_fmac_f64_e32 v[146:147], v[112:113], v[126:127]
	scratch_load_b128 v[124:127], off, off offset:352
	s_wait_dscnt 0x0
	v_fmac_f64_e32 v[146:147], v[114:115], v[128:129]
	scratch_load_b128 v[112:115], off, off offset:368
	s_wait_loadcnt 0x5
	v_fmac_f64_e32 v[146:147], v[138:139], v[130:131]
	ds_load_2addr_b64 v[128:131], v2 offset0:91 offset1:92
	ds_load_2addr_b64 v[136:139], v2 offset0:93 offset1:94
	s_wait_dscnt 0x1
	v_fmac_f64_e32 v[146:147], v[140:141], v[128:129]
	s_wait_loadcnt 0x4
	s_delay_alu instid0(VALU_DEP_1)
	v_fmac_f64_e32 v[146:147], v[116:117], v[130:131]
	scratch_load_b128 v[128:131], off, off offset:384
	s_wait_dscnt 0x0
	v_fmac_f64_e32 v[146:147], v[118:119], v[136:137]
	scratch_load_b128 v[116:119], off, off offset:400
	s_wait_loadcnt 0x5
	v_fmac_f64_e32 v[146:147], v[132:133], v[138:139]
	ds_load_2addr_b64 v[136:139], v2 offset0:95 offset1:96
	ds_load_2addr_b64 v[140:143], v2 offset0:97 offset1:98
	s_wait_dscnt 0x1
	v_fmac_f64_e32 v[146:147], v[134:135], v[136:137]
	scratch_load_b64 v[136:137], off, off offset:416
	s_wait_loadcnt 0x5
	v_fmac_f64_e32 v[146:147], v[120:121], v[138:139]
	s_wait_dscnt 0x0
	s_delay_alu instid0(VALU_DEP_1)
	v_fmac_f64_e32 v[146:147], v[122:123], v[140:141]
	ds_load_2addr_b64 v[120:123], v2 offset0:99 offset1:100
	ds_load_2addr_b64 v[132:135], v2 offset0:101 offset1:102
	s_wait_loadcnt 0x4
	v_fmac_f64_e32 v[146:147], v[124:125], v[142:143]
	s_wait_dscnt 0x1
	s_delay_alu instid0(VALU_DEP_1) | instskip(SKIP_1) | instid1(VALU_DEP_1)
	v_fmac_f64_e32 v[146:147], v[126:127], v[120:121]
	s_wait_loadcnt 0x3
	v_fmac_f64_e32 v[146:147], v[112:113], v[122:123]
	s_wait_dscnt 0x0
	s_delay_alu instid0(VALU_DEP_1)
	v_fmac_f64_e32 v[146:147], v[114:115], v[132:133]
	ds_load_2addr_b64 v[112:115], v2 offset0:103 offset1:104
	ds_load_2addr_b64 v[120:123], v2 offset0:105 offset1:106
	s_wait_loadcnt 0x2
	v_fmac_f64_e32 v[146:147], v[128:129], v[134:135]
	s_wait_dscnt 0x1
	s_delay_alu instid0(VALU_DEP_1) | instskip(SKIP_1) | instid1(VALU_DEP_1)
	v_fmac_f64_e32 v[146:147], v[130:131], v[112:113]
	s_wait_loadcnt 0x1
	v_fmac_f64_e32 v[146:147], v[116:117], v[114:115]
	s_wait_dscnt 0x0
	s_delay_alu instid0(VALU_DEP_1) | instskip(SKIP_1) | instid1(VALU_DEP_1)
	v_fmac_f64_e32 v[146:147], v[118:119], v[120:121]
	s_wait_loadcnt 0x0
	v_fmac_f64_e32 v[146:147], v[136:137], v[122:123]
	s_delay_alu instid0(VALU_DEP_1)
	v_add_f64_e64 v[2:3], v[110:111], -v[146:147]
	scratch_store_b64 off, v[2:3], off offset:64
	s_wait_xcnt 0x0
	v_cmpx_lt_u32_e32 7, v0
	s_cbranch_execz .LBB116_313
; %bb.312:
	scratch_load_b64 v[2:3], off, off offset:56
	v_mov_b64_e32 v[110:111], 0
	scratch_store_b64 off, v[110:111], off offset:56
	s_wait_loadcnt 0x0
	ds_store_b64 v1, v[2:3]
.LBB116_313:
	s_wait_xcnt 0x0
	s_or_b32 exec_lo, exec_lo, s0
	s_wait_storecnt_dscnt 0x0
	s_barrier_signal -1
	s_barrier_wait -1
	s_clause 0x5
	scratch_load_b128 v[110:113], off, off offset:56
	scratch_load_b128 v[114:117], off, off offset:72
	scratch_load_b128 v[118:121], off, off offset:88
	scratch_load_b128 v[122:125], off, off offset:104
	scratch_load_b128 v[126:129], off, off offset:120
	scratch_load_b128 v[130:133], off, off offset:136
	v_mov_b32_e32 v2, 0
	ds_load_b128 v[134:137], v2 offset:496
	ds_load_b128 v[138:141], v2 offset:512
	scratch_load_b128 v[142:145], off, off offset:152
	s_mov_b32 s0, exec_lo
	s_wait_loadcnt_dscnt 0x601
	v_fma_f64 v[146:147], v[112:113], v[134:135], 0
	s_wait_loadcnt 0x5
	s_delay_alu instid0(VALU_DEP_1) | instskip(SKIP_4) | instid1(VALU_DEP_1)
	v_fmac_f64_e32 v[146:147], v[114:115], v[136:137]
	scratch_load_b128 v[112:115], off, off offset:168
	s_wait_dscnt 0x0
	v_fmac_f64_e32 v[146:147], v[116:117], v[138:139]
	s_wait_loadcnt 0x5
	v_fmac_f64_e32 v[146:147], v[118:119], v[140:141]
	ds_load_b128 v[116:119], v2 offset:528
	ds_load_b128 v[134:137], v2 offset:544
	scratch_load_b128 v[138:141], off, off offset:184
	s_wait_dscnt 0x1
	v_fmac_f64_e32 v[146:147], v[120:121], v[116:117]
	s_wait_loadcnt 0x5
	s_delay_alu instid0(VALU_DEP_1) | instskip(SKIP_4) | instid1(VALU_DEP_1)
	v_fmac_f64_e32 v[146:147], v[122:123], v[118:119]
	scratch_load_b128 v[116:119], off, off offset:200
	s_wait_dscnt 0x0
	v_fmac_f64_e32 v[146:147], v[124:125], v[134:135]
	s_wait_loadcnt 0x5
	v_fmac_f64_e32 v[146:147], v[126:127], v[136:137]
	ds_load_b128 v[120:123], v2 offset:560
	ds_load_b128 v[124:127], v2 offset:576
	scratch_load_b128 v[134:137], off, off offset:216
	s_wait_dscnt 0x1
	v_fmac_f64_e32 v[146:147], v[128:129], v[120:121]
	s_wait_loadcnt 0x5
	s_delay_alu instid0(VALU_DEP_1) | instskip(SKIP_4) | instid1(VALU_DEP_1)
	v_fmac_f64_e32 v[146:147], v[130:131], v[122:123]
	scratch_load_b128 v[120:123], off, off offset:232
	s_wait_dscnt 0x0
	v_fmac_f64_e32 v[146:147], v[132:133], v[124:125]
	s_wait_loadcnt 0x5
	v_fmac_f64_e32 v[146:147], v[142:143], v[126:127]
	ds_load_b128 v[124:127], v2 offset:592
	ds_load_b128 v[128:131], v2 offset:608
	s_wait_dscnt 0x1
	v_fmac_f64_e32 v[146:147], v[144:145], v[124:125]
	scratch_load_b128 v[142:145], off, off offset:248
	s_wait_loadcnt 0x5
	v_fmac_f64_e32 v[146:147], v[112:113], v[126:127]
	s_wait_dscnt 0x0
	s_delay_alu instid0(VALU_DEP_1)
	v_fmac_f64_e32 v[146:147], v[114:115], v[128:129]
	scratch_load_b128 v[112:115], off, off offset:264
	s_wait_loadcnt 0x5
	v_fmac_f64_e32 v[146:147], v[138:139], v[130:131]
	ds_load_b128 v[124:127], v2 offset:624
	ds_load_b128 v[128:131], v2 offset:640
	s_wait_dscnt 0x1
	v_fmac_f64_e32 v[146:147], v[140:141], v[124:125]
	scratch_load_b128 v[138:141], off, off offset:280
	s_wait_loadcnt 0x5
	v_fmac_f64_e32 v[146:147], v[116:117], v[126:127]
	s_wait_dscnt 0x0
	s_delay_alu instid0(VALU_DEP_1)
	v_fmac_f64_e32 v[146:147], v[118:119], v[128:129]
	scratch_load_b128 v[116:119], off, off offset:296
	s_wait_loadcnt 0x5
	v_fmac_f64_e32 v[146:147], v[134:135], v[130:131]
	ds_load_b128 v[124:127], v2 offset:656
	ds_load_b128 v[128:131], v2 offset:672
	scratch_load_b128 v[132:135], off, off offset:312
	s_wait_dscnt 0x1
	v_fmac_f64_e32 v[146:147], v[136:137], v[124:125]
	s_wait_loadcnt 0x5
	s_delay_alu instid0(VALU_DEP_1) | instskip(SKIP_1) | instid1(VALU_DEP_1)
	v_fmac_f64_e32 v[146:147], v[120:121], v[126:127]
	s_wait_dscnt 0x0
	v_fmac_f64_e32 v[146:147], v[122:123], v[128:129]
	scratch_load_b128 v[120:123], off, off offset:328
	s_wait_loadcnt 0x5
	v_fmac_f64_e32 v[146:147], v[142:143], v[130:131]
	ds_load_b128 v[124:127], v2 offset:688
	ds_load_b128 v[128:131], v2 offset:704
	s_wait_dscnt 0x1
	v_fmac_f64_e32 v[146:147], v[144:145], v[124:125]
	s_wait_loadcnt 0x4
	s_delay_alu instid0(VALU_DEP_1)
	v_fmac_f64_e32 v[146:147], v[112:113], v[126:127]
	scratch_load_b128 v[124:127], off, off offset:344
	s_wait_dscnt 0x0
	v_fmac_f64_e32 v[146:147], v[114:115], v[128:129]
	scratch_load_b128 v[112:115], off, off offset:360
	s_wait_loadcnt 0x5
	v_fmac_f64_e32 v[146:147], v[138:139], v[130:131]
	ds_load_b128 v[128:131], v2 offset:720
	ds_load_b128 v[136:139], v2 offset:736
	s_wait_dscnt 0x1
	v_fmac_f64_e32 v[146:147], v[140:141], v[128:129]
	s_wait_loadcnt 0x4
	s_delay_alu instid0(VALU_DEP_1)
	v_fmac_f64_e32 v[146:147], v[116:117], v[130:131]
	scratch_load_b128 v[128:131], off, off offset:376
	s_wait_dscnt 0x0
	v_fmac_f64_e32 v[146:147], v[118:119], v[136:137]
	scratch_load_b128 v[116:119], off, off offset:392
	s_wait_loadcnt 0x5
	v_fmac_f64_e32 v[146:147], v[132:133], v[138:139]
	ds_load_b128 v[136:139], v2 offset:752
	ds_load_b128 v[140:143], v2 offset:768
	s_wait_dscnt 0x1
	v_fmac_f64_e32 v[146:147], v[134:135], v[136:137]
	scratch_load_b128 v[132:135], off, off offset:408
	s_wait_loadcnt 0x5
	v_fmac_f64_e32 v[146:147], v[120:121], v[138:139]
	s_wait_dscnt 0x0
	s_delay_alu instid0(VALU_DEP_1)
	v_fmac_f64_e32 v[146:147], v[122:123], v[140:141]
	ds_load_b128 v[120:123], v2 offset:784
	ds_load_b128 v[136:139], v2 offset:800
	s_wait_loadcnt 0x4
	v_fmac_f64_e32 v[146:147], v[124:125], v[142:143]
	s_wait_dscnt 0x1
	s_delay_alu instid0(VALU_DEP_1) | instskip(SKIP_1) | instid1(VALU_DEP_1)
	v_fmac_f64_e32 v[146:147], v[126:127], v[120:121]
	s_wait_loadcnt 0x3
	v_fmac_f64_e32 v[146:147], v[112:113], v[122:123]
	s_wait_dscnt 0x0
	s_delay_alu instid0(VALU_DEP_1)
	v_fmac_f64_e32 v[146:147], v[114:115], v[136:137]
	ds_load_b128 v[112:115], v2 offset:816
	ds_load_b128 v[120:123], v2 offset:832
	s_wait_loadcnt 0x2
	v_fmac_f64_e32 v[146:147], v[128:129], v[138:139]
	s_wait_dscnt 0x1
	s_delay_alu instid0(VALU_DEP_1) | instskip(SKIP_4) | instid1(VALU_DEP_1)
	v_fmac_f64_e32 v[146:147], v[130:131], v[112:113]
	ds_load_b64 v[112:113], v2 offset:848
	s_wait_loadcnt 0x1
	v_fmac_f64_e32 v[146:147], v[116:117], v[114:115]
	s_wait_dscnt 0x1
	v_fmac_f64_e32 v[146:147], v[118:119], v[120:121]
	s_wait_loadcnt 0x0
	s_delay_alu instid0(VALU_DEP_1) | instskip(SKIP_1) | instid1(VALU_DEP_1)
	v_fmac_f64_e32 v[146:147], v[132:133], v[122:123]
	s_wait_dscnt 0x0
	v_fmac_f64_e32 v[146:147], v[134:135], v[112:113]
	s_delay_alu instid0(VALU_DEP_1)
	v_add_f64_e64 v[110:111], v[110:111], -v[146:147]
	scratch_store_b64 off, v[110:111], off offset:56
	s_wait_xcnt 0x0
	v_cmpx_lt_u32_e32 6, v0
	s_cbranch_execz .LBB116_315
; %bb.314:
	scratch_load_b64 v[110:111], off, off offset:48
	v_mov_b64_e32 v[112:113], 0
	scratch_store_b64 off, v[112:113], off offset:48
	s_wait_loadcnt 0x0
	ds_store_b64 v1, v[110:111]
.LBB116_315:
	s_wait_xcnt 0x0
	s_or_b32 exec_lo, exec_lo, s0
	s_wait_storecnt_dscnt 0x0
	s_barrier_signal -1
	s_barrier_wait -1
	s_clause 0x5
	scratch_load_b128 v[110:113], off, off offset:48
	scratch_load_b128 v[114:117], off, off offset:64
	;; [unrolled: 1-line block ×6, first 2 shown]
	ds_load_2addr_b64 v[134:137], v2 offset0:61 offset1:62
	ds_load_2addr_b64 v[138:141], v2 offset0:63 offset1:64
	scratch_load_b128 v[142:145], off, off offset:144
	s_mov_b32 s0, exec_lo
	s_wait_loadcnt_dscnt 0x601
	v_fma_f64 v[146:147], v[112:113], v[134:135], 0
	s_wait_loadcnt 0x5
	s_delay_alu instid0(VALU_DEP_1) | instskip(SKIP_4) | instid1(VALU_DEP_1)
	v_fmac_f64_e32 v[146:147], v[114:115], v[136:137]
	scratch_load_b128 v[112:115], off, off offset:160
	s_wait_dscnt 0x0
	v_fmac_f64_e32 v[146:147], v[116:117], v[138:139]
	s_wait_loadcnt 0x5
	v_fmac_f64_e32 v[146:147], v[118:119], v[140:141]
	ds_load_2addr_b64 v[116:119], v2 offset0:65 offset1:66
	ds_load_2addr_b64 v[134:137], v2 offset0:67 offset1:68
	scratch_load_b128 v[138:141], off, off offset:176
	s_wait_dscnt 0x1
	v_fmac_f64_e32 v[146:147], v[120:121], v[116:117]
	s_wait_loadcnt 0x5
	s_delay_alu instid0(VALU_DEP_1) | instskip(SKIP_4) | instid1(VALU_DEP_1)
	v_fmac_f64_e32 v[146:147], v[122:123], v[118:119]
	scratch_load_b128 v[116:119], off, off offset:192
	s_wait_dscnt 0x0
	v_fmac_f64_e32 v[146:147], v[124:125], v[134:135]
	s_wait_loadcnt 0x5
	v_fmac_f64_e32 v[146:147], v[126:127], v[136:137]
	ds_load_2addr_b64 v[120:123], v2 offset0:69 offset1:70
	ds_load_2addr_b64 v[124:127], v2 offset0:71 offset1:72
	scratch_load_b128 v[134:137], off, off offset:208
	s_wait_dscnt 0x1
	v_fmac_f64_e32 v[146:147], v[128:129], v[120:121]
	s_wait_loadcnt 0x5
	s_delay_alu instid0(VALU_DEP_1) | instskip(SKIP_4) | instid1(VALU_DEP_1)
	v_fmac_f64_e32 v[146:147], v[130:131], v[122:123]
	scratch_load_b128 v[120:123], off, off offset:224
	s_wait_dscnt 0x0
	v_fmac_f64_e32 v[146:147], v[132:133], v[124:125]
	s_wait_loadcnt 0x5
	v_fmac_f64_e32 v[146:147], v[142:143], v[126:127]
	ds_load_2addr_b64 v[124:127], v2 offset0:73 offset1:74
	ds_load_2addr_b64 v[128:131], v2 offset0:75 offset1:76
	s_wait_dscnt 0x1
	v_fmac_f64_e32 v[146:147], v[144:145], v[124:125]
	scratch_load_b128 v[142:145], off, off offset:240
	s_wait_loadcnt 0x5
	v_fmac_f64_e32 v[146:147], v[112:113], v[126:127]
	s_wait_dscnt 0x0
	s_delay_alu instid0(VALU_DEP_1)
	v_fmac_f64_e32 v[146:147], v[114:115], v[128:129]
	scratch_load_b128 v[112:115], off, off offset:256
	s_wait_loadcnt 0x5
	v_fmac_f64_e32 v[146:147], v[138:139], v[130:131]
	ds_load_2addr_b64 v[124:127], v2 offset0:77 offset1:78
	ds_load_2addr_b64 v[128:131], v2 offset0:79 offset1:80
	s_wait_dscnt 0x1
	v_fmac_f64_e32 v[146:147], v[140:141], v[124:125]
	scratch_load_b128 v[138:141], off, off offset:272
	s_wait_loadcnt 0x5
	v_fmac_f64_e32 v[146:147], v[116:117], v[126:127]
	s_wait_dscnt 0x0
	s_delay_alu instid0(VALU_DEP_1)
	v_fmac_f64_e32 v[146:147], v[118:119], v[128:129]
	scratch_load_b128 v[116:119], off, off offset:288
	s_wait_loadcnt 0x5
	v_fmac_f64_e32 v[146:147], v[134:135], v[130:131]
	ds_load_2addr_b64 v[124:127], v2 offset0:81 offset1:82
	ds_load_2addr_b64 v[128:131], v2 offset0:83 offset1:84
	scratch_load_b128 v[132:135], off, off offset:304
	s_wait_dscnt 0x1
	v_fmac_f64_e32 v[146:147], v[136:137], v[124:125]
	s_wait_loadcnt 0x5
	s_delay_alu instid0(VALU_DEP_1) | instskip(SKIP_1) | instid1(VALU_DEP_1)
	v_fmac_f64_e32 v[146:147], v[120:121], v[126:127]
	s_wait_dscnt 0x0
	v_fmac_f64_e32 v[146:147], v[122:123], v[128:129]
	scratch_load_b128 v[120:123], off, off offset:320
	s_wait_loadcnt 0x5
	v_fmac_f64_e32 v[146:147], v[142:143], v[130:131]
	ds_load_2addr_b64 v[124:127], v2 offset0:85 offset1:86
	ds_load_2addr_b64 v[128:131], v2 offset0:87 offset1:88
	s_wait_dscnt 0x1
	v_fmac_f64_e32 v[146:147], v[144:145], v[124:125]
	scratch_load_b128 v[142:145], off, off offset:336
	s_wait_loadcnt 0x5
	v_fmac_f64_e32 v[146:147], v[112:113], v[126:127]
	s_wait_dscnt 0x0
	s_delay_alu instid0(VALU_DEP_1)
	v_fmac_f64_e32 v[146:147], v[114:115], v[128:129]
	scratch_load_b128 v[112:115], off, off offset:352
	s_wait_loadcnt 0x5
	v_fmac_f64_e32 v[146:147], v[138:139], v[130:131]
	ds_load_2addr_b64 v[124:127], v2 offset0:89 offset1:90
	ds_load_2addr_b64 v[128:131], v2 offset0:91 offset1:92
	s_wait_dscnt 0x1
	v_fmac_f64_e32 v[146:147], v[140:141], v[124:125]
	s_wait_loadcnt 0x4
	s_delay_alu instid0(VALU_DEP_1)
	v_fmac_f64_e32 v[146:147], v[116:117], v[126:127]
	scratch_load_b128 v[124:127], off, off offset:368
	s_wait_dscnt 0x0
	v_fmac_f64_e32 v[146:147], v[118:119], v[128:129]
	scratch_load_b128 v[116:119], off, off offset:384
	s_wait_loadcnt 0x5
	v_fmac_f64_e32 v[146:147], v[132:133], v[130:131]
	ds_load_2addr_b64 v[128:131], v2 offset0:93 offset1:94
	ds_load_2addr_b64 v[136:139], v2 offset0:95 offset1:96
	s_wait_dscnt 0x1
	v_fmac_f64_e32 v[146:147], v[134:135], v[128:129]
	s_wait_loadcnt 0x4
	s_delay_alu instid0(VALU_DEP_1)
	v_fmac_f64_e32 v[146:147], v[120:121], v[130:131]
	scratch_load_b128 v[128:131], off, off offset:400
	s_wait_dscnt 0x0
	v_fmac_f64_e32 v[146:147], v[122:123], v[136:137]
	scratch_load_b64 v[136:137], off, off offset:416
	ds_load_2addr_b64 v[120:123], v2 offset0:97 offset1:98
	ds_load_2addr_b64 v[132:135], v2 offset0:99 offset1:100
	s_wait_loadcnt 0x5
	v_fmac_f64_e32 v[146:147], v[142:143], v[138:139]
	s_wait_dscnt 0x1
	s_delay_alu instid0(VALU_DEP_1) | instskip(SKIP_1) | instid1(VALU_DEP_1)
	v_fmac_f64_e32 v[146:147], v[144:145], v[120:121]
	s_wait_loadcnt 0x4
	v_fmac_f64_e32 v[146:147], v[112:113], v[122:123]
	s_wait_dscnt 0x0
	s_delay_alu instid0(VALU_DEP_1)
	v_fmac_f64_e32 v[146:147], v[114:115], v[132:133]
	ds_load_2addr_b64 v[112:115], v2 offset0:101 offset1:102
	ds_load_2addr_b64 v[120:123], v2 offset0:103 offset1:104
	s_wait_loadcnt 0x3
	v_fmac_f64_e32 v[146:147], v[124:125], v[134:135]
	s_wait_dscnt 0x1
	s_delay_alu instid0(VALU_DEP_1) | instskip(SKIP_1) | instid1(VALU_DEP_1)
	v_fmac_f64_e32 v[146:147], v[126:127], v[112:113]
	s_wait_loadcnt 0x2
	v_fmac_f64_e32 v[146:147], v[116:117], v[114:115]
	ds_load_2addr_b64 v[112:115], v2 offset0:105 offset1:106
	s_wait_dscnt 0x1
	v_fmac_f64_e32 v[146:147], v[118:119], v[120:121]
	s_wait_loadcnt 0x1
	s_delay_alu instid0(VALU_DEP_1) | instskip(SKIP_1) | instid1(VALU_DEP_1)
	v_fmac_f64_e32 v[146:147], v[128:129], v[122:123]
	s_wait_dscnt 0x0
	v_fmac_f64_e32 v[146:147], v[130:131], v[112:113]
	s_wait_loadcnt 0x0
	s_delay_alu instid0(VALU_DEP_1) | instskip(NEXT) | instid1(VALU_DEP_1)
	v_fmac_f64_e32 v[146:147], v[136:137], v[114:115]
	v_add_f64_e64 v[2:3], v[110:111], -v[146:147]
	scratch_store_b64 off, v[2:3], off offset:48
	s_wait_xcnt 0x0
	v_cmpx_lt_u32_e32 5, v0
	s_cbranch_execz .LBB116_317
; %bb.316:
	scratch_load_b64 v[2:3], off, off offset:40
	v_mov_b64_e32 v[110:111], 0
	scratch_store_b64 off, v[110:111], off offset:40
	s_wait_loadcnt 0x0
	ds_store_b64 v1, v[2:3]
.LBB116_317:
	s_wait_xcnt 0x0
	s_or_b32 exec_lo, exec_lo, s0
	s_wait_storecnt_dscnt 0x0
	s_barrier_signal -1
	s_barrier_wait -1
	s_clause 0x5
	scratch_load_b128 v[110:113], off, off offset:40
	scratch_load_b128 v[114:117], off, off offset:56
	;; [unrolled: 1-line block ×6, first 2 shown]
	v_mov_b32_e32 v2, 0
	ds_load_b128 v[134:137], v2 offset:480
	ds_load_b128 v[138:141], v2 offset:496
	scratch_load_b128 v[142:145], off, off offset:136
	s_mov_b32 s0, exec_lo
	s_wait_loadcnt_dscnt 0x601
	v_fma_f64 v[146:147], v[112:113], v[134:135], 0
	s_wait_loadcnt 0x5
	s_delay_alu instid0(VALU_DEP_1) | instskip(SKIP_4) | instid1(VALU_DEP_1)
	v_fmac_f64_e32 v[146:147], v[114:115], v[136:137]
	scratch_load_b128 v[112:115], off, off offset:152
	s_wait_dscnt 0x0
	v_fmac_f64_e32 v[146:147], v[116:117], v[138:139]
	s_wait_loadcnt 0x5
	v_fmac_f64_e32 v[146:147], v[118:119], v[140:141]
	ds_load_b128 v[116:119], v2 offset:512
	ds_load_b128 v[134:137], v2 offset:528
	scratch_load_b128 v[138:141], off, off offset:168
	s_wait_dscnt 0x1
	v_fmac_f64_e32 v[146:147], v[120:121], v[116:117]
	s_wait_loadcnt 0x5
	s_delay_alu instid0(VALU_DEP_1) | instskip(SKIP_4) | instid1(VALU_DEP_1)
	v_fmac_f64_e32 v[146:147], v[122:123], v[118:119]
	scratch_load_b128 v[116:119], off, off offset:184
	s_wait_dscnt 0x0
	v_fmac_f64_e32 v[146:147], v[124:125], v[134:135]
	s_wait_loadcnt 0x5
	v_fmac_f64_e32 v[146:147], v[126:127], v[136:137]
	ds_load_b128 v[120:123], v2 offset:544
	ds_load_b128 v[124:127], v2 offset:560
	scratch_load_b128 v[134:137], off, off offset:200
	s_wait_dscnt 0x1
	v_fmac_f64_e32 v[146:147], v[128:129], v[120:121]
	s_wait_loadcnt 0x5
	s_delay_alu instid0(VALU_DEP_1) | instskip(SKIP_4) | instid1(VALU_DEP_1)
	v_fmac_f64_e32 v[146:147], v[130:131], v[122:123]
	scratch_load_b128 v[120:123], off, off offset:216
	s_wait_dscnt 0x0
	v_fmac_f64_e32 v[146:147], v[132:133], v[124:125]
	s_wait_loadcnt 0x5
	v_fmac_f64_e32 v[146:147], v[142:143], v[126:127]
	ds_load_b128 v[124:127], v2 offset:576
	ds_load_b128 v[128:131], v2 offset:592
	s_wait_dscnt 0x1
	v_fmac_f64_e32 v[146:147], v[144:145], v[124:125]
	scratch_load_b128 v[142:145], off, off offset:232
	s_wait_loadcnt 0x5
	v_fmac_f64_e32 v[146:147], v[112:113], v[126:127]
	s_wait_dscnt 0x0
	s_delay_alu instid0(VALU_DEP_1)
	v_fmac_f64_e32 v[146:147], v[114:115], v[128:129]
	scratch_load_b128 v[112:115], off, off offset:248
	s_wait_loadcnt 0x5
	v_fmac_f64_e32 v[146:147], v[138:139], v[130:131]
	ds_load_b128 v[124:127], v2 offset:608
	ds_load_b128 v[128:131], v2 offset:624
	s_wait_dscnt 0x1
	v_fmac_f64_e32 v[146:147], v[140:141], v[124:125]
	scratch_load_b128 v[138:141], off, off offset:264
	s_wait_loadcnt 0x5
	v_fmac_f64_e32 v[146:147], v[116:117], v[126:127]
	s_wait_dscnt 0x0
	s_delay_alu instid0(VALU_DEP_1)
	v_fmac_f64_e32 v[146:147], v[118:119], v[128:129]
	scratch_load_b128 v[116:119], off, off offset:280
	s_wait_loadcnt 0x5
	v_fmac_f64_e32 v[146:147], v[134:135], v[130:131]
	ds_load_b128 v[124:127], v2 offset:640
	ds_load_b128 v[128:131], v2 offset:656
	scratch_load_b128 v[132:135], off, off offset:296
	s_wait_dscnt 0x1
	v_fmac_f64_e32 v[146:147], v[136:137], v[124:125]
	s_wait_loadcnt 0x5
	s_delay_alu instid0(VALU_DEP_1) | instskip(SKIP_1) | instid1(VALU_DEP_1)
	v_fmac_f64_e32 v[146:147], v[120:121], v[126:127]
	s_wait_dscnt 0x0
	v_fmac_f64_e32 v[146:147], v[122:123], v[128:129]
	scratch_load_b128 v[120:123], off, off offset:312
	s_wait_loadcnt 0x5
	v_fmac_f64_e32 v[146:147], v[142:143], v[130:131]
	ds_load_b128 v[124:127], v2 offset:672
	ds_load_b128 v[128:131], v2 offset:688
	s_wait_dscnt 0x1
	v_fmac_f64_e32 v[146:147], v[144:145], v[124:125]
	scratch_load_b128 v[142:145], off, off offset:328
	s_wait_loadcnt 0x5
	v_fmac_f64_e32 v[146:147], v[112:113], v[126:127]
	s_wait_dscnt 0x0
	s_delay_alu instid0(VALU_DEP_1)
	v_fmac_f64_e32 v[146:147], v[114:115], v[128:129]
	scratch_load_b128 v[112:115], off, off offset:344
	s_wait_loadcnt 0x5
	v_fmac_f64_e32 v[146:147], v[138:139], v[130:131]
	ds_load_b128 v[124:127], v2 offset:704
	ds_load_b128 v[128:131], v2 offset:720
	s_wait_dscnt 0x1
	v_fmac_f64_e32 v[146:147], v[140:141], v[124:125]
	s_wait_loadcnt 0x4
	s_delay_alu instid0(VALU_DEP_1)
	v_fmac_f64_e32 v[146:147], v[116:117], v[126:127]
	scratch_load_b128 v[124:127], off, off offset:360
	s_wait_dscnt 0x0
	v_fmac_f64_e32 v[146:147], v[118:119], v[128:129]
	scratch_load_b128 v[116:119], off, off offset:376
	s_wait_loadcnt 0x5
	v_fmac_f64_e32 v[146:147], v[132:133], v[130:131]
	ds_load_b128 v[128:131], v2 offset:736
	ds_load_b128 v[136:139], v2 offset:752
	s_wait_dscnt 0x1
	v_fmac_f64_e32 v[146:147], v[134:135], v[128:129]
	s_wait_loadcnt 0x4
	s_delay_alu instid0(VALU_DEP_1)
	v_fmac_f64_e32 v[146:147], v[120:121], v[130:131]
	scratch_load_b128 v[128:131], off, off offset:392
	s_wait_dscnt 0x0
	v_fmac_f64_e32 v[146:147], v[122:123], v[136:137]
	scratch_load_b128 v[120:123], off, off offset:408
	s_wait_loadcnt 0x5
	v_fmac_f64_e32 v[146:147], v[142:143], v[138:139]
	ds_load_b128 v[132:135], v2 offset:768
	ds_load_b128 v[136:139], v2 offset:784
	s_wait_dscnt 0x1
	v_fmac_f64_e32 v[146:147], v[144:145], v[132:133]
	s_wait_loadcnt 0x4
	s_delay_alu instid0(VALU_DEP_1) | instskip(SKIP_1) | instid1(VALU_DEP_1)
	v_fmac_f64_e32 v[146:147], v[112:113], v[134:135]
	s_wait_dscnt 0x0
	v_fmac_f64_e32 v[146:147], v[114:115], v[136:137]
	ds_load_b128 v[112:115], v2 offset:800
	ds_load_b128 v[132:135], v2 offset:816
	s_wait_loadcnt 0x3
	v_fmac_f64_e32 v[146:147], v[124:125], v[138:139]
	s_wait_dscnt 0x1
	s_delay_alu instid0(VALU_DEP_1) | instskip(SKIP_1) | instid1(VALU_DEP_1)
	v_fmac_f64_e32 v[146:147], v[126:127], v[112:113]
	s_wait_loadcnt 0x2
	v_fmac_f64_e32 v[146:147], v[116:117], v[114:115]
	ds_load_b128 v[112:115], v2 offset:832
	ds_load_b64 v[116:117], v2 offset:848
	s_wait_dscnt 0x2
	v_fmac_f64_e32 v[146:147], v[118:119], v[132:133]
	s_wait_loadcnt 0x1
	s_delay_alu instid0(VALU_DEP_1) | instskip(SKIP_1) | instid1(VALU_DEP_1)
	v_fmac_f64_e32 v[146:147], v[128:129], v[134:135]
	s_wait_dscnt 0x1
	v_fmac_f64_e32 v[146:147], v[130:131], v[112:113]
	s_wait_loadcnt 0x0
	s_delay_alu instid0(VALU_DEP_1) | instskip(SKIP_1) | instid1(VALU_DEP_1)
	v_fmac_f64_e32 v[146:147], v[120:121], v[114:115]
	s_wait_dscnt 0x0
	v_fmac_f64_e32 v[146:147], v[122:123], v[116:117]
	s_delay_alu instid0(VALU_DEP_1)
	v_add_f64_e64 v[110:111], v[110:111], -v[146:147]
	scratch_store_b64 off, v[110:111], off offset:40
	s_wait_xcnt 0x0
	v_cmpx_lt_u32_e32 4, v0
	s_cbranch_execz .LBB116_319
; %bb.318:
	scratch_load_b64 v[110:111], off, off offset:32
	v_mov_b64_e32 v[112:113], 0
	scratch_store_b64 off, v[112:113], off offset:32
	s_wait_loadcnt 0x0
	ds_store_b64 v1, v[110:111]
.LBB116_319:
	s_wait_xcnt 0x0
	s_or_b32 exec_lo, exec_lo, s0
	s_wait_storecnt_dscnt 0x0
	s_barrier_signal -1
	s_barrier_wait -1
	s_clause 0x5
	scratch_load_b128 v[110:113], off, off offset:32
	scratch_load_b128 v[114:117], off, off offset:48
	;; [unrolled: 1-line block ×6, first 2 shown]
	ds_load_2addr_b64 v[134:137], v2 offset0:59 offset1:60
	ds_load_2addr_b64 v[138:141], v2 offset0:61 offset1:62
	scratch_load_b128 v[142:145], off, off offset:128
	s_mov_b32 s0, exec_lo
	s_wait_loadcnt_dscnt 0x601
	v_fma_f64 v[146:147], v[112:113], v[134:135], 0
	s_wait_loadcnt 0x5
	s_delay_alu instid0(VALU_DEP_1) | instskip(SKIP_4) | instid1(VALU_DEP_1)
	v_fmac_f64_e32 v[146:147], v[114:115], v[136:137]
	scratch_load_b128 v[112:115], off, off offset:144
	s_wait_dscnt 0x0
	v_fmac_f64_e32 v[146:147], v[116:117], v[138:139]
	s_wait_loadcnt 0x5
	v_fmac_f64_e32 v[146:147], v[118:119], v[140:141]
	ds_load_2addr_b64 v[116:119], v2 offset0:63 offset1:64
	ds_load_2addr_b64 v[134:137], v2 offset0:65 offset1:66
	scratch_load_b128 v[138:141], off, off offset:160
	s_wait_dscnt 0x1
	v_fmac_f64_e32 v[146:147], v[120:121], v[116:117]
	s_wait_loadcnt 0x5
	s_delay_alu instid0(VALU_DEP_1) | instskip(SKIP_4) | instid1(VALU_DEP_1)
	v_fmac_f64_e32 v[146:147], v[122:123], v[118:119]
	scratch_load_b128 v[116:119], off, off offset:176
	s_wait_dscnt 0x0
	v_fmac_f64_e32 v[146:147], v[124:125], v[134:135]
	s_wait_loadcnt 0x5
	v_fmac_f64_e32 v[146:147], v[126:127], v[136:137]
	ds_load_2addr_b64 v[120:123], v2 offset0:67 offset1:68
	ds_load_2addr_b64 v[124:127], v2 offset0:69 offset1:70
	scratch_load_b128 v[134:137], off, off offset:192
	s_wait_dscnt 0x1
	v_fmac_f64_e32 v[146:147], v[128:129], v[120:121]
	s_wait_loadcnt 0x5
	s_delay_alu instid0(VALU_DEP_1) | instskip(SKIP_4) | instid1(VALU_DEP_1)
	v_fmac_f64_e32 v[146:147], v[130:131], v[122:123]
	scratch_load_b128 v[120:123], off, off offset:208
	s_wait_dscnt 0x0
	v_fmac_f64_e32 v[146:147], v[132:133], v[124:125]
	s_wait_loadcnt 0x5
	v_fmac_f64_e32 v[146:147], v[142:143], v[126:127]
	ds_load_2addr_b64 v[124:127], v2 offset0:71 offset1:72
	ds_load_2addr_b64 v[128:131], v2 offset0:73 offset1:74
	s_wait_dscnt 0x1
	v_fmac_f64_e32 v[146:147], v[144:145], v[124:125]
	scratch_load_b128 v[142:145], off, off offset:224
	s_wait_loadcnt 0x5
	v_fmac_f64_e32 v[146:147], v[112:113], v[126:127]
	s_wait_dscnt 0x0
	s_delay_alu instid0(VALU_DEP_1)
	v_fmac_f64_e32 v[146:147], v[114:115], v[128:129]
	scratch_load_b128 v[112:115], off, off offset:240
	s_wait_loadcnt 0x5
	v_fmac_f64_e32 v[146:147], v[138:139], v[130:131]
	ds_load_2addr_b64 v[124:127], v2 offset0:75 offset1:76
	ds_load_2addr_b64 v[128:131], v2 offset0:77 offset1:78
	s_wait_dscnt 0x1
	v_fmac_f64_e32 v[146:147], v[140:141], v[124:125]
	scratch_load_b128 v[138:141], off, off offset:256
	s_wait_loadcnt 0x5
	v_fmac_f64_e32 v[146:147], v[116:117], v[126:127]
	s_wait_dscnt 0x0
	s_delay_alu instid0(VALU_DEP_1)
	v_fmac_f64_e32 v[146:147], v[118:119], v[128:129]
	scratch_load_b128 v[116:119], off, off offset:272
	s_wait_loadcnt 0x5
	v_fmac_f64_e32 v[146:147], v[134:135], v[130:131]
	ds_load_2addr_b64 v[124:127], v2 offset0:79 offset1:80
	ds_load_2addr_b64 v[128:131], v2 offset0:81 offset1:82
	scratch_load_b128 v[132:135], off, off offset:288
	s_wait_dscnt 0x1
	v_fmac_f64_e32 v[146:147], v[136:137], v[124:125]
	s_wait_loadcnt 0x5
	s_delay_alu instid0(VALU_DEP_1) | instskip(SKIP_1) | instid1(VALU_DEP_1)
	v_fmac_f64_e32 v[146:147], v[120:121], v[126:127]
	s_wait_dscnt 0x0
	v_fmac_f64_e32 v[146:147], v[122:123], v[128:129]
	scratch_load_b128 v[120:123], off, off offset:304
	s_wait_loadcnt 0x5
	v_fmac_f64_e32 v[146:147], v[142:143], v[130:131]
	ds_load_2addr_b64 v[124:127], v2 offset0:83 offset1:84
	ds_load_2addr_b64 v[128:131], v2 offset0:85 offset1:86
	s_wait_dscnt 0x1
	v_fmac_f64_e32 v[146:147], v[144:145], v[124:125]
	scratch_load_b128 v[142:145], off, off offset:320
	s_wait_loadcnt 0x5
	v_fmac_f64_e32 v[146:147], v[112:113], v[126:127]
	s_wait_dscnt 0x0
	s_delay_alu instid0(VALU_DEP_1)
	v_fmac_f64_e32 v[146:147], v[114:115], v[128:129]
	scratch_load_b128 v[112:115], off, off offset:336
	s_wait_loadcnt 0x5
	v_fmac_f64_e32 v[146:147], v[138:139], v[130:131]
	ds_load_2addr_b64 v[124:127], v2 offset0:87 offset1:88
	ds_load_2addr_b64 v[128:131], v2 offset0:89 offset1:90
	s_wait_dscnt 0x1
	v_fmac_f64_e32 v[146:147], v[140:141], v[124:125]
	s_wait_loadcnt 0x4
	s_delay_alu instid0(VALU_DEP_1)
	v_fmac_f64_e32 v[146:147], v[116:117], v[126:127]
	scratch_load_b128 v[124:127], off, off offset:352
	s_wait_dscnt 0x0
	v_fmac_f64_e32 v[146:147], v[118:119], v[128:129]
	scratch_load_b128 v[116:119], off, off offset:368
	s_wait_loadcnt 0x5
	v_fmac_f64_e32 v[146:147], v[132:133], v[130:131]
	ds_load_2addr_b64 v[128:131], v2 offset0:91 offset1:92
	ds_load_2addr_b64 v[136:139], v2 offset0:93 offset1:94
	s_wait_dscnt 0x1
	v_fmac_f64_e32 v[146:147], v[134:135], v[128:129]
	s_wait_loadcnt 0x4
	s_delay_alu instid0(VALU_DEP_1)
	v_fmac_f64_e32 v[146:147], v[120:121], v[130:131]
	scratch_load_b128 v[128:131], off, off offset:384
	s_wait_dscnt 0x0
	v_fmac_f64_e32 v[146:147], v[122:123], v[136:137]
	scratch_load_b128 v[120:123], off, off offset:400
	s_wait_loadcnt 0x5
	v_fmac_f64_e32 v[146:147], v[142:143], v[138:139]
	ds_load_2addr_b64 v[132:135], v2 offset0:95 offset1:96
	ds_load_2addr_b64 v[136:139], v2 offset0:97 offset1:98
	scratch_load_b64 v[140:141], off, off offset:416
	s_wait_dscnt 0x1
	v_fmac_f64_e32 v[146:147], v[144:145], v[132:133]
	s_wait_loadcnt 0x5
	s_delay_alu instid0(VALU_DEP_1) | instskip(SKIP_1) | instid1(VALU_DEP_1)
	v_fmac_f64_e32 v[146:147], v[112:113], v[134:135]
	s_wait_dscnt 0x0
	v_fmac_f64_e32 v[146:147], v[114:115], v[136:137]
	ds_load_2addr_b64 v[112:115], v2 offset0:99 offset1:100
	ds_load_2addr_b64 v[132:135], v2 offset0:101 offset1:102
	s_wait_loadcnt 0x4
	v_fmac_f64_e32 v[146:147], v[124:125], v[138:139]
	s_wait_dscnt 0x1
	s_delay_alu instid0(VALU_DEP_1) | instskip(SKIP_1) | instid1(VALU_DEP_1)
	v_fmac_f64_e32 v[146:147], v[126:127], v[112:113]
	s_wait_loadcnt 0x3
	v_fmac_f64_e32 v[146:147], v[116:117], v[114:115]
	s_wait_dscnt 0x0
	s_delay_alu instid0(VALU_DEP_1)
	v_fmac_f64_e32 v[146:147], v[118:119], v[132:133]
	ds_load_2addr_b64 v[112:115], v2 offset0:103 offset1:104
	ds_load_2addr_b64 v[116:119], v2 offset0:105 offset1:106
	s_wait_loadcnt 0x2
	v_fmac_f64_e32 v[146:147], v[128:129], v[134:135]
	s_wait_dscnt 0x1
	s_delay_alu instid0(VALU_DEP_1) | instskip(SKIP_1) | instid1(VALU_DEP_1)
	v_fmac_f64_e32 v[146:147], v[130:131], v[112:113]
	s_wait_loadcnt 0x1
	v_fmac_f64_e32 v[146:147], v[120:121], v[114:115]
	s_wait_dscnt 0x0
	s_delay_alu instid0(VALU_DEP_1) | instskip(SKIP_1) | instid1(VALU_DEP_1)
	v_fmac_f64_e32 v[146:147], v[122:123], v[116:117]
	s_wait_loadcnt 0x0
	v_fmac_f64_e32 v[146:147], v[140:141], v[118:119]
	s_delay_alu instid0(VALU_DEP_1)
	v_add_f64_e64 v[2:3], v[110:111], -v[146:147]
	scratch_store_b64 off, v[2:3], off offset:32
	s_wait_xcnt 0x0
	v_cmpx_lt_u32_e32 3, v0
	s_cbranch_execz .LBB116_321
; %bb.320:
	scratch_load_b64 v[2:3], off, off offset:24
	v_mov_b64_e32 v[110:111], 0
	scratch_store_b64 off, v[110:111], off offset:24
	s_wait_loadcnt 0x0
	ds_store_b64 v1, v[2:3]
.LBB116_321:
	s_wait_xcnt 0x0
	s_or_b32 exec_lo, exec_lo, s0
	s_wait_storecnt_dscnt 0x0
	s_barrier_signal -1
	s_barrier_wait -1
	s_clause 0x5
	scratch_load_b128 v[110:113], off, off offset:24
	scratch_load_b128 v[114:117], off, off offset:40
	;; [unrolled: 1-line block ×6, first 2 shown]
	v_mov_b32_e32 v2, 0
	ds_load_b128 v[134:137], v2 offset:464
	ds_load_b128 v[138:141], v2 offset:480
	scratch_load_b128 v[142:145], off, off offset:120
	s_mov_b32 s0, exec_lo
	s_wait_loadcnt_dscnt 0x601
	v_fma_f64 v[146:147], v[112:113], v[134:135], 0
	s_wait_loadcnt 0x5
	s_delay_alu instid0(VALU_DEP_1) | instskip(SKIP_4) | instid1(VALU_DEP_1)
	v_fmac_f64_e32 v[146:147], v[114:115], v[136:137]
	scratch_load_b128 v[112:115], off, off offset:136
	s_wait_dscnt 0x0
	v_fmac_f64_e32 v[146:147], v[116:117], v[138:139]
	s_wait_loadcnt 0x5
	v_fmac_f64_e32 v[146:147], v[118:119], v[140:141]
	ds_load_b128 v[116:119], v2 offset:496
	ds_load_b128 v[134:137], v2 offset:512
	scratch_load_b128 v[138:141], off, off offset:152
	s_wait_dscnt 0x1
	v_fmac_f64_e32 v[146:147], v[120:121], v[116:117]
	s_wait_loadcnt 0x5
	s_delay_alu instid0(VALU_DEP_1) | instskip(SKIP_4) | instid1(VALU_DEP_1)
	v_fmac_f64_e32 v[146:147], v[122:123], v[118:119]
	scratch_load_b128 v[116:119], off, off offset:168
	s_wait_dscnt 0x0
	v_fmac_f64_e32 v[146:147], v[124:125], v[134:135]
	s_wait_loadcnt 0x5
	v_fmac_f64_e32 v[146:147], v[126:127], v[136:137]
	ds_load_b128 v[120:123], v2 offset:528
	ds_load_b128 v[124:127], v2 offset:544
	scratch_load_b128 v[134:137], off, off offset:184
	s_wait_dscnt 0x1
	v_fmac_f64_e32 v[146:147], v[128:129], v[120:121]
	s_wait_loadcnt 0x5
	s_delay_alu instid0(VALU_DEP_1) | instskip(SKIP_4) | instid1(VALU_DEP_1)
	v_fmac_f64_e32 v[146:147], v[130:131], v[122:123]
	scratch_load_b128 v[120:123], off, off offset:200
	s_wait_dscnt 0x0
	v_fmac_f64_e32 v[146:147], v[132:133], v[124:125]
	s_wait_loadcnt 0x5
	v_fmac_f64_e32 v[146:147], v[142:143], v[126:127]
	ds_load_b128 v[124:127], v2 offset:560
	ds_load_b128 v[128:131], v2 offset:576
	s_wait_dscnt 0x1
	v_fmac_f64_e32 v[146:147], v[144:145], v[124:125]
	scratch_load_b128 v[142:145], off, off offset:216
	s_wait_loadcnt 0x5
	v_fmac_f64_e32 v[146:147], v[112:113], v[126:127]
	s_wait_dscnt 0x0
	s_delay_alu instid0(VALU_DEP_1)
	v_fmac_f64_e32 v[146:147], v[114:115], v[128:129]
	scratch_load_b128 v[112:115], off, off offset:232
	s_wait_loadcnt 0x5
	v_fmac_f64_e32 v[146:147], v[138:139], v[130:131]
	ds_load_b128 v[124:127], v2 offset:592
	ds_load_b128 v[128:131], v2 offset:608
	s_wait_dscnt 0x1
	v_fmac_f64_e32 v[146:147], v[140:141], v[124:125]
	scratch_load_b128 v[138:141], off, off offset:248
	s_wait_loadcnt 0x5
	v_fmac_f64_e32 v[146:147], v[116:117], v[126:127]
	s_wait_dscnt 0x0
	s_delay_alu instid0(VALU_DEP_1)
	v_fmac_f64_e32 v[146:147], v[118:119], v[128:129]
	scratch_load_b128 v[116:119], off, off offset:264
	s_wait_loadcnt 0x5
	v_fmac_f64_e32 v[146:147], v[134:135], v[130:131]
	ds_load_b128 v[124:127], v2 offset:624
	ds_load_b128 v[128:131], v2 offset:640
	scratch_load_b128 v[132:135], off, off offset:280
	s_wait_dscnt 0x1
	v_fmac_f64_e32 v[146:147], v[136:137], v[124:125]
	s_wait_loadcnt 0x5
	s_delay_alu instid0(VALU_DEP_1) | instskip(SKIP_1) | instid1(VALU_DEP_1)
	v_fmac_f64_e32 v[146:147], v[120:121], v[126:127]
	s_wait_dscnt 0x0
	v_fmac_f64_e32 v[146:147], v[122:123], v[128:129]
	scratch_load_b128 v[120:123], off, off offset:296
	s_wait_loadcnt 0x5
	v_fmac_f64_e32 v[146:147], v[142:143], v[130:131]
	ds_load_b128 v[124:127], v2 offset:656
	ds_load_b128 v[128:131], v2 offset:672
	s_wait_dscnt 0x1
	v_fmac_f64_e32 v[146:147], v[144:145], v[124:125]
	scratch_load_b128 v[142:145], off, off offset:312
	s_wait_loadcnt 0x5
	v_fmac_f64_e32 v[146:147], v[112:113], v[126:127]
	s_wait_dscnt 0x0
	s_delay_alu instid0(VALU_DEP_1)
	v_fmac_f64_e32 v[146:147], v[114:115], v[128:129]
	scratch_load_b128 v[112:115], off, off offset:328
	s_wait_loadcnt 0x5
	v_fmac_f64_e32 v[146:147], v[138:139], v[130:131]
	ds_load_b128 v[124:127], v2 offset:688
	ds_load_b128 v[128:131], v2 offset:704
	s_wait_dscnt 0x1
	v_fmac_f64_e32 v[146:147], v[140:141], v[124:125]
	s_wait_loadcnt 0x4
	s_delay_alu instid0(VALU_DEP_1)
	v_fmac_f64_e32 v[146:147], v[116:117], v[126:127]
	scratch_load_b128 v[124:127], off, off offset:344
	s_wait_dscnt 0x0
	v_fmac_f64_e32 v[146:147], v[118:119], v[128:129]
	scratch_load_b128 v[116:119], off, off offset:360
	s_wait_loadcnt 0x5
	v_fmac_f64_e32 v[146:147], v[132:133], v[130:131]
	ds_load_b128 v[128:131], v2 offset:720
	ds_load_b128 v[136:139], v2 offset:736
	s_wait_dscnt 0x1
	v_fmac_f64_e32 v[146:147], v[134:135], v[128:129]
	s_wait_loadcnt 0x4
	s_delay_alu instid0(VALU_DEP_1)
	v_fmac_f64_e32 v[146:147], v[120:121], v[130:131]
	scratch_load_b128 v[128:131], off, off offset:376
	s_wait_dscnt 0x0
	v_fmac_f64_e32 v[146:147], v[122:123], v[136:137]
	scratch_load_b128 v[120:123], off, off offset:392
	s_wait_loadcnt 0x5
	v_fmac_f64_e32 v[146:147], v[142:143], v[138:139]
	ds_load_b128 v[132:135], v2 offset:752
	ds_load_b128 v[136:139], v2 offset:768
	s_wait_dscnt 0x1
	v_fmac_f64_e32 v[146:147], v[144:145], v[132:133]
	s_wait_loadcnt 0x4
	s_delay_alu instid0(VALU_DEP_1) | instskip(SKIP_4) | instid1(VALU_DEP_1)
	v_fmac_f64_e32 v[146:147], v[112:113], v[134:135]
	scratch_load_b128 v[132:135], off, off offset:408
	s_wait_dscnt 0x0
	v_fmac_f64_e32 v[146:147], v[114:115], v[136:137]
	s_wait_loadcnt 0x4
	v_fmac_f64_e32 v[146:147], v[124:125], v[138:139]
	ds_load_b128 v[112:115], v2 offset:784
	ds_load_b128 v[136:139], v2 offset:800
	s_wait_dscnt 0x1
	v_fmac_f64_e32 v[146:147], v[126:127], v[112:113]
	s_wait_loadcnt 0x3
	s_delay_alu instid0(VALU_DEP_1) | instskip(SKIP_1) | instid1(VALU_DEP_1)
	v_fmac_f64_e32 v[146:147], v[116:117], v[114:115]
	s_wait_dscnt 0x0
	v_fmac_f64_e32 v[146:147], v[118:119], v[136:137]
	ds_load_b128 v[112:115], v2 offset:816
	ds_load_b128 v[116:119], v2 offset:832
	s_wait_loadcnt 0x2
	v_fmac_f64_e32 v[146:147], v[128:129], v[138:139]
	s_wait_dscnt 0x1
	s_delay_alu instid0(VALU_DEP_1) | instskip(SKIP_4) | instid1(VALU_DEP_1)
	v_fmac_f64_e32 v[146:147], v[130:131], v[112:113]
	ds_load_b64 v[112:113], v2 offset:848
	s_wait_loadcnt 0x1
	v_fmac_f64_e32 v[146:147], v[120:121], v[114:115]
	s_wait_dscnt 0x1
	v_fmac_f64_e32 v[146:147], v[122:123], v[116:117]
	s_wait_loadcnt 0x0
	s_delay_alu instid0(VALU_DEP_1) | instskip(SKIP_1) | instid1(VALU_DEP_1)
	v_fmac_f64_e32 v[146:147], v[132:133], v[118:119]
	s_wait_dscnt 0x0
	v_fmac_f64_e32 v[146:147], v[134:135], v[112:113]
	s_delay_alu instid0(VALU_DEP_1)
	v_add_f64_e64 v[110:111], v[110:111], -v[146:147]
	scratch_store_b64 off, v[110:111], off offset:24
	s_wait_xcnt 0x0
	v_cmpx_lt_u32_e32 2, v0
	s_cbranch_execz .LBB116_323
; %bb.322:
	scratch_load_b64 v[110:111], off, off offset:16
	v_mov_b64_e32 v[112:113], 0
	scratch_store_b64 off, v[112:113], off offset:16
	s_wait_loadcnt 0x0
	ds_store_b64 v1, v[110:111]
.LBB116_323:
	s_wait_xcnt 0x0
	s_or_b32 exec_lo, exec_lo, s0
	s_wait_storecnt_dscnt 0x0
	s_barrier_signal -1
	s_barrier_wait -1
	s_clause 0x5
	scratch_load_b128 v[110:113], off, off offset:16
	scratch_load_b128 v[114:117], off, off offset:32
	;; [unrolled: 1-line block ×6, first 2 shown]
	ds_load_2addr_b64 v[134:137], v2 offset0:57 offset1:58
	ds_load_2addr_b64 v[138:141], v2 offset0:59 offset1:60
	scratch_load_b128 v[142:145], off, off offset:112
	s_mov_b32 s0, exec_lo
	s_wait_loadcnt_dscnt 0x601
	v_fma_f64 v[146:147], v[112:113], v[134:135], 0
	s_wait_loadcnt 0x5
	s_delay_alu instid0(VALU_DEP_1) | instskip(SKIP_4) | instid1(VALU_DEP_1)
	v_fmac_f64_e32 v[146:147], v[114:115], v[136:137]
	scratch_load_b128 v[112:115], off, off offset:128
	s_wait_dscnt 0x0
	v_fmac_f64_e32 v[146:147], v[116:117], v[138:139]
	s_wait_loadcnt 0x5
	v_fmac_f64_e32 v[146:147], v[118:119], v[140:141]
	ds_load_2addr_b64 v[116:119], v2 offset0:61 offset1:62
	ds_load_2addr_b64 v[134:137], v2 offset0:63 offset1:64
	scratch_load_b128 v[138:141], off, off offset:144
	s_wait_dscnt 0x1
	v_fmac_f64_e32 v[146:147], v[120:121], v[116:117]
	s_wait_loadcnt 0x5
	s_delay_alu instid0(VALU_DEP_1) | instskip(SKIP_4) | instid1(VALU_DEP_1)
	v_fmac_f64_e32 v[146:147], v[122:123], v[118:119]
	scratch_load_b128 v[116:119], off, off offset:160
	s_wait_dscnt 0x0
	v_fmac_f64_e32 v[146:147], v[124:125], v[134:135]
	s_wait_loadcnt 0x5
	v_fmac_f64_e32 v[146:147], v[126:127], v[136:137]
	ds_load_2addr_b64 v[120:123], v2 offset0:65 offset1:66
	ds_load_2addr_b64 v[124:127], v2 offset0:67 offset1:68
	scratch_load_b128 v[134:137], off, off offset:176
	s_wait_dscnt 0x1
	v_fmac_f64_e32 v[146:147], v[128:129], v[120:121]
	s_wait_loadcnt 0x5
	s_delay_alu instid0(VALU_DEP_1) | instskip(SKIP_4) | instid1(VALU_DEP_1)
	v_fmac_f64_e32 v[146:147], v[130:131], v[122:123]
	scratch_load_b128 v[120:123], off, off offset:192
	s_wait_dscnt 0x0
	v_fmac_f64_e32 v[146:147], v[132:133], v[124:125]
	s_wait_loadcnt 0x5
	v_fmac_f64_e32 v[146:147], v[142:143], v[126:127]
	ds_load_2addr_b64 v[124:127], v2 offset0:69 offset1:70
	ds_load_2addr_b64 v[128:131], v2 offset0:71 offset1:72
	s_wait_dscnt 0x1
	v_fmac_f64_e32 v[146:147], v[144:145], v[124:125]
	scratch_load_b128 v[142:145], off, off offset:208
	s_wait_loadcnt 0x5
	v_fmac_f64_e32 v[146:147], v[112:113], v[126:127]
	s_wait_dscnt 0x0
	s_delay_alu instid0(VALU_DEP_1)
	v_fmac_f64_e32 v[146:147], v[114:115], v[128:129]
	scratch_load_b128 v[112:115], off, off offset:224
	s_wait_loadcnt 0x5
	v_fmac_f64_e32 v[146:147], v[138:139], v[130:131]
	ds_load_2addr_b64 v[124:127], v2 offset0:73 offset1:74
	ds_load_2addr_b64 v[128:131], v2 offset0:75 offset1:76
	s_wait_dscnt 0x1
	v_fmac_f64_e32 v[146:147], v[140:141], v[124:125]
	scratch_load_b128 v[138:141], off, off offset:240
	s_wait_loadcnt 0x5
	v_fmac_f64_e32 v[146:147], v[116:117], v[126:127]
	s_wait_dscnt 0x0
	s_delay_alu instid0(VALU_DEP_1)
	v_fmac_f64_e32 v[146:147], v[118:119], v[128:129]
	scratch_load_b128 v[116:119], off, off offset:256
	s_wait_loadcnt 0x5
	v_fmac_f64_e32 v[146:147], v[134:135], v[130:131]
	ds_load_2addr_b64 v[124:127], v2 offset0:77 offset1:78
	ds_load_2addr_b64 v[128:131], v2 offset0:79 offset1:80
	scratch_load_b128 v[132:135], off, off offset:272
	s_wait_dscnt 0x1
	v_fmac_f64_e32 v[146:147], v[136:137], v[124:125]
	s_wait_loadcnt 0x5
	s_delay_alu instid0(VALU_DEP_1) | instskip(SKIP_1) | instid1(VALU_DEP_1)
	v_fmac_f64_e32 v[146:147], v[120:121], v[126:127]
	s_wait_dscnt 0x0
	v_fmac_f64_e32 v[146:147], v[122:123], v[128:129]
	scratch_load_b128 v[120:123], off, off offset:288
	s_wait_loadcnt 0x5
	v_fmac_f64_e32 v[146:147], v[142:143], v[130:131]
	ds_load_2addr_b64 v[124:127], v2 offset0:81 offset1:82
	ds_load_2addr_b64 v[128:131], v2 offset0:83 offset1:84
	s_wait_dscnt 0x1
	v_fmac_f64_e32 v[146:147], v[144:145], v[124:125]
	scratch_load_b128 v[142:145], off, off offset:304
	s_wait_loadcnt 0x5
	v_fmac_f64_e32 v[146:147], v[112:113], v[126:127]
	s_wait_dscnt 0x0
	s_delay_alu instid0(VALU_DEP_1)
	v_fmac_f64_e32 v[146:147], v[114:115], v[128:129]
	scratch_load_b128 v[112:115], off, off offset:320
	s_wait_loadcnt 0x5
	v_fmac_f64_e32 v[146:147], v[138:139], v[130:131]
	ds_load_2addr_b64 v[124:127], v2 offset0:85 offset1:86
	ds_load_2addr_b64 v[128:131], v2 offset0:87 offset1:88
	scratch_load_b128 v[136:139], off, off offset:336
	s_wait_dscnt 0x1
	v_fmac_f64_e32 v[146:147], v[140:141], v[124:125]
	s_wait_loadcnt 0x5
	s_delay_alu instid0(VALU_DEP_1) | instskip(SKIP_1) | instid1(VALU_DEP_1)
	v_fmac_f64_e32 v[146:147], v[116:117], v[126:127]
	s_wait_dscnt 0x0
	v_fmac_f64_e32 v[146:147], v[118:119], v[128:129]
	scratch_load_b128 v[116:119], off, off offset:352
	s_wait_loadcnt 0x5
	v_fmac_f64_e32 v[146:147], v[132:133], v[130:131]
	ds_load_2addr_b64 v[124:127], v2 offset0:89 offset1:90
	ds_load_2addr_b64 v[128:131], v2 offset0:91 offset1:92
	s_wait_dscnt 0x1
	v_fmac_f64_e32 v[146:147], v[134:135], v[124:125]
	s_wait_loadcnt 0x4
	s_delay_alu instid0(VALU_DEP_1)
	v_fmac_f64_e32 v[146:147], v[120:121], v[126:127]
	scratch_load_b128 v[124:127], off, off offset:368
	s_wait_dscnt 0x0
	v_fmac_f64_e32 v[146:147], v[122:123], v[128:129]
	scratch_load_b128 v[120:123], off, off offset:384
	s_wait_loadcnt 0x5
	v_fmac_f64_e32 v[146:147], v[142:143], v[130:131]
	ds_load_2addr_b64 v[128:131], v2 offset0:93 offset1:94
	ds_load_2addr_b64 v[132:135], v2 offset0:95 offset1:96
	s_wait_dscnt 0x1
	v_fmac_f64_e32 v[146:147], v[144:145], v[128:129]
	s_wait_loadcnt 0x4
	s_delay_alu instid0(VALU_DEP_1) | instskip(SKIP_4) | instid1(VALU_DEP_1)
	v_fmac_f64_e32 v[146:147], v[112:113], v[130:131]
	scratch_load_b128 v[128:131], off, off offset:400
	s_wait_dscnt 0x0
	v_fmac_f64_e32 v[146:147], v[114:115], v[132:133]
	s_wait_loadcnt 0x4
	v_fmac_f64_e32 v[146:147], v[136:137], v[134:135]
	scratch_load_b64 v[136:137], off, off offset:416
	ds_load_2addr_b64 v[112:115], v2 offset0:97 offset1:98
	ds_load_2addr_b64 v[132:135], v2 offset0:99 offset1:100
	s_wait_dscnt 0x1
	v_fmac_f64_e32 v[146:147], v[138:139], v[112:113]
	s_wait_loadcnt 0x4
	s_delay_alu instid0(VALU_DEP_1) | instskip(SKIP_1) | instid1(VALU_DEP_1)
	v_fmac_f64_e32 v[146:147], v[116:117], v[114:115]
	s_wait_dscnt 0x0
	v_fmac_f64_e32 v[146:147], v[118:119], v[132:133]
	ds_load_2addr_b64 v[112:115], v2 offset0:101 offset1:102
	ds_load_2addr_b64 v[116:119], v2 offset0:103 offset1:104
	s_wait_loadcnt 0x3
	v_fmac_f64_e32 v[146:147], v[124:125], v[134:135]
	s_wait_dscnt 0x1
	s_delay_alu instid0(VALU_DEP_1) | instskip(SKIP_1) | instid1(VALU_DEP_1)
	v_fmac_f64_e32 v[146:147], v[126:127], v[112:113]
	s_wait_loadcnt 0x2
	v_fmac_f64_e32 v[146:147], v[120:121], v[114:115]
	ds_load_2addr_b64 v[112:115], v2 offset0:105 offset1:106
	s_wait_dscnt 0x1
	v_fmac_f64_e32 v[146:147], v[122:123], v[116:117]
	s_wait_loadcnt 0x1
	s_delay_alu instid0(VALU_DEP_1) | instskip(SKIP_1) | instid1(VALU_DEP_1)
	v_fmac_f64_e32 v[146:147], v[128:129], v[118:119]
	s_wait_dscnt 0x0
	v_fmac_f64_e32 v[146:147], v[130:131], v[112:113]
	s_wait_loadcnt 0x0
	s_delay_alu instid0(VALU_DEP_1) | instskip(NEXT) | instid1(VALU_DEP_1)
	v_fmac_f64_e32 v[146:147], v[136:137], v[114:115]
	v_add_f64_e64 v[2:3], v[110:111], -v[146:147]
	scratch_store_b64 off, v[2:3], off offset:16
	s_wait_xcnt 0x0
	v_cmpx_lt_u32_e32 1, v0
	s_cbranch_execz .LBB116_325
; %bb.324:
	scratch_load_b64 v[2:3], off, off offset:8
	v_mov_b64_e32 v[110:111], 0
	scratch_store_b64 off, v[110:111], off offset:8
	s_wait_loadcnt 0x0
	ds_store_b64 v1, v[2:3]
.LBB116_325:
	s_wait_xcnt 0x0
	s_or_b32 exec_lo, exec_lo, s0
	s_wait_storecnt_dscnt 0x0
	s_barrier_signal -1
	s_barrier_wait -1
	s_clause 0x4
	scratch_load_b128 v[112:115], off, off offset:8
	scratch_load_b128 v[116:119], off, off offset:24
	;; [unrolled: 1-line block ×5, first 2 shown]
	v_dual_mov_b32 v110, 0 :: v_dual_ashrrev_i32 v9, 31, v8
	ds_load_b128 v[132:135], v110 offset:448
	ds_load_b128 v[136:139], v110 offset:464
	scratch_load_b128 v[140:143], off, off offset:88
	v_dual_ashrrev_i32 v11, 31, v10 :: v_dual_ashrrev_i32 v13, 31, v12
	v_dual_ashrrev_i32 v15, 31, v14 :: v_dual_ashrrev_i32 v17, 31, v16
	;; [unrolled: 1-line block ×24, first 2 shown]
	v_ashrrev_i32_e32 v107, 31, v106
	s_mov_b32 s0, exec_lo
	v_ashrrev_i32_e32 v57, 31, v56
	s_wait_loadcnt_dscnt 0x501
	v_fma_f64 v[2:3], v[114:115], v[132:133], 0
	s_wait_loadcnt 0x4
	s_delay_alu instid0(VALU_DEP_1) | instskip(SKIP_4) | instid1(VALU_DEP_1)
	v_fmac_f64_e32 v[2:3], v[116:117], v[134:135]
	scratch_load_b128 v[114:117], off, off offset:104
	s_wait_dscnt 0x0
	v_fmac_f64_e32 v[2:3], v[118:119], v[136:137]
	s_wait_loadcnt 0x4
	v_fmac_f64_e32 v[2:3], v[120:121], v[138:139]
	ds_load_b128 v[118:121], v110 offset:480
	ds_load_b128 v[132:135], v110 offset:496
	scratch_load_b128 v[136:139], off, off offset:120
	s_wait_dscnt 0x1
	v_fmac_f64_e32 v[2:3], v[122:123], v[118:119]
	s_wait_loadcnt 0x4
	s_delay_alu instid0(VALU_DEP_1) | instskip(SKIP_4) | instid1(VALU_DEP_1)
	v_fmac_f64_e32 v[2:3], v[124:125], v[120:121]
	scratch_load_b128 v[118:121], off, off offset:136
	s_wait_dscnt 0x0
	v_fmac_f64_e32 v[2:3], v[126:127], v[132:133]
	s_wait_loadcnt 0x4
	v_fmac_f64_e32 v[2:3], v[128:129], v[134:135]
	ds_load_b128 v[122:125], v110 offset:512
	ds_load_b128 v[126:129], v110 offset:528
	s_wait_dscnt 0x1
	v_fmac_f64_e32 v[2:3], v[130:131], v[122:123]
	scratch_load_b128 v[130:133], off, off offset:152
	s_wait_loadcnt 0x4
	v_fmac_f64_e32 v[2:3], v[140:141], v[124:125]
	scratch_load_b128 v[122:125], off, off offset:168
	s_wait_dscnt 0x0
	v_fmac_f64_e32 v[2:3], v[142:143], v[126:127]
	s_wait_loadcnt 0x4
	s_delay_alu instid0(VALU_DEP_1)
	v_fmac_f64_e32 v[2:3], v[114:115], v[128:129]
	ds_load_b128 v[126:129], v110 offset:544
	ds_load_b128 v[140:143], v110 offset:560
	s_wait_dscnt 0x1
	v_fmac_f64_e32 v[2:3], v[116:117], v[126:127]
	scratch_load_b128 v[114:117], off, off offset:184
	s_wait_loadcnt 0x4
	v_fmac_f64_e32 v[2:3], v[136:137], v[128:129]
	scratch_load_b128 v[126:129], off, off offset:200
	s_wait_dscnt 0x0
	v_fmac_f64_e32 v[2:3], v[138:139], v[140:141]
	ds_load_b128 v[134:137], v110 offset:576
	ds_load_b128 v[138:141], v110 offset:592
	s_wait_loadcnt 0x4
	v_fmac_f64_e32 v[2:3], v[118:119], v[142:143]
	s_wait_dscnt 0x1
	s_delay_alu instid0(VALU_DEP_1)
	v_fmac_f64_e32 v[2:3], v[120:121], v[134:135]
	scratch_load_b128 v[118:121], off, off offset:216
	s_wait_loadcnt 0x4
	v_fmac_f64_e32 v[2:3], v[130:131], v[136:137]
	scratch_load_b128 v[134:137], off, off offset:232
	s_wait_dscnt 0x0
	v_fmac_f64_e32 v[2:3], v[132:133], v[138:139]
	s_wait_loadcnt 0x4
	s_delay_alu instid0(VALU_DEP_1)
	v_fmac_f64_e32 v[2:3], v[122:123], v[140:141]
	ds_load_b128 v[130:133], v110 offset:608
	ds_load_b128 v[138:141], v110 offset:624
	s_wait_dscnt 0x1
	v_fmac_f64_e32 v[2:3], v[124:125], v[130:131]
	scratch_load_b128 v[122:125], off, off offset:248
	s_wait_loadcnt 0x4
	v_fmac_f64_e32 v[2:3], v[114:115], v[132:133]
	s_wait_dscnt 0x0
	s_delay_alu instid0(VALU_DEP_1)
	v_fmac_f64_e32 v[2:3], v[116:117], v[138:139]
	scratch_load_b128 v[114:117], off, off offset:264
	s_wait_loadcnt 0x4
	v_fmac_f64_e32 v[2:3], v[126:127], v[140:141]
	ds_load_b128 v[130:133], v110 offset:640
	ds_load_b128 v[138:141], v110 offset:656
	s_wait_dscnt 0x1
	v_fmac_f64_e32 v[2:3], v[128:129], v[130:131]
	scratch_load_b128 v[126:129], off, off offset:280
	s_wait_loadcnt 0x4
	v_fmac_f64_e32 v[2:3], v[118:119], v[132:133]
	s_wait_dscnt 0x0
	s_delay_alu instid0(VALU_DEP_1)
	v_fmac_f64_e32 v[2:3], v[120:121], v[138:139]
	scratch_load_b128 v[118:121], off, off offset:296
	s_wait_loadcnt 0x4
	v_fmac_f64_e32 v[2:3], v[134:135], v[140:141]
	ds_load_b128 v[130:133], v110 offset:672
	ds_load_b128 v[138:141], v110 offset:688
	s_wait_dscnt 0x1
	v_fmac_f64_e32 v[2:3], v[136:137], v[130:131]
	scratch_load_b128 v[134:137], off, off offset:312
	s_wait_loadcnt 0x4
	v_fmac_f64_e32 v[2:3], v[122:123], v[132:133]
	scratch_load_b128 v[130:133], off, off offset:328
	s_wait_dscnt 0x0
	v_fmac_f64_e32 v[2:3], v[124:125], v[138:139]
	s_wait_loadcnt 0x4
	s_delay_alu instid0(VALU_DEP_1)
	v_fmac_f64_e32 v[2:3], v[114:115], v[140:141]
	ds_load_b128 v[122:125], v110 offset:704
	ds_load_b128 v[138:141], v110 offset:720
	s_wait_dscnt 0x1
	v_fmac_f64_e32 v[2:3], v[116:117], v[122:123]
	scratch_load_b128 v[114:117], off, off offset:344
	s_wait_loadcnt 0x4
	v_fmac_f64_e32 v[2:3], v[126:127], v[124:125]
	scratch_load_b128 v[122:125], off, off offset:360
	s_wait_dscnt 0x0
	v_fmac_f64_e32 v[2:3], v[128:129], v[138:139]
	s_wait_loadcnt 0x4
	s_delay_alu instid0(VALU_DEP_1)
	;; [unrolled: 13-line block ×3, first 2 shown]
	v_fmac_f64_e32 v[2:3], v[130:131], v[140:141]
	ds_load_b128 v[134:137], v110 offset:768
	ds_load_b128 v[138:141], v110 offset:784
	s_wait_dscnt 0x1
	v_fmac_f64_e32 v[2:3], v[132:133], v[134:135]
	scratch_load_b128 v[130:133], off, off offset:408
	s_wait_loadcnt 0x4
	v_fmac_f64_e32 v[2:3], v[114:115], v[136:137]
	s_wait_dscnt 0x0
	s_delay_alu instid0(VALU_DEP_1)
	v_fmac_f64_e32 v[2:3], v[116:117], v[138:139]
	ds_load_b128 v[114:117], v110 offset:800
	ds_load_b128 v[134:137], v110 offset:816
	s_wait_loadcnt 0x3
	v_fmac_f64_e32 v[2:3], v[122:123], v[140:141]
	s_wait_dscnt 0x1
	s_delay_alu instid0(VALU_DEP_1) | instskip(SKIP_1) | instid1(VALU_DEP_1)
	v_fmac_f64_e32 v[2:3], v[124:125], v[114:115]
	s_wait_loadcnt 0x2
	v_fmac_f64_e32 v[2:3], v[118:119], v[116:117]
	ds_load_b128 v[114:117], v110 offset:832
	s_wait_dscnt 0x1
	v_fmac_f64_e32 v[2:3], v[120:121], v[134:135]
	s_wait_loadcnt 0x1
	s_delay_alu instid0(VALU_DEP_1) | instskip(SKIP_1) | instid1(VALU_DEP_1)
	v_fmac_f64_e32 v[2:3], v[126:127], v[136:137]
	s_wait_dscnt 0x0
	v_fmac_f64_e32 v[2:3], v[128:129], v[114:115]
	ds_load_b64 v[114:115], v110 offset:848
	s_wait_loadcnt 0x0
	v_fmac_f64_e32 v[2:3], v[130:131], v[116:117]
	s_wait_dscnt 0x0
	s_delay_alu instid0(VALU_DEP_1) | instskip(NEXT) | instid1(VALU_DEP_1)
	v_fmac_f64_e32 v[2:3], v[132:133], v[114:115]
	v_add_f64_e64 v[2:3], v[112:113], -v[2:3]
	scratch_store_b64 off, v[2:3], off offset:8
	s_wait_xcnt 0x0
	v_cmpx_ne_u32_e32 0, v0
	s_cbranch_execz .LBB116_327
; %bb.326:
	scratch_load_b64 v[2:3], off, off
	v_mov_b64_e32 v[112:113], 0
	scratch_store_b64 off, v[112:113], off
	s_wait_loadcnt 0x0
	ds_store_b64 v1, v[2:3]
.LBB116_327:
	s_wait_xcnt 0x0
	s_or_b32 exec_lo, exec_lo, s0
	s_wait_storecnt_dscnt 0x0
	s_barrier_signal -1
	s_barrier_wait -1
	s_clause 0x5
	scratch_load_b128 v[112:115], off, off
	scratch_load_b128 v[0:3], off, off offset:16
	scratch_load_b128 v[116:119], off, off offset:32
	;; [unrolled: 1-line block ×5, first 2 shown]
	ds_load_2addr_b64 v[132:135], v110 offset0:55 offset1:56
	scratch_load_b128 v[136:139], off, off offset:96
	s_and_b32 vcc_lo, exec_lo, s12
	s_wait_loadcnt_dscnt 0x600
	v_fma_f64 v[140:141], v[114:115], v[132:133], 0
	s_wait_loadcnt 0x5
	s_delay_alu instid0(VALU_DEP_1)
	v_fmac_f64_e32 v[140:141], v[0:1], v[134:135]
	ds_load_2addr_b64 v[132:135], v110 offset0:57 offset1:58
	s_wait_dscnt 0x0
	v_fmac_f64_e32 v[140:141], v[2:3], v[132:133]
	scratch_load_b128 v[0:3], off, off offset:112
	s_wait_loadcnt 0x5
	v_fmac_f64_e32 v[140:141], v[116:117], v[134:135]
	ds_load_2addr_b64 v[114:117], v110 offset0:59 offset1:60
	scratch_load_b128 v[132:135], off, off offset:128
	s_wait_dscnt 0x0
	v_fmac_f64_e32 v[140:141], v[118:119], v[114:115]
	s_wait_loadcnt 0x5
	s_delay_alu instid0(VALU_DEP_1)
	v_fmac_f64_e32 v[140:141], v[120:121], v[116:117]
	ds_load_2addr_b64 v[114:117], v110 offset0:61 offset1:62
	scratch_load_b128 v[118:121], off, off offset:144
	s_wait_dscnt 0x0
	v_fmac_f64_e32 v[140:141], v[122:123], v[114:115]
	s_wait_loadcnt 0x5
	s_delay_alu instid0(VALU_DEP_1)
	;; [unrolled: 7-line block ×4, first 2 shown]
	v_fmac_f64_e32 v[140:141], v[136:137], v[116:117]
	ds_load_2addr_b64 v[114:117], v110 offset0:67 offset1:68
	s_wait_dscnt 0x0
	v_fmac_f64_e32 v[140:141], v[138:139], v[114:115]
	scratch_load_b128 v[136:139], off, off offset:192
	s_wait_loadcnt 0x5
	v_fmac_f64_e32 v[140:141], v[0:1], v[116:117]
	ds_load_2addr_b64 v[114:117], v110 offset0:69 offset1:70
	s_wait_dscnt 0x0
	v_fmac_f64_e32 v[140:141], v[2:3], v[114:115]
	scratch_load_b128 v[0:3], off, off offset:208
	s_wait_loadcnt 0x5
	v_fmac_f64_e32 v[140:141], v[132:133], v[116:117]
	ds_load_2addr_b64 v[114:117], v110 offset0:71 offset1:72
	scratch_load_b128 v[130:133], off, off offset:224
	s_wait_dscnt 0x0
	v_fmac_f64_e32 v[140:141], v[134:135], v[114:115]
	s_wait_loadcnt 0x5
	s_delay_alu instid0(VALU_DEP_1)
	v_fmac_f64_e32 v[140:141], v[118:119], v[116:117]
	ds_load_2addr_b64 v[114:117], v110 offset0:73 offset1:74
	s_wait_dscnt 0x0
	v_fmac_f64_e32 v[140:141], v[120:121], v[114:115]
	scratch_load_b128 v[118:121], off, off offset:240
	s_wait_loadcnt 0x5
	v_fmac_f64_e32 v[140:141], v[122:123], v[116:117]
	ds_load_2addr_b64 v[114:117], v110 offset0:75 offset1:76
	s_wait_dscnt 0x0
	v_fmac_f64_e32 v[140:141], v[124:125], v[114:115]
	scratch_load_b128 v[122:125], off, off offset:256
	s_wait_loadcnt 0x5
	;; [unrolled: 6-line block ×3, first 2 shown]
	v_fmac_f64_e32 v[140:141], v[136:137], v[116:117]
	ds_load_2addr_b64 v[114:117], v110 offset0:79 offset1:80
	scratch_load_b128 v[134:137], off, off offset:288
	s_wait_dscnt 0x0
	v_fmac_f64_e32 v[140:141], v[138:139], v[114:115]
	s_wait_loadcnt 0x5
	s_delay_alu instid0(VALU_DEP_1)
	v_fmac_f64_e32 v[140:141], v[0:1], v[116:117]
	ds_load_2addr_b64 v[114:117], v110 offset0:81 offset1:82
	s_wait_dscnt 0x0
	v_fmac_f64_e32 v[140:141], v[2:3], v[114:115]
	scratch_load_b128 v[0:3], off, off offset:304
	s_wait_loadcnt 0x5
	v_fmac_f64_e32 v[140:141], v[130:131], v[116:117]
	ds_load_2addr_b64 v[114:117], v110 offset0:83 offset1:84
	s_wait_dscnt 0x0
	v_fmac_f64_e32 v[140:141], v[132:133], v[114:115]
	scratch_load_b128 v[130:133], off, off offset:320
	s_wait_loadcnt 0x5
	;; [unrolled: 6-line block ×7, first 2 shown]
	v_fmac_f64_e32 v[140:141], v[130:131], v[116:117]
	ds_load_2addr_b64 v[114:117], v110 offset0:95 offset1:96
	scratch_load_b64 v[130:131], off, off offset:416
	s_wait_dscnt 0x0
	v_fmac_f64_e32 v[140:141], v[132:133], v[114:115]
	s_wait_loadcnt 0x5
	s_delay_alu instid0(VALU_DEP_1) | instskip(SKIP_4) | instid1(VALU_DEP_1)
	v_fmac_f64_e32 v[140:141], v[118:119], v[116:117]
	ds_load_2addr_b64 v[114:117], v110 offset0:97 offset1:98
	s_wait_dscnt 0x0
	v_fmac_f64_e32 v[140:141], v[120:121], v[114:115]
	s_wait_loadcnt 0x4
	v_fmac_f64_e32 v[140:141], v[122:123], v[116:117]
	ds_load_2addr_b64 v[114:117], v110 offset0:99 offset1:100
	s_wait_dscnt 0x0
	v_fmac_f64_e32 v[140:141], v[124:125], v[114:115]
	s_wait_loadcnt 0x3
	s_delay_alu instid0(VALU_DEP_1) | instskip(SKIP_4) | instid1(VALU_DEP_1)
	v_fmac_f64_e32 v[140:141], v[126:127], v[116:117]
	ds_load_2addr_b64 v[114:117], v110 offset0:101 offset1:102
	s_wait_dscnt 0x0
	v_fmac_f64_e32 v[140:141], v[128:129], v[114:115]
	s_wait_loadcnt 0x2
	v_fmac_f64_e32 v[140:141], v[134:135], v[116:117]
	ds_load_2addr_b64 v[114:117], v110 offset0:103 offset1:104
	s_wait_dscnt 0x0
	v_fmac_f64_e32 v[140:141], v[136:137], v[114:115]
	s_wait_loadcnt 0x1
	s_delay_alu instid0(VALU_DEP_1) | instskip(SKIP_4) | instid1(VALU_DEP_1)
	v_fmac_f64_e32 v[140:141], v[0:1], v[116:117]
	ds_load_2addr_b64 v[114:117], v110 offset0:105 offset1:106
	s_wait_dscnt 0x0
	v_fmac_f64_e32 v[140:141], v[2:3], v[114:115]
	s_wait_loadcnt 0x0
	v_fmac_f64_e32 v[140:141], v[130:131], v[116:117]
	s_delay_alu instid0(VALU_DEP_1)
	v_add_f64_e64 v[110:111], v[112:113], -v[140:141]
	scratch_store_b64 off, v[110:111], off
	s_cbranch_vccz .LBB116_432
; %bb.328:
	v_mov_b32_e32 v0, 0
	global_load_b32 v1, v0, s[8:9] offset:204
	s_wait_loadcnt 0x0
	v_cmp_ne_u32_e32 vcc_lo, 52, v1
	s_cbranch_vccz .LBB116_330
; %bb.329:
	v_lshlrev_b32_e32 v1, 3, v1
	scratch_load_b64 v[110:111], v1, off offset:-8
	s_wait_loadcnt 0x0
	scratch_store_b64 off, v[110:111], off offset:408
	scratch_store_b64 v1, v[2:3], off offset:-8
.LBB116_330:
	global_load_b32 v0, v0, s[8:9] offset:200
	s_wait_loadcnt 0x0
	v_cmp_eq_u32_e32 vcc_lo, 51, v0
	s_cbranch_vccnz .LBB116_332
; %bb.331:
	s_wait_xcnt 0x0
	v_lshlrev_b32_e32 v0, 3, v0
	s_delay_alu instid0(VALU_DEP_1)
	v_mov_b32_e32 v110, v0
	scratch_load_b64 v[0:1], v110, off offset:-8
	scratch_load_b64 v[2:3], off, off offset:400
	s_wait_loadcnt 0x1
	scratch_store_b64 off, v[0:1], off offset:400
	s_wait_loadcnt 0x0
	scratch_store_b64 v110, v[2:3], off offset:-8
.LBB116_332:
	s_wait_xcnt 0x0
	v_mov_b32_e32 v0, 0
	global_load_b32 v1, v0, s[8:9] offset:196
	s_wait_loadcnt 0x0
	v_cmp_eq_u32_e32 vcc_lo, 50, v1
	s_cbranch_vccnz .LBB116_334
; %bb.333:
	v_lshlrev_b32_e32 v1, 3, v1
	scratch_load_b64 v[2:3], v1, off offset:-8
	scratch_load_b64 v[110:111], off, off offset:392
	s_wait_loadcnt 0x1
	scratch_store_b64 off, v[2:3], off offset:392
	s_wait_loadcnt 0x0
	scratch_store_b64 v1, v[110:111], off offset:-8
.LBB116_334:
	global_load_b32 v0, v0, s[8:9] offset:192
	s_wait_loadcnt 0x0
	v_cmp_eq_u32_e32 vcc_lo, 49, v0
	s_cbranch_vccnz .LBB116_336
; %bb.335:
	s_wait_xcnt 0x0
	v_lshlrev_b32_e32 v0, 3, v0
	s_delay_alu instid0(VALU_DEP_1)
	v_mov_b32_e32 v110, v0
	scratch_load_b64 v[0:1], v110, off offset:-8
	scratch_load_b64 v[2:3], off, off offset:384
	s_wait_loadcnt 0x1
	scratch_store_b64 off, v[0:1], off offset:384
	s_wait_loadcnt 0x0
	scratch_store_b64 v110, v[2:3], off offset:-8
.LBB116_336:
	s_wait_xcnt 0x0
	v_mov_b32_e32 v0, 0
	global_load_b32 v1, v0, s[8:9] offset:188
	s_wait_loadcnt 0x0
	v_cmp_eq_u32_e32 vcc_lo, 48, v1
	s_cbranch_vccnz .LBB116_338
; %bb.337:
	v_lshlrev_b32_e32 v1, 3, v1
	scratch_load_b64 v[2:3], v1, off offset:-8
	scratch_load_b64 v[110:111], off, off offset:376
	s_wait_loadcnt 0x1
	scratch_store_b64 off, v[2:3], off offset:376
	s_wait_loadcnt 0x0
	scratch_store_b64 v1, v[110:111], off offset:-8
.LBB116_338:
	;; [unrolled: 31-line block ×25, first 2 shown]
	global_load_b32 v0, v0, s[8:9]
	scratch_load_b64 v[110:111], off, off
	s_wait_loadcnt 0x1
	v_cmp_eq_u32_e32 vcc_lo, 1, v0
	s_cbranch_vccnz .LBB116_432
; %bb.431:
	s_wait_xcnt 0x1
	v_lshlrev_b32_e32 v0, 3, v0
	s_delay_alu instid0(VALU_DEP_1)
	v_mov_b32_e32 v2, v0
	scratch_load_b64 v[0:1], v2, off offset:-8
	s_wait_loadcnt 0x0
	scratch_store_b64 off, v[0:1], off
	scratch_store_b64 v2, v[110:111], off offset:-8
	scratch_load_b64 v[110:111], off, off
.LBB116_432:
	s_wait_loadcnt 0x0
	flat_store_b64 v[4:5], v[110:111]
	scratch_load_b64 v[4:5], off, off offset:8
	v_lshl_add_u64 v[158:159], v[8:9], 3, s[2:3]
	v_lshl_add_u64 v[156:157], v[10:11], 3, s[2:3]
	;; [unrolled: 1-line block ×51, first 2 shown]
	s_wait_loadcnt 0x0
	flat_store_b64 v[6:7], v[4:5]
	scratch_load_b64 v[4:5], off, off offset:16
	s_wait_loadcnt 0x0
	flat_store_b64 v[158:159], v[4:5]
	scratch_load_b64 v[4:5], off, off offset:24
	;; [unrolled: 3-line block ×51, first 2 shown]
	s_wait_loadcnt 0x0
	flat_store_b64 v[0:1], v[2:3]
	s_sendmsg sendmsg(MSG_DEALLOC_VGPRS)
	s_endpgm
	.section	.rodata,"a",@progbits
	.p2align	6, 0x0
	.amdhsa_kernel _ZN9rocsolver6v33100L18getri_kernel_smallILi53EdPKPdEEvT1_iilPiilS6_bb
		.amdhsa_group_segment_fixed_size 856
		.amdhsa_private_segment_fixed_size 432
		.amdhsa_kernarg_size 60
		.amdhsa_user_sgpr_count 2
		.amdhsa_user_sgpr_dispatch_ptr 0
		.amdhsa_user_sgpr_queue_ptr 0
		.amdhsa_user_sgpr_kernarg_segment_ptr 1
		.amdhsa_user_sgpr_dispatch_id 0
		.amdhsa_user_sgpr_kernarg_preload_length 0
		.amdhsa_user_sgpr_kernarg_preload_offset 0
		.amdhsa_user_sgpr_private_segment_size 0
		.amdhsa_wavefront_size32 1
		.amdhsa_uses_dynamic_stack 0
		.amdhsa_enable_private_segment 1
		.amdhsa_system_sgpr_workgroup_id_x 1
		.amdhsa_system_sgpr_workgroup_id_y 0
		.amdhsa_system_sgpr_workgroup_id_z 0
		.amdhsa_system_sgpr_workgroup_info 0
		.amdhsa_system_vgpr_workitem_id 0
		.amdhsa_next_free_vgpr 160
		.amdhsa_next_free_sgpr 19
		.amdhsa_named_barrier_count 0
		.amdhsa_reserve_vcc 1
		.amdhsa_float_round_mode_32 0
		.amdhsa_float_round_mode_16_64 0
		.amdhsa_float_denorm_mode_32 3
		.amdhsa_float_denorm_mode_16_64 3
		.amdhsa_fp16_overflow 0
		.amdhsa_memory_ordered 1
		.amdhsa_forward_progress 1
		.amdhsa_inst_pref_size 255
		.amdhsa_round_robin_scheduling 0
		.amdhsa_exception_fp_ieee_invalid_op 0
		.amdhsa_exception_fp_denorm_src 0
		.amdhsa_exception_fp_ieee_div_zero 0
		.amdhsa_exception_fp_ieee_overflow 0
		.amdhsa_exception_fp_ieee_underflow 0
		.amdhsa_exception_fp_ieee_inexact 0
		.amdhsa_exception_int_div_zero 0
	.end_amdhsa_kernel
	.section	.text._ZN9rocsolver6v33100L18getri_kernel_smallILi53EdPKPdEEvT1_iilPiilS6_bb,"axG",@progbits,_ZN9rocsolver6v33100L18getri_kernel_smallILi53EdPKPdEEvT1_iilPiilS6_bb,comdat
.Lfunc_end116:
	.size	_ZN9rocsolver6v33100L18getri_kernel_smallILi53EdPKPdEEvT1_iilPiilS6_bb, .Lfunc_end116-_ZN9rocsolver6v33100L18getri_kernel_smallILi53EdPKPdEEvT1_iilPiilS6_bb
                                        ; -- End function
	.set _ZN9rocsolver6v33100L18getri_kernel_smallILi53EdPKPdEEvT1_iilPiilS6_bb.num_vgpr, 160
	.set _ZN9rocsolver6v33100L18getri_kernel_smallILi53EdPKPdEEvT1_iilPiilS6_bb.num_agpr, 0
	.set _ZN9rocsolver6v33100L18getri_kernel_smallILi53EdPKPdEEvT1_iilPiilS6_bb.numbered_sgpr, 19
	.set _ZN9rocsolver6v33100L18getri_kernel_smallILi53EdPKPdEEvT1_iilPiilS6_bb.num_named_barrier, 0
	.set _ZN9rocsolver6v33100L18getri_kernel_smallILi53EdPKPdEEvT1_iilPiilS6_bb.private_seg_size, 432
	.set _ZN9rocsolver6v33100L18getri_kernel_smallILi53EdPKPdEEvT1_iilPiilS6_bb.uses_vcc, 1
	.set _ZN9rocsolver6v33100L18getri_kernel_smallILi53EdPKPdEEvT1_iilPiilS6_bb.uses_flat_scratch, 1
	.set _ZN9rocsolver6v33100L18getri_kernel_smallILi53EdPKPdEEvT1_iilPiilS6_bb.has_dyn_sized_stack, 0
	.set _ZN9rocsolver6v33100L18getri_kernel_smallILi53EdPKPdEEvT1_iilPiilS6_bb.has_recursion, 0
	.set _ZN9rocsolver6v33100L18getri_kernel_smallILi53EdPKPdEEvT1_iilPiilS6_bb.has_indirect_call, 0
	.section	.AMDGPU.csdata,"",@progbits
; Kernel info:
; codeLenInByte = 52728
; TotalNumSgprs: 21
; NumVgprs: 160
; ScratchSize: 432
; MemoryBound: 0
; FloatMode: 240
; IeeeMode: 1
; LDSByteSize: 856 bytes/workgroup (compile time only)
; SGPRBlocks: 0
; VGPRBlocks: 9
; NumSGPRsForWavesPerEU: 21
; NumVGPRsForWavesPerEU: 160
; NamedBarCnt: 0
; Occupancy: 6
; WaveLimiterHint : 1
; COMPUTE_PGM_RSRC2:SCRATCH_EN: 1
; COMPUTE_PGM_RSRC2:USER_SGPR: 2
; COMPUTE_PGM_RSRC2:TRAP_HANDLER: 0
; COMPUTE_PGM_RSRC2:TGID_X_EN: 1
; COMPUTE_PGM_RSRC2:TGID_Y_EN: 0
; COMPUTE_PGM_RSRC2:TGID_Z_EN: 0
; COMPUTE_PGM_RSRC2:TIDIG_COMP_CNT: 0
	.section	.text._ZN9rocsolver6v33100L18getri_kernel_smallILi54EdPKPdEEvT1_iilPiilS6_bb,"axG",@progbits,_ZN9rocsolver6v33100L18getri_kernel_smallILi54EdPKPdEEvT1_iilPiilS6_bb,comdat
	.globl	_ZN9rocsolver6v33100L18getri_kernel_smallILi54EdPKPdEEvT1_iilPiilS6_bb ; -- Begin function _ZN9rocsolver6v33100L18getri_kernel_smallILi54EdPKPdEEvT1_iilPiilS6_bb
	.p2align	8
	.type	_ZN9rocsolver6v33100L18getri_kernel_smallILi54EdPKPdEEvT1_iilPiilS6_bb,@function
_ZN9rocsolver6v33100L18getri_kernel_smallILi54EdPKPdEEvT1_iilPiilS6_bb: ; @_ZN9rocsolver6v33100L18getri_kernel_smallILi54EdPKPdEEvT1_iilPiilS6_bb
; %bb.0:
	s_mov_b32 s2, exec_lo
	v_cmpx_gt_u32_e32 54, v0
	s_cbranch_execz .LBB117_226
; %bb.1:
	s_clause 0x1
	s_load_b32 s13, s[0:1], 0x38
	s_load_b64 s[2:3], s[0:1], 0x0
	s_getreg_b32 s6, hwreg(HW_REG_IB_STS2, 6, 4)
	s_wait_kmcnt 0x0
	s_bitcmp1_b32 s13, 8
	s_cselect_b32 s12, -1, 0
	s_bfe_u32 s4, ttmp6, 0x4000c
	s_and_b32 s5, ttmp6, 15
	s_add_co_i32 s4, s4, 1
	s_delay_alu instid0(SALU_CYCLE_1) | instskip(NEXT) | instid1(SALU_CYCLE_1)
	s_mul_i32 s4, ttmp9, s4
	s_add_co_i32 s5, s5, s4
	s_cmp_eq_u32 s6, 0
	s_cselect_b32 s10, ttmp9, s5
	s_load_b128 s[4:7], s[0:1], 0x28
	s_ashr_i32 s11, s10, 31
	s_delay_alu instid0(SALU_CYCLE_1) | instskip(NEXT) | instid1(SALU_CYCLE_1)
	s_lshl_b64 s[8:9], s[10:11], 3
	s_add_nc_u64 s[2:3], s[2:3], s[8:9]
	s_bfe_u32 s8, s13, 0x10008
	s_load_b64 s[2:3], s[2:3], 0x0
	s_cmp_eq_u32 s8, 0
                                        ; implicit-def: $sgpr8_sgpr9
	s_cbranch_scc1 .LBB117_3
; %bb.2:
	s_load_b96 s[16:18], s[0:1], 0x18
	s_wait_kmcnt 0x0
	s_mul_u64 s[4:5], s[4:5], s[10:11]
	s_delay_alu instid0(SALU_CYCLE_1) | instskip(SKIP_4) | instid1(SALU_CYCLE_1)
	s_lshl_b64 s[4:5], s[4:5], 2
	s_ashr_i32 s9, s18, 31
	s_mov_b32 s8, s18
	s_add_nc_u64 s[4:5], s[16:17], s[4:5]
	s_lshl_b64 s[8:9], s[8:9], 2
	s_add_nc_u64 s[8:9], s[4:5], s[8:9]
.LBB117_3:
	s_wait_kmcnt 0x0
	s_clause 0x1
	s_load_b64 s[4:5], s[0:1], 0x8
	s_load_b32 s13, s[0:1], 0x38
	v_dual_mov_b32 v3, 0 :: v_dual_lshlrev_b32 v2, 3, v0
	s_wait_kmcnt 0x0
	s_ashr_i32 s1, s4, 31
	s_mov_b32 s0, s4
	s_delay_alu instid0(SALU_CYCLE_1) | instskip(NEXT) | instid1(SALU_CYCLE_1)
	s_lshl_b64 s[0:1], s[0:1], 3
	s_add_nc_u64 s[2:3], s[2:3], s[0:1]
	s_ashr_i32 s1, s5, 31
	flat_load_b64 v[8:9], v0, s[2:3] scale_offset
	v_add_nc_u64_e32 v[4:5], s[2:3], v[2:3]
	s_mov_b32 s0, s5
	s_bitcmp0_b32 s13, 0
	s_delay_alu instid0(VALU_DEP_1)
	v_lshl_add_u64 v[6:7], s[0:1], 3, v[4:5]
	s_mov_b32 s1, -1
	s_wait_loadcnt_dscnt 0x0
	scratch_store_b64 off, v[8:9], off
	flat_load_b64 v[10:11], v[6:7]
	s_wait_xcnt 0x1
	v_add3_u32 v8, s5, s5, v0
	s_wait_loadcnt_dscnt 0x0
	scratch_store_b64 off, v[10:11], off offset:8
	flat_load_b64 v[12:13], v8, s[2:3] scale_offset
	s_wait_xcnt 0x1
	v_add_nc_u32_e32 v10, s5, v8
	s_wait_loadcnt_dscnt 0x0
	scratch_store_b64 off, v[12:13], off offset:16
	flat_load_b64 v[14:15], v10, s[2:3] scale_offset
	s_wait_xcnt 0x1
	v_add_nc_u32_e32 v12, s5, v10
	s_wait_loadcnt_dscnt 0x0
	scratch_store_b64 off, v[14:15], off offset:24
	flat_load_b64 v[16:17], v12, s[2:3] scale_offset
	s_wait_xcnt 0x1
	v_add_nc_u32_e32 v14, s5, v12
	s_wait_loadcnt_dscnt 0x0
	scratch_store_b64 off, v[16:17], off offset:32
	flat_load_b64 v[18:19], v14, s[2:3] scale_offset
	s_wait_xcnt 0x1
	v_add_nc_u32_e32 v16, s5, v14
	s_wait_loadcnt_dscnt 0x0
	scratch_store_b64 off, v[18:19], off offset:40
	flat_load_b64 v[20:21], v16, s[2:3] scale_offset
	s_wait_xcnt 0x1
	v_add_nc_u32_e32 v18, s5, v16
	s_wait_loadcnt_dscnt 0x0
	scratch_store_b64 off, v[20:21], off offset:48
	flat_load_b64 v[22:23], v18, s[2:3] scale_offset
	s_wait_xcnt 0x1
	v_add_nc_u32_e32 v20, s5, v18
	s_wait_loadcnt_dscnt 0x0
	scratch_store_b64 off, v[22:23], off offset:56
	flat_load_b64 v[24:25], v20, s[2:3] scale_offset
	s_wait_xcnt 0x1
	v_add_nc_u32_e32 v22, s5, v20
	s_wait_loadcnt_dscnt 0x0
	scratch_store_b64 off, v[24:25], off offset:64
	flat_load_b64 v[26:27], v22, s[2:3] scale_offset
	s_wait_xcnt 0x1
	v_add_nc_u32_e32 v24, s5, v22
	s_wait_loadcnt_dscnt 0x0
	scratch_store_b64 off, v[26:27], off offset:72
	flat_load_b64 v[28:29], v24, s[2:3] scale_offset
	s_wait_xcnt 0x1
	v_add_nc_u32_e32 v26, s5, v24
	s_wait_loadcnt_dscnt 0x0
	scratch_store_b64 off, v[28:29], off offset:80
	flat_load_b64 v[30:31], v26, s[2:3] scale_offset
	s_wait_xcnt 0x1
	v_add_nc_u32_e32 v28, s5, v26
	s_wait_loadcnt_dscnt 0x0
	scratch_store_b64 off, v[30:31], off offset:88
	flat_load_b64 v[32:33], v28, s[2:3] scale_offset
	s_wait_xcnt 0x1
	v_add_nc_u32_e32 v30, s5, v28
	s_wait_loadcnt_dscnt 0x0
	scratch_store_b64 off, v[32:33], off offset:96
	flat_load_b64 v[34:35], v30, s[2:3] scale_offset
	s_wait_xcnt 0x1
	v_add_nc_u32_e32 v32, s5, v30
	s_wait_loadcnt_dscnt 0x0
	scratch_store_b64 off, v[34:35], off offset:104
	flat_load_b64 v[36:37], v32, s[2:3] scale_offset
	s_wait_xcnt 0x1
	v_add_nc_u32_e32 v34, s5, v32
	s_wait_loadcnt_dscnt 0x0
	scratch_store_b64 off, v[36:37], off offset:112
	flat_load_b64 v[38:39], v34, s[2:3] scale_offset
	s_wait_xcnt 0x1
	v_add_nc_u32_e32 v36, s5, v34
	s_wait_loadcnt_dscnt 0x0
	scratch_store_b64 off, v[38:39], off offset:120
	flat_load_b64 v[40:41], v36, s[2:3] scale_offset
	s_wait_xcnt 0x1
	v_add_nc_u32_e32 v38, s5, v36
	s_wait_loadcnt_dscnt 0x0
	scratch_store_b64 off, v[40:41], off offset:128
	flat_load_b64 v[42:43], v38, s[2:3] scale_offset
	s_wait_xcnt 0x1
	v_add_nc_u32_e32 v40, s5, v38
	s_wait_loadcnt_dscnt 0x0
	scratch_store_b64 off, v[42:43], off offset:136
	flat_load_b64 v[44:45], v40, s[2:3] scale_offset
	s_wait_xcnt 0x1
	v_add_nc_u32_e32 v42, s5, v40
	s_wait_loadcnt_dscnt 0x0
	scratch_store_b64 off, v[44:45], off offset:144
	flat_load_b64 v[46:47], v42, s[2:3] scale_offset
	s_wait_xcnt 0x1
	v_add_nc_u32_e32 v44, s5, v42
	s_wait_loadcnt_dscnt 0x0
	scratch_store_b64 off, v[46:47], off offset:152
	flat_load_b64 v[48:49], v44, s[2:3] scale_offset
	s_wait_xcnt 0x1
	v_add_nc_u32_e32 v46, s5, v44
	s_wait_loadcnt_dscnt 0x0
	scratch_store_b64 off, v[48:49], off offset:160
	flat_load_b64 v[50:51], v46, s[2:3] scale_offset
	s_wait_xcnt 0x1
	v_add_nc_u32_e32 v48, s5, v46
	s_wait_loadcnt_dscnt 0x0
	scratch_store_b64 off, v[50:51], off offset:168
	flat_load_b64 v[52:53], v48, s[2:3] scale_offset
	s_wait_xcnt 0x1
	v_add_nc_u32_e32 v50, s5, v48
	s_wait_loadcnt_dscnt 0x0
	scratch_store_b64 off, v[52:53], off offset:176
	flat_load_b64 v[54:55], v50, s[2:3] scale_offset
	s_wait_xcnt 0x1
	v_add_nc_u32_e32 v52, s5, v50
	s_wait_loadcnt_dscnt 0x0
	scratch_store_b64 off, v[54:55], off offset:184
	flat_load_b64 v[56:57], v52, s[2:3] scale_offset
	s_wait_xcnt 0x1
	v_add_nc_u32_e32 v54, s5, v52
	s_wait_loadcnt_dscnt 0x0
	scratch_store_b64 off, v[56:57], off offset:192
	flat_load_b64 v[58:59], v54, s[2:3] scale_offset
	s_wait_xcnt 0x1
	v_add_nc_u32_e32 v56, s5, v54
	s_wait_loadcnt_dscnt 0x0
	scratch_store_b64 off, v[58:59], off offset:200
	flat_load_b64 v[60:61], v56, s[2:3] scale_offset
	s_wait_xcnt 0x1
	v_add_nc_u32_e32 v58, s5, v56
	s_wait_loadcnt_dscnt 0x0
	scratch_store_b64 off, v[60:61], off offset:208
	flat_load_b64 v[62:63], v58, s[2:3] scale_offset
	s_wait_xcnt 0x1
	v_add_nc_u32_e32 v60, s5, v58
	s_wait_loadcnt_dscnt 0x0
	scratch_store_b64 off, v[62:63], off offset:216
	flat_load_b64 v[64:65], v60, s[2:3] scale_offset
	s_wait_xcnt 0x1
	v_add_nc_u32_e32 v62, s5, v60
	s_wait_loadcnt_dscnt 0x0
	scratch_store_b64 off, v[64:65], off offset:224
	flat_load_b64 v[66:67], v62, s[2:3] scale_offset
	s_wait_xcnt 0x1
	v_add_nc_u32_e32 v64, s5, v62
	s_wait_loadcnt_dscnt 0x0
	scratch_store_b64 off, v[66:67], off offset:232
	flat_load_b64 v[68:69], v64, s[2:3] scale_offset
	s_wait_xcnt 0x1
	v_add_nc_u32_e32 v66, s5, v64
	s_wait_loadcnt_dscnt 0x0
	scratch_store_b64 off, v[68:69], off offset:240
	flat_load_b64 v[70:71], v66, s[2:3] scale_offset
	s_wait_xcnt 0x1
	v_add_nc_u32_e32 v68, s5, v66
	s_wait_loadcnt_dscnt 0x0
	scratch_store_b64 off, v[70:71], off offset:248
	flat_load_b64 v[72:73], v68, s[2:3] scale_offset
	s_wait_xcnt 0x1
	v_add_nc_u32_e32 v70, s5, v68
	s_wait_loadcnt_dscnt 0x0
	scratch_store_b64 off, v[72:73], off offset:256
	flat_load_b64 v[74:75], v70, s[2:3] scale_offset
	s_wait_xcnt 0x1
	v_add_nc_u32_e32 v72, s5, v70
	s_wait_loadcnt_dscnt 0x0
	scratch_store_b64 off, v[74:75], off offset:264
	flat_load_b64 v[76:77], v72, s[2:3] scale_offset
	s_wait_xcnt 0x1
	v_add_nc_u32_e32 v74, s5, v72
	s_wait_loadcnt_dscnt 0x0
	scratch_store_b64 off, v[76:77], off offset:272
	flat_load_b64 v[78:79], v74, s[2:3] scale_offset
	s_wait_xcnt 0x1
	v_add_nc_u32_e32 v76, s5, v74
	s_wait_loadcnt_dscnt 0x0
	scratch_store_b64 off, v[78:79], off offset:280
	flat_load_b64 v[80:81], v76, s[2:3] scale_offset
	s_wait_xcnt 0x1
	v_add_nc_u32_e32 v78, s5, v76
	s_wait_loadcnt_dscnt 0x0
	scratch_store_b64 off, v[80:81], off offset:288
	flat_load_b64 v[82:83], v78, s[2:3] scale_offset
	s_wait_xcnt 0x1
	v_add_nc_u32_e32 v80, s5, v78
	s_wait_loadcnt_dscnt 0x0
	scratch_store_b64 off, v[82:83], off offset:296
	flat_load_b64 v[84:85], v80, s[2:3] scale_offset
	s_wait_xcnt 0x1
	v_add_nc_u32_e32 v82, s5, v80
	s_wait_loadcnt_dscnt 0x0
	scratch_store_b64 off, v[84:85], off offset:304
	flat_load_b64 v[86:87], v82, s[2:3] scale_offset
	s_wait_xcnt 0x1
	v_add_nc_u32_e32 v84, s5, v82
	s_wait_loadcnt_dscnt 0x0
	scratch_store_b64 off, v[86:87], off offset:312
	flat_load_b64 v[88:89], v84, s[2:3] scale_offset
	s_wait_xcnt 0x1
	v_add_nc_u32_e32 v86, s5, v84
	s_wait_loadcnt_dscnt 0x0
	scratch_store_b64 off, v[88:89], off offset:320
	flat_load_b64 v[90:91], v86, s[2:3] scale_offset
	s_wait_xcnt 0x1
	v_add_nc_u32_e32 v88, s5, v86
	s_wait_loadcnt_dscnt 0x0
	scratch_store_b64 off, v[90:91], off offset:328
	flat_load_b64 v[92:93], v88, s[2:3] scale_offset
	s_wait_xcnt 0x1
	v_add_nc_u32_e32 v90, s5, v88
	s_wait_loadcnt_dscnt 0x0
	scratch_store_b64 off, v[92:93], off offset:336
	flat_load_b64 v[94:95], v90, s[2:3] scale_offset
	s_wait_xcnt 0x1
	v_add_nc_u32_e32 v92, s5, v90
	s_wait_loadcnt_dscnt 0x0
	scratch_store_b64 off, v[94:95], off offset:344
	flat_load_b64 v[96:97], v92, s[2:3] scale_offset
	s_wait_xcnt 0x1
	v_add_nc_u32_e32 v94, s5, v92
	s_wait_loadcnt_dscnt 0x0
	scratch_store_b64 off, v[96:97], off offset:352
	flat_load_b64 v[98:99], v94, s[2:3] scale_offset
	s_wait_xcnt 0x1
	v_add_nc_u32_e32 v96, s5, v94
	s_wait_loadcnt_dscnt 0x0
	scratch_store_b64 off, v[98:99], off offset:360
	flat_load_b64 v[100:101], v96, s[2:3] scale_offset
	s_wait_xcnt 0x1
	v_add_nc_u32_e32 v98, s5, v96
	s_wait_loadcnt_dscnt 0x0
	scratch_store_b64 off, v[100:101], off offset:368
	flat_load_b64 v[102:103], v98, s[2:3] scale_offset
	s_wait_xcnt 0x1
	v_add_nc_u32_e32 v100, s5, v98
	s_wait_loadcnt_dscnt 0x0
	scratch_store_b64 off, v[102:103], off offset:376
	flat_load_b64 v[104:105], v100, s[2:3] scale_offset
	s_wait_xcnt 0x1
	v_add_nc_u32_e32 v102, s5, v100
	s_wait_loadcnt_dscnt 0x0
	scratch_store_b64 off, v[104:105], off offset:384
	flat_load_b64 v[106:107], v102, s[2:3] scale_offset
	s_wait_xcnt 0x1
	v_add_nc_u32_e32 v104, s5, v102
	s_wait_loadcnt_dscnt 0x0
	scratch_store_b64 off, v[106:107], off offset:392
	flat_load_b64 v[108:109], v104, s[2:3] scale_offset
	s_wait_xcnt 0x1
	v_add_nc_u32_e32 v106, s5, v104
	s_wait_loadcnt_dscnt 0x0
	scratch_store_b64 off, v[108:109], off offset:400
	flat_load_b64 v[110:111], v106, s[2:3] scale_offset
	s_wait_xcnt 0x1
	v_add_nc_u32_e32 v108, s5, v106
	s_wait_loadcnt_dscnt 0x0
	scratch_store_b64 off, v[110:111], off offset:408
	flat_load_b64 v[112:113], v108, s[2:3] scale_offset
	s_wait_xcnt 0x1
	v_add_nc_u32_e32 v110, s5, v108
	s_wait_loadcnt_dscnt 0x0
	scratch_store_b64 off, v[112:113], off offset:416
	flat_load_b64 v[112:113], v110, s[2:3] scale_offset
	s_wait_loadcnt_dscnt 0x0
	scratch_store_b64 off, v[112:113], off offset:424
	s_cbranch_scc1 .LBB117_224
; %bb.4:
	v_cmp_eq_u32_e64 s0, 0, v0
	s_wait_xcnt 0x0
	s_and_saveexec_b32 s1, s0
; %bb.5:
	v_mov_b32_e32 v1, 0
	ds_store_b32 v1, v1 offset:864
; %bb.6:
	s_or_b32 exec_lo, exec_lo, s1
	s_wait_storecnt_dscnt 0x0
	s_barrier_signal -1
	s_barrier_wait -1
	scratch_load_b64 v[112:113], v0, off scale_offset
	s_mov_b32 s4, exec_lo
	s_wait_loadcnt 0x0
	v_cmpx_eq_f64_e32 0, v[112:113]
	s_cbranch_execz .LBB117_10
; %bb.7:
	v_mov_b32_e32 v1, 0
	s_mov_b32 s5, 0
	ds_load_b32 v3, v1 offset:864
	s_wait_dscnt 0x0
	v_readfirstlane_b32 s1, v3
	v_add_nc_u32_e32 v3, 1, v0
	s_cmp_eq_u32 s1, 0
	s_delay_alu instid0(VALU_DEP_1) | instskip(SKIP_1) | instid1(SALU_CYCLE_1)
	v_cmp_gt_i32_e32 vcc_lo, s1, v3
	s_cselect_b32 s13, -1, 0
	s_or_b32 s13, s13, vcc_lo
	s_delay_alu instid0(SALU_CYCLE_1)
	s_and_b32 exec_lo, exec_lo, s13
	s_cbranch_execz .LBB117_10
; %bb.8:
	v_mov_b32_e32 v9, s1
.LBB117_9:                              ; =>This Inner Loop Header: Depth=1
	ds_cmpstore_rtn_b32 v9, v1, v3, v9 offset:864
	s_wait_dscnt 0x0
	v_cmp_ne_u32_e32 vcc_lo, 0, v9
	v_cmp_le_i32_e64 s1, v9, v3
	s_and_b32 s1, vcc_lo, s1
	s_delay_alu instid0(SALU_CYCLE_1) | instskip(NEXT) | instid1(SALU_CYCLE_1)
	s_and_b32 s1, exec_lo, s1
	s_or_b32 s5, s1, s5
	s_delay_alu instid0(SALU_CYCLE_1)
	s_and_not1_b32 exec_lo, exec_lo, s5
	s_cbranch_execnz .LBB117_9
.LBB117_10:
	s_or_b32 exec_lo, exec_lo, s4
	v_mov_b32_e32 v1, 0
	s_barrier_signal -1
	s_barrier_wait -1
	ds_load_b32 v3, v1 offset:864
	s_and_saveexec_b32 s1, s0
	s_cbranch_execz .LBB117_12
; %bb.11:
	s_lshl_b64 s[4:5], s[10:11], 2
	s_delay_alu instid0(SALU_CYCLE_1)
	s_add_nc_u64 s[4:5], s[6:7], s[4:5]
	s_wait_dscnt 0x0
	global_store_b32 v1, v3, s[4:5]
.LBB117_12:
	s_wait_xcnt 0x0
	s_or_b32 exec_lo, exec_lo, s1
	s_wait_dscnt 0x0
	v_cmp_ne_u32_e32 vcc_lo, 0, v3
	s_mov_b32 s1, 0
	s_cbranch_vccnz .LBB117_224
; %bb.13:
	v_lshl_add_u32 v3, v0, 3, 0
	v_add_nc_u32_e32 v1, 0x1b0, v2
	scratch_load_b64 v[112:113], v3, off
	s_wait_loadcnt 0x0
	v_div_scale_f64 v[114:115], null, v[112:113], v[112:113], 1.0
	v_div_scale_f64 v[120:121], vcc_lo, 1.0, v[112:113], 1.0
	s_delay_alu instid0(VALU_DEP_2) | instskip(SKIP_1) | instid1(TRANS32_DEP_1)
	v_rcp_f64_e32 v[116:117], v[114:115]
	v_nop
	v_fma_f64 v[118:119], -v[114:115], v[116:117], 1.0
	s_delay_alu instid0(VALU_DEP_1) | instskip(NEXT) | instid1(VALU_DEP_1)
	v_fmac_f64_e32 v[116:117], v[116:117], v[118:119]
	v_fma_f64 v[118:119], -v[114:115], v[116:117], 1.0
	s_delay_alu instid0(VALU_DEP_1) | instskip(NEXT) | instid1(VALU_DEP_1)
	v_fmac_f64_e32 v[116:117], v[116:117], v[118:119]
	v_mul_f64_e32 v[118:119], v[120:121], v[116:117]
	s_delay_alu instid0(VALU_DEP_1) | instskip(NEXT) | instid1(VALU_DEP_1)
	v_fma_f64 v[114:115], -v[114:115], v[118:119], v[120:121]
	v_div_fmas_f64 v[114:115], v[114:115], v[116:117], v[118:119]
	s_delay_alu instid0(VALU_DEP_1)
	v_div_fixup_f64 v[112:113], v[114:115], v[112:113], 1.0
	scratch_store_b64 v3, v[112:113], off
	scratch_load_b64 v[114:115], off, off offset:8
	s_wait_xcnt 0x1
	v_xor_b32_e32 v113, 0x80000000, v113
	s_wait_loadcnt 0x0
	ds_store_2addr_b64 v2, v[112:113], v[114:115] offset1:54
	s_wait_storecnt_dscnt 0x0
	s_barrier_signal -1
	s_barrier_wait -1
	s_wait_xcnt 0x0
	s_and_saveexec_b32 s1, s0
	s_cbranch_execz .LBB117_15
; %bb.14:
	scratch_load_b64 v[112:113], v3, off
	ds_load_b64 v[114:115], v1
	s_wait_loadcnt_dscnt 0x0
	v_fma_f64 v[112:113], v[112:113], v[114:115], 0
	v_mov_b32_e32 v9, 0
	ds_load_b64 v[116:117], v9 offset:8
	s_wait_dscnt 0x0
	v_mul_f64_e32 v[112:113], v[112:113], v[116:117]
	scratch_store_b64 off, v[112:113], off offset:8
.LBB117_15:
	s_wait_xcnt 0x0
	s_or_b32 exec_lo, exec_lo, s1
	s_wait_storecnt 0x0
	s_barrier_signal -1
	s_barrier_wait -1
	scratch_load_b64 v[112:113], off, off offset:16
	s_mov_b32 s1, exec_lo
	s_wait_loadcnt 0x0
	ds_store_b64 v1, v[112:113]
	s_wait_dscnt 0x0
	s_barrier_signal -1
	s_barrier_wait -1
	v_cmpx_gt_u32_e32 2, v0
	s_cbranch_execz .LBB117_19
; %bb.16:
	scratch_load_b64 v[112:113], v3, off
	ds_load_b64 v[114:115], v1
	s_wait_loadcnt_dscnt 0x0
	v_fma_f64 v[112:113], v[112:113], v[114:115], 0
	s_and_saveexec_b32 s4, s0
	s_cbranch_execz .LBB117_18
; %bb.17:
	scratch_load_b64 v[114:115], off, off offset:8
	v_mov_b32_e32 v3, 0
	ds_load_b64 v[116:117], v3 offset:440
	s_wait_loadcnt_dscnt 0x0
	v_fmac_f64_e32 v[112:113], v[114:115], v[116:117]
.LBB117_18:
	s_or_b32 exec_lo, exec_lo, s4
	v_mov_b32_e32 v3, 0
	ds_load_b64 v[114:115], v3 offset:16
	s_wait_dscnt 0x0
	v_mul_f64_e32 v[112:113], v[112:113], v[114:115]
	scratch_store_b64 off, v[112:113], off offset:16
.LBB117_19:
	s_wait_xcnt 0x0
	s_or_b32 exec_lo, exec_lo, s1
	s_wait_storecnt 0x0
	s_barrier_signal -1
	s_barrier_wait -1
	scratch_load_b64 v[112:113], off, off offset:24
	v_add_nc_u32_e32 v3, -1, v0
	s_mov_b32 s0, exec_lo
	s_wait_loadcnt 0x0
	ds_store_b64 v1, v[112:113]
	s_wait_dscnt 0x0
	s_barrier_signal -1
	s_barrier_wait -1
	v_cmpx_gt_u32_e32 3, v0
	s_cbranch_execz .LBB117_23
; %bb.20:
	v_mov_b64_e32 v[112:113], 0
	v_dual_add_nc_u32 v9, -1, v0 :: v_dual_mov_b32 v13, v2
	v_add_nc_u32_e32 v11, 0x1b0, v2
	s_mov_b32 s1, 0
.LBB117_21:                             ; =>This Inner Loop Header: Depth=1
	scratch_load_b64 v[114:115], v13, off
	ds_load_b64 v[116:117], v11
	v_dual_add_nc_u32 v9, 1, v9 :: v_dual_add_nc_u32 v11, 8, v11
	s_wait_xcnt 0x0
	v_add_nc_u32_e32 v13, 8, v13
	s_delay_alu instid0(VALU_DEP_2)
	v_cmp_lt_u32_e32 vcc_lo, 1, v9
	s_or_b32 s1, vcc_lo, s1
	s_wait_loadcnt_dscnt 0x0
	v_fmac_f64_e32 v[112:113], v[114:115], v[116:117]
	s_and_not1_b32 exec_lo, exec_lo, s1
	s_cbranch_execnz .LBB117_21
; %bb.22:
	s_or_b32 exec_lo, exec_lo, s1
	v_mov_b32_e32 v9, 0
	ds_load_b64 v[114:115], v9 offset:24
	s_wait_dscnt 0x0
	v_mul_f64_e32 v[112:113], v[112:113], v[114:115]
	scratch_store_b64 off, v[112:113], off offset:24
.LBB117_23:
	s_wait_xcnt 0x0
	s_or_b32 exec_lo, exec_lo, s0
	s_wait_storecnt 0x0
	s_barrier_signal -1
	s_barrier_wait -1
	scratch_load_b64 v[112:113], off, off offset:32
	s_mov_b32 s0, exec_lo
	s_wait_loadcnt 0x0
	ds_store_b64 v1, v[112:113]
	s_wait_dscnt 0x0
	s_barrier_signal -1
	s_barrier_wait -1
	v_cmpx_gt_u32_e32 4, v0
	s_cbranch_execz .LBB117_27
; %bb.24:
	v_mov_b64_e32 v[112:113], 0
	v_dual_add_nc_u32 v9, -1, v0 :: v_dual_mov_b32 v13, v2
	v_add_nc_u32_e32 v11, 0x1b0, v2
	s_mov_b32 s1, 0
.LBB117_25:                             ; =>This Inner Loop Header: Depth=1
	scratch_load_b64 v[114:115], v13, off
	ds_load_b64 v[116:117], v11
	v_dual_add_nc_u32 v9, 1, v9 :: v_dual_add_nc_u32 v11, 8, v11
	s_wait_xcnt 0x0
	v_add_nc_u32_e32 v13, 8, v13
	s_delay_alu instid0(VALU_DEP_2)
	v_cmp_lt_u32_e32 vcc_lo, 2, v9
	s_or_b32 s1, vcc_lo, s1
	s_wait_loadcnt_dscnt 0x0
	v_fmac_f64_e32 v[112:113], v[114:115], v[116:117]
	s_and_not1_b32 exec_lo, exec_lo, s1
	s_cbranch_execnz .LBB117_25
; %bb.26:
	s_or_b32 exec_lo, exec_lo, s1
	v_mov_b32_e32 v9, 0
	ds_load_b64 v[114:115], v9 offset:32
	s_wait_dscnt 0x0
	v_mul_f64_e32 v[112:113], v[112:113], v[114:115]
	scratch_store_b64 off, v[112:113], off offset:32
.LBB117_27:
	s_wait_xcnt 0x0
	s_or_b32 exec_lo, exec_lo, s0
	s_wait_storecnt 0x0
	s_barrier_signal -1
	s_barrier_wait -1
	scratch_load_b64 v[112:113], off, off offset:40
	;; [unrolled: 40-line block ×20, first 2 shown]
	s_mov_b32 s0, exec_lo
	s_wait_loadcnt 0x0
	ds_store_b64 v1, v[112:113]
	s_wait_dscnt 0x0
	s_barrier_signal -1
	s_barrier_wait -1
	v_cmpx_gt_u32_e32 23, v0
	s_cbranch_execz .LBB117_103
; %bb.100:
	v_mov_b64_e32 v[112:113], 0
	v_dual_add_nc_u32 v9, -1, v0 :: v_dual_mov_b32 v13, v2
	v_add_nc_u32_e32 v11, 0x1b0, v2
	s_mov_b32 s1, 0
.LBB117_101:                            ; =>This Inner Loop Header: Depth=1
	scratch_load_b64 v[114:115], v13, off
	ds_load_b64 v[116:117], v11
	v_dual_add_nc_u32 v9, 1, v9 :: v_dual_add_nc_u32 v11, 8, v11
	s_wait_xcnt 0x0
	v_add_nc_u32_e32 v13, 8, v13
	s_delay_alu instid0(VALU_DEP_2)
	v_cmp_lt_u32_e32 vcc_lo, 21, v9
	s_or_b32 s1, vcc_lo, s1
	s_wait_loadcnt_dscnt 0x0
	v_fmac_f64_e32 v[112:113], v[114:115], v[116:117]
	s_and_not1_b32 exec_lo, exec_lo, s1
	s_cbranch_execnz .LBB117_101
; %bb.102:
	s_or_b32 exec_lo, exec_lo, s1
	v_mov_b32_e32 v9, 0
	ds_load_b64 v[114:115], v9 offset:184
	s_wait_dscnt 0x0
	v_mul_f64_e32 v[112:113], v[112:113], v[114:115]
	scratch_store_b64 off, v[112:113], off offset:184
.LBB117_103:
	s_wait_xcnt 0x0
	s_or_b32 exec_lo, exec_lo, s0
	s_wait_storecnt 0x0
	s_barrier_signal -1
	s_barrier_wait -1
	scratch_load_b64 v[112:113], off, off offset:192
	s_mov_b32 s0, exec_lo
	s_wait_loadcnt 0x0
	ds_store_b64 v1, v[112:113]
	s_wait_dscnt 0x0
	s_barrier_signal -1
	s_barrier_wait -1
	v_cmpx_gt_u32_e32 24, v0
	s_cbranch_execz .LBB117_107
; %bb.104:
	v_mov_b64_e32 v[112:113], 0
	v_dual_add_nc_u32 v9, -1, v0 :: v_dual_mov_b32 v13, v2
	v_add_nc_u32_e32 v11, 0x1b0, v2
	s_mov_b32 s1, 0
.LBB117_105:                            ; =>This Inner Loop Header: Depth=1
	scratch_load_b64 v[114:115], v13, off
	ds_load_b64 v[116:117], v11
	v_dual_add_nc_u32 v9, 1, v9 :: v_dual_add_nc_u32 v11, 8, v11
	s_wait_xcnt 0x0
	v_add_nc_u32_e32 v13, 8, v13
	s_delay_alu instid0(VALU_DEP_2)
	v_cmp_lt_u32_e32 vcc_lo, 22, v9
	s_or_b32 s1, vcc_lo, s1
	s_wait_loadcnt_dscnt 0x0
	v_fmac_f64_e32 v[112:113], v[114:115], v[116:117]
	s_and_not1_b32 exec_lo, exec_lo, s1
	s_cbranch_execnz .LBB117_105
; %bb.106:
	s_or_b32 exec_lo, exec_lo, s1
	v_mov_b32_e32 v9, 0
	ds_load_b64 v[114:115], v9 offset:192
	s_wait_dscnt 0x0
	v_mul_f64_e32 v[112:113], v[112:113], v[114:115]
	scratch_store_b64 off, v[112:113], off offset:192
.LBB117_107:
	s_wait_xcnt 0x0
	s_or_b32 exec_lo, exec_lo, s0
	s_wait_storecnt 0x0
	s_barrier_signal -1
	s_barrier_wait -1
	scratch_load_b64 v[112:113], off, off offset:200
	;; [unrolled: 40-line block ×30, first 2 shown]
	s_mov_b32 s0, exec_lo
	s_wait_loadcnt 0x0
	ds_store_b64 v1, v[112:113]
	s_wait_dscnt 0x0
	s_barrier_signal -1
	s_barrier_wait -1
	v_cmpx_ne_u32_e32 53, v0
	s_cbranch_execz .LBB117_223
; %bb.220:
	v_mov_b64_e32 v[112:113], 0
	s_mov_b32 s1, 0
.LBB117_221:                            ; =>This Inner Loop Header: Depth=1
	scratch_load_b64 v[114:115], v2, off
	ds_load_b64 v[116:117], v1
	v_dual_add_nc_u32 v3, 1, v3 :: v_dual_add_nc_u32 v1, 8, v1
	s_wait_xcnt 0x0
	v_add_nc_u32_e32 v2, 8, v2
	s_delay_alu instid0(VALU_DEP_2)
	v_cmp_lt_u32_e32 vcc_lo, 51, v3
	s_or_b32 s1, vcc_lo, s1
	s_wait_loadcnt_dscnt 0x0
	v_fmac_f64_e32 v[112:113], v[114:115], v[116:117]
	s_and_not1_b32 exec_lo, exec_lo, s1
	s_cbranch_execnz .LBB117_221
; %bb.222:
	s_or_b32 exec_lo, exec_lo, s1
	v_mov_b32_e32 v1, 0
	ds_load_b64 v[2:3], v1 offset:424
	s_wait_dscnt 0x0
	v_mul_f64_e32 v[2:3], v[112:113], v[2:3]
	scratch_store_b64 off, v[2:3], off offset:424
.LBB117_223:
	s_wait_xcnt 0x0
	s_or_b32 exec_lo, exec_lo, s0
	s_mov_b32 s1, -1
	s_wait_storecnt 0x0
	s_barrier_signal -1
	s_barrier_wait -1
.LBB117_224:
	s_and_b32 vcc_lo, exec_lo, s1
	s_cbranch_vccz .LBB117_226
; %bb.225:
	v_mov_b32_e32 v1, 0
	s_lshl_b64 s[0:1], s[10:11], 2
	s_delay_alu instid0(SALU_CYCLE_1)
	s_add_nc_u64 s[0:1], s[6:7], s[0:1]
	global_load_b32 v1, v1, s[0:1]
	s_wait_loadcnt 0x0
	v_cmp_ne_u32_e32 vcc_lo, 0, v1
	s_cbranch_vccz .LBB117_227
.LBB117_226:
	s_sendmsg sendmsg(MSG_DEALLOC_VGPRS)
	s_endpgm
.LBB117_227:
	s_wait_xcnt 0x0
	v_lshl_add_u32 v1, v0, 3, 0x1b0
	s_mov_b32 s0, exec_lo
	v_cmpx_eq_u32_e32 53, v0
	s_cbranch_execz .LBB117_229
; %bb.228:
	scratch_load_b64 v[2:3], off, off offset:416
	v_mov_b64_e32 v[112:113], 0
	scratch_store_b64 off, v[112:113], off offset:416
	s_wait_loadcnt 0x0
	ds_store_b64 v1, v[2:3]
.LBB117_229:
	s_wait_xcnt 0x0
	s_or_b32 exec_lo, exec_lo, s0
	s_wait_storecnt_dscnt 0x0
	s_barrier_signal -1
	s_barrier_wait -1
	scratch_load_b128 v[112:115], off, off offset:416
	v_mov_b32_e32 v2, 0
	s_mov_b32 s0, exec_lo
	ds_load_b64 v[116:117], v2 offset:856
	s_wait_loadcnt_dscnt 0x0
	v_fma_f64 v[114:115], v[114:115], v[116:117], 0
	s_delay_alu instid0(VALU_DEP_1)
	v_add_f64_e64 v[112:113], v[112:113], -v[114:115]
	scratch_store_b64 off, v[112:113], off offset:416
	s_wait_xcnt 0x0
	v_cmpx_lt_u32_e32 51, v0
	s_cbranch_execz .LBB117_231
; %bb.230:
	scratch_load_b64 v[112:113], off, off offset:408
	v_mov_b64_e32 v[114:115], 0
	scratch_store_b64 off, v[114:115], off offset:408
	s_wait_loadcnt 0x0
	ds_store_b64 v1, v[112:113]
.LBB117_231:
	s_wait_xcnt 0x0
	s_or_b32 exec_lo, exec_lo, s0
	s_wait_storecnt_dscnt 0x0
	s_barrier_signal -1
	s_barrier_wait -1
	s_clause 0x1
	scratch_load_b128 v[112:115], off, off offset:408
	scratch_load_b64 v[120:121], off, off offset:424
	ds_load_b128 v[116:119], v2 offset:848
	s_mov_b32 s0, exec_lo
	s_wait_loadcnt_dscnt 0x100
	v_fma_f64 v[2:3], v[114:115], v[116:117], 0
	s_wait_loadcnt 0x0
	s_delay_alu instid0(VALU_DEP_1) | instskip(NEXT) | instid1(VALU_DEP_1)
	v_fmac_f64_e32 v[2:3], v[120:121], v[118:119]
	v_add_f64_e64 v[2:3], v[112:113], -v[2:3]
	scratch_store_b64 off, v[2:3], off offset:408
	s_wait_xcnt 0x0
	v_cmpx_lt_u32_e32 50, v0
	s_cbranch_execz .LBB117_233
; %bb.232:
	scratch_load_b64 v[2:3], off, off offset:400
	v_mov_b64_e32 v[112:113], 0
	scratch_store_b64 off, v[112:113], off offset:400
	s_wait_loadcnt 0x0
	ds_store_b64 v1, v[2:3]
.LBB117_233:
	s_wait_xcnt 0x0
	s_or_b32 exec_lo, exec_lo, s0
	s_wait_storecnt_dscnt 0x0
	s_barrier_signal -1
	s_barrier_wait -1
	s_clause 0x1
	scratch_load_b128 v[112:115], off, off offset:400
	scratch_load_b128 v[116:119], off, off offset:416
	v_mov_b32_e32 v2, 0
	ds_load_2addr_b64 v[120:123], v2 offset0:105 offset1:106
	ds_load_b64 v[124:125], v2 offset:856
	s_mov_b32 s0, exec_lo
	s_wait_loadcnt_dscnt 0x101
	v_fma_f64 v[114:115], v[114:115], v[120:121], 0
	s_wait_loadcnt 0x0
	s_delay_alu instid0(VALU_DEP_1) | instskip(SKIP_1) | instid1(VALU_DEP_1)
	v_fmac_f64_e32 v[114:115], v[116:117], v[122:123]
	s_wait_dscnt 0x0
	v_fmac_f64_e32 v[114:115], v[118:119], v[124:125]
	s_delay_alu instid0(VALU_DEP_1)
	v_add_f64_e64 v[112:113], v[112:113], -v[114:115]
	scratch_store_b64 off, v[112:113], off offset:400
	s_wait_xcnt 0x0
	v_cmpx_lt_u32_e32 49, v0
	s_cbranch_execz .LBB117_235
; %bb.234:
	scratch_load_b64 v[112:113], off, off offset:392
	v_mov_b64_e32 v[114:115], 0
	scratch_store_b64 off, v[114:115], off offset:392
	s_wait_loadcnt 0x0
	ds_store_b64 v1, v[112:113]
.LBB117_235:
	s_wait_xcnt 0x0
	s_or_b32 exec_lo, exec_lo, s0
	s_wait_storecnt_dscnt 0x0
	s_barrier_signal -1
	s_barrier_wait -1
	s_clause 0x2
	scratch_load_b128 v[112:115], off, off offset:392
	scratch_load_b128 v[116:119], off, off offset:408
	scratch_load_b64 v[128:129], off, off offset:424
	ds_load_b128 v[120:123], v2 offset:832
	ds_load_b128 v[124:127], v2 offset:848
	s_mov_b32 s0, exec_lo
	s_wait_loadcnt_dscnt 0x201
	v_fma_f64 v[2:3], v[114:115], v[120:121], 0
	s_wait_loadcnt 0x1
	s_delay_alu instid0(VALU_DEP_1) | instskip(SKIP_1) | instid1(VALU_DEP_1)
	v_fmac_f64_e32 v[2:3], v[116:117], v[122:123]
	s_wait_dscnt 0x0
	v_fmac_f64_e32 v[2:3], v[118:119], v[124:125]
	s_wait_loadcnt 0x0
	s_delay_alu instid0(VALU_DEP_1) | instskip(NEXT) | instid1(VALU_DEP_1)
	v_fmac_f64_e32 v[2:3], v[128:129], v[126:127]
	v_add_f64_e64 v[2:3], v[112:113], -v[2:3]
	scratch_store_b64 off, v[2:3], off offset:392
	s_wait_xcnt 0x0
	v_cmpx_lt_u32_e32 48, v0
	s_cbranch_execz .LBB117_237
; %bb.236:
	scratch_load_b64 v[2:3], off, off offset:384
	v_mov_b64_e32 v[112:113], 0
	scratch_store_b64 off, v[112:113], off offset:384
	s_wait_loadcnt 0x0
	ds_store_b64 v1, v[2:3]
.LBB117_237:
	s_wait_xcnt 0x0
	s_or_b32 exec_lo, exec_lo, s0
	s_wait_storecnt_dscnt 0x0
	s_barrier_signal -1
	s_barrier_wait -1
	s_clause 0x2
	scratch_load_b128 v[112:115], off, off offset:384
	scratch_load_b128 v[116:119], off, off offset:400
	scratch_load_b128 v[120:123], off, off offset:416
	v_mov_b32_e32 v2, 0
	ds_load_2addr_b64 v[124:127], v2 offset0:103 offset1:104
	ds_load_2addr_b64 v[128:131], v2 offset0:105 offset1:106
	s_mov_b32 s0, exec_lo
	s_wait_loadcnt_dscnt 0x201
	v_fma_f64 v[114:115], v[114:115], v[124:125], 0
	s_wait_loadcnt 0x1
	s_delay_alu instid0(VALU_DEP_1) | instskip(SKIP_4) | instid1(VALU_DEP_1)
	v_fmac_f64_e32 v[114:115], v[116:117], v[126:127]
	ds_load_b64 v[116:117], v2 offset:856
	s_wait_dscnt 0x1
	v_fmac_f64_e32 v[114:115], v[118:119], v[128:129]
	s_wait_loadcnt 0x0
	v_fmac_f64_e32 v[114:115], v[120:121], v[130:131]
	s_wait_dscnt 0x0
	s_delay_alu instid0(VALU_DEP_1) | instskip(NEXT) | instid1(VALU_DEP_1)
	v_fmac_f64_e32 v[114:115], v[122:123], v[116:117]
	v_add_f64_e64 v[112:113], v[112:113], -v[114:115]
	scratch_store_b64 off, v[112:113], off offset:384
	s_wait_xcnt 0x0
	v_cmpx_lt_u32_e32 47, v0
	s_cbranch_execz .LBB117_239
; %bb.238:
	scratch_load_b64 v[112:113], off, off offset:376
	v_mov_b64_e32 v[114:115], 0
	scratch_store_b64 off, v[114:115], off offset:376
	s_wait_loadcnt 0x0
	ds_store_b64 v1, v[112:113]
.LBB117_239:
	s_wait_xcnt 0x0
	s_or_b32 exec_lo, exec_lo, s0
	s_wait_storecnt_dscnt 0x0
	s_barrier_signal -1
	s_barrier_wait -1
	s_clause 0x3
	scratch_load_b128 v[112:115], off, off offset:376
	scratch_load_b128 v[116:119], off, off offset:392
	;; [unrolled: 1-line block ×3, first 2 shown]
	scratch_load_b64 v[132:133], off, off offset:424
	ds_load_b128 v[124:127], v2 offset:816
	ds_load_b128 v[128:131], v2 offset:832
	s_mov_b32 s0, exec_lo
	s_wait_loadcnt_dscnt 0x301
	v_fma_f64 v[124:125], v[114:115], v[124:125], 0
	s_wait_loadcnt 0x2
	s_delay_alu instid0(VALU_DEP_1) | instskip(SKIP_4) | instid1(VALU_DEP_1)
	v_fmac_f64_e32 v[124:125], v[116:117], v[126:127]
	ds_load_b128 v[114:117], v2 offset:848
	s_wait_dscnt 0x1
	v_fmac_f64_e32 v[124:125], v[118:119], v[128:129]
	s_wait_loadcnt 0x1
	v_fmac_f64_e32 v[124:125], v[120:121], v[130:131]
	s_wait_dscnt 0x0
	s_delay_alu instid0(VALU_DEP_1) | instskip(SKIP_1) | instid1(VALU_DEP_1)
	v_fmac_f64_e32 v[124:125], v[122:123], v[114:115]
	s_wait_loadcnt 0x0
	v_fmac_f64_e32 v[124:125], v[132:133], v[116:117]
	s_delay_alu instid0(VALU_DEP_1)
	v_add_f64_e64 v[2:3], v[112:113], -v[124:125]
	scratch_store_b64 off, v[2:3], off offset:376
	s_wait_xcnt 0x0
	v_cmpx_lt_u32_e32 46, v0
	s_cbranch_execz .LBB117_241
; %bb.240:
	scratch_load_b64 v[2:3], off, off offset:368
	v_mov_b64_e32 v[112:113], 0
	scratch_store_b64 off, v[112:113], off offset:368
	s_wait_loadcnt 0x0
	ds_store_b64 v1, v[2:3]
.LBB117_241:
	s_wait_xcnt 0x0
	s_or_b32 exec_lo, exec_lo, s0
	s_wait_storecnt_dscnt 0x0
	s_barrier_signal -1
	s_barrier_wait -1
	s_clause 0x3
	scratch_load_b128 v[112:115], off, off offset:368
	scratch_load_b128 v[116:119], off, off offset:384
	;; [unrolled: 1-line block ×4, first 2 shown]
	v_mov_b32_e32 v2, 0
	ds_load_2addr_b64 v[128:131], v2 offset0:101 offset1:102
	ds_load_2addr_b64 v[132:135], v2 offset0:103 offset1:104
	s_mov_b32 s0, exec_lo
	s_wait_loadcnt_dscnt 0x301
	v_fma_f64 v[128:129], v[114:115], v[128:129], 0
	s_wait_loadcnt 0x2
	s_delay_alu instid0(VALU_DEP_1) | instskip(SKIP_1) | instid1(VALU_DEP_1)
	v_fmac_f64_e32 v[128:129], v[116:117], v[130:131]
	s_wait_dscnt 0x0
	v_fmac_f64_e32 v[128:129], v[118:119], v[132:133]
	ds_load_2addr_b64 v[114:117], v2 offset0:105 offset1:106
	ds_load_b64 v[118:119], v2 offset:856
	s_wait_loadcnt 0x1
	v_fmac_f64_e32 v[128:129], v[120:121], v[134:135]
	s_wait_dscnt 0x1
	s_delay_alu instid0(VALU_DEP_1) | instskip(SKIP_1) | instid1(VALU_DEP_1)
	v_fmac_f64_e32 v[128:129], v[122:123], v[114:115]
	s_wait_loadcnt 0x0
	v_fmac_f64_e32 v[128:129], v[124:125], v[116:117]
	s_wait_dscnt 0x0
	s_delay_alu instid0(VALU_DEP_1) | instskip(NEXT) | instid1(VALU_DEP_1)
	v_fmac_f64_e32 v[128:129], v[126:127], v[118:119]
	v_add_f64_e64 v[112:113], v[112:113], -v[128:129]
	scratch_store_b64 off, v[112:113], off offset:368
	s_wait_xcnt 0x0
	v_cmpx_lt_u32_e32 45, v0
	s_cbranch_execz .LBB117_243
; %bb.242:
	scratch_load_b64 v[112:113], off, off offset:360
	v_mov_b64_e32 v[114:115], 0
	scratch_store_b64 off, v[114:115], off offset:360
	s_wait_loadcnt 0x0
	ds_store_b64 v1, v[112:113]
.LBB117_243:
	s_wait_xcnt 0x0
	s_or_b32 exec_lo, exec_lo, s0
	s_wait_storecnt_dscnt 0x0
	s_barrier_signal -1
	s_barrier_wait -1
	s_clause 0x4
	scratch_load_b128 v[112:115], off, off offset:360
	scratch_load_b128 v[116:119], off, off offset:376
	scratch_load_b128 v[120:123], off, off offset:392
	scratch_load_b128 v[124:127], off, off offset:408
	scratch_load_b64 v[136:137], off, off offset:424
	ds_load_b128 v[128:131], v2 offset:800
	ds_load_b128 v[132:135], v2 offset:816
	s_mov_b32 s0, exec_lo
	s_wait_loadcnt_dscnt 0x401
	v_fma_f64 v[128:129], v[114:115], v[128:129], 0
	s_wait_loadcnt 0x3
	s_delay_alu instid0(VALU_DEP_1) | instskip(SKIP_1) | instid1(VALU_DEP_1)
	v_fmac_f64_e32 v[128:129], v[116:117], v[130:131]
	s_wait_dscnt 0x0
	v_fmac_f64_e32 v[128:129], v[118:119], v[132:133]
	s_wait_loadcnt 0x2
	s_delay_alu instid0(VALU_DEP_1)
	v_fmac_f64_e32 v[128:129], v[120:121], v[134:135]
	ds_load_b128 v[114:117], v2 offset:832
	ds_load_b128 v[118:121], v2 offset:848
	s_wait_dscnt 0x1
	v_fmac_f64_e32 v[128:129], v[122:123], v[114:115]
	s_wait_loadcnt 0x1
	s_delay_alu instid0(VALU_DEP_1) | instskip(SKIP_1) | instid1(VALU_DEP_1)
	v_fmac_f64_e32 v[128:129], v[124:125], v[116:117]
	s_wait_dscnt 0x0
	v_fmac_f64_e32 v[128:129], v[126:127], v[118:119]
	s_wait_loadcnt 0x0
	s_delay_alu instid0(VALU_DEP_1) | instskip(NEXT) | instid1(VALU_DEP_1)
	v_fmac_f64_e32 v[128:129], v[136:137], v[120:121]
	v_add_f64_e64 v[2:3], v[112:113], -v[128:129]
	scratch_store_b64 off, v[2:3], off offset:360
	s_wait_xcnt 0x0
	v_cmpx_lt_u32_e32 44, v0
	s_cbranch_execz .LBB117_245
; %bb.244:
	scratch_load_b64 v[2:3], off, off offset:352
	v_mov_b64_e32 v[112:113], 0
	scratch_store_b64 off, v[112:113], off offset:352
	s_wait_loadcnt 0x0
	ds_store_b64 v1, v[2:3]
.LBB117_245:
	s_wait_xcnt 0x0
	s_or_b32 exec_lo, exec_lo, s0
	s_wait_storecnt_dscnt 0x0
	s_barrier_signal -1
	s_barrier_wait -1
	s_clause 0x4
	scratch_load_b128 v[112:115], off, off offset:352
	scratch_load_b128 v[116:119], off, off offset:368
	;; [unrolled: 1-line block ×5, first 2 shown]
	v_mov_b32_e32 v2, 0
	ds_load_2addr_b64 v[132:135], v2 offset0:99 offset1:100
	ds_load_2addr_b64 v[136:139], v2 offset0:101 offset1:102
	s_mov_b32 s0, exec_lo
	s_wait_loadcnt_dscnt 0x401
	v_fma_f64 v[132:133], v[114:115], v[132:133], 0
	s_wait_loadcnt 0x3
	s_delay_alu instid0(VALU_DEP_1) | instskip(SKIP_1) | instid1(VALU_DEP_1)
	v_fmac_f64_e32 v[132:133], v[116:117], v[134:135]
	s_wait_dscnt 0x0
	v_fmac_f64_e32 v[132:133], v[118:119], v[136:137]
	s_wait_loadcnt 0x2
	s_delay_alu instid0(VALU_DEP_1)
	v_fmac_f64_e32 v[132:133], v[120:121], v[138:139]
	ds_load_2addr_b64 v[114:117], v2 offset0:103 offset1:104
	ds_load_2addr_b64 v[118:121], v2 offset0:105 offset1:106
	s_wait_dscnt 0x1
	v_fmac_f64_e32 v[132:133], v[122:123], v[114:115]
	ds_load_b64 v[114:115], v2 offset:856
	s_wait_loadcnt 0x1
	v_fmac_f64_e32 v[132:133], v[124:125], v[116:117]
	s_wait_dscnt 0x1
	s_delay_alu instid0(VALU_DEP_1) | instskip(SKIP_1) | instid1(VALU_DEP_1)
	v_fmac_f64_e32 v[132:133], v[126:127], v[118:119]
	s_wait_loadcnt 0x0
	v_fmac_f64_e32 v[132:133], v[128:129], v[120:121]
	s_wait_dscnt 0x0
	s_delay_alu instid0(VALU_DEP_1) | instskip(NEXT) | instid1(VALU_DEP_1)
	v_fmac_f64_e32 v[132:133], v[130:131], v[114:115]
	v_add_f64_e64 v[112:113], v[112:113], -v[132:133]
	scratch_store_b64 off, v[112:113], off offset:352
	s_wait_xcnt 0x0
	v_cmpx_lt_u32_e32 43, v0
	s_cbranch_execz .LBB117_247
; %bb.246:
	scratch_load_b64 v[112:113], off, off offset:344
	v_mov_b64_e32 v[114:115], 0
	scratch_store_b64 off, v[114:115], off offset:344
	s_wait_loadcnt 0x0
	ds_store_b64 v1, v[112:113]
.LBB117_247:
	s_wait_xcnt 0x0
	s_or_b32 exec_lo, exec_lo, s0
	s_wait_storecnt_dscnt 0x0
	s_barrier_signal -1
	s_barrier_wait -1
	s_clause 0x5
	scratch_load_b128 v[112:115], off, off offset:344
	scratch_load_b128 v[116:119], off, off offset:360
	;; [unrolled: 1-line block ×5, first 2 shown]
	scratch_load_b64 v[140:141], off, off offset:424
	ds_load_b128 v[132:135], v2 offset:784
	ds_load_b128 v[136:139], v2 offset:800
	s_mov_b32 s0, exec_lo
	s_wait_loadcnt_dscnt 0x501
	v_fma_f64 v[132:133], v[114:115], v[132:133], 0
	s_wait_loadcnt 0x4
	s_delay_alu instid0(VALU_DEP_1) | instskip(SKIP_1) | instid1(VALU_DEP_1)
	v_fmac_f64_e32 v[132:133], v[116:117], v[134:135]
	s_wait_dscnt 0x0
	v_fmac_f64_e32 v[132:133], v[118:119], v[136:137]
	s_wait_loadcnt 0x3
	s_delay_alu instid0(VALU_DEP_1)
	v_fmac_f64_e32 v[132:133], v[120:121], v[138:139]
	ds_load_b128 v[114:117], v2 offset:816
	ds_load_b128 v[118:121], v2 offset:832
	s_wait_dscnt 0x1
	v_fmac_f64_e32 v[132:133], v[122:123], v[114:115]
	s_wait_loadcnt 0x2
	s_delay_alu instid0(VALU_DEP_1) | instskip(SKIP_4) | instid1(VALU_DEP_1)
	v_fmac_f64_e32 v[132:133], v[124:125], v[116:117]
	ds_load_b128 v[114:117], v2 offset:848
	s_wait_dscnt 0x1
	v_fmac_f64_e32 v[132:133], v[126:127], v[118:119]
	s_wait_loadcnt 0x1
	v_fmac_f64_e32 v[132:133], v[128:129], v[120:121]
	s_wait_dscnt 0x0
	s_delay_alu instid0(VALU_DEP_1) | instskip(SKIP_1) | instid1(VALU_DEP_1)
	v_fmac_f64_e32 v[132:133], v[130:131], v[114:115]
	s_wait_loadcnt 0x0
	v_fmac_f64_e32 v[132:133], v[140:141], v[116:117]
	s_delay_alu instid0(VALU_DEP_1)
	v_add_f64_e64 v[2:3], v[112:113], -v[132:133]
	scratch_store_b64 off, v[2:3], off offset:344
	s_wait_xcnt 0x0
	v_cmpx_lt_u32_e32 42, v0
	s_cbranch_execz .LBB117_249
; %bb.248:
	scratch_load_b64 v[2:3], off, off offset:336
	v_mov_b64_e32 v[112:113], 0
	scratch_store_b64 off, v[112:113], off offset:336
	s_wait_loadcnt 0x0
	ds_store_b64 v1, v[2:3]
.LBB117_249:
	s_wait_xcnt 0x0
	s_or_b32 exec_lo, exec_lo, s0
	s_wait_storecnt_dscnt 0x0
	s_barrier_signal -1
	s_barrier_wait -1
	s_clause 0x5
	scratch_load_b128 v[112:115], off, off offset:336
	scratch_load_b128 v[116:119], off, off offset:352
	scratch_load_b128 v[120:123], off, off offset:368
	scratch_load_b128 v[124:127], off, off offset:384
	scratch_load_b128 v[128:131], off, off offset:400
	scratch_load_b128 v[132:135], off, off offset:416
	v_mov_b32_e32 v2, 0
	ds_load_2addr_b64 v[136:139], v2 offset0:97 offset1:98
	ds_load_2addr_b64 v[140:143], v2 offset0:99 offset1:100
	s_mov_b32 s0, exec_lo
	s_wait_loadcnt_dscnt 0x501
	v_fma_f64 v[136:137], v[114:115], v[136:137], 0
	s_wait_loadcnt 0x4
	s_delay_alu instid0(VALU_DEP_1) | instskip(SKIP_1) | instid1(VALU_DEP_1)
	v_fmac_f64_e32 v[136:137], v[116:117], v[138:139]
	s_wait_dscnt 0x0
	v_fmac_f64_e32 v[136:137], v[118:119], v[140:141]
	s_wait_loadcnt 0x3
	s_delay_alu instid0(VALU_DEP_1)
	v_fmac_f64_e32 v[136:137], v[120:121], v[142:143]
	ds_load_2addr_b64 v[114:117], v2 offset0:101 offset1:102
	ds_load_2addr_b64 v[118:121], v2 offset0:103 offset1:104
	s_wait_dscnt 0x1
	v_fmac_f64_e32 v[136:137], v[122:123], v[114:115]
	s_wait_loadcnt 0x2
	s_delay_alu instid0(VALU_DEP_1) | instskip(SKIP_1) | instid1(VALU_DEP_1)
	v_fmac_f64_e32 v[136:137], v[124:125], v[116:117]
	s_wait_dscnt 0x0
	v_fmac_f64_e32 v[136:137], v[126:127], v[118:119]
	ds_load_2addr_b64 v[114:117], v2 offset0:105 offset1:106
	ds_load_b64 v[118:119], v2 offset:856
	s_wait_loadcnt 0x1
	v_fmac_f64_e32 v[136:137], v[128:129], v[120:121]
	s_wait_dscnt 0x1
	s_delay_alu instid0(VALU_DEP_1) | instskip(SKIP_1) | instid1(VALU_DEP_1)
	v_fmac_f64_e32 v[136:137], v[130:131], v[114:115]
	s_wait_loadcnt 0x0
	v_fmac_f64_e32 v[136:137], v[132:133], v[116:117]
	s_wait_dscnt 0x0
	s_delay_alu instid0(VALU_DEP_1) | instskip(NEXT) | instid1(VALU_DEP_1)
	v_fmac_f64_e32 v[136:137], v[134:135], v[118:119]
	v_add_f64_e64 v[112:113], v[112:113], -v[136:137]
	scratch_store_b64 off, v[112:113], off offset:336
	s_wait_xcnt 0x0
	v_cmpx_lt_u32_e32 41, v0
	s_cbranch_execz .LBB117_251
; %bb.250:
	scratch_load_b64 v[112:113], off, off offset:328
	v_mov_b64_e32 v[114:115], 0
	scratch_store_b64 off, v[114:115], off offset:328
	s_wait_loadcnt 0x0
	ds_store_b64 v1, v[112:113]
.LBB117_251:
	s_wait_xcnt 0x0
	s_or_b32 exec_lo, exec_lo, s0
	s_wait_storecnt_dscnt 0x0
	s_barrier_signal -1
	s_barrier_wait -1
	s_clause 0x5
	scratch_load_b128 v[112:115], off, off offset:328
	scratch_load_b128 v[116:119], off, off offset:344
	;; [unrolled: 1-line block ×6, first 2 shown]
	ds_load_b128 v[136:139], v2 offset:768
	ds_load_b128 v[140:143], v2 offset:784
	s_mov_b32 s0, exec_lo
	s_wait_loadcnt_dscnt 0x501
	v_fma_f64 v[136:137], v[114:115], v[136:137], 0
	s_wait_loadcnt 0x4
	s_delay_alu instid0(VALU_DEP_1) | instskip(SKIP_4) | instid1(VALU_DEP_1)
	v_fmac_f64_e32 v[136:137], v[116:117], v[138:139]
	scratch_load_b64 v[138:139], off, off offset:424
	s_wait_dscnt 0x0
	v_fmac_f64_e32 v[136:137], v[118:119], v[140:141]
	s_wait_loadcnt 0x4
	v_fmac_f64_e32 v[136:137], v[120:121], v[142:143]
	ds_load_b128 v[114:117], v2 offset:800
	ds_load_b128 v[118:121], v2 offset:816
	s_wait_dscnt 0x1
	v_fmac_f64_e32 v[136:137], v[122:123], v[114:115]
	s_wait_loadcnt 0x3
	s_delay_alu instid0(VALU_DEP_1) | instskip(SKIP_1) | instid1(VALU_DEP_1)
	v_fmac_f64_e32 v[136:137], v[124:125], v[116:117]
	s_wait_dscnt 0x0
	v_fmac_f64_e32 v[136:137], v[126:127], v[118:119]
	s_wait_loadcnt 0x2
	s_delay_alu instid0(VALU_DEP_1)
	v_fmac_f64_e32 v[136:137], v[128:129], v[120:121]
	ds_load_b128 v[114:117], v2 offset:832
	ds_load_b128 v[118:121], v2 offset:848
	s_wait_dscnt 0x1
	v_fmac_f64_e32 v[136:137], v[130:131], v[114:115]
	s_wait_loadcnt 0x1
	s_delay_alu instid0(VALU_DEP_1) | instskip(SKIP_1) | instid1(VALU_DEP_1)
	v_fmac_f64_e32 v[136:137], v[132:133], v[116:117]
	s_wait_dscnt 0x0
	v_fmac_f64_e32 v[136:137], v[134:135], v[118:119]
	s_wait_loadcnt 0x0
	s_delay_alu instid0(VALU_DEP_1) | instskip(NEXT) | instid1(VALU_DEP_1)
	v_fmac_f64_e32 v[136:137], v[138:139], v[120:121]
	v_add_f64_e64 v[2:3], v[112:113], -v[136:137]
	scratch_store_b64 off, v[2:3], off offset:328
	s_wait_xcnt 0x0
	v_cmpx_lt_u32_e32 40, v0
	s_cbranch_execz .LBB117_253
; %bb.252:
	scratch_load_b64 v[2:3], off, off offset:320
	v_mov_b64_e32 v[112:113], 0
	scratch_store_b64 off, v[112:113], off offset:320
	s_wait_loadcnt 0x0
	ds_store_b64 v1, v[2:3]
.LBB117_253:
	s_wait_xcnt 0x0
	s_or_b32 exec_lo, exec_lo, s0
	s_wait_storecnt_dscnt 0x0
	s_barrier_signal -1
	s_barrier_wait -1
	s_clause 0x5
	scratch_load_b128 v[112:115], off, off offset:320
	scratch_load_b128 v[116:119], off, off offset:336
	;; [unrolled: 1-line block ×6, first 2 shown]
	v_mov_b32_e32 v2, 0
	ds_load_2addr_b64 v[136:139], v2 offset0:95 offset1:96
	ds_load_2addr_b64 v[140:143], v2 offset0:97 offset1:98
	s_mov_b32 s0, exec_lo
	s_wait_loadcnt_dscnt 0x501
	v_fma_f64 v[144:145], v[114:115], v[136:137], 0
	s_wait_loadcnt 0x4
	s_delay_alu instid0(VALU_DEP_1) | instskip(SKIP_4) | instid1(VALU_DEP_1)
	v_fmac_f64_e32 v[144:145], v[116:117], v[138:139]
	scratch_load_b128 v[114:117], off, off offset:416
	s_wait_dscnt 0x0
	v_fmac_f64_e32 v[144:145], v[118:119], v[140:141]
	s_wait_loadcnt 0x4
	v_fmac_f64_e32 v[144:145], v[120:121], v[142:143]
	ds_load_2addr_b64 v[118:121], v2 offset0:99 offset1:100
	ds_load_2addr_b64 v[136:139], v2 offset0:101 offset1:102
	s_wait_dscnt 0x1
	v_fmac_f64_e32 v[144:145], v[122:123], v[118:119]
	s_wait_loadcnt 0x3
	s_delay_alu instid0(VALU_DEP_1)
	v_fmac_f64_e32 v[144:145], v[124:125], v[120:121]
	ds_load_2addr_b64 v[118:121], v2 offset0:103 offset1:104
	ds_load_2addr_b64 v[122:125], v2 offset0:105 offset1:106
	s_wait_dscnt 0x2
	v_fmac_f64_e32 v[144:145], v[126:127], v[136:137]
	s_wait_loadcnt 0x2
	s_delay_alu instid0(VALU_DEP_1) | instskip(SKIP_1) | instid1(VALU_DEP_1)
	v_fmac_f64_e32 v[144:145], v[128:129], v[138:139]
	s_wait_dscnt 0x1
	v_fmac_f64_e32 v[144:145], v[130:131], v[118:119]
	s_wait_loadcnt 0x1
	s_delay_alu instid0(VALU_DEP_1) | instskip(SKIP_1) | instid1(VALU_DEP_1)
	v_fmac_f64_e32 v[144:145], v[132:133], v[120:121]
	s_wait_dscnt 0x0
	v_fmac_f64_e32 v[144:145], v[134:135], v[122:123]
	s_wait_loadcnt 0x0
	s_delay_alu instid0(VALU_DEP_1) | instskip(SKIP_3) | instid1(VALU_DEP_1)
	v_fmac_f64_e32 v[144:145], v[114:115], v[124:125]
	ds_load_b64 v[114:115], v2 offset:856
	s_wait_dscnt 0x0
	v_fmac_f64_e32 v[144:145], v[116:117], v[114:115]
	v_add_f64_e64 v[112:113], v[112:113], -v[144:145]
	scratch_store_b64 off, v[112:113], off offset:320
	s_wait_xcnt 0x0
	v_cmpx_lt_u32_e32 39, v0
	s_cbranch_execz .LBB117_255
; %bb.254:
	scratch_load_b64 v[112:113], off, off offset:312
	v_mov_b64_e32 v[114:115], 0
	scratch_store_b64 off, v[114:115], off offset:312
	s_wait_loadcnt 0x0
	ds_store_b64 v1, v[112:113]
.LBB117_255:
	s_wait_xcnt 0x0
	s_or_b32 exec_lo, exec_lo, s0
	s_wait_storecnt_dscnt 0x0
	s_barrier_signal -1
	s_barrier_wait -1
	s_clause 0x5
	scratch_load_b128 v[112:115], off, off offset:312
	scratch_load_b128 v[116:119], off, off offset:328
	scratch_load_b128 v[120:123], off, off offset:344
	scratch_load_b128 v[124:127], off, off offset:360
	scratch_load_b128 v[128:131], off, off offset:376
	scratch_load_b128 v[132:135], off, off offset:392
	ds_load_b128 v[136:139], v2 offset:752
	ds_load_b128 v[140:143], v2 offset:768
	s_mov_b32 s0, exec_lo
	s_wait_loadcnt_dscnt 0x501
	v_fma_f64 v[144:145], v[114:115], v[136:137], 0
	s_wait_loadcnt 0x4
	s_delay_alu instid0(VALU_DEP_1)
	v_fmac_f64_e32 v[144:145], v[116:117], v[138:139]
	scratch_load_b128 v[114:117], off, off offset:408
	s_wait_dscnt 0x0
	v_fmac_f64_e32 v[144:145], v[118:119], v[140:141]
	scratch_load_b64 v[140:141], off, off offset:424
	s_wait_loadcnt 0x5
	v_fmac_f64_e32 v[144:145], v[120:121], v[142:143]
	ds_load_b128 v[118:121], v2 offset:784
	ds_load_b128 v[136:139], v2 offset:800
	s_wait_dscnt 0x1
	v_fmac_f64_e32 v[144:145], v[122:123], v[118:119]
	s_wait_loadcnt 0x4
	s_delay_alu instid0(VALU_DEP_1)
	v_fmac_f64_e32 v[144:145], v[124:125], v[120:121]
	ds_load_b128 v[118:121], v2 offset:816
	ds_load_b128 v[122:125], v2 offset:832
	s_wait_dscnt 0x2
	v_fmac_f64_e32 v[144:145], v[126:127], v[136:137]
	s_wait_loadcnt 0x3
	s_delay_alu instid0(VALU_DEP_1) | instskip(SKIP_1) | instid1(VALU_DEP_1)
	v_fmac_f64_e32 v[144:145], v[128:129], v[138:139]
	s_wait_dscnt 0x1
	v_fmac_f64_e32 v[144:145], v[130:131], v[118:119]
	s_wait_loadcnt 0x2
	s_delay_alu instid0(VALU_DEP_1) | instskip(SKIP_4) | instid1(VALU_DEP_1)
	v_fmac_f64_e32 v[144:145], v[132:133], v[120:121]
	ds_load_b128 v[118:121], v2 offset:848
	s_wait_dscnt 0x1
	v_fmac_f64_e32 v[144:145], v[134:135], v[122:123]
	s_wait_loadcnt 0x1
	v_fmac_f64_e32 v[144:145], v[114:115], v[124:125]
	s_wait_dscnt 0x0
	s_delay_alu instid0(VALU_DEP_1) | instskip(SKIP_1) | instid1(VALU_DEP_1)
	v_fmac_f64_e32 v[144:145], v[116:117], v[118:119]
	s_wait_loadcnt 0x0
	v_fmac_f64_e32 v[144:145], v[140:141], v[120:121]
	s_delay_alu instid0(VALU_DEP_1)
	v_add_f64_e64 v[2:3], v[112:113], -v[144:145]
	scratch_store_b64 off, v[2:3], off offset:312
	s_wait_xcnt 0x0
	v_cmpx_lt_u32_e32 38, v0
	s_cbranch_execz .LBB117_257
; %bb.256:
	scratch_load_b64 v[2:3], off, off offset:304
	v_mov_b64_e32 v[112:113], 0
	scratch_store_b64 off, v[112:113], off offset:304
	s_wait_loadcnt 0x0
	ds_store_b64 v1, v[2:3]
.LBB117_257:
	s_wait_xcnt 0x0
	s_or_b32 exec_lo, exec_lo, s0
	s_wait_storecnt_dscnt 0x0
	s_barrier_signal -1
	s_barrier_wait -1
	s_clause 0x5
	scratch_load_b128 v[112:115], off, off offset:304
	scratch_load_b128 v[116:119], off, off offset:320
	;; [unrolled: 1-line block ×6, first 2 shown]
	v_mov_b32_e32 v2, 0
	ds_load_2addr_b64 v[136:139], v2 offset0:93 offset1:94
	ds_load_2addr_b64 v[140:143], v2 offset0:95 offset1:96
	s_mov_b32 s0, exec_lo
	s_wait_loadcnt_dscnt 0x501
	v_fma_f64 v[144:145], v[114:115], v[136:137], 0
	s_wait_loadcnt 0x4
	s_delay_alu instid0(VALU_DEP_1) | instskip(SKIP_4) | instid1(VALU_DEP_1)
	v_fmac_f64_e32 v[144:145], v[116:117], v[138:139]
	scratch_load_b128 v[114:117], off, off offset:400
	s_wait_dscnt 0x0
	v_fmac_f64_e32 v[144:145], v[118:119], v[140:141]
	s_wait_loadcnt 0x4
	v_fmac_f64_e32 v[144:145], v[120:121], v[142:143]
	scratch_load_b128 v[118:121], off, off offset:416
	ds_load_2addr_b64 v[136:139], v2 offset0:97 offset1:98
	ds_load_2addr_b64 v[140:143], v2 offset0:99 offset1:100
	s_wait_dscnt 0x1
	v_fmac_f64_e32 v[144:145], v[122:123], v[136:137]
	s_wait_loadcnt 0x4
	s_delay_alu instid0(VALU_DEP_1) | instskip(SKIP_1) | instid1(VALU_DEP_1)
	v_fmac_f64_e32 v[144:145], v[124:125], v[138:139]
	s_wait_dscnt 0x0
	v_fmac_f64_e32 v[144:145], v[126:127], v[140:141]
	s_wait_loadcnt 0x3
	s_delay_alu instid0(VALU_DEP_1)
	v_fmac_f64_e32 v[144:145], v[128:129], v[142:143]
	ds_load_2addr_b64 v[122:125], v2 offset0:101 offset1:102
	ds_load_2addr_b64 v[126:129], v2 offset0:103 offset1:104
	s_wait_dscnt 0x1
	v_fmac_f64_e32 v[144:145], v[130:131], v[122:123]
	s_wait_loadcnt 0x2
	s_delay_alu instid0(VALU_DEP_1) | instskip(SKIP_1) | instid1(VALU_DEP_1)
	v_fmac_f64_e32 v[144:145], v[132:133], v[124:125]
	s_wait_dscnt 0x0
	v_fmac_f64_e32 v[144:145], v[134:135], v[126:127]
	s_wait_loadcnt 0x1
	s_delay_alu instid0(VALU_DEP_1)
	v_fmac_f64_e32 v[144:145], v[114:115], v[128:129]
	ds_load_2addr_b64 v[122:125], v2 offset0:105 offset1:106
	ds_load_b64 v[114:115], v2 offset:856
	s_wait_dscnt 0x1
	v_fmac_f64_e32 v[144:145], v[116:117], v[122:123]
	s_wait_loadcnt 0x0
	s_delay_alu instid0(VALU_DEP_1) | instskip(SKIP_1) | instid1(VALU_DEP_1)
	v_fmac_f64_e32 v[144:145], v[118:119], v[124:125]
	s_wait_dscnt 0x0
	v_fmac_f64_e32 v[144:145], v[120:121], v[114:115]
	s_delay_alu instid0(VALU_DEP_1)
	v_add_f64_e64 v[112:113], v[112:113], -v[144:145]
	scratch_store_b64 off, v[112:113], off offset:304
	s_wait_xcnt 0x0
	v_cmpx_lt_u32_e32 37, v0
	s_cbranch_execz .LBB117_259
; %bb.258:
	scratch_load_b64 v[112:113], off, off offset:296
	v_mov_b64_e32 v[114:115], 0
	scratch_store_b64 off, v[114:115], off offset:296
	s_wait_loadcnt 0x0
	ds_store_b64 v1, v[112:113]
.LBB117_259:
	s_wait_xcnt 0x0
	s_or_b32 exec_lo, exec_lo, s0
	s_wait_storecnt_dscnt 0x0
	s_barrier_signal -1
	s_barrier_wait -1
	s_clause 0x5
	scratch_load_b128 v[112:115], off, off offset:296
	scratch_load_b128 v[116:119], off, off offset:312
	;; [unrolled: 1-line block ×6, first 2 shown]
	ds_load_b128 v[136:139], v2 offset:736
	ds_load_b128 v[140:143], v2 offset:752
	s_mov_b32 s0, exec_lo
	s_wait_loadcnt_dscnt 0x501
	v_fma_f64 v[144:145], v[114:115], v[136:137], 0
	s_wait_loadcnt 0x4
	s_delay_alu instid0(VALU_DEP_1) | instskip(SKIP_4) | instid1(VALU_DEP_1)
	v_fmac_f64_e32 v[144:145], v[116:117], v[138:139]
	scratch_load_b128 v[114:117], off, off offset:392
	s_wait_dscnt 0x0
	v_fmac_f64_e32 v[144:145], v[118:119], v[140:141]
	s_wait_loadcnt 0x4
	v_fmac_f64_e32 v[144:145], v[120:121], v[142:143]
	scratch_load_b128 v[118:121], off, off offset:408
	ds_load_b128 v[136:139], v2 offset:768
	ds_load_b128 v[140:143], v2 offset:784
	s_wait_dscnt 0x1
	v_fmac_f64_e32 v[144:145], v[122:123], v[136:137]
	scratch_load_b64 v[136:137], off, off offset:424
	s_wait_loadcnt 0x5
	v_fmac_f64_e32 v[144:145], v[124:125], v[138:139]
	s_wait_dscnt 0x0
	s_delay_alu instid0(VALU_DEP_1) | instskip(SKIP_1) | instid1(VALU_DEP_1)
	v_fmac_f64_e32 v[144:145], v[126:127], v[140:141]
	s_wait_loadcnt 0x4
	v_fmac_f64_e32 v[144:145], v[128:129], v[142:143]
	ds_load_b128 v[122:125], v2 offset:800
	ds_load_b128 v[126:129], v2 offset:816
	s_wait_dscnt 0x1
	v_fmac_f64_e32 v[144:145], v[130:131], v[122:123]
	s_wait_loadcnt 0x3
	s_delay_alu instid0(VALU_DEP_1) | instskip(SKIP_1) | instid1(VALU_DEP_1)
	v_fmac_f64_e32 v[144:145], v[132:133], v[124:125]
	s_wait_dscnt 0x0
	v_fmac_f64_e32 v[144:145], v[134:135], v[126:127]
	s_wait_loadcnt 0x2
	s_delay_alu instid0(VALU_DEP_1)
	v_fmac_f64_e32 v[144:145], v[114:115], v[128:129]
	ds_load_b128 v[122:125], v2 offset:832
	ds_load_b128 v[126:129], v2 offset:848
	s_wait_dscnt 0x1
	v_fmac_f64_e32 v[144:145], v[116:117], v[122:123]
	s_wait_loadcnt 0x1
	s_delay_alu instid0(VALU_DEP_1) | instskip(SKIP_1) | instid1(VALU_DEP_1)
	v_fmac_f64_e32 v[144:145], v[118:119], v[124:125]
	s_wait_dscnt 0x0
	v_fmac_f64_e32 v[144:145], v[120:121], v[126:127]
	s_wait_loadcnt 0x0
	s_delay_alu instid0(VALU_DEP_1) | instskip(NEXT) | instid1(VALU_DEP_1)
	v_fmac_f64_e32 v[144:145], v[136:137], v[128:129]
	v_add_f64_e64 v[2:3], v[112:113], -v[144:145]
	scratch_store_b64 off, v[2:3], off offset:296
	s_wait_xcnt 0x0
	v_cmpx_lt_u32_e32 36, v0
	s_cbranch_execz .LBB117_261
; %bb.260:
	scratch_load_b64 v[2:3], off, off offset:288
	v_mov_b64_e32 v[112:113], 0
	scratch_store_b64 off, v[112:113], off offset:288
	s_wait_loadcnt 0x0
	ds_store_b64 v1, v[2:3]
.LBB117_261:
	s_wait_xcnt 0x0
	s_or_b32 exec_lo, exec_lo, s0
	s_wait_storecnt_dscnt 0x0
	s_barrier_signal -1
	s_barrier_wait -1
	s_clause 0x5
	scratch_load_b128 v[112:115], off, off offset:288
	scratch_load_b128 v[116:119], off, off offset:304
	;; [unrolled: 1-line block ×6, first 2 shown]
	v_mov_b32_e32 v2, 0
	ds_load_2addr_b64 v[136:139], v2 offset0:91 offset1:92
	ds_load_2addr_b64 v[140:143], v2 offset0:93 offset1:94
	s_mov_b32 s0, exec_lo
	s_wait_loadcnt_dscnt 0x501
	v_fma_f64 v[144:145], v[114:115], v[136:137], 0
	s_wait_loadcnt 0x4
	s_delay_alu instid0(VALU_DEP_1) | instskip(SKIP_4) | instid1(VALU_DEP_1)
	v_fmac_f64_e32 v[144:145], v[116:117], v[138:139]
	scratch_load_b128 v[114:117], off, off offset:384
	s_wait_dscnt 0x0
	v_fmac_f64_e32 v[144:145], v[118:119], v[140:141]
	s_wait_loadcnt 0x4
	v_fmac_f64_e32 v[144:145], v[120:121], v[142:143]
	scratch_load_b128 v[118:121], off, off offset:400
	ds_load_2addr_b64 v[136:139], v2 offset0:95 offset1:96
	ds_load_2addr_b64 v[140:143], v2 offset0:97 offset1:98
	s_wait_dscnt 0x1
	v_fmac_f64_e32 v[144:145], v[122:123], v[136:137]
	s_wait_loadcnt 0x4
	s_delay_alu instid0(VALU_DEP_1) | instskip(SKIP_4) | instid1(VALU_DEP_1)
	v_fmac_f64_e32 v[144:145], v[124:125], v[138:139]
	scratch_load_b128 v[122:125], off, off offset:416
	s_wait_dscnt 0x0
	v_fmac_f64_e32 v[144:145], v[126:127], v[140:141]
	s_wait_loadcnt 0x4
	v_fmac_f64_e32 v[144:145], v[128:129], v[142:143]
	ds_load_2addr_b64 v[126:129], v2 offset0:99 offset1:100
	ds_load_2addr_b64 v[136:139], v2 offset0:101 offset1:102
	s_wait_dscnt 0x1
	v_fmac_f64_e32 v[144:145], v[130:131], v[126:127]
	s_wait_loadcnt 0x3
	s_delay_alu instid0(VALU_DEP_1)
	v_fmac_f64_e32 v[144:145], v[132:133], v[128:129]
	ds_load_2addr_b64 v[126:129], v2 offset0:103 offset1:104
	ds_load_2addr_b64 v[130:133], v2 offset0:105 offset1:106
	s_wait_dscnt 0x2
	v_fmac_f64_e32 v[144:145], v[134:135], v[136:137]
	s_wait_loadcnt 0x2
	s_delay_alu instid0(VALU_DEP_1) | instskip(SKIP_4) | instid1(VALU_DEP_1)
	v_fmac_f64_e32 v[144:145], v[114:115], v[138:139]
	ds_load_b64 v[114:115], v2 offset:856
	s_wait_dscnt 0x2
	v_fmac_f64_e32 v[144:145], v[116:117], v[126:127]
	s_wait_loadcnt 0x1
	v_fmac_f64_e32 v[144:145], v[118:119], v[128:129]
	s_wait_dscnt 0x1
	s_delay_alu instid0(VALU_DEP_1) | instskip(SKIP_1) | instid1(VALU_DEP_1)
	v_fmac_f64_e32 v[144:145], v[120:121], v[130:131]
	s_wait_loadcnt 0x0
	v_fmac_f64_e32 v[144:145], v[122:123], v[132:133]
	s_wait_dscnt 0x0
	s_delay_alu instid0(VALU_DEP_1) | instskip(NEXT) | instid1(VALU_DEP_1)
	v_fmac_f64_e32 v[144:145], v[124:125], v[114:115]
	v_add_f64_e64 v[112:113], v[112:113], -v[144:145]
	scratch_store_b64 off, v[112:113], off offset:288
	s_wait_xcnt 0x0
	v_cmpx_lt_u32_e32 35, v0
	s_cbranch_execz .LBB117_263
; %bb.262:
	scratch_load_b64 v[112:113], off, off offset:280
	v_mov_b64_e32 v[114:115], 0
	scratch_store_b64 off, v[114:115], off offset:280
	s_wait_loadcnt 0x0
	ds_store_b64 v1, v[112:113]
.LBB117_263:
	s_wait_xcnt 0x0
	s_or_b32 exec_lo, exec_lo, s0
	s_wait_storecnt_dscnt 0x0
	s_barrier_signal -1
	s_barrier_wait -1
	s_clause 0x5
	scratch_load_b128 v[112:115], off, off offset:280
	scratch_load_b128 v[116:119], off, off offset:296
	;; [unrolled: 1-line block ×6, first 2 shown]
	ds_load_b128 v[136:139], v2 offset:720
	ds_load_b128 v[140:143], v2 offset:736
	s_mov_b32 s0, exec_lo
	s_wait_loadcnt_dscnt 0x501
	v_fma_f64 v[144:145], v[114:115], v[136:137], 0
	s_wait_loadcnt 0x4
	s_delay_alu instid0(VALU_DEP_1) | instskip(SKIP_4) | instid1(VALU_DEP_1)
	v_fmac_f64_e32 v[144:145], v[116:117], v[138:139]
	scratch_load_b128 v[114:117], off, off offset:376
	s_wait_dscnt 0x0
	v_fmac_f64_e32 v[144:145], v[118:119], v[140:141]
	s_wait_loadcnt 0x4
	v_fmac_f64_e32 v[144:145], v[120:121], v[142:143]
	scratch_load_b128 v[118:121], off, off offset:392
	ds_load_b128 v[136:139], v2 offset:752
	ds_load_b128 v[140:143], v2 offset:768
	s_wait_dscnt 0x1
	v_fmac_f64_e32 v[144:145], v[122:123], v[136:137]
	s_wait_loadcnt 0x4
	s_delay_alu instid0(VALU_DEP_1)
	v_fmac_f64_e32 v[144:145], v[124:125], v[138:139]
	scratch_load_b128 v[122:125], off, off offset:408
	s_wait_dscnt 0x0
	v_fmac_f64_e32 v[144:145], v[126:127], v[140:141]
	scratch_load_b64 v[140:141], off, off offset:424
	s_wait_loadcnt 0x5
	v_fmac_f64_e32 v[144:145], v[128:129], v[142:143]
	ds_load_b128 v[126:129], v2 offset:784
	ds_load_b128 v[136:139], v2 offset:800
	s_wait_dscnt 0x1
	v_fmac_f64_e32 v[144:145], v[130:131], v[126:127]
	s_wait_loadcnt 0x4
	s_delay_alu instid0(VALU_DEP_1)
	v_fmac_f64_e32 v[144:145], v[132:133], v[128:129]
	ds_load_b128 v[126:129], v2 offset:816
	ds_load_b128 v[130:133], v2 offset:832
	s_wait_dscnt 0x2
	v_fmac_f64_e32 v[144:145], v[134:135], v[136:137]
	s_wait_loadcnt 0x3
	s_delay_alu instid0(VALU_DEP_1) | instskip(SKIP_1) | instid1(VALU_DEP_1)
	v_fmac_f64_e32 v[144:145], v[114:115], v[138:139]
	s_wait_dscnt 0x1
	v_fmac_f64_e32 v[144:145], v[116:117], v[126:127]
	ds_load_b128 v[114:117], v2 offset:848
	s_wait_loadcnt 0x2
	v_fmac_f64_e32 v[144:145], v[118:119], v[128:129]
	s_wait_dscnt 0x1
	s_delay_alu instid0(VALU_DEP_1) | instskip(SKIP_1) | instid1(VALU_DEP_1)
	v_fmac_f64_e32 v[144:145], v[120:121], v[130:131]
	s_wait_loadcnt 0x1
	v_fmac_f64_e32 v[144:145], v[122:123], v[132:133]
	s_wait_dscnt 0x0
	s_delay_alu instid0(VALU_DEP_1) | instskip(SKIP_1) | instid1(VALU_DEP_1)
	v_fmac_f64_e32 v[144:145], v[124:125], v[114:115]
	s_wait_loadcnt 0x0
	v_fmac_f64_e32 v[144:145], v[140:141], v[116:117]
	s_delay_alu instid0(VALU_DEP_1)
	v_add_f64_e64 v[2:3], v[112:113], -v[144:145]
	scratch_store_b64 off, v[2:3], off offset:280
	s_wait_xcnt 0x0
	v_cmpx_lt_u32_e32 34, v0
	s_cbranch_execz .LBB117_265
; %bb.264:
	scratch_load_b64 v[2:3], off, off offset:272
	v_mov_b64_e32 v[112:113], 0
	scratch_store_b64 off, v[112:113], off offset:272
	s_wait_loadcnt 0x0
	ds_store_b64 v1, v[2:3]
.LBB117_265:
	s_wait_xcnt 0x0
	s_or_b32 exec_lo, exec_lo, s0
	s_wait_storecnt_dscnt 0x0
	s_barrier_signal -1
	s_barrier_wait -1
	s_clause 0x5
	scratch_load_b128 v[112:115], off, off offset:272
	scratch_load_b128 v[116:119], off, off offset:288
	;; [unrolled: 1-line block ×6, first 2 shown]
	v_mov_b32_e32 v2, 0
	ds_load_2addr_b64 v[136:139], v2 offset0:89 offset1:90
	ds_load_2addr_b64 v[140:143], v2 offset0:91 offset1:92
	s_mov_b32 s0, exec_lo
	s_wait_loadcnt_dscnt 0x501
	v_fma_f64 v[144:145], v[114:115], v[136:137], 0
	s_wait_loadcnt 0x4
	s_delay_alu instid0(VALU_DEP_1) | instskip(SKIP_4) | instid1(VALU_DEP_1)
	v_fmac_f64_e32 v[144:145], v[116:117], v[138:139]
	scratch_load_b128 v[114:117], off, off offset:368
	s_wait_dscnt 0x0
	v_fmac_f64_e32 v[144:145], v[118:119], v[140:141]
	s_wait_loadcnt 0x4
	v_fmac_f64_e32 v[144:145], v[120:121], v[142:143]
	scratch_load_b128 v[118:121], off, off offset:384
	ds_load_2addr_b64 v[136:139], v2 offset0:93 offset1:94
	ds_load_2addr_b64 v[140:143], v2 offset0:95 offset1:96
	s_wait_dscnt 0x1
	v_fmac_f64_e32 v[144:145], v[122:123], v[136:137]
	s_wait_loadcnt 0x4
	s_delay_alu instid0(VALU_DEP_1) | instskip(SKIP_4) | instid1(VALU_DEP_1)
	v_fmac_f64_e32 v[144:145], v[124:125], v[138:139]
	scratch_load_b128 v[122:125], off, off offset:400
	s_wait_dscnt 0x0
	v_fmac_f64_e32 v[144:145], v[126:127], v[140:141]
	s_wait_loadcnt 0x4
	v_fmac_f64_e32 v[144:145], v[128:129], v[142:143]
	scratch_load_b128 v[126:129], off, off offset:416
	ds_load_2addr_b64 v[136:139], v2 offset0:97 offset1:98
	ds_load_2addr_b64 v[140:143], v2 offset0:99 offset1:100
	s_wait_dscnt 0x1
	v_fmac_f64_e32 v[144:145], v[130:131], v[136:137]
	s_wait_loadcnt 0x4
	s_delay_alu instid0(VALU_DEP_1) | instskip(SKIP_1) | instid1(VALU_DEP_1)
	v_fmac_f64_e32 v[144:145], v[132:133], v[138:139]
	s_wait_dscnt 0x0
	v_fmac_f64_e32 v[144:145], v[134:135], v[140:141]
	ds_load_2addr_b64 v[130:133], v2 offset0:101 offset1:102
	ds_load_2addr_b64 v[134:137], v2 offset0:103 offset1:104
	s_wait_loadcnt 0x3
	v_fmac_f64_e32 v[144:145], v[114:115], v[142:143]
	s_wait_dscnt 0x1
	s_delay_alu instid0(VALU_DEP_1) | instskip(SKIP_1) | instid1(VALU_DEP_1)
	v_fmac_f64_e32 v[144:145], v[116:117], v[130:131]
	s_wait_loadcnt 0x2
	v_fmac_f64_e32 v[144:145], v[118:119], v[132:133]
	ds_load_2addr_b64 v[114:117], v2 offset0:105 offset1:106
	ds_load_b64 v[118:119], v2 offset:856
	s_wait_dscnt 0x2
	v_fmac_f64_e32 v[144:145], v[120:121], v[134:135]
	s_wait_loadcnt 0x1
	s_delay_alu instid0(VALU_DEP_1) | instskip(SKIP_1) | instid1(VALU_DEP_1)
	v_fmac_f64_e32 v[144:145], v[122:123], v[136:137]
	s_wait_dscnt 0x1
	v_fmac_f64_e32 v[144:145], v[124:125], v[114:115]
	s_wait_loadcnt 0x0
	s_delay_alu instid0(VALU_DEP_1) | instskip(SKIP_1) | instid1(VALU_DEP_1)
	v_fmac_f64_e32 v[144:145], v[126:127], v[116:117]
	s_wait_dscnt 0x0
	v_fmac_f64_e32 v[144:145], v[128:129], v[118:119]
	s_delay_alu instid0(VALU_DEP_1)
	v_add_f64_e64 v[112:113], v[112:113], -v[144:145]
	scratch_store_b64 off, v[112:113], off offset:272
	s_wait_xcnt 0x0
	v_cmpx_lt_u32_e32 33, v0
	s_cbranch_execz .LBB117_267
; %bb.266:
	scratch_load_b64 v[112:113], off, off offset:264
	v_mov_b64_e32 v[114:115], 0
	scratch_store_b64 off, v[114:115], off offset:264
	s_wait_loadcnt 0x0
	ds_store_b64 v1, v[112:113]
.LBB117_267:
	s_wait_xcnt 0x0
	s_or_b32 exec_lo, exec_lo, s0
	s_wait_storecnt_dscnt 0x0
	s_barrier_signal -1
	s_barrier_wait -1
	s_clause 0x5
	scratch_load_b128 v[112:115], off, off offset:264
	scratch_load_b128 v[116:119], off, off offset:280
	;; [unrolled: 1-line block ×6, first 2 shown]
	ds_load_b128 v[136:139], v2 offset:704
	ds_load_b128 v[140:143], v2 offset:720
	s_mov_b32 s0, exec_lo
	s_wait_loadcnt_dscnt 0x501
	v_fma_f64 v[144:145], v[114:115], v[136:137], 0
	s_wait_loadcnt 0x4
	s_delay_alu instid0(VALU_DEP_1) | instskip(SKIP_4) | instid1(VALU_DEP_1)
	v_fmac_f64_e32 v[144:145], v[116:117], v[138:139]
	scratch_load_b128 v[114:117], off, off offset:360
	s_wait_dscnt 0x0
	v_fmac_f64_e32 v[144:145], v[118:119], v[140:141]
	s_wait_loadcnt 0x4
	v_fmac_f64_e32 v[144:145], v[120:121], v[142:143]
	scratch_load_b128 v[118:121], off, off offset:376
	ds_load_b128 v[136:139], v2 offset:736
	ds_load_b128 v[140:143], v2 offset:752
	s_wait_dscnt 0x1
	v_fmac_f64_e32 v[144:145], v[122:123], v[136:137]
	s_wait_loadcnt 0x4
	s_delay_alu instid0(VALU_DEP_1) | instskip(SKIP_4) | instid1(VALU_DEP_1)
	v_fmac_f64_e32 v[144:145], v[124:125], v[138:139]
	scratch_load_b128 v[122:125], off, off offset:392
	s_wait_dscnt 0x0
	v_fmac_f64_e32 v[144:145], v[126:127], v[140:141]
	s_wait_loadcnt 0x4
	v_fmac_f64_e32 v[144:145], v[128:129], v[142:143]
	scratch_load_b128 v[126:129], off, off offset:408
	ds_load_b128 v[136:139], v2 offset:768
	ds_load_b128 v[140:143], v2 offset:784
	s_wait_dscnt 0x1
	v_fmac_f64_e32 v[144:145], v[130:131], v[136:137]
	s_wait_loadcnt 0x4
	s_delay_alu instid0(VALU_DEP_1)
	v_fmac_f64_e32 v[144:145], v[132:133], v[138:139]
	scratch_load_b64 v[138:139], off, off offset:424
	s_wait_dscnt 0x0
	v_fmac_f64_e32 v[144:145], v[134:135], v[140:141]
	ds_load_b128 v[130:133], v2 offset:800
	ds_load_b128 v[134:137], v2 offset:816
	s_wait_loadcnt 0x4
	v_fmac_f64_e32 v[144:145], v[114:115], v[142:143]
	s_wait_dscnt 0x1
	s_delay_alu instid0(VALU_DEP_1) | instskip(SKIP_1) | instid1(VALU_DEP_1)
	v_fmac_f64_e32 v[144:145], v[116:117], v[130:131]
	s_wait_loadcnt 0x3
	v_fmac_f64_e32 v[144:145], v[118:119], v[132:133]
	s_wait_dscnt 0x0
	s_delay_alu instid0(VALU_DEP_1)
	v_fmac_f64_e32 v[144:145], v[120:121], v[134:135]
	ds_load_b128 v[114:117], v2 offset:832
	ds_load_b128 v[118:121], v2 offset:848
	s_wait_loadcnt 0x2
	v_fmac_f64_e32 v[144:145], v[122:123], v[136:137]
	s_wait_dscnt 0x1
	s_delay_alu instid0(VALU_DEP_1) | instskip(SKIP_1) | instid1(VALU_DEP_1)
	v_fmac_f64_e32 v[144:145], v[124:125], v[114:115]
	s_wait_loadcnt 0x1
	v_fmac_f64_e32 v[144:145], v[126:127], v[116:117]
	s_wait_dscnt 0x0
	s_delay_alu instid0(VALU_DEP_1) | instskip(SKIP_1) | instid1(VALU_DEP_1)
	v_fmac_f64_e32 v[144:145], v[128:129], v[118:119]
	s_wait_loadcnt 0x0
	v_fmac_f64_e32 v[144:145], v[138:139], v[120:121]
	s_delay_alu instid0(VALU_DEP_1)
	v_add_f64_e64 v[2:3], v[112:113], -v[144:145]
	scratch_store_b64 off, v[2:3], off offset:264
	s_wait_xcnt 0x0
	v_cmpx_lt_u32_e32 32, v0
	s_cbranch_execz .LBB117_269
; %bb.268:
	scratch_load_b64 v[2:3], off, off offset:256
	v_mov_b64_e32 v[112:113], 0
	scratch_store_b64 off, v[112:113], off offset:256
	s_wait_loadcnt 0x0
	ds_store_b64 v1, v[2:3]
.LBB117_269:
	s_wait_xcnt 0x0
	s_or_b32 exec_lo, exec_lo, s0
	s_wait_storecnt_dscnt 0x0
	s_barrier_signal -1
	s_barrier_wait -1
	s_clause 0x5
	scratch_load_b128 v[112:115], off, off offset:256
	scratch_load_b128 v[116:119], off, off offset:272
	;; [unrolled: 1-line block ×6, first 2 shown]
	v_mov_b32_e32 v2, 0
	ds_load_2addr_b64 v[136:139], v2 offset0:87 offset1:88
	ds_load_2addr_b64 v[140:143], v2 offset0:89 offset1:90
	s_mov_b32 s0, exec_lo
	s_wait_loadcnt_dscnt 0x501
	v_fma_f64 v[144:145], v[114:115], v[136:137], 0
	s_wait_loadcnt 0x4
	s_delay_alu instid0(VALU_DEP_1) | instskip(SKIP_4) | instid1(VALU_DEP_1)
	v_fmac_f64_e32 v[144:145], v[116:117], v[138:139]
	scratch_load_b128 v[114:117], off, off offset:352
	s_wait_dscnt 0x0
	v_fmac_f64_e32 v[144:145], v[118:119], v[140:141]
	s_wait_loadcnt 0x4
	v_fmac_f64_e32 v[144:145], v[120:121], v[142:143]
	scratch_load_b128 v[118:121], off, off offset:368
	ds_load_2addr_b64 v[136:139], v2 offset0:91 offset1:92
	ds_load_2addr_b64 v[140:143], v2 offset0:93 offset1:94
	s_wait_dscnt 0x1
	v_fmac_f64_e32 v[144:145], v[122:123], v[136:137]
	s_wait_loadcnt 0x4
	s_delay_alu instid0(VALU_DEP_1) | instskip(SKIP_4) | instid1(VALU_DEP_1)
	v_fmac_f64_e32 v[144:145], v[124:125], v[138:139]
	scratch_load_b128 v[122:125], off, off offset:384
	s_wait_dscnt 0x0
	v_fmac_f64_e32 v[144:145], v[126:127], v[140:141]
	s_wait_loadcnt 0x4
	v_fmac_f64_e32 v[144:145], v[128:129], v[142:143]
	scratch_load_b128 v[126:129], off, off offset:400
	ds_load_2addr_b64 v[136:139], v2 offset0:95 offset1:96
	ds_load_2addr_b64 v[140:143], v2 offset0:97 offset1:98
	s_wait_dscnt 0x1
	v_fmac_f64_e32 v[144:145], v[130:131], v[136:137]
	s_wait_loadcnt 0x4
	s_delay_alu instid0(VALU_DEP_1)
	v_fmac_f64_e32 v[144:145], v[132:133], v[138:139]
	scratch_load_b128 v[130:133], off, off offset:416
	s_wait_dscnt 0x0
	v_fmac_f64_e32 v[144:145], v[134:135], v[140:141]
	ds_load_2addr_b64 v[134:137], v2 offset0:99 offset1:100
	ds_load_2addr_b64 v[138:141], v2 offset0:101 offset1:102
	s_wait_loadcnt 0x4
	v_fmac_f64_e32 v[144:145], v[114:115], v[142:143]
	s_wait_dscnt 0x1
	s_delay_alu instid0(VALU_DEP_1) | instskip(SKIP_1) | instid1(VALU_DEP_1)
	v_fmac_f64_e32 v[144:145], v[116:117], v[134:135]
	s_wait_loadcnt 0x3
	v_fmac_f64_e32 v[144:145], v[118:119], v[136:137]
	s_wait_dscnt 0x0
	s_delay_alu instid0(VALU_DEP_1)
	v_fmac_f64_e32 v[144:145], v[120:121], v[138:139]
	ds_load_2addr_b64 v[114:117], v2 offset0:103 offset1:104
	ds_load_2addr_b64 v[118:121], v2 offset0:105 offset1:106
	s_wait_loadcnt 0x2
	v_fmac_f64_e32 v[144:145], v[122:123], v[140:141]
	s_wait_dscnt 0x1
	s_delay_alu instid0(VALU_DEP_1) | instskip(SKIP_4) | instid1(VALU_DEP_1)
	v_fmac_f64_e32 v[144:145], v[124:125], v[114:115]
	ds_load_b64 v[114:115], v2 offset:856
	s_wait_loadcnt 0x1
	v_fmac_f64_e32 v[144:145], v[126:127], v[116:117]
	s_wait_dscnt 0x1
	v_fmac_f64_e32 v[144:145], v[128:129], v[118:119]
	s_wait_loadcnt 0x0
	s_delay_alu instid0(VALU_DEP_1) | instskip(SKIP_1) | instid1(VALU_DEP_1)
	v_fmac_f64_e32 v[144:145], v[130:131], v[120:121]
	s_wait_dscnt 0x0
	v_fmac_f64_e32 v[144:145], v[132:133], v[114:115]
	s_delay_alu instid0(VALU_DEP_1)
	v_add_f64_e64 v[112:113], v[112:113], -v[144:145]
	scratch_store_b64 off, v[112:113], off offset:256
	s_wait_xcnt 0x0
	v_cmpx_lt_u32_e32 31, v0
	s_cbranch_execz .LBB117_271
; %bb.270:
	scratch_load_b64 v[112:113], off, off offset:248
	v_mov_b64_e32 v[114:115], 0
	scratch_store_b64 off, v[114:115], off offset:248
	s_wait_loadcnt 0x0
	ds_store_b64 v1, v[112:113]
.LBB117_271:
	s_wait_xcnt 0x0
	s_or_b32 exec_lo, exec_lo, s0
	s_wait_storecnt_dscnt 0x0
	s_barrier_signal -1
	s_barrier_wait -1
	s_clause 0x5
	scratch_load_b128 v[112:115], off, off offset:248
	scratch_load_b128 v[116:119], off, off offset:264
	;; [unrolled: 1-line block ×6, first 2 shown]
	ds_load_b128 v[136:139], v2 offset:688
	ds_load_b128 v[140:143], v2 offset:704
	scratch_load_b128 v[144:147], off, off offset:344
	s_mov_b32 s0, exec_lo
	s_wait_loadcnt_dscnt 0x601
	v_fma_f64 v[148:149], v[114:115], v[136:137], 0
	s_wait_loadcnt 0x5
	s_delay_alu instid0(VALU_DEP_1) | instskip(SKIP_4) | instid1(VALU_DEP_1)
	v_fmac_f64_e32 v[148:149], v[116:117], v[138:139]
	scratch_load_b128 v[114:117], off, off offset:360
	s_wait_dscnt 0x0
	v_fmac_f64_e32 v[148:149], v[118:119], v[140:141]
	s_wait_loadcnt 0x5
	v_fmac_f64_e32 v[148:149], v[120:121], v[142:143]
	ds_load_b128 v[118:121], v2 offset:720
	ds_load_b128 v[136:139], v2 offset:736
	s_wait_dscnt 0x1
	v_fmac_f64_e32 v[148:149], v[122:123], v[118:119]
	s_wait_loadcnt 0x4
	s_delay_alu instid0(VALU_DEP_1)
	v_fmac_f64_e32 v[148:149], v[124:125], v[120:121]
	s_clause 0x1
	scratch_load_b128 v[118:121], off, off offset:376
	scratch_load_b128 v[122:125], off, off offset:392
	s_wait_dscnt 0x0
	v_fmac_f64_e32 v[148:149], v[126:127], v[136:137]
	s_wait_loadcnt 0x5
	s_delay_alu instid0(VALU_DEP_1)
	v_fmac_f64_e32 v[148:149], v[128:129], v[138:139]
	ds_load_b128 v[126:129], v2 offset:752
	ds_load_b128 v[136:139], v2 offset:768
	s_wait_dscnt 0x1
	v_fmac_f64_e32 v[148:149], v[130:131], v[126:127]
	s_wait_loadcnt 0x4
	s_delay_alu instid0(VALU_DEP_1) | instskip(SKIP_4) | instid1(VALU_DEP_1)
	v_fmac_f64_e32 v[148:149], v[132:133], v[128:129]
	scratch_load_b128 v[126:129], off, off offset:408
	s_wait_dscnt 0x0
	v_fmac_f64_e32 v[148:149], v[134:135], v[136:137]
	s_wait_loadcnt 0x4
	v_fmac_f64_e32 v[148:149], v[144:145], v[138:139]
	scratch_load_b64 v[138:139], off, off offset:424
	ds_load_b128 v[130:133], v2 offset:784
	ds_load_b128 v[134:137], v2 offset:800
	s_wait_dscnt 0x1
	v_fmac_f64_e32 v[148:149], v[146:147], v[130:131]
	s_wait_loadcnt 0x4
	s_delay_alu instid0(VALU_DEP_1) | instskip(SKIP_1) | instid1(VALU_DEP_1)
	v_fmac_f64_e32 v[148:149], v[114:115], v[132:133]
	s_wait_dscnt 0x0
	v_fmac_f64_e32 v[148:149], v[116:117], v[134:135]
	ds_load_b128 v[114:117], v2 offset:816
	ds_load_b128 v[130:133], v2 offset:832
	s_wait_loadcnt 0x3
	v_fmac_f64_e32 v[148:149], v[118:119], v[136:137]
	s_wait_dscnt 0x1
	s_delay_alu instid0(VALU_DEP_1) | instskip(SKIP_1) | instid1(VALU_DEP_1)
	v_fmac_f64_e32 v[148:149], v[120:121], v[114:115]
	s_wait_loadcnt 0x2
	v_fmac_f64_e32 v[148:149], v[122:123], v[116:117]
	ds_load_b128 v[114:117], v2 offset:848
	s_wait_dscnt 0x1
	v_fmac_f64_e32 v[148:149], v[124:125], v[130:131]
	s_wait_loadcnt 0x1
	s_delay_alu instid0(VALU_DEP_1) | instskip(SKIP_1) | instid1(VALU_DEP_1)
	v_fmac_f64_e32 v[148:149], v[126:127], v[132:133]
	s_wait_dscnt 0x0
	v_fmac_f64_e32 v[148:149], v[128:129], v[114:115]
	s_wait_loadcnt 0x0
	s_delay_alu instid0(VALU_DEP_1) | instskip(NEXT) | instid1(VALU_DEP_1)
	v_fmac_f64_e32 v[148:149], v[138:139], v[116:117]
	v_add_f64_e64 v[2:3], v[112:113], -v[148:149]
	scratch_store_b64 off, v[2:3], off offset:248
	s_wait_xcnt 0x0
	v_cmpx_lt_u32_e32 30, v0
	s_cbranch_execz .LBB117_273
; %bb.272:
	scratch_load_b64 v[2:3], off, off offset:240
	v_mov_b64_e32 v[112:113], 0
	scratch_store_b64 off, v[112:113], off offset:240
	s_wait_loadcnt 0x0
	ds_store_b64 v1, v[2:3]
.LBB117_273:
	s_wait_xcnt 0x0
	s_or_b32 exec_lo, exec_lo, s0
	s_wait_storecnt_dscnt 0x0
	s_barrier_signal -1
	s_barrier_wait -1
	s_clause 0x5
	scratch_load_b128 v[112:115], off, off offset:240
	scratch_load_b128 v[116:119], off, off offset:256
	;; [unrolled: 1-line block ×6, first 2 shown]
	v_mov_b32_e32 v2, 0
	ds_load_2addr_b64 v[136:139], v2 offset0:85 offset1:86
	ds_load_2addr_b64 v[140:143], v2 offset0:87 offset1:88
	scratch_load_b128 v[144:147], off, off offset:336
	s_mov_b32 s0, exec_lo
	s_wait_loadcnt_dscnt 0x601
	v_fma_f64 v[148:149], v[114:115], v[136:137], 0
	s_wait_loadcnt 0x5
	s_delay_alu instid0(VALU_DEP_1) | instskip(SKIP_4) | instid1(VALU_DEP_1)
	v_fmac_f64_e32 v[148:149], v[116:117], v[138:139]
	scratch_load_b128 v[114:117], off, off offset:352
	s_wait_dscnt 0x0
	v_fmac_f64_e32 v[148:149], v[118:119], v[140:141]
	s_wait_loadcnt 0x5
	v_fmac_f64_e32 v[148:149], v[120:121], v[142:143]
	ds_load_2addr_b64 v[118:121], v2 offset0:89 offset1:90
	ds_load_2addr_b64 v[136:139], v2 offset0:91 offset1:92
	s_wait_dscnt 0x1
	v_fmac_f64_e32 v[148:149], v[122:123], v[118:119]
	s_wait_loadcnt 0x4
	s_delay_alu instid0(VALU_DEP_1)
	v_fmac_f64_e32 v[148:149], v[124:125], v[120:121]
	s_clause 0x1
	scratch_load_b128 v[118:121], off, off offset:368
	scratch_load_b128 v[122:125], off, off offset:384
	s_wait_dscnt 0x0
	v_fmac_f64_e32 v[148:149], v[126:127], v[136:137]
	s_wait_loadcnt 0x5
	s_delay_alu instid0(VALU_DEP_1)
	v_fmac_f64_e32 v[148:149], v[128:129], v[138:139]
	ds_load_2addr_b64 v[126:129], v2 offset0:93 offset1:94
	ds_load_2addr_b64 v[136:139], v2 offset0:95 offset1:96
	s_wait_dscnt 0x1
	v_fmac_f64_e32 v[148:149], v[130:131], v[126:127]
	s_wait_loadcnt 0x4
	s_delay_alu instid0(VALU_DEP_1)
	v_fmac_f64_e32 v[148:149], v[132:133], v[128:129]
	s_clause 0x1
	scratch_load_b128 v[126:129], off, off offset:400
	scratch_load_b128 v[130:133], off, off offset:416
	s_wait_dscnt 0x0
	v_fmac_f64_e32 v[148:149], v[134:135], v[136:137]
	s_wait_loadcnt 0x5
	s_delay_alu instid0(VALU_DEP_1)
	v_fmac_f64_e32 v[148:149], v[144:145], v[138:139]
	ds_load_2addr_b64 v[134:137], v2 offset0:97 offset1:98
	ds_load_2addr_b64 v[138:141], v2 offset0:99 offset1:100
	s_wait_dscnt 0x1
	v_fmac_f64_e32 v[148:149], v[146:147], v[134:135]
	s_wait_loadcnt 0x4
	s_delay_alu instid0(VALU_DEP_1) | instskip(SKIP_1) | instid1(VALU_DEP_1)
	v_fmac_f64_e32 v[148:149], v[114:115], v[136:137]
	s_wait_dscnt 0x0
	v_fmac_f64_e32 v[148:149], v[116:117], v[138:139]
	ds_load_2addr_b64 v[114:117], v2 offset0:101 offset1:102
	ds_load_2addr_b64 v[134:137], v2 offset0:103 offset1:104
	s_wait_loadcnt 0x3
	v_fmac_f64_e32 v[148:149], v[118:119], v[140:141]
	s_wait_dscnt 0x1
	s_delay_alu instid0(VALU_DEP_1) | instskip(SKIP_1) | instid1(VALU_DEP_1)
	v_fmac_f64_e32 v[148:149], v[120:121], v[114:115]
	s_wait_loadcnt 0x2
	v_fmac_f64_e32 v[148:149], v[122:123], v[116:117]
	ds_load_2addr_b64 v[114:117], v2 offset0:105 offset1:106
	ds_load_b64 v[118:119], v2 offset:856
	s_wait_dscnt 0x2
	v_fmac_f64_e32 v[148:149], v[124:125], v[134:135]
	s_wait_loadcnt 0x1
	s_delay_alu instid0(VALU_DEP_1) | instskip(SKIP_1) | instid1(VALU_DEP_1)
	v_fmac_f64_e32 v[148:149], v[126:127], v[136:137]
	s_wait_dscnt 0x1
	v_fmac_f64_e32 v[148:149], v[128:129], v[114:115]
	s_wait_loadcnt 0x0
	s_delay_alu instid0(VALU_DEP_1) | instskip(SKIP_1) | instid1(VALU_DEP_1)
	v_fmac_f64_e32 v[148:149], v[130:131], v[116:117]
	s_wait_dscnt 0x0
	v_fmac_f64_e32 v[148:149], v[132:133], v[118:119]
	s_delay_alu instid0(VALU_DEP_1)
	v_add_f64_e64 v[112:113], v[112:113], -v[148:149]
	scratch_store_b64 off, v[112:113], off offset:240
	s_wait_xcnt 0x0
	v_cmpx_lt_u32_e32 29, v0
	s_cbranch_execz .LBB117_275
; %bb.274:
	scratch_load_b64 v[112:113], off, off offset:232
	v_mov_b64_e32 v[114:115], 0
	scratch_store_b64 off, v[114:115], off offset:232
	s_wait_loadcnt 0x0
	ds_store_b64 v1, v[112:113]
.LBB117_275:
	s_wait_xcnt 0x0
	s_or_b32 exec_lo, exec_lo, s0
	s_wait_storecnt_dscnt 0x0
	s_barrier_signal -1
	s_barrier_wait -1
	s_clause 0x5
	scratch_load_b128 v[112:115], off, off offset:232
	scratch_load_b128 v[116:119], off, off offset:248
	scratch_load_b128 v[120:123], off, off offset:264
	scratch_load_b128 v[124:127], off, off offset:280
	scratch_load_b128 v[128:131], off, off offset:296
	scratch_load_b128 v[132:135], off, off offset:312
	ds_load_b128 v[136:139], v2 offset:672
	ds_load_b128 v[140:143], v2 offset:688
	scratch_load_b128 v[144:147], off, off offset:328
	s_mov_b32 s0, exec_lo
	s_wait_loadcnt_dscnt 0x601
	v_fma_f64 v[148:149], v[114:115], v[136:137], 0
	s_wait_loadcnt 0x5
	s_delay_alu instid0(VALU_DEP_1) | instskip(SKIP_4) | instid1(VALU_DEP_1)
	v_fmac_f64_e32 v[148:149], v[116:117], v[138:139]
	scratch_load_b128 v[114:117], off, off offset:344
	s_wait_dscnt 0x0
	v_fmac_f64_e32 v[148:149], v[118:119], v[140:141]
	s_wait_loadcnt 0x5
	v_fmac_f64_e32 v[148:149], v[120:121], v[142:143]
	ds_load_b128 v[118:121], v2 offset:704
	ds_load_b128 v[136:139], v2 offset:720
	s_wait_dscnt 0x1
	v_fmac_f64_e32 v[148:149], v[122:123], v[118:119]
	s_wait_loadcnt 0x4
	s_delay_alu instid0(VALU_DEP_1)
	v_fmac_f64_e32 v[148:149], v[124:125], v[120:121]
	s_clause 0x1
	scratch_load_b128 v[118:121], off, off offset:360
	scratch_load_b128 v[122:125], off, off offset:376
	s_wait_dscnt 0x0
	v_fmac_f64_e32 v[148:149], v[126:127], v[136:137]
	s_wait_loadcnt 0x5
	s_delay_alu instid0(VALU_DEP_1)
	v_fmac_f64_e32 v[148:149], v[128:129], v[138:139]
	ds_load_b128 v[126:129], v2 offset:736
	ds_load_b128 v[136:139], v2 offset:752
	s_wait_dscnt 0x1
	v_fmac_f64_e32 v[148:149], v[130:131], v[126:127]
	s_wait_loadcnt 0x4
	s_delay_alu instid0(VALU_DEP_1)
	v_fmac_f64_e32 v[148:149], v[132:133], v[128:129]
	s_clause 0x1
	scratch_load_b128 v[126:129], off, off offset:392
	scratch_load_b128 v[130:133], off, off offset:408
	s_wait_dscnt 0x0
	v_fmac_f64_e32 v[148:149], v[134:135], v[136:137]
	s_wait_loadcnt 0x5
	s_delay_alu instid0(VALU_DEP_1)
	v_fmac_f64_e32 v[148:149], v[144:145], v[138:139]
	ds_load_b128 v[134:137], v2 offset:768
	ds_load_b128 v[138:141], v2 offset:784
	scratch_load_b64 v[142:143], off, off offset:424
	s_wait_dscnt 0x1
	v_fmac_f64_e32 v[148:149], v[146:147], v[134:135]
	s_wait_loadcnt 0x5
	s_delay_alu instid0(VALU_DEP_1) | instskip(SKIP_1) | instid1(VALU_DEP_1)
	v_fmac_f64_e32 v[148:149], v[114:115], v[136:137]
	s_wait_dscnt 0x0
	v_fmac_f64_e32 v[148:149], v[116:117], v[138:139]
	ds_load_b128 v[114:117], v2 offset:800
	ds_load_b128 v[134:137], v2 offset:816
	s_wait_loadcnt 0x4
	v_fmac_f64_e32 v[148:149], v[118:119], v[140:141]
	s_wait_dscnt 0x1
	s_delay_alu instid0(VALU_DEP_1) | instskip(SKIP_1) | instid1(VALU_DEP_1)
	v_fmac_f64_e32 v[148:149], v[120:121], v[114:115]
	s_wait_loadcnt 0x3
	v_fmac_f64_e32 v[148:149], v[122:123], v[116:117]
	ds_load_b128 v[114:117], v2 offset:832
	ds_load_b128 v[118:121], v2 offset:848
	s_wait_dscnt 0x2
	v_fmac_f64_e32 v[148:149], v[124:125], v[134:135]
	s_wait_loadcnt 0x2
	s_delay_alu instid0(VALU_DEP_1) | instskip(SKIP_1) | instid1(VALU_DEP_1)
	v_fmac_f64_e32 v[148:149], v[126:127], v[136:137]
	s_wait_dscnt 0x1
	v_fmac_f64_e32 v[148:149], v[128:129], v[114:115]
	s_wait_loadcnt 0x1
	s_delay_alu instid0(VALU_DEP_1) | instskip(SKIP_1) | instid1(VALU_DEP_1)
	v_fmac_f64_e32 v[148:149], v[130:131], v[116:117]
	s_wait_dscnt 0x0
	v_fmac_f64_e32 v[148:149], v[132:133], v[118:119]
	s_wait_loadcnt 0x0
	s_delay_alu instid0(VALU_DEP_1) | instskip(NEXT) | instid1(VALU_DEP_1)
	v_fmac_f64_e32 v[148:149], v[142:143], v[120:121]
	v_add_f64_e64 v[2:3], v[112:113], -v[148:149]
	scratch_store_b64 off, v[2:3], off offset:232
	s_wait_xcnt 0x0
	v_cmpx_lt_u32_e32 28, v0
	s_cbranch_execz .LBB117_277
; %bb.276:
	scratch_load_b64 v[2:3], off, off offset:224
	v_mov_b64_e32 v[112:113], 0
	scratch_store_b64 off, v[112:113], off offset:224
	s_wait_loadcnt 0x0
	ds_store_b64 v1, v[2:3]
.LBB117_277:
	s_wait_xcnt 0x0
	s_or_b32 exec_lo, exec_lo, s0
	s_wait_storecnt_dscnt 0x0
	s_barrier_signal -1
	s_barrier_wait -1
	s_clause 0x5
	scratch_load_b128 v[112:115], off, off offset:224
	scratch_load_b128 v[116:119], off, off offset:240
	;; [unrolled: 1-line block ×6, first 2 shown]
	v_mov_b32_e32 v2, 0
	ds_load_2addr_b64 v[136:139], v2 offset0:83 offset1:84
	ds_load_2addr_b64 v[140:143], v2 offset0:85 offset1:86
	scratch_load_b128 v[144:147], off, off offset:320
	s_mov_b32 s0, exec_lo
	s_wait_loadcnt_dscnt 0x601
	v_fma_f64 v[148:149], v[114:115], v[136:137], 0
	s_wait_loadcnt 0x5
	s_delay_alu instid0(VALU_DEP_1) | instskip(SKIP_4) | instid1(VALU_DEP_1)
	v_fmac_f64_e32 v[148:149], v[116:117], v[138:139]
	scratch_load_b128 v[114:117], off, off offset:336
	s_wait_dscnt 0x0
	v_fmac_f64_e32 v[148:149], v[118:119], v[140:141]
	s_wait_loadcnt 0x5
	v_fmac_f64_e32 v[148:149], v[120:121], v[142:143]
	ds_load_2addr_b64 v[118:121], v2 offset0:87 offset1:88
	ds_load_2addr_b64 v[136:139], v2 offset0:89 offset1:90
	s_wait_dscnt 0x1
	v_fmac_f64_e32 v[148:149], v[122:123], v[118:119]
	s_wait_loadcnt 0x4
	s_delay_alu instid0(VALU_DEP_1)
	v_fmac_f64_e32 v[148:149], v[124:125], v[120:121]
	s_clause 0x1
	scratch_load_b128 v[118:121], off, off offset:352
	scratch_load_b128 v[122:125], off, off offset:368
	s_wait_dscnt 0x0
	v_fmac_f64_e32 v[148:149], v[126:127], v[136:137]
	s_wait_loadcnt 0x5
	s_delay_alu instid0(VALU_DEP_1)
	v_fmac_f64_e32 v[148:149], v[128:129], v[138:139]
	ds_load_2addr_b64 v[126:129], v2 offset0:91 offset1:92
	ds_load_2addr_b64 v[136:139], v2 offset0:93 offset1:94
	s_wait_dscnt 0x1
	v_fmac_f64_e32 v[148:149], v[130:131], v[126:127]
	s_wait_loadcnt 0x4
	s_delay_alu instid0(VALU_DEP_1)
	v_fmac_f64_e32 v[148:149], v[132:133], v[128:129]
	s_clause 0x1
	scratch_load_b128 v[126:129], off, off offset:384
	scratch_load_b128 v[130:133], off, off offset:400
	s_wait_dscnt 0x0
	v_fmac_f64_e32 v[148:149], v[134:135], v[136:137]
	s_wait_loadcnt 0x5
	s_delay_alu instid0(VALU_DEP_1)
	v_fmac_f64_e32 v[148:149], v[144:145], v[138:139]
	ds_load_2addr_b64 v[134:137], v2 offset0:95 offset1:96
	ds_load_2addr_b64 v[138:141], v2 offset0:97 offset1:98
	s_wait_dscnt 0x1
	v_fmac_f64_e32 v[148:149], v[146:147], v[134:135]
	s_wait_loadcnt 0x4
	s_delay_alu instid0(VALU_DEP_1) | instskip(SKIP_4) | instid1(VALU_DEP_1)
	v_fmac_f64_e32 v[148:149], v[114:115], v[136:137]
	scratch_load_b128 v[134:137], off, off offset:416
	s_wait_dscnt 0x0
	v_fmac_f64_e32 v[148:149], v[116:117], v[138:139]
	s_wait_loadcnt 0x4
	v_fmac_f64_e32 v[148:149], v[118:119], v[140:141]
	ds_load_2addr_b64 v[114:117], v2 offset0:99 offset1:100
	ds_load_2addr_b64 v[138:141], v2 offset0:101 offset1:102
	s_wait_dscnt 0x1
	v_fmac_f64_e32 v[148:149], v[120:121], v[114:115]
	s_wait_loadcnt 0x3
	s_delay_alu instid0(VALU_DEP_1)
	v_fmac_f64_e32 v[148:149], v[122:123], v[116:117]
	ds_load_2addr_b64 v[114:117], v2 offset0:103 offset1:104
	ds_load_2addr_b64 v[118:121], v2 offset0:105 offset1:106
	s_wait_dscnt 0x2
	v_fmac_f64_e32 v[148:149], v[124:125], v[138:139]
	s_wait_loadcnt 0x2
	s_delay_alu instid0(VALU_DEP_1) | instskip(SKIP_1) | instid1(VALU_DEP_1)
	v_fmac_f64_e32 v[148:149], v[126:127], v[140:141]
	s_wait_dscnt 0x1
	v_fmac_f64_e32 v[148:149], v[128:129], v[114:115]
	ds_load_b64 v[114:115], v2 offset:856
	s_wait_loadcnt 0x1
	v_fmac_f64_e32 v[148:149], v[130:131], v[116:117]
	s_wait_dscnt 0x1
	s_delay_alu instid0(VALU_DEP_1) | instskip(SKIP_1) | instid1(VALU_DEP_1)
	v_fmac_f64_e32 v[148:149], v[132:133], v[118:119]
	s_wait_loadcnt 0x0
	v_fmac_f64_e32 v[148:149], v[134:135], v[120:121]
	s_wait_dscnt 0x0
	s_delay_alu instid0(VALU_DEP_1) | instskip(NEXT) | instid1(VALU_DEP_1)
	v_fmac_f64_e32 v[148:149], v[136:137], v[114:115]
	v_add_f64_e64 v[112:113], v[112:113], -v[148:149]
	scratch_store_b64 off, v[112:113], off offset:224
	s_wait_xcnt 0x0
	v_cmpx_lt_u32_e32 27, v0
	s_cbranch_execz .LBB117_279
; %bb.278:
	scratch_load_b64 v[112:113], off, off offset:216
	v_mov_b64_e32 v[114:115], 0
	scratch_store_b64 off, v[114:115], off offset:216
	s_wait_loadcnt 0x0
	ds_store_b64 v1, v[112:113]
.LBB117_279:
	s_wait_xcnt 0x0
	s_or_b32 exec_lo, exec_lo, s0
	s_wait_storecnt_dscnt 0x0
	s_barrier_signal -1
	s_barrier_wait -1
	s_clause 0x5
	scratch_load_b128 v[112:115], off, off offset:216
	scratch_load_b128 v[116:119], off, off offset:232
	;; [unrolled: 1-line block ×6, first 2 shown]
	ds_load_b128 v[136:139], v2 offset:656
	ds_load_b128 v[140:143], v2 offset:672
	scratch_load_b128 v[144:147], off, off offset:312
	s_mov_b32 s0, exec_lo
	s_wait_loadcnt_dscnt 0x601
	v_fma_f64 v[148:149], v[114:115], v[136:137], 0
	s_wait_loadcnt 0x5
	s_delay_alu instid0(VALU_DEP_1) | instskip(SKIP_4) | instid1(VALU_DEP_1)
	v_fmac_f64_e32 v[148:149], v[116:117], v[138:139]
	scratch_load_b128 v[114:117], off, off offset:328
	s_wait_dscnt 0x0
	v_fmac_f64_e32 v[148:149], v[118:119], v[140:141]
	s_wait_loadcnt 0x5
	v_fmac_f64_e32 v[148:149], v[120:121], v[142:143]
	ds_load_b128 v[118:121], v2 offset:688
	ds_load_b128 v[136:139], v2 offset:704
	scratch_load_b128 v[140:143], off, off offset:344
	s_wait_dscnt 0x1
	v_fmac_f64_e32 v[148:149], v[122:123], v[118:119]
	s_wait_loadcnt 0x5
	s_delay_alu instid0(VALU_DEP_1) | instskip(SKIP_4) | instid1(VALU_DEP_1)
	v_fmac_f64_e32 v[148:149], v[124:125], v[120:121]
	scratch_load_b128 v[118:121], off, off offset:360
	s_wait_dscnt 0x0
	v_fmac_f64_e32 v[148:149], v[126:127], v[136:137]
	s_wait_loadcnt 0x5
	v_fmac_f64_e32 v[148:149], v[128:129], v[138:139]
	ds_load_b128 v[122:125], v2 offset:720
	ds_load_b128 v[126:129], v2 offset:736
	s_wait_dscnt 0x1
	v_fmac_f64_e32 v[148:149], v[130:131], v[122:123]
	s_wait_loadcnt 0x4
	s_delay_alu instid0(VALU_DEP_1) | instskip(SKIP_4) | instid1(VALU_DEP_1)
	v_fmac_f64_e32 v[148:149], v[132:133], v[124:125]
	scratch_load_b128 v[122:125], off, off offset:376
	s_wait_dscnt 0x0
	v_fmac_f64_e32 v[148:149], v[134:135], v[126:127]
	s_wait_loadcnt 0x4
	v_fmac_f64_e32 v[148:149], v[144:145], v[128:129]
	scratch_load_b128 v[126:129], off, off offset:392
	ds_load_b128 v[130:133], v2 offset:752
	ds_load_b128 v[134:137], v2 offset:768
	scratch_load_b64 v[138:139], off, off offset:424
	s_wait_dscnt 0x1
	v_fmac_f64_e32 v[148:149], v[146:147], v[130:131]
	s_wait_loadcnt 0x5
	s_delay_alu instid0(VALU_DEP_1) | instskip(SKIP_4) | instid1(VALU_DEP_1)
	v_fmac_f64_e32 v[148:149], v[114:115], v[132:133]
	scratch_load_b128 v[130:133], off, off offset:408
	s_wait_dscnt 0x0
	v_fmac_f64_e32 v[148:149], v[116:117], v[134:135]
	s_wait_loadcnt 0x5
	v_fmac_f64_e32 v[148:149], v[140:141], v[136:137]
	ds_load_b128 v[114:117], v2 offset:784
	ds_load_b128 v[134:137], v2 offset:800
	s_wait_dscnt 0x1
	v_fmac_f64_e32 v[148:149], v[142:143], v[114:115]
	s_wait_loadcnt 0x4
	s_delay_alu instid0(VALU_DEP_1) | instskip(SKIP_1) | instid1(VALU_DEP_1)
	v_fmac_f64_e32 v[148:149], v[118:119], v[116:117]
	s_wait_dscnt 0x0
	v_fmac_f64_e32 v[148:149], v[120:121], v[134:135]
	ds_load_b128 v[114:117], v2 offset:816
	ds_load_b128 v[118:121], v2 offset:832
	s_wait_loadcnt 0x3
	v_fmac_f64_e32 v[148:149], v[122:123], v[136:137]
	s_wait_dscnt 0x1
	s_delay_alu instid0(VALU_DEP_1) | instskip(SKIP_1) | instid1(VALU_DEP_1)
	v_fmac_f64_e32 v[148:149], v[124:125], v[114:115]
	s_wait_loadcnt 0x2
	v_fmac_f64_e32 v[148:149], v[126:127], v[116:117]
	ds_load_b128 v[114:117], v2 offset:848
	s_wait_dscnt 0x1
	v_fmac_f64_e32 v[148:149], v[128:129], v[118:119]
	s_wait_loadcnt 0x0
	s_delay_alu instid0(VALU_DEP_1) | instskip(SKIP_1) | instid1(VALU_DEP_1)
	v_fmac_f64_e32 v[148:149], v[130:131], v[120:121]
	s_wait_dscnt 0x0
	v_fmac_f64_e32 v[148:149], v[132:133], v[114:115]
	s_delay_alu instid0(VALU_DEP_1) | instskip(NEXT) | instid1(VALU_DEP_1)
	v_fmac_f64_e32 v[148:149], v[138:139], v[116:117]
	v_add_f64_e64 v[2:3], v[112:113], -v[148:149]
	scratch_store_b64 off, v[2:3], off offset:216
	s_wait_xcnt 0x0
	v_cmpx_lt_u32_e32 26, v0
	s_cbranch_execz .LBB117_281
; %bb.280:
	scratch_load_b64 v[2:3], off, off offset:208
	v_mov_b64_e32 v[112:113], 0
	scratch_store_b64 off, v[112:113], off offset:208
	s_wait_loadcnt 0x0
	ds_store_b64 v1, v[2:3]
.LBB117_281:
	s_wait_xcnt 0x0
	s_or_b32 exec_lo, exec_lo, s0
	s_wait_storecnt_dscnt 0x0
	s_barrier_signal -1
	s_barrier_wait -1
	s_clause 0x5
	scratch_load_b128 v[112:115], off, off offset:208
	scratch_load_b128 v[116:119], off, off offset:224
	scratch_load_b128 v[120:123], off, off offset:240
	scratch_load_b128 v[124:127], off, off offset:256
	scratch_load_b128 v[128:131], off, off offset:272
	scratch_load_b128 v[132:135], off, off offset:288
	v_mov_b32_e32 v2, 0
	ds_load_2addr_b64 v[136:139], v2 offset0:81 offset1:82
	ds_load_2addr_b64 v[140:143], v2 offset0:83 offset1:84
	scratch_load_b128 v[144:147], off, off offset:304
	s_mov_b32 s0, exec_lo
	s_wait_loadcnt_dscnt 0x601
	v_fma_f64 v[148:149], v[114:115], v[136:137], 0
	s_wait_loadcnt 0x5
	s_delay_alu instid0(VALU_DEP_1) | instskip(SKIP_4) | instid1(VALU_DEP_1)
	v_fmac_f64_e32 v[148:149], v[116:117], v[138:139]
	scratch_load_b128 v[114:117], off, off offset:320
	s_wait_dscnt 0x0
	v_fmac_f64_e32 v[148:149], v[118:119], v[140:141]
	s_wait_loadcnt 0x5
	v_fmac_f64_e32 v[148:149], v[120:121], v[142:143]
	ds_load_2addr_b64 v[118:121], v2 offset0:85 offset1:86
	ds_load_2addr_b64 v[136:139], v2 offset0:87 offset1:88
	scratch_load_b128 v[140:143], off, off offset:336
	s_wait_dscnt 0x1
	v_fmac_f64_e32 v[148:149], v[122:123], v[118:119]
	s_wait_loadcnt 0x5
	s_delay_alu instid0(VALU_DEP_1) | instskip(SKIP_4) | instid1(VALU_DEP_1)
	v_fmac_f64_e32 v[148:149], v[124:125], v[120:121]
	scratch_load_b128 v[118:121], off, off offset:352
	s_wait_dscnt 0x0
	v_fmac_f64_e32 v[148:149], v[126:127], v[136:137]
	s_wait_loadcnt 0x5
	v_fmac_f64_e32 v[148:149], v[128:129], v[138:139]
	ds_load_2addr_b64 v[122:125], v2 offset0:89 offset1:90
	ds_load_2addr_b64 v[126:129], v2 offset0:91 offset1:92
	s_wait_dscnt 0x1
	v_fmac_f64_e32 v[148:149], v[130:131], v[122:123]
	s_wait_loadcnt 0x4
	s_delay_alu instid0(VALU_DEP_1) | instskip(SKIP_4) | instid1(VALU_DEP_1)
	v_fmac_f64_e32 v[148:149], v[132:133], v[124:125]
	scratch_load_b128 v[122:125], off, off offset:368
	s_wait_dscnt 0x0
	v_fmac_f64_e32 v[148:149], v[134:135], v[126:127]
	s_wait_loadcnt 0x4
	v_fmac_f64_e32 v[148:149], v[144:145], v[128:129]
	scratch_load_b128 v[126:129], off, off offset:384
	ds_load_2addr_b64 v[130:133], v2 offset0:93 offset1:94
	ds_load_2addr_b64 v[134:137], v2 offset0:95 offset1:96
	s_wait_dscnt 0x1
	v_fmac_f64_e32 v[148:149], v[146:147], v[130:131]
	s_wait_loadcnt 0x4
	s_delay_alu instid0(VALU_DEP_1)
	v_fmac_f64_e32 v[148:149], v[114:115], v[132:133]
	scratch_load_b128 v[130:133], off, off offset:400
	s_wait_dscnt 0x0
	v_fmac_f64_e32 v[148:149], v[116:117], v[134:135]
	scratch_load_b128 v[114:117], off, off offset:416
	s_wait_loadcnt 0x5
	v_fmac_f64_e32 v[148:149], v[140:141], v[136:137]
	ds_load_2addr_b64 v[134:137], v2 offset0:97 offset1:98
	ds_load_2addr_b64 v[138:141], v2 offset0:99 offset1:100
	s_wait_dscnt 0x1
	v_fmac_f64_e32 v[148:149], v[142:143], v[134:135]
	s_wait_loadcnt 0x4
	s_delay_alu instid0(VALU_DEP_1) | instskip(SKIP_1) | instid1(VALU_DEP_1)
	v_fmac_f64_e32 v[148:149], v[118:119], v[136:137]
	s_wait_dscnt 0x0
	v_fmac_f64_e32 v[148:149], v[120:121], v[138:139]
	ds_load_2addr_b64 v[118:121], v2 offset0:101 offset1:102
	ds_load_2addr_b64 v[134:137], v2 offset0:103 offset1:104
	s_wait_loadcnt 0x3
	v_fmac_f64_e32 v[148:149], v[122:123], v[140:141]
	s_wait_dscnt 0x1
	s_delay_alu instid0(VALU_DEP_1) | instskip(SKIP_1) | instid1(VALU_DEP_1)
	v_fmac_f64_e32 v[148:149], v[124:125], v[118:119]
	s_wait_loadcnt 0x2
	v_fmac_f64_e32 v[148:149], v[126:127], v[120:121]
	ds_load_2addr_b64 v[118:121], v2 offset0:105 offset1:106
	ds_load_b64 v[122:123], v2 offset:856
	s_wait_dscnt 0x2
	v_fmac_f64_e32 v[148:149], v[128:129], v[134:135]
	s_wait_loadcnt 0x1
	s_delay_alu instid0(VALU_DEP_1) | instskip(SKIP_1) | instid1(VALU_DEP_1)
	v_fmac_f64_e32 v[148:149], v[130:131], v[136:137]
	s_wait_dscnt 0x1
	v_fmac_f64_e32 v[148:149], v[132:133], v[118:119]
	s_wait_loadcnt 0x0
	s_delay_alu instid0(VALU_DEP_1) | instskip(SKIP_1) | instid1(VALU_DEP_1)
	v_fmac_f64_e32 v[148:149], v[114:115], v[120:121]
	s_wait_dscnt 0x0
	v_fmac_f64_e32 v[148:149], v[116:117], v[122:123]
	s_delay_alu instid0(VALU_DEP_1)
	v_add_f64_e64 v[112:113], v[112:113], -v[148:149]
	scratch_store_b64 off, v[112:113], off offset:208
	s_wait_xcnt 0x0
	v_cmpx_lt_u32_e32 25, v0
	s_cbranch_execz .LBB117_283
; %bb.282:
	scratch_load_b64 v[112:113], off, off offset:200
	v_mov_b64_e32 v[114:115], 0
	scratch_store_b64 off, v[114:115], off offset:200
	s_wait_loadcnt 0x0
	ds_store_b64 v1, v[112:113]
.LBB117_283:
	s_wait_xcnt 0x0
	s_or_b32 exec_lo, exec_lo, s0
	s_wait_storecnt_dscnt 0x0
	s_barrier_signal -1
	s_barrier_wait -1
	s_clause 0x5
	scratch_load_b128 v[112:115], off, off offset:200
	scratch_load_b128 v[116:119], off, off offset:216
	;; [unrolled: 1-line block ×6, first 2 shown]
	ds_load_b128 v[136:139], v2 offset:640
	ds_load_b128 v[140:143], v2 offset:656
	scratch_load_b128 v[144:147], off, off offset:296
	s_mov_b32 s0, exec_lo
	s_wait_loadcnt_dscnt 0x601
	v_fma_f64 v[148:149], v[114:115], v[136:137], 0
	s_wait_loadcnt 0x5
	s_delay_alu instid0(VALU_DEP_1) | instskip(SKIP_4) | instid1(VALU_DEP_1)
	v_fmac_f64_e32 v[148:149], v[116:117], v[138:139]
	scratch_load_b128 v[114:117], off, off offset:312
	s_wait_dscnt 0x0
	v_fmac_f64_e32 v[148:149], v[118:119], v[140:141]
	s_wait_loadcnt 0x5
	v_fmac_f64_e32 v[148:149], v[120:121], v[142:143]
	ds_load_b128 v[118:121], v2 offset:672
	ds_load_b128 v[136:139], v2 offset:688
	scratch_load_b128 v[140:143], off, off offset:328
	s_wait_dscnt 0x1
	v_fmac_f64_e32 v[148:149], v[122:123], v[118:119]
	s_wait_loadcnt 0x5
	s_delay_alu instid0(VALU_DEP_1) | instskip(SKIP_4) | instid1(VALU_DEP_1)
	v_fmac_f64_e32 v[148:149], v[124:125], v[120:121]
	scratch_load_b128 v[118:121], off, off offset:344
	s_wait_dscnt 0x0
	v_fmac_f64_e32 v[148:149], v[126:127], v[136:137]
	s_wait_loadcnt 0x5
	v_fmac_f64_e32 v[148:149], v[128:129], v[138:139]
	ds_load_b128 v[122:125], v2 offset:704
	ds_load_b128 v[126:129], v2 offset:720
	s_wait_dscnt 0x1
	v_fmac_f64_e32 v[148:149], v[130:131], v[122:123]
	s_wait_loadcnt 0x4
	s_delay_alu instid0(VALU_DEP_1) | instskip(SKIP_4) | instid1(VALU_DEP_1)
	v_fmac_f64_e32 v[148:149], v[132:133], v[124:125]
	scratch_load_b128 v[122:125], off, off offset:360
	s_wait_dscnt 0x0
	v_fmac_f64_e32 v[148:149], v[134:135], v[126:127]
	s_wait_loadcnt 0x4
	v_fmac_f64_e32 v[148:149], v[144:145], v[128:129]
	scratch_load_b128 v[126:129], off, off offset:376
	ds_load_b128 v[130:133], v2 offset:736
	ds_load_b128 v[134:137], v2 offset:752
	s_wait_dscnt 0x1
	v_fmac_f64_e32 v[148:149], v[146:147], v[130:131]
	s_wait_loadcnt 0x4
	s_delay_alu instid0(VALU_DEP_1)
	v_fmac_f64_e32 v[148:149], v[114:115], v[132:133]
	scratch_load_b128 v[130:133], off, off offset:392
	s_wait_dscnt 0x0
	v_fmac_f64_e32 v[148:149], v[116:117], v[134:135]
	scratch_load_b128 v[114:117], off, off offset:408
	s_wait_loadcnt 0x5
	v_fmac_f64_e32 v[148:149], v[140:141], v[136:137]
	ds_load_b128 v[134:137], v2 offset:768
	ds_load_b128 v[138:141], v2 offset:784
	s_wait_dscnt 0x1
	v_fmac_f64_e32 v[148:149], v[142:143], v[134:135]
	scratch_load_b64 v[142:143], off, off offset:424
	s_wait_loadcnt 0x5
	v_fmac_f64_e32 v[148:149], v[118:119], v[136:137]
	s_wait_dscnt 0x0
	s_delay_alu instid0(VALU_DEP_1)
	v_fmac_f64_e32 v[148:149], v[120:121], v[138:139]
	ds_load_b128 v[118:121], v2 offset:800
	ds_load_b128 v[134:137], v2 offset:816
	s_wait_loadcnt 0x4
	v_fmac_f64_e32 v[148:149], v[122:123], v[140:141]
	s_wait_dscnt 0x1
	s_delay_alu instid0(VALU_DEP_1) | instskip(SKIP_1) | instid1(VALU_DEP_1)
	v_fmac_f64_e32 v[148:149], v[124:125], v[118:119]
	s_wait_loadcnt 0x3
	v_fmac_f64_e32 v[148:149], v[126:127], v[120:121]
	ds_load_b128 v[118:121], v2 offset:832
	ds_load_b128 v[122:125], v2 offset:848
	s_wait_dscnt 0x2
	v_fmac_f64_e32 v[148:149], v[128:129], v[134:135]
	s_wait_loadcnt 0x2
	s_delay_alu instid0(VALU_DEP_1) | instskip(SKIP_1) | instid1(VALU_DEP_1)
	v_fmac_f64_e32 v[148:149], v[130:131], v[136:137]
	s_wait_dscnt 0x1
	v_fmac_f64_e32 v[148:149], v[132:133], v[118:119]
	s_wait_loadcnt 0x1
	s_delay_alu instid0(VALU_DEP_1) | instskip(SKIP_1) | instid1(VALU_DEP_1)
	v_fmac_f64_e32 v[148:149], v[114:115], v[120:121]
	s_wait_dscnt 0x0
	v_fmac_f64_e32 v[148:149], v[116:117], v[122:123]
	s_wait_loadcnt 0x0
	s_delay_alu instid0(VALU_DEP_1) | instskip(NEXT) | instid1(VALU_DEP_1)
	v_fmac_f64_e32 v[148:149], v[142:143], v[124:125]
	v_add_f64_e64 v[2:3], v[112:113], -v[148:149]
	scratch_store_b64 off, v[2:3], off offset:200
	s_wait_xcnt 0x0
	v_cmpx_lt_u32_e32 24, v0
	s_cbranch_execz .LBB117_285
; %bb.284:
	scratch_load_b64 v[2:3], off, off offset:192
	v_mov_b64_e32 v[112:113], 0
	scratch_store_b64 off, v[112:113], off offset:192
	s_wait_loadcnt 0x0
	ds_store_b64 v1, v[2:3]
.LBB117_285:
	s_wait_xcnt 0x0
	s_or_b32 exec_lo, exec_lo, s0
	s_wait_storecnt_dscnt 0x0
	s_barrier_signal -1
	s_barrier_wait -1
	s_clause 0x5
	scratch_load_b128 v[112:115], off, off offset:192
	scratch_load_b128 v[116:119], off, off offset:208
	scratch_load_b128 v[120:123], off, off offset:224
	scratch_load_b128 v[124:127], off, off offset:240
	scratch_load_b128 v[128:131], off, off offset:256
	scratch_load_b128 v[132:135], off, off offset:272
	v_mov_b32_e32 v2, 0
	ds_load_2addr_b64 v[136:139], v2 offset0:79 offset1:80
	ds_load_2addr_b64 v[140:143], v2 offset0:81 offset1:82
	scratch_load_b128 v[144:147], off, off offset:288
	s_mov_b32 s0, exec_lo
	s_wait_loadcnt_dscnt 0x601
	v_fma_f64 v[148:149], v[114:115], v[136:137], 0
	s_wait_loadcnt 0x5
	s_delay_alu instid0(VALU_DEP_1) | instskip(SKIP_4) | instid1(VALU_DEP_1)
	v_fmac_f64_e32 v[148:149], v[116:117], v[138:139]
	scratch_load_b128 v[114:117], off, off offset:304
	s_wait_dscnt 0x0
	v_fmac_f64_e32 v[148:149], v[118:119], v[140:141]
	s_wait_loadcnt 0x5
	v_fmac_f64_e32 v[148:149], v[120:121], v[142:143]
	ds_load_2addr_b64 v[118:121], v2 offset0:83 offset1:84
	ds_load_2addr_b64 v[136:139], v2 offset0:85 offset1:86
	scratch_load_b128 v[140:143], off, off offset:320
	s_wait_dscnt 0x1
	v_fmac_f64_e32 v[148:149], v[122:123], v[118:119]
	s_wait_loadcnt 0x5
	s_delay_alu instid0(VALU_DEP_1) | instskip(SKIP_4) | instid1(VALU_DEP_1)
	v_fmac_f64_e32 v[148:149], v[124:125], v[120:121]
	scratch_load_b128 v[118:121], off, off offset:336
	s_wait_dscnt 0x0
	v_fmac_f64_e32 v[148:149], v[126:127], v[136:137]
	s_wait_loadcnt 0x5
	v_fmac_f64_e32 v[148:149], v[128:129], v[138:139]
	ds_load_2addr_b64 v[122:125], v2 offset0:87 offset1:88
	ds_load_2addr_b64 v[126:129], v2 offset0:89 offset1:90
	s_wait_dscnt 0x1
	v_fmac_f64_e32 v[148:149], v[130:131], v[122:123]
	s_wait_loadcnt 0x4
	s_delay_alu instid0(VALU_DEP_1) | instskip(SKIP_4) | instid1(VALU_DEP_1)
	v_fmac_f64_e32 v[148:149], v[132:133], v[124:125]
	scratch_load_b128 v[122:125], off, off offset:352
	s_wait_dscnt 0x0
	v_fmac_f64_e32 v[148:149], v[134:135], v[126:127]
	s_wait_loadcnt 0x4
	v_fmac_f64_e32 v[148:149], v[144:145], v[128:129]
	scratch_load_b128 v[126:129], off, off offset:368
	ds_load_2addr_b64 v[130:133], v2 offset0:91 offset1:92
	ds_load_2addr_b64 v[134:137], v2 offset0:93 offset1:94
	s_wait_dscnt 0x1
	v_fmac_f64_e32 v[148:149], v[146:147], v[130:131]
	s_wait_loadcnt 0x4
	s_delay_alu instid0(VALU_DEP_1)
	v_fmac_f64_e32 v[148:149], v[114:115], v[132:133]
	scratch_load_b128 v[130:133], off, off offset:384
	s_wait_dscnt 0x0
	v_fmac_f64_e32 v[148:149], v[116:117], v[134:135]
	scratch_load_b128 v[114:117], off, off offset:400
	s_wait_loadcnt 0x5
	v_fmac_f64_e32 v[148:149], v[140:141], v[136:137]
	ds_load_2addr_b64 v[134:137], v2 offset0:95 offset1:96
	ds_load_2addr_b64 v[138:141], v2 offset0:97 offset1:98
	s_wait_dscnt 0x1
	v_fmac_f64_e32 v[148:149], v[142:143], v[134:135]
	s_wait_loadcnt 0x4
	s_delay_alu instid0(VALU_DEP_1) | instskip(SKIP_4) | instid1(VALU_DEP_1)
	v_fmac_f64_e32 v[148:149], v[118:119], v[136:137]
	scratch_load_b128 v[134:137], off, off offset:416
	s_wait_dscnt 0x0
	v_fmac_f64_e32 v[148:149], v[120:121], v[138:139]
	s_wait_loadcnt 0x4
	v_fmac_f64_e32 v[148:149], v[122:123], v[140:141]
	ds_load_2addr_b64 v[118:121], v2 offset0:99 offset1:100
	ds_load_2addr_b64 v[138:141], v2 offset0:101 offset1:102
	s_wait_dscnt 0x1
	v_fmac_f64_e32 v[148:149], v[124:125], v[118:119]
	s_wait_loadcnt 0x3
	s_delay_alu instid0(VALU_DEP_1)
	v_fmac_f64_e32 v[148:149], v[126:127], v[120:121]
	ds_load_2addr_b64 v[118:121], v2 offset0:103 offset1:104
	ds_load_2addr_b64 v[122:125], v2 offset0:105 offset1:106
	s_wait_dscnt 0x2
	v_fmac_f64_e32 v[148:149], v[128:129], v[138:139]
	s_wait_loadcnt 0x2
	s_delay_alu instid0(VALU_DEP_1) | instskip(SKIP_1) | instid1(VALU_DEP_1)
	v_fmac_f64_e32 v[148:149], v[130:131], v[140:141]
	s_wait_dscnt 0x1
	v_fmac_f64_e32 v[148:149], v[132:133], v[118:119]
	s_wait_loadcnt 0x1
	s_delay_alu instid0(VALU_DEP_1) | instskip(SKIP_4) | instid1(VALU_DEP_1)
	v_fmac_f64_e32 v[148:149], v[114:115], v[120:121]
	ds_load_b64 v[114:115], v2 offset:856
	s_wait_dscnt 0x1
	v_fmac_f64_e32 v[148:149], v[116:117], v[122:123]
	s_wait_loadcnt 0x0
	v_fmac_f64_e32 v[148:149], v[134:135], v[124:125]
	s_wait_dscnt 0x0
	s_delay_alu instid0(VALU_DEP_1) | instskip(NEXT) | instid1(VALU_DEP_1)
	v_fmac_f64_e32 v[148:149], v[136:137], v[114:115]
	v_add_f64_e64 v[112:113], v[112:113], -v[148:149]
	scratch_store_b64 off, v[112:113], off offset:192
	s_wait_xcnt 0x0
	v_cmpx_lt_u32_e32 23, v0
	s_cbranch_execz .LBB117_287
; %bb.286:
	scratch_load_b64 v[112:113], off, off offset:184
	v_mov_b64_e32 v[114:115], 0
	scratch_store_b64 off, v[114:115], off offset:184
	s_wait_loadcnt 0x0
	ds_store_b64 v1, v[112:113]
.LBB117_287:
	s_wait_xcnt 0x0
	s_or_b32 exec_lo, exec_lo, s0
	s_wait_storecnt_dscnt 0x0
	s_barrier_signal -1
	s_barrier_wait -1
	s_clause 0x5
	scratch_load_b128 v[112:115], off, off offset:184
	scratch_load_b128 v[116:119], off, off offset:200
	;; [unrolled: 1-line block ×6, first 2 shown]
	ds_load_b128 v[136:139], v2 offset:624
	ds_load_b128 v[140:143], v2 offset:640
	scratch_load_b128 v[144:147], off, off offset:280
	s_mov_b32 s0, exec_lo
	s_wait_loadcnt_dscnt 0x601
	v_fma_f64 v[148:149], v[114:115], v[136:137], 0
	s_wait_loadcnt 0x5
	s_delay_alu instid0(VALU_DEP_1) | instskip(SKIP_4) | instid1(VALU_DEP_1)
	v_fmac_f64_e32 v[148:149], v[116:117], v[138:139]
	scratch_load_b128 v[114:117], off, off offset:296
	s_wait_dscnt 0x0
	v_fmac_f64_e32 v[148:149], v[118:119], v[140:141]
	s_wait_loadcnt 0x5
	v_fmac_f64_e32 v[148:149], v[120:121], v[142:143]
	ds_load_b128 v[118:121], v2 offset:656
	ds_load_b128 v[136:139], v2 offset:672
	scratch_load_b128 v[140:143], off, off offset:312
	s_wait_dscnt 0x1
	v_fmac_f64_e32 v[148:149], v[122:123], v[118:119]
	s_wait_loadcnt 0x5
	s_delay_alu instid0(VALU_DEP_1) | instskip(SKIP_4) | instid1(VALU_DEP_1)
	v_fmac_f64_e32 v[148:149], v[124:125], v[120:121]
	scratch_load_b128 v[118:121], off, off offset:328
	s_wait_dscnt 0x0
	v_fmac_f64_e32 v[148:149], v[126:127], v[136:137]
	s_wait_loadcnt 0x5
	v_fmac_f64_e32 v[148:149], v[128:129], v[138:139]
	ds_load_b128 v[122:125], v2 offset:688
	ds_load_b128 v[126:129], v2 offset:704
	scratch_load_b128 v[136:139], off, off offset:344
	s_wait_dscnt 0x1
	v_fmac_f64_e32 v[148:149], v[130:131], v[122:123]
	s_wait_loadcnt 0x5
	s_delay_alu instid0(VALU_DEP_1) | instskip(SKIP_4) | instid1(VALU_DEP_1)
	v_fmac_f64_e32 v[148:149], v[132:133], v[124:125]
	scratch_load_b128 v[122:125], off, off offset:360
	s_wait_dscnt 0x0
	v_fmac_f64_e32 v[148:149], v[134:135], v[126:127]
	s_wait_loadcnt 0x5
	v_fmac_f64_e32 v[148:149], v[144:145], v[128:129]
	ds_load_b128 v[126:129], v2 offset:720
	ds_load_b128 v[130:133], v2 offset:736
	s_wait_dscnt 0x1
	v_fmac_f64_e32 v[148:149], v[146:147], v[126:127]
	s_wait_loadcnt 0x4
	s_delay_alu instid0(VALU_DEP_1)
	v_fmac_f64_e32 v[148:149], v[114:115], v[128:129]
	scratch_load_b128 v[126:129], off, off offset:376
	s_wait_dscnt 0x0
	v_fmac_f64_e32 v[148:149], v[116:117], v[130:131]
	scratch_load_b128 v[114:117], off, off offset:392
	s_wait_loadcnt 0x5
	v_fmac_f64_e32 v[148:149], v[140:141], v[132:133]
	ds_load_b128 v[130:133], v2 offset:752
	ds_load_b128 v[144:147], v2 offset:768
	scratch_load_b64 v[140:141], off, off offset:424
	s_wait_dscnt 0x1
	v_fmac_f64_e32 v[148:149], v[142:143], v[130:131]
	s_wait_loadcnt 0x5
	s_delay_alu instid0(VALU_DEP_1) | instskip(SKIP_4) | instid1(VALU_DEP_1)
	v_fmac_f64_e32 v[148:149], v[118:119], v[132:133]
	scratch_load_b128 v[130:133], off, off offset:408
	s_wait_dscnt 0x0
	v_fmac_f64_e32 v[148:149], v[120:121], v[144:145]
	s_wait_loadcnt 0x5
	v_fmac_f64_e32 v[148:149], v[136:137], v[146:147]
	ds_load_b128 v[118:121], v2 offset:784
	ds_load_b128 v[134:137], v2 offset:800
	s_wait_dscnt 0x1
	v_fmac_f64_e32 v[148:149], v[138:139], v[118:119]
	s_wait_loadcnt 0x4
	s_delay_alu instid0(VALU_DEP_1) | instskip(SKIP_1) | instid1(VALU_DEP_1)
	v_fmac_f64_e32 v[148:149], v[122:123], v[120:121]
	s_wait_dscnt 0x0
	v_fmac_f64_e32 v[148:149], v[124:125], v[134:135]
	ds_load_b128 v[118:121], v2 offset:816
	ds_load_b128 v[122:125], v2 offset:832
	s_wait_loadcnt 0x3
	v_fmac_f64_e32 v[148:149], v[126:127], v[136:137]
	s_wait_dscnt 0x1
	s_delay_alu instid0(VALU_DEP_1) | instskip(SKIP_1) | instid1(VALU_DEP_1)
	v_fmac_f64_e32 v[148:149], v[128:129], v[118:119]
	s_wait_loadcnt 0x2
	v_fmac_f64_e32 v[148:149], v[114:115], v[120:121]
	s_wait_dscnt 0x0
	s_delay_alu instid0(VALU_DEP_1) | instskip(SKIP_4) | instid1(VALU_DEP_1)
	v_fmac_f64_e32 v[148:149], v[116:117], v[122:123]
	ds_load_b128 v[114:117], v2 offset:848
	s_wait_loadcnt 0x0
	v_fmac_f64_e32 v[148:149], v[130:131], v[124:125]
	s_wait_dscnt 0x0
	v_fmac_f64_e32 v[148:149], v[132:133], v[114:115]
	s_delay_alu instid0(VALU_DEP_1) | instskip(NEXT) | instid1(VALU_DEP_1)
	v_fmac_f64_e32 v[148:149], v[140:141], v[116:117]
	v_add_f64_e64 v[2:3], v[112:113], -v[148:149]
	scratch_store_b64 off, v[2:3], off offset:184
	s_wait_xcnt 0x0
	v_cmpx_lt_u32_e32 22, v0
	s_cbranch_execz .LBB117_289
; %bb.288:
	scratch_load_b64 v[2:3], off, off offset:176
	v_mov_b64_e32 v[112:113], 0
	scratch_store_b64 off, v[112:113], off offset:176
	s_wait_loadcnt 0x0
	ds_store_b64 v1, v[2:3]
.LBB117_289:
	s_wait_xcnt 0x0
	s_or_b32 exec_lo, exec_lo, s0
	s_wait_storecnt_dscnt 0x0
	s_barrier_signal -1
	s_barrier_wait -1
	s_clause 0x5
	scratch_load_b128 v[112:115], off, off offset:176
	scratch_load_b128 v[116:119], off, off offset:192
	;; [unrolled: 1-line block ×6, first 2 shown]
	v_mov_b32_e32 v2, 0
	ds_load_2addr_b64 v[136:139], v2 offset0:77 offset1:78
	ds_load_2addr_b64 v[140:143], v2 offset0:79 offset1:80
	scratch_load_b128 v[144:147], off, off offset:272
	s_mov_b32 s0, exec_lo
	s_wait_loadcnt_dscnt 0x601
	v_fma_f64 v[148:149], v[114:115], v[136:137], 0
	s_wait_loadcnt 0x5
	s_delay_alu instid0(VALU_DEP_1) | instskip(SKIP_4) | instid1(VALU_DEP_1)
	v_fmac_f64_e32 v[148:149], v[116:117], v[138:139]
	scratch_load_b128 v[114:117], off, off offset:288
	s_wait_dscnt 0x0
	v_fmac_f64_e32 v[148:149], v[118:119], v[140:141]
	s_wait_loadcnt 0x5
	v_fmac_f64_e32 v[148:149], v[120:121], v[142:143]
	ds_load_2addr_b64 v[118:121], v2 offset0:81 offset1:82
	ds_load_2addr_b64 v[136:139], v2 offset0:83 offset1:84
	scratch_load_b128 v[140:143], off, off offset:304
	s_wait_dscnt 0x1
	v_fmac_f64_e32 v[148:149], v[122:123], v[118:119]
	s_wait_loadcnt 0x5
	s_delay_alu instid0(VALU_DEP_1) | instskip(SKIP_4) | instid1(VALU_DEP_1)
	v_fmac_f64_e32 v[148:149], v[124:125], v[120:121]
	scratch_load_b128 v[118:121], off, off offset:320
	s_wait_dscnt 0x0
	v_fmac_f64_e32 v[148:149], v[126:127], v[136:137]
	s_wait_loadcnt 0x5
	v_fmac_f64_e32 v[148:149], v[128:129], v[138:139]
	ds_load_2addr_b64 v[122:125], v2 offset0:85 offset1:86
	ds_load_2addr_b64 v[126:129], v2 offset0:87 offset1:88
	scratch_load_b128 v[136:139], off, off offset:336
	s_wait_dscnt 0x1
	v_fmac_f64_e32 v[148:149], v[130:131], v[122:123]
	s_wait_loadcnt 0x5
	s_delay_alu instid0(VALU_DEP_1) | instskip(SKIP_4) | instid1(VALU_DEP_1)
	v_fmac_f64_e32 v[148:149], v[132:133], v[124:125]
	scratch_load_b128 v[122:125], off, off offset:352
	s_wait_dscnt 0x0
	v_fmac_f64_e32 v[148:149], v[134:135], v[126:127]
	s_wait_loadcnt 0x5
	v_fmac_f64_e32 v[148:149], v[144:145], v[128:129]
	ds_load_2addr_b64 v[126:129], v2 offset0:89 offset1:90
	ds_load_2addr_b64 v[130:133], v2 offset0:91 offset1:92
	s_wait_dscnt 0x1
	v_fmac_f64_e32 v[148:149], v[146:147], v[126:127]
	s_wait_loadcnt 0x4
	s_delay_alu instid0(VALU_DEP_1)
	v_fmac_f64_e32 v[148:149], v[114:115], v[128:129]
	scratch_load_b128 v[126:129], off, off offset:368
	s_wait_dscnt 0x0
	v_fmac_f64_e32 v[148:149], v[116:117], v[130:131]
	scratch_load_b128 v[114:117], off, off offset:384
	s_wait_loadcnt 0x5
	v_fmac_f64_e32 v[148:149], v[140:141], v[132:133]
	ds_load_2addr_b64 v[130:133], v2 offset0:93 offset1:94
	ds_load_2addr_b64 v[144:147], v2 offset0:95 offset1:96
	s_wait_dscnt 0x1
	v_fmac_f64_e32 v[148:149], v[142:143], v[130:131]
	s_wait_loadcnt 0x4
	s_delay_alu instid0(VALU_DEP_1)
	v_fmac_f64_e32 v[148:149], v[118:119], v[132:133]
	scratch_load_b128 v[130:133], off, off offset:400
	s_wait_dscnt 0x0
	v_fmac_f64_e32 v[148:149], v[120:121], v[144:145]
	scratch_load_b128 v[118:121], off, off offset:416
	s_wait_loadcnt 0x5
	v_fmac_f64_e32 v[148:149], v[136:137], v[146:147]
	ds_load_2addr_b64 v[134:137], v2 offset0:97 offset1:98
	ds_load_2addr_b64 v[140:143], v2 offset0:99 offset1:100
	s_wait_dscnt 0x1
	v_fmac_f64_e32 v[148:149], v[138:139], v[134:135]
	s_wait_loadcnt 0x4
	s_delay_alu instid0(VALU_DEP_1) | instskip(SKIP_1) | instid1(VALU_DEP_1)
	v_fmac_f64_e32 v[148:149], v[122:123], v[136:137]
	s_wait_dscnt 0x0
	v_fmac_f64_e32 v[148:149], v[124:125], v[140:141]
	ds_load_2addr_b64 v[122:125], v2 offset0:101 offset1:102
	ds_load_2addr_b64 v[134:137], v2 offset0:103 offset1:104
	s_wait_loadcnt 0x3
	v_fmac_f64_e32 v[148:149], v[126:127], v[142:143]
	s_wait_dscnt 0x1
	s_delay_alu instid0(VALU_DEP_1) | instskip(SKIP_1) | instid1(VALU_DEP_1)
	v_fmac_f64_e32 v[148:149], v[128:129], v[122:123]
	s_wait_loadcnt 0x2
	v_fmac_f64_e32 v[148:149], v[114:115], v[124:125]
	s_wait_dscnt 0x0
	s_delay_alu instid0(VALU_DEP_1)
	v_fmac_f64_e32 v[148:149], v[116:117], v[134:135]
	ds_load_2addr_b64 v[114:117], v2 offset0:105 offset1:106
	ds_load_b64 v[122:123], v2 offset:856
	s_wait_loadcnt 0x1
	v_fmac_f64_e32 v[148:149], v[130:131], v[136:137]
	s_wait_dscnt 0x1
	s_delay_alu instid0(VALU_DEP_1) | instskip(SKIP_1) | instid1(VALU_DEP_1)
	v_fmac_f64_e32 v[148:149], v[132:133], v[114:115]
	s_wait_loadcnt 0x0
	v_fmac_f64_e32 v[148:149], v[118:119], v[116:117]
	s_wait_dscnt 0x0
	s_delay_alu instid0(VALU_DEP_1) | instskip(NEXT) | instid1(VALU_DEP_1)
	v_fmac_f64_e32 v[148:149], v[120:121], v[122:123]
	v_add_f64_e64 v[112:113], v[112:113], -v[148:149]
	scratch_store_b64 off, v[112:113], off offset:176
	s_wait_xcnt 0x0
	v_cmpx_lt_u32_e32 21, v0
	s_cbranch_execz .LBB117_291
; %bb.290:
	scratch_load_b64 v[112:113], off, off offset:168
	v_mov_b64_e32 v[114:115], 0
	scratch_store_b64 off, v[114:115], off offset:168
	s_wait_loadcnt 0x0
	ds_store_b64 v1, v[112:113]
.LBB117_291:
	s_wait_xcnt 0x0
	s_or_b32 exec_lo, exec_lo, s0
	s_wait_storecnt_dscnt 0x0
	s_barrier_signal -1
	s_barrier_wait -1
	s_clause 0x5
	scratch_load_b128 v[112:115], off, off offset:168
	scratch_load_b128 v[116:119], off, off offset:184
	;; [unrolled: 1-line block ×6, first 2 shown]
	ds_load_b128 v[136:139], v2 offset:608
	ds_load_b128 v[140:143], v2 offset:624
	scratch_load_b128 v[144:147], off, off offset:264
	s_mov_b32 s0, exec_lo
	s_wait_loadcnt_dscnt 0x601
	v_fma_f64 v[148:149], v[114:115], v[136:137], 0
	s_wait_loadcnt 0x5
	s_delay_alu instid0(VALU_DEP_1) | instskip(SKIP_4) | instid1(VALU_DEP_1)
	v_fmac_f64_e32 v[148:149], v[116:117], v[138:139]
	scratch_load_b128 v[114:117], off, off offset:280
	s_wait_dscnt 0x0
	v_fmac_f64_e32 v[148:149], v[118:119], v[140:141]
	s_wait_loadcnt 0x5
	v_fmac_f64_e32 v[148:149], v[120:121], v[142:143]
	ds_load_b128 v[118:121], v2 offset:640
	ds_load_b128 v[136:139], v2 offset:656
	scratch_load_b128 v[140:143], off, off offset:296
	s_wait_dscnt 0x1
	v_fmac_f64_e32 v[148:149], v[122:123], v[118:119]
	s_wait_loadcnt 0x5
	s_delay_alu instid0(VALU_DEP_1) | instskip(SKIP_4) | instid1(VALU_DEP_1)
	v_fmac_f64_e32 v[148:149], v[124:125], v[120:121]
	scratch_load_b128 v[118:121], off, off offset:312
	s_wait_dscnt 0x0
	v_fmac_f64_e32 v[148:149], v[126:127], v[136:137]
	s_wait_loadcnt 0x5
	v_fmac_f64_e32 v[148:149], v[128:129], v[138:139]
	ds_load_b128 v[122:125], v2 offset:672
	ds_load_b128 v[126:129], v2 offset:688
	scratch_load_b128 v[136:139], off, off offset:328
	s_wait_dscnt 0x1
	v_fmac_f64_e32 v[148:149], v[130:131], v[122:123]
	s_wait_loadcnt 0x5
	s_delay_alu instid0(VALU_DEP_1) | instskip(SKIP_4) | instid1(VALU_DEP_1)
	v_fmac_f64_e32 v[148:149], v[132:133], v[124:125]
	scratch_load_b128 v[122:125], off, off offset:344
	s_wait_dscnt 0x0
	v_fmac_f64_e32 v[148:149], v[134:135], v[126:127]
	s_wait_loadcnt 0x5
	v_fmac_f64_e32 v[148:149], v[144:145], v[128:129]
	ds_load_b128 v[126:129], v2 offset:704
	ds_load_b128 v[130:133], v2 offset:720
	s_wait_dscnt 0x1
	v_fmac_f64_e32 v[148:149], v[146:147], v[126:127]
	s_wait_loadcnt 0x4
	s_delay_alu instid0(VALU_DEP_1)
	v_fmac_f64_e32 v[148:149], v[114:115], v[128:129]
	scratch_load_b128 v[126:129], off, off offset:360
	s_wait_dscnt 0x0
	v_fmac_f64_e32 v[148:149], v[116:117], v[130:131]
	scratch_load_b128 v[114:117], off, off offset:376
	s_wait_loadcnt 0x5
	v_fmac_f64_e32 v[148:149], v[140:141], v[132:133]
	ds_load_b128 v[130:133], v2 offset:736
	ds_load_b128 v[144:147], v2 offset:752
	s_wait_dscnt 0x1
	v_fmac_f64_e32 v[148:149], v[142:143], v[130:131]
	s_wait_loadcnt 0x4
	s_delay_alu instid0(VALU_DEP_1)
	v_fmac_f64_e32 v[148:149], v[118:119], v[132:133]
	scratch_load_b128 v[130:133], off, off offset:392
	s_wait_dscnt 0x0
	v_fmac_f64_e32 v[148:149], v[120:121], v[144:145]
	scratch_load_b128 v[118:121], off, off offset:408
	s_wait_loadcnt 0x5
	v_fmac_f64_e32 v[148:149], v[136:137], v[146:147]
	ds_load_b128 v[134:137], v2 offset:768
	ds_load_b128 v[140:143], v2 offset:784
	s_wait_dscnt 0x1
	v_fmac_f64_e32 v[148:149], v[138:139], v[134:135]
	scratch_load_b64 v[138:139], off, off offset:424
	s_wait_loadcnt 0x5
	v_fmac_f64_e32 v[148:149], v[122:123], v[136:137]
	s_wait_dscnt 0x0
	s_delay_alu instid0(VALU_DEP_1)
	v_fmac_f64_e32 v[148:149], v[124:125], v[140:141]
	ds_load_b128 v[122:125], v2 offset:800
	ds_load_b128 v[134:137], v2 offset:816
	s_wait_loadcnt 0x4
	v_fmac_f64_e32 v[148:149], v[126:127], v[142:143]
	s_wait_dscnt 0x1
	s_delay_alu instid0(VALU_DEP_1) | instskip(SKIP_1) | instid1(VALU_DEP_1)
	v_fmac_f64_e32 v[148:149], v[128:129], v[122:123]
	s_wait_loadcnt 0x3
	v_fmac_f64_e32 v[148:149], v[114:115], v[124:125]
	s_wait_dscnt 0x0
	s_delay_alu instid0(VALU_DEP_1)
	v_fmac_f64_e32 v[148:149], v[116:117], v[134:135]
	ds_load_b128 v[114:117], v2 offset:832
	ds_load_b128 v[122:125], v2 offset:848
	s_wait_loadcnt 0x2
	v_fmac_f64_e32 v[148:149], v[130:131], v[136:137]
	s_wait_dscnt 0x1
	s_delay_alu instid0(VALU_DEP_1) | instskip(SKIP_1) | instid1(VALU_DEP_1)
	v_fmac_f64_e32 v[148:149], v[132:133], v[114:115]
	s_wait_loadcnt 0x1
	v_fmac_f64_e32 v[148:149], v[118:119], v[116:117]
	s_wait_dscnt 0x0
	s_delay_alu instid0(VALU_DEP_1) | instskip(SKIP_1) | instid1(VALU_DEP_1)
	v_fmac_f64_e32 v[148:149], v[120:121], v[122:123]
	s_wait_loadcnt 0x0
	v_fmac_f64_e32 v[148:149], v[138:139], v[124:125]
	s_delay_alu instid0(VALU_DEP_1)
	v_add_f64_e64 v[2:3], v[112:113], -v[148:149]
	scratch_store_b64 off, v[2:3], off offset:168
	s_wait_xcnt 0x0
	v_cmpx_lt_u32_e32 20, v0
	s_cbranch_execz .LBB117_293
; %bb.292:
	scratch_load_b64 v[2:3], off, off offset:160
	v_mov_b64_e32 v[112:113], 0
	scratch_store_b64 off, v[112:113], off offset:160
	s_wait_loadcnt 0x0
	ds_store_b64 v1, v[2:3]
.LBB117_293:
	s_wait_xcnt 0x0
	s_or_b32 exec_lo, exec_lo, s0
	s_wait_storecnt_dscnt 0x0
	s_barrier_signal -1
	s_barrier_wait -1
	s_clause 0x5
	scratch_load_b128 v[112:115], off, off offset:160
	scratch_load_b128 v[116:119], off, off offset:176
	;; [unrolled: 1-line block ×6, first 2 shown]
	v_mov_b32_e32 v2, 0
	ds_load_2addr_b64 v[136:139], v2 offset0:75 offset1:76
	ds_load_2addr_b64 v[140:143], v2 offset0:77 offset1:78
	scratch_load_b128 v[144:147], off, off offset:256
	s_mov_b32 s0, exec_lo
	s_wait_loadcnt_dscnt 0x601
	v_fma_f64 v[148:149], v[114:115], v[136:137], 0
	s_wait_loadcnt 0x5
	s_delay_alu instid0(VALU_DEP_1) | instskip(SKIP_4) | instid1(VALU_DEP_1)
	v_fmac_f64_e32 v[148:149], v[116:117], v[138:139]
	scratch_load_b128 v[114:117], off, off offset:272
	s_wait_dscnt 0x0
	v_fmac_f64_e32 v[148:149], v[118:119], v[140:141]
	s_wait_loadcnt 0x5
	v_fmac_f64_e32 v[148:149], v[120:121], v[142:143]
	ds_load_2addr_b64 v[118:121], v2 offset0:79 offset1:80
	ds_load_2addr_b64 v[136:139], v2 offset0:81 offset1:82
	scratch_load_b128 v[140:143], off, off offset:288
	s_wait_dscnt 0x1
	v_fmac_f64_e32 v[148:149], v[122:123], v[118:119]
	s_wait_loadcnt 0x5
	s_delay_alu instid0(VALU_DEP_1) | instskip(SKIP_4) | instid1(VALU_DEP_1)
	v_fmac_f64_e32 v[148:149], v[124:125], v[120:121]
	scratch_load_b128 v[118:121], off, off offset:304
	s_wait_dscnt 0x0
	v_fmac_f64_e32 v[148:149], v[126:127], v[136:137]
	s_wait_loadcnt 0x5
	v_fmac_f64_e32 v[148:149], v[128:129], v[138:139]
	ds_load_2addr_b64 v[122:125], v2 offset0:83 offset1:84
	ds_load_2addr_b64 v[126:129], v2 offset0:85 offset1:86
	scratch_load_b128 v[136:139], off, off offset:320
	s_wait_dscnt 0x1
	v_fmac_f64_e32 v[148:149], v[130:131], v[122:123]
	s_wait_loadcnt 0x5
	s_delay_alu instid0(VALU_DEP_1) | instskip(SKIP_4) | instid1(VALU_DEP_1)
	v_fmac_f64_e32 v[148:149], v[132:133], v[124:125]
	scratch_load_b128 v[122:125], off, off offset:336
	s_wait_dscnt 0x0
	v_fmac_f64_e32 v[148:149], v[134:135], v[126:127]
	s_wait_loadcnt 0x5
	v_fmac_f64_e32 v[148:149], v[144:145], v[128:129]
	ds_load_2addr_b64 v[126:129], v2 offset0:87 offset1:88
	ds_load_2addr_b64 v[130:133], v2 offset0:89 offset1:90
	s_wait_dscnt 0x1
	v_fmac_f64_e32 v[148:149], v[146:147], v[126:127]
	s_wait_loadcnt 0x4
	s_delay_alu instid0(VALU_DEP_1)
	v_fmac_f64_e32 v[148:149], v[114:115], v[128:129]
	scratch_load_b128 v[126:129], off, off offset:352
	s_wait_dscnt 0x0
	v_fmac_f64_e32 v[148:149], v[116:117], v[130:131]
	scratch_load_b128 v[114:117], off, off offset:368
	s_wait_loadcnt 0x5
	v_fmac_f64_e32 v[148:149], v[140:141], v[132:133]
	ds_load_2addr_b64 v[130:133], v2 offset0:91 offset1:92
	ds_load_2addr_b64 v[144:147], v2 offset0:93 offset1:94
	s_wait_dscnt 0x1
	v_fmac_f64_e32 v[148:149], v[142:143], v[130:131]
	s_wait_loadcnt 0x4
	s_delay_alu instid0(VALU_DEP_1)
	v_fmac_f64_e32 v[148:149], v[118:119], v[132:133]
	scratch_load_b128 v[130:133], off, off offset:384
	s_wait_dscnt 0x0
	v_fmac_f64_e32 v[148:149], v[120:121], v[144:145]
	scratch_load_b128 v[118:121], off, off offset:400
	s_wait_loadcnt 0x5
	v_fmac_f64_e32 v[148:149], v[136:137], v[146:147]
	ds_load_2addr_b64 v[134:137], v2 offset0:95 offset1:96
	ds_load_2addr_b64 v[140:143], v2 offset0:97 offset1:98
	s_wait_dscnt 0x1
	v_fmac_f64_e32 v[148:149], v[138:139], v[134:135]
	s_wait_loadcnt 0x4
	s_delay_alu instid0(VALU_DEP_1)
	v_fmac_f64_e32 v[148:149], v[122:123], v[136:137]
	scratch_load_b128 v[134:137], off, off offset:416
	s_wait_dscnt 0x0
	v_fmac_f64_e32 v[148:149], v[124:125], v[140:141]
	ds_load_2addr_b64 v[122:125], v2 offset0:99 offset1:100
	ds_load_2addr_b64 v[138:141], v2 offset0:101 offset1:102
	s_wait_loadcnt 0x4
	v_fmac_f64_e32 v[148:149], v[126:127], v[142:143]
	s_wait_dscnt 0x1
	s_delay_alu instid0(VALU_DEP_1) | instskip(SKIP_1) | instid1(VALU_DEP_1)
	v_fmac_f64_e32 v[148:149], v[128:129], v[122:123]
	s_wait_loadcnt 0x3
	v_fmac_f64_e32 v[148:149], v[114:115], v[124:125]
	s_wait_dscnt 0x0
	s_delay_alu instid0(VALU_DEP_1)
	v_fmac_f64_e32 v[148:149], v[116:117], v[138:139]
	ds_load_2addr_b64 v[114:117], v2 offset0:103 offset1:104
	ds_load_2addr_b64 v[122:125], v2 offset0:105 offset1:106
	s_wait_loadcnt 0x2
	v_fmac_f64_e32 v[148:149], v[130:131], v[140:141]
	s_wait_dscnt 0x1
	s_delay_alu instid0(VALU_DEP_1) | instskip(SKIP_4) | instid1(VALU_DEP_1)
	v_fmac_f64_e32 v[148:149], v[132:133], v[114:115]
	ds_load_b64 v[114:115], v2 offset:856
	s_wait_loadcnt 0x1
	v_fmac_f64_e32 v[148:149], v[118:119], v[116:117]
	s_wait_dscnt 0x1
	v_fmac_f64_e32 v[148:149], v[120:121], v[122:123]
	s_wait_loadcnt 0x0
	s_delay_alu instid0(VALU_DEP_1) | instskip(SKIP_1) | instid1(VALU_DEP_1)
	v_fmac_f64_e32 v[148:149], v[134:135], v[124:125]
	s_wait_dscnt 0x0
	v_fmac_f64_e32 v[148:149], v[136:137], v[114:115]
	s_delay_alu instid0(VALU_DEP_1)
	v_add_f64_e64 v[112:113], v[112:113], -v[148:149]
	scratch_store_b64 off, v[112:113], off offset:160
	s_wait_xcnt 0x0
	v_cmpx_lt_u32_e32 19, v0
	s_cbranch_execz .LBB117_295
; %bb.294:
	scratch_load_b64 v[112:113], off, off offset:152
	v_mov_b64_e32 v[114:115], 0
	scratch_store_b64 off, v[114:115], off offset:152
	s_wait_loadcnt 0x0
	ds_store_b64 v1, v[112:113]
.LBB117_295:
	s_wait_xcnt 0x0
	s_or_b32 exec_lo, exec_lo, s0
	s_wait_storecnt_dscnt 0x0
	s_barrier_signal -1
	s_barrier_wait -1
	s_clause 0x5
	scratch_load_b128 v[112:115], off, off offset:152
	scratch_load_b128 v[116:119], off, off offset:168
	;; [unrolled: 1-line block ×6, first 2 shown]
	ds_load_b128 v[136:139], v2 offset:592
	ds_load_b128 v[140:143], v2 offset:608
	scratch_load_b128 v[144:147], off, off offset:248
	s_mov_b32 s0, exec_lo
	s_wait_loadcnt_dscnt 0x601
	v_fma_f64 v[148:149], v[114:115], v[136:137], 0
	s_wait_loadcnt 0x5
	s_delay_alu instid0(VALU_DEP_1) | instskip(SKIP_4) | instid1(VALU_DEP_1)
	v_fmac_f64_e32 v[148:149], v[116:117], v[138:139]
	scratch_load_b128 v[114:117], off, off offset:264
	s_wait_dscnt 0x0
	v_fmac_f64_e32 v[148:149], v[118:119], v[140:141]
	s_wait_loadcnt 0x5
	v_fmac_f64_e32 v[148:149], v[120:121], v[142:143]
	ds_load_b128 v[118:121], v2 offset:624
	ds_load_b128 v[136:139], v2 offset:640
	scratch_load_b128 v[140:143], off, off offset:280
	s_wait_dscnt 0x1
	v_fmac_f64_e32 v[148:149], v[122:123], v[118:119]
	s_wait_loadcnt 0x5
	s_delay_alu instid0(VALU_DEP_1) | instskip(SKIP_4) | instid1(VALU_DEP_1)
	v_fmac_f64_e32 v[148:149], v[124:125], v[120:121]
	scratch_load_b128 v[118:121], off, off offset:296
	s_wait_dscnt 0x0
	v_fmac_f64_e32 v[148:149], v[126:127], v[136:137]
	s_wait_loadcnt 0x5
	v_fmac_f64_e32 v[148:149], v[128:129], v[138:139]
	ds_load_b128 v[122:125], v2 offset:656
	ds_load_b128 v[126:129], v2 offset:672
	scratch_load_b128 v[136:139], off, off offset:312
	s_wait_dscnt 0x1
	v_fmac_f64_e32 v[148:149], v[130:131], v[122:123]
	s_wait_loadcnt 0x5
	s_delay_alu instid0(VALU_DEP_1) | instskip(SKIP_4) | instid1(VALU_DEP_1)
	v_fmac_f64_e32 v[148:149], v[132:133], v[124:125]
	scratch_load_b128 v[122:125], off, off offset:328
	s_wait_dscnt 0x0
	v_fmac_f64_e32 v[148:149], v[134:135], v[126:127]
	s_wait_loadcnt 0x5
	v_fmac_f64_e32 v[148:149], v[144:145], v[128:129]
	ds_load_b128 v[126:129], v2 offset:688
	ds_load_b128 v[130:133], v2 offset:704
	s_wait_dscnt 0x1
	v_fmac_f64_e32 v[148:149], v[146:147], v[126:127]
	scratch_load_b128 v[144:147], off, off offset:344
	s_wait_loadcnt 0x5
	v_fmac_f64_e32 v[148:149], v[114:115], v[128:129]
	s_wait_dscnt 0x0
	s_delay_alu instid0(VALU_DEP_1)
	v_fmac_f64_e32 v[148:149], v[116:117], v[130:131]
	scratch_load_b128 v[114:117], off, off offset:360
	s_wait_loadcnt 0x5
	v_fmac_f64_e32 v[148:149], v[140:141], v[132:133]
	ds_load_b128 v[126:129], v2 offset:720
	ds_load_b128 v[130:133], v2 offset:736
	s_wait_dscnt 0x1
	v_fmac_f64_e32 v[148:149], v[142:143], v[126:127]
	s_wait_loadcnt 0x4
	s_delay_alu instid0(VALU_DEP_1)
	v_fmac_f64_e32 v[148:149], v[118:119], v[128:129]
	scratch_load_b128 v[126:129], off, off offset:376
	s_wait_dscnt 0x0
	v_fmac_f64_e32 v[148:149], v[120:121], v[130:131]
	scratch_load_b128 v[118:121], off, off offset:392
	s_wait_loadcnt 0x5
	v_fmac_f64_e32 v[148:149], v[136:137], v[132:133]
	ds_load_b128 v[130:133], v2 offset:752
	ds_load_b128 v[134:137], v2 offset:768
	s_wait_dscnt 0x1
	v_fmac_f64_e32 v[148:149], v[138:139], v[130:131]
	scratch_load_b64 v[138:139], off, off offset:424
	s_wait_loadcnt 0x5
	v_fmac_f64_e32 v[148:149], v[122:123], v[132:133]
	scratch_load_b128 v[130:133], off, off offset:408
	s_wait_dscnt 0x0
	v_fmac_f64_e32 v[148:149], v[124:125], v[134:135]
	s_wait_loadcnt 0x5
	s_delay_alu instid0(VALU_DEP_1)
	v_fmac_f64_e32 v[148:149], v[144:145], v[136:137]
	ds_load_b128 v[122:125], v2 offset:784
	ds_load_b128 v[134:137], v2 offset:800
	s_wait_dscnt 0x1
	v_fmac_f64_e32 v[148:149], v[146:147], v[122:123]
	s_wait_loadcnt 0x4
	s_delay_alu instid0(VALU_DEP_1) | instskip(SKIP_1) | instid1(VALU_DEP_1)
	v_fmac_f64_e32 v[148:149], v[114:115], v[124:125]
	s_wait_dscnt 0x0
	v_fmac_f64_e32 v[148:149], v[116:117], v[134:135]
	ds_load_b128 v[114:117], v2 offset:816
	ds_load_b128 v[122:125], v2 offset:832
	s_wait_loadcnt 0x3
	v_fmac_f64_e32 v[148:149], v[126:127], v[136:137]
	s_wait_dscnt 0x1
	s_delay_alu instid0(VALU_DEP_1) | instskip(SKIP_1) | instid1(VALU_DEP_1)
	v_fmac_f64_e32 v[148:149], v[128:129], v[114:115]
	s_wait_loadcnt 0x2
	v_fmac_f64_e32 v[148:149], v[118:119], v[116:117]
	ds_load_b128 v[114:117], v2 offset:848
	s_wait_dscnt 0x1
	v_fmac_f64_e32 v[148:149], v[120:121], v[122:123]
	s_wait_loadcnt 0x0
	s_delay_alu instid0(VALU_DEP_1) | instskip(SKIP_1) | instid1(VALU_DEP_1)
	v_fmac_f64_e32 v[148:149], v[130:131], v[124:125]
	s_wait_dscnt 0x0
	v_fmac_f64_e32 v[148:149], v[132:133], v[114:115]
	s_delay_alu instid0(VALU_DEP_1) | instskip(NEXT) | instid1(VALU_DEP_1)
	v_fmac_f64_e32 v[148:149], v[138:139], v[116:117]
	v_add_f64_e64 v[2:3], v[112:113], -v[148:149]
	scratch_store_b64 off, v[2:3], off offset:152
	s_wait_xcnt 0x0
	v_cmpx_lt_u32_e32 18, v0
	s_cbranch_execz .LBB117_297
; %bb.296:
	scratch_load_b64 v[2:3], off, off offset:144
	v_mov_b64_e32 v[112:113], 0
	scratch_store_b64 off, v[112:113], off offset:144
	s_wait_loadcnt 0x0
	ds_store_b64 v1, v[2:3]
.LBB117_297:
	s_wait_xcnt 0x0
	s_or_b32 exec_lo, exec_lo, s0
	s_wait_storecnt_dscnt 0x0
	s_barrier_signal -1
	s_barrier_wait -1
	s_clause 0x5
	scratch_load_b128 v[112:115], off, off offset:144
	scratch_load_b128 v[116:119], off, off offset:160
	;; [unrolled: 1-line block ×6, first 2 shown]
	v_mov_b32_e32 v2, 0
	ds_load_2addr_b64 v[136:139], v2 offset0:73 offset1:74
	ds_load_2addr_b64 v[140:143], v2 offset0:75 offset1:76
	scratch_load_b128 v[144:147], off, off offset:240
	s_mov_b32 s0, exec_lo
	s_wait_loadcnt_dscnt 0x601
	v_fma_f64 v[148:149], v[114:115], v[136:137], 0
	s_wait_loadcnt 0x5
	s_delay_alu instid0(VALU_DEP_1) | instskip(SKIP_4) | instid1(VALU_DEP_1)
	v_fmac_f64_e32 v[148:149], v[116:117], v[138:139]
	scratch_load_b128 v[114:117], off, off offset:256
	s_wait_dscnt 0x0
	v_fmac_f64_e32 v[148:149], v[118:119], v[140:141]
	s_wait_loadcnt 0x5
	v_fmac_f64_e32 v[148:149], v[120:121], v[142:143]
	ds_load_2addr_b64 v[118:121], v2 offset0:77 offset1:78
	ds_load_2addr_b64 v[136:139], v2 offset0:79 offset1:80
	scratch_load_b128 v[140:143], off, off offset:272
	s_wait_dscnt 0x1
	v_fmac_f64_e32 v[148:149], v[122:123], v[118:119]
	s_wait_loadcnt 0x5
	s_delay_alu instid0(VALU_DEP_1) | instskip(SKIP_4) | instid1(VALU_DEP_1)
	v_fmac_f64_e32 v[148:149], v[124:125], v[120:121]
	scratch_load_b128 v[118:121], off, off offset:288
	s_wait_dscnt 0x0
	v_fmac_f64_e32 v[148:149], v[126:127], v[136:137]
	s_wait_loadcnt 0x5
	v_fmac_f64_e32 v[148:149], v[128:129], v[138:139]
	ds_load_2addr_b64 v[122:125], v2 offset0:81 offset1:82
	ds_load_2addr_b64 v[126:129], v2 offset0:83 offset1:84
	scratch_load_b128 v[136:139], off, off offset:304
	s_wait_dscnt 0x1
	v_fmac_f64_e32 v[148:149], v[130:131], v[122:123]
	s_wait_loadcnt 0x5
	s_delay_alu instid0(VALU_DEP_1) | instskip(SKIP_4) | instid1(VALU_DEP_1)
	v_fmac_f64_e32 v[148:149], v[132:133], v[124:125]
	scratch_load_b128 v[122:125], off, off offset:320
	s_wait_dscnt 0x0
	v_fmac_f64_e32 v[148:149], v[134:135], v[126:127]
	s_wait_loadcnt 0x5
	v_fmac_f64_e32 v[148:149], v[144:145], v[128:129]
	ds_load_2addr_b64 v[126:129], v2 offset0:85 offset1:86
	ds_load_2addr_b64 v[130:133], v2 offset0:87 offset1:88
	s_wait_dscnt 0x1
	v_fmac_f64_e32 v[148:149], v[146:147], v[126:127]
	scratch_load_b128 v[144:147], off, off offset:336
	s_wait_loadcnt 0x5
	v_fmac_f64_e32 v[148:149], v[114:115], v[128:129]
	s_wait_dscnt 0x0
	s_delay_alu instid0(VALU_DEP_1)
	v_fmac_f64_e32 v[148:149], v[116:117], v[130:131]
	scratch_load_b128 v[114:117], off, off offset:352
	s_wait_loadcnt 0x5
	v_fmac_f64_e32 v[148:149], v[140:141], v[132:133]
	ds_load_2addr_b64 v[126:129], v2 offset0:89 offset1:90
	ds_load_2addr_b64 v[130:133], v2 offset0:91 offset1:92
	s_wait_dscnt 0x1
	v_fmac_f64_e32 v[148:149], v[142:143], v[126:127]
	s_wait_loadcnt 0x4
	s_delay_alu instid0(VALU_DEP_1)
	v_fmac_f64_e32 v[148:149], v[118:119], v[128:129]
	scratch_load_b128 v[126:129], off, off offset:368
	s_wait_dscnt 0x0
	v_fmac_f64_e32 v[148:149], v[120:121], v[130:131]
	scratch_load_b128 v[118:121], off, off offset:384
	s_wait_loadcnt 0x5
	v_fmac_f64_e32 v[148:149], v[136:137], v[132:133]
	ds_load_2addr_b64 v[130:133], v2 offset0:93 offset1:94
	ds_load_2addr_b64 v[134:137], v2 offset0:95 offset1:96
	s_wait_dscnt 0x1
	v_fmac_f64_e32 v[148:149], v[138:139], v[130:131]
	s_wait_loadcnt 0x4
	s_delay_alu instid0(VALU_DEP_1)
	v_fmac_f64_e32 v[148:149], v[122:123], v[132:133]
	scratch_load_b128 v[130:133], off, off offset:400
	s_wait_dscnt 0x0
	v_fmac_f64_e32 v[148:149], v[124:125], v[134:135]
	scratch_load_b128 v[122:125], off, off offset:416
	s_wait_loadcnt 0x5
	v_fmac_f64_e32 v[148:149], v[144:145], v[136:137]
	ds_load_2addr_b64 v[134:137], v2 offset0:97 offset1:98
	ds_load_2addr_b64 v[138:141], v2 offset0:99 offset1:100
	s_wait_dscnt 0x1
	v_fmac_f64_e32 v[148:149], v[146:147], v[134:135]
	s_wait_loadcnt 0x4
	s_delay_alu instid0(VALU_DEP_1) | instskip(SKIP_1) | instid1(VALU_DEP_1)
	v_fmac_f64_e32 v[148:149], v[114:115], v[136:137]
	s_wait_dscnt 0x0
	v_fmac_f64_e32 v[148:149], v[116:117], v[138:139]
	ds_load_2addr_b64 v[114:117], v2 offset0:101 offset1:102
	ds_load_2addr_b64 v[134:137], v2 offset0:103 offset1:104
	s_wait_loadcnt 0x3
	v_fmac_f64_e32 v[148:149], v[126:127], v[140:141]
	s_wait_dscnt 0x1
	s_delay_alu instid0(VALU_DEP_1) | instskip(SKIP_1) | instid1(VALU_DEP_1)
	v_fmac_f64_e32 v[148:149], v[128:129], v[114:115]
	s_wait_loadcnt 0x2
	v_fmac_f64_e32 v[148:149], v[118:119], v[116:117]
	ds_load_2addr_b64 v[114:117], v2 offset0:105 offset1:106
	ds_load_b64 v[118:119], v2 offset:856
	s_wait_dscnt 0x2
	v_fmac_f64_e32 v[148:149], v[120:121], v[134:135]
	s_wait_loadcnt 0x1
	s_delay_alu instid0(VALU_DEP_1) | instskip(SKIP_1) | instid1(VALU_DEP_1)
	v_fmac_f64_e32 v[148:149], v[130:131], v[136:137]
	s_wait_dscnt 0x1
	v_fmac_f64_e32 v[148:149], v[132:133], v[114:115]
	s_wait_loadcnt 0x0
	s_delay_alu instid0(VALU_DEP_1) | instskip(SKIP_1) | instid1(VALU_DEP_1)
	v_fmac_f64_e32 v[148:149], v[122:123], v[116:117]
	s_wait_dscnt 0x0
	v_fmac_f64_e32 v[148:149], v[124:125], v[118:119]
	s_delay_alu instid0(VALU_DEP_1)
	v_add_f64_e64 v[112:113], v[112:113], -v[148:149]
	scratch_store_b64 off, v[112:113], off offset:144
	s_wait_xcnt 0x0
	v_cmpx_lt_u32_e32 17, v0
	s_cbranch_execz .LBB117_299
; %bb.298:
	scratch_load_b64 v[112:113], off, off offset:136
	v_mov_b64_e32 v[114:115], 0
	scratch_store_b64 off, v[114:115], off offset:136
	s_wait_loadcnt 0x0
	ds_store_b64 v1, v[112:113]
.LBB117_299:
	s_wait_xcnt 0x0
	s_or_b32 exec_lo, exec_lo, s0
	s_wait_storecnt_dscnt 0x0
	s_barrier_signal -1
	s_barrier_wait -1
	s_clause 0x5
	scratch_load_b128 v[112:115], off, off offset:136
	scratch_load_b128 v[116:119], off, off offset:152
	;; [unrolled: 1-line block ×6, first 2 shown]
	ds_load_b128 v[136:139], v2 offset:576
	ds_load_b128 v[140:143], v2 offset:592
	scratch_load_b128 v[144:147], off, off offset:232
	s_mov_b32 s0, exec_lo
	s_wait_loadcnt_dscnt 0x601
	v_fma_f64 v[148:149], v[114:115], v[136:137], 0
	s_wait_loadcnt 0x5
	s_delay_alu instid0(VALU_DEP_1) | instskip(SKIP_4) | instid1(VALU_DEP_1)
	v_fmac_f64_e32 v[148:149], v[116:117], v[138:139]
	scratch_load_b128 v[114:117], off, off offset:248
	s_wait_dscnt 0x0
	v_fmac_f64_e32 v[148:149], v[118:119], v[140:141]
	s_wait_loadcnt 0x5
	v_fmac_f64_e32 v[148:149], v[120:121], v[142:143]
	ds_load_b128 v[118:121], v2 offset:608
	ds_load_b128 v[136:139], v2 offset:624
	scratch_load_b128 v[140:143], off, off offset:264
	s_wait_dscnt 0x1
	v_fmac_f64_e32 v[148:149], v[122:123], v[118:119]
	s_wait_loadcnt 0x5
	s_delay_alu instid0(VALU_DEP_1) | instskip(SKIP_4) | instid1(VALU_DEP_1)
	v_fmac_f64_e32 v[148:149], v[124:125], v[120:121]
	scratch_load_b128 v[118:121], off, off offset:280
	s_wait_dscnt 0x0
	v_fmac_f64_e32 v[148:149], v[126:127], v[136:137]
	s_wait_loadcnt 0x5
	v_fmac_f64_e32 v[148:149], v[128:129], v[138:139]
	ds_load_b128 v[122:125], v2 offset:640
	ds_load_b128 v[126:129], v2 offset:656
	scratch_load_b128 v[136:139], off, off offset:296
	s_wait_dscnt 0x1
	v_fmac_f64_e32 v[148:149], v[130:131], v[122:123]
	s_wait_loadcnt 0x5
	s_delay_alu instid0(VALU_DEP_1) | instskip(SKIP_4) | instid1(VALU_DEP_1)
	v_fmac_f64_e32 v[148:149], v[132:133], v[124:125]
	scratch_load_b128 v[122:125], off, off offset:312
	s_wait_dscnt 0x0
	v_fmac_f64_e32 v[148:149], v[134:135], v[126:127]
	s_wait_loadcnt 0x5
	v_fmac_f64_e32 v[148:149], v[144:145], v[128:129]
	ds_load_b128 v[126:129], v2 offset:672
	ds_load_b128 v[130:133], v2 offset:688
	s_wait_dscnt 0x1
	v_fmac_f64_e32 v[148:149], v[146:147], v[126:127]
	scratch_load_b128 v[144:147], off, off offset:328
	s_wait_loadcnt 0x5
	v_fmac_f64_e32 v[148:149], v[114:115], v[128:129]
	s_wait_dscnt 0x0
	s_delay_alu instid0(VALU_DEP_1)
	v_fmac_f64_e32 v[148:149], v[116:117], v[130:131]
	scratch_load_b128 v[114:117], off, off offset:344
	s_wait_loadcnt 0x5
	v_fmac_f64_e32 v[148:149], v[140:141], v[132:133]
	ds_load_b128 v[126:129], v2 offset:704
	ds_load_b128 v[130:133], v2 offset:720
	s_wait_dscnt 0x1
	v_fmac_f64_e32 v[148:149], v[142:143], v[126:127]
	s_wait_loadcnt 0x4
	s_delay_alu instid0(VALU_DEP_1)
	v_fmac_f64_e32 v[148:149], v[118:119], v[128:129]
	scratch_load_b128 v[126:129], off, off offset:360
	s_wait_dscnt 0x0
	v_fmac_f64_e32 v[148:149], v[120:121], v[130:131]
	scratch_load_b128 v[118:121], off, off offset:376
	s_wait_loadcnt 0x5
	v_fmac_f64_e32 v[148:149], v[136:137], v[132:133]
	ds_load_b128 v[130:133], v2 offset:736
	ds_load_b128 v[134:137], v2 offset:752
	s_wait_dscnt 0x1
	v_fmac_f64_e32 v[148:149], v[138:139], v[130:131]
	s_wait_loadcnt 0x4
	s_delay_alu instid0(VALU_DEP_1)
	v_fmac_f64_e32 v[148:149], v[122:123], v[132:133]
	scratch_load_b128 v[130:133], off, off offset:392
	s_wait_dscnt 0x0
	v_fmac_f64_e32 v[148:149], v[124:125], v[134:135]
	scratch_load_b128 v[122:125], off, off offset:408
	s_wait_loadcnt 0x5
	v_fmac_f64_e32 v[148:149], v[144:145], v[136:137]
	ds_load_b128 v[134:137], v2 offset:768
	ds_load_b128 v[138:141], v2 offset:784
	scratch_load_b64 v[142:143], off, off offset:424
	s_wait_dscnt 0x1
	v_fmac_f64_e32 v[148:149], v[146:147], v[134:135]
	s_wait_loadcnt 0x5
	s_delay_alu instid0(VALU_DEP_1) | instskip(SKIP_1) | instid1(VALU_DEP_1)
	v_fmac_f64_e32 v[148:149], v[114:115], v[136:137]
	s_wait_dscnt 0x0
	v_fmac_f64_e32 v[148:149], v[116:117], v[138:139]
	ds_load_b128 v[114:117], v2 offset:800
	ds_load_b128 v[134:137], v2 offset:816
	s_wait_loadcnt 0x4
	v_fmac_f64_e32 v[148:149], v[126:127], v[140:141]
	s_wait_dscnt 0x1
	s_delay_alu instid0(VALU_DEP_1) | instskip(SKIP_1) | instid1(VALU_DEP_1)
	v_fmac_f64_e32 v[148:149], v[128:129], v[114:115]
	s_wait_loadcnt 0x3
	v_fmac_f64_e32 v[148:149], v[118:119], v[116:117]
	s_wait_dscnt 0x0
	s_delay_alu instid0(VALU_DEP_1)
	v_fmac_f64_e32 v[148:149], v[120:121], v[134:135]
	ds_load_b128 v[114:117], v2 offset:832
	ds_load_b128 v[118:121], v2 offset:848
	s_wait_loadcnt 0x2
	v_fmac_f64_e32 v[148:149], v[130:131], v[136:137]
	s_wait_dscnt 0x1
	s_delay_alu instid0(VALU_DEP_1) | instskip(SKIP_1) | instid1(VALU_DEP_1)
	v_fmac_f64_e32 v[148:149], v[132:133], v[114:115]
	s_wait_loadcnt 0x1
	v_fmac_f64_e32 v[148:149], v[122:123], v[116:117]
	s_wait_dscnt 0x0
	s_delay_alu instid0(VALU_DEP_1) | instskip(SKIP_1) | instid1(VALU_DEP_1)
	v_fmac_f64_e32 v[148:149], v[124:125], v[118:119]
	s_wait_loadcnt 0x0
	v_fmac_f64_e32 v[148:149], v[142:143], v[120:121]
	s_delay_alu instid0(VALU_DEP_1)
	v_add_f64_e64 v[2:3], v[112:113], -v[148:149]
	scratch_store_b64 off, v[2:3], off offset:136
	s_wait_xcnt 0x0
	v_cmpx_lt_u32_e32 16, v0
	s_cbranch_execz .LBB117_301
; %bb.300:
	scratch_load_b64 v[2:3], off, off offset:128
	v_mov_b64_e32 v[112:113], 0
	scratch_store_b64 off, v[112:113], off offset:128
	s_wait_loadcnt 0x0
	ds_store_b64 v1, v[2:3]
.LBB117_301:
	s_wait_xcnt 0x0
	s_or_b32 exec_lo, exec_lo, s0
	s_wait_storecnt_dscnt 0x0
	s_barrier_signal -1
	s_barrier_wait -1
	s_clause 0x5
	scratch_load_b128 v[112:115], off, off offset:128
	scratch_load_b128 v[116:119], off, off offset:144
	;; [unrolled: 1-line block ×6, first 2 shown]
	v_mov_b32_e32 v2, 0
	ds_load_2addr_b64 v[136:139], v2 offset0:71 offset1:72
	ds_load_2addr_b64 v[140:143], v2 offset0:73 offset1:74
	scratch_load_b128 v[144:147], off, off offset:224
	s_mov_b32 s0, exec_lo
	s_wait_loadcnt_dscnt 0x601
	v_fma_f64 v[148:149], v[114:115], v[136:137], 0
	s_wait_loadcnt 0x5
	s_delay_alu instid0(VALU_DEP_1) | instskip(SKIP_4) | instid1(VALU_DEP_1)
	v_fmac_f64_e32 v[148:149], v[116:117], v[138:139]
	scratch_load_b128 v[114:117], off, off offset:240
	s_wait_dscnt 0x0
	v_fmac_f64_e32 v[148:149], v[118:119], v[140:141]
	s_wait_loadcnt 0x5
	v_fmac_f64_e32 v[148:149], v[120:121], v[142:143]
	ds_load_2addr_b64 v[118:121], v2 offset0:75 offset1:76
	ds_load_2addr_b64 v[136:139], v2 offset0:77 offset1:78
	scratch_load_b128 v[140:143], off, off offset:256
	s_wait_dscnt 0x1
	v_fmac_f64_e32 v[148:149], v[122:123], v[118:119]
	s_wait_loadcnt 0x5
	s_delay_alu instid0(VALU_DEP_1) | instskip(SKIP_4) | instid1(VALU_DEP_1)
	v_fmac_f64_e32 v[148:149], v[124:125], v[120:121]
	scratch_load_b128 v[118:121], off, off offset:272
	s_wait_dscnt 0x0
	v_fmac_f64_e32 v[148:149], v[126:127], v[136:137]
	s_wait_loadcnt 0x5
	v_fmac_f64_e32 v[148:149], v[128:129], v[138:139]
	ds_load_2addr_b64 v[122:125], v2 offset0:79 offset1:80
	ds_load_2addr_b64 v[126:129], v2 offset0:81 offset1:82
	scratch_load_b128 v[136:139], off, off offset:288
	s_wait_dscnt 0x1
	v_fmac_f64_e32 v[148:149], v[130:131], v[122:123]
	s_wait_loadcnt 0x5
	s_delay_alu instid0(VALU_DEP_1) | instskip(SKIP_4) | instid1(VALU_DEP_1)
	v_fmac_f64_e32 v[148:149], v[132:133], v[124:125]
	scratch_load_b128 v[122:125], off, off offset:304
	s_wait_dscnt 0x0
	v_fmac_f64_e32 v[148:149], v[134:135], v[126:127]
	s_wait_loadcnt 0x5
	v_fmac_f64_e32 v[148:149], v[144:145], v[128:129]
	ds_load_2addr_b64 v[126:129], v2 offset0:83 offset1:84
	ds_load_2addr_b64 v[130:133], v2 offset0:85 offset1:86
	s_wait_dscnt 0x1
	v_fmac_f64_e32 v[148:149], v[146:147], v[126:127]
	scratch_load_b128 v[144:147], off, off offset:320
	s_wait_loadcnt 0x5
	v_fmac_f64_e32 v[148:149], v[114:115], v[128:129]
	s_wait_dscnt 0x0
	s_delay_alu instid0(VALU_DEP_1)
	v_fmac_f64_e32 v[148:149], v[116:117], v[130:131]
	scratch_load_b128 v[114:117], off, off offset:336
	s_wait_loadcnt 0x5
	v_fmac_f64_e32 v[148:149], v[140:141], v[132:133]
	ds_load_2addr_b64 v[126:129], v2 offset0:87 offset1:88
	ds_load_2addr_b64 v[130:133], v2 offset0:89 offset1:90
	s_wait_dscnt 0x1
	v_fmac_f64_e32 v[148:149], v[142:143], v[126:127]
	s_wait_loadcnt 0x4
	s_delay_alu instid0(VALU_DEP_1)
	v_fmac_f64_e32 v[148:149], v[118:119], v[128:129]
	scratch_load_b128 v[126:129], off, off offset:352
	s_wait_dscnt 0x0
	v_fmac_f64_e32 v[148:149], v[120:121], v[130:131]
	scratch_load_b128 v[118:121], off, off offset:368
	s_wait_loadcnt 0x5
	v_fmac_f64_e32 v[148:149], v[136:137], v[132:133]
	ds_load_2addr_b64 v[130:133], v2 offset0:91 offset1:92
	ds_load_2addr_b64 v[134:137], v2 offset0:93 offset1:94
	s_wait_dscnt 0x1
	v_fmac_f64_e32 v[148:149], v[138:139], v[130:131]
	s_wait_loadcnt 0x4
	s_delay_alu instid0(VALU_DEP_1)
	v_fmac_f64_e32 v[148:149], v[122:123], v[132:133]
	scratch_load_b128 v[130:133], off, off offset:384
	s_wait_dscnt 0x0
	v_fmac_f64_e32 v[148:149], v[124:125], v[134:135]
	scratch_load_b128 v[122:125], off, off offset:400
	s_wait_loadcnt 0x5
	v_fmac_f64_e32 v[148:149], v[144:145], v[136:137]
	ds_load_2addr_b64 v[134:137], v2 offset0:95 offset1:96
	ds_load_2addr_b64 v[138:141], v2 offset0:97 offset1:98
	s_wait_dscnt 0x1
	v_fmac_f64_e32 v[148:149], v[146:147], v[134:135]
	s_wait_loadcnt 0x4
	s_delay_alu instid0(VALU_DEP_1) | instskip(SKIP_4) | instid1(VALU_DEP_1)
	v_fmac_f64_e32 v[148:149], v[114:115], v[136:137]
	scratch_load_b128 v[134:137], off, off offset:416
	s_wait_dscnt 0x0
	v_fmac_f64_e32 v[148:149], v[116:117], v[138:139]
	s_wait_loadcnt 0x4
	v_fmac_f64_e32 v[148:149], v[126:127], v[140:141]
	ds_load_2addr_b64 v[114:117], v2 offset0:99 offset1:100
	ds_load_2addr_b64 v[138:141], v2 offset0:101 offset1:102
	s_wait_dscnt 0x1
	v_fmac_f64_e32 v[148:149], v[128:129], v[114:115]
	s_wait_loadcnt 0x3
	s_delay_alu instid0(VALU_DEP_1) | instskip(SKIP_1) | instid1(VALU_DEP_1)
	v_fmac_f64_e32 v[148:149], v[118:119], v[116:117]
	s_wait_dscnt 0x0
	v_fmac_f64_e32 v[148:149], v[120:121], v[138:139]
	ds_load_2addr_b64 v[114:117], v2 offset0:103 offset1:104
	ds_load_2addr_b64 v[118:121], v2 offset0:105 offset1:106
	s_wait_loadcnt 0x2
	v_fmac_f64_e32 v[148:149], v[130:131], v[140:141]
	s_wait_dscnt 0x1
	s_delay_alu instid0(VALU_DEP_1) | instskip(SKIP_4) | instid1(VALU_DEP_1)
	v_fmac_f64_e32 v[148:149], v[132:133], v[114:115]
	ds_load_b64 v[114:115], v2 offset:856
	s_wait_loadcnt 0x1
	v_fmac_f64_e32 v[148:149], v[122:123], v[116:117]
	s_wait_dscnt 0x1
	v_fmac_f64_e32 v[148:149], v[124:125], v[118:119]
	s_wait_loadcnt 0x0
	s_delay_alu instid0(VALU_DEP_1) | instskip(SKIP_1) | instid1(VALU_DEP_1)
	v_fmac_f64_e32 v[148:149], v[134:135], v[120:121]
	s_wait_dscnt 0x0
	v_fmac_f64_e32 v[148:149], v[136:137], v[114:115]
	s_delay_alu instid0(VALU_DEP_1)
	v_add_f64_e64 v[112:113], v[112:113], -v[148:149]
	scratch_store_b64 off, v[112:113], off offset:128
	s_wait_xcnt 0x0
	v_cmpx_lt_u32_e32 15, v0
	s_cbranch_execz .LBB117_303
; %bb.302:
	scratch_load_b64 v[112:113], off, off offset:120
	v_mov_b64_e32 v[114:115], 0
	scratch_store_b64 off, v[114:115], off offset:120
	s_wait_loadcnt 0x0
	ds_store_b64 v1, v[112:113]
.LBB117_303:
	s_wait_xcnt 0x0
	s_or_b32 exec_lo, exec_lo, s0
	s_wait_storecnt_dscnt 0x0
	s_barrier_signal -1
	s_barrier_wait -1
	s_clause 0x5
	scratch_load_b128 v[112:115], off, off offset:120
	scratch_load_b128 v[116:119], off, off offset:136
	;; [unrolled: 1-line block ×6, first 2 shown]
	ds_load_b128 v[136:139], v2 offset:560
	ds_load_b128 v[140:143], v2 offset:576
	scratch_load_b128 v[144:147], off, off offset:216
	s_mov_b32 s0, exec_lo
	s_wait_loadcnt_dscnt 0x601
	v_fma_f64 v[148:149], v[114:115], v[136:137], 0
	s_wait_loadcnt 0x5
	s_delay_alu instid0(VALU_DEP_1) | instskip(SKIP_4) | instid1(VALU_DEP_1)
	v_fmac_f64_e32 v[148:149], v[116:117], v[138:139]
	scratch_load_b128 v[114:117], off, off offset:232
	s_wait_dscnt 0x0
	v_fmac_f64_e32 v[148:149], v[118:119], v[140:141]
	s_wait_loadcnt 0x5
	v_fmac_f64_e32 v[148:149], v[120:121], v[142:143]
	ds_load_b128 v[118:121], v2 offset:592
	ds_load_b128 v[136:139], v2 offset:608
	scratch_load_b128 v[140:143], off, off offset:248
	s_wait_dscnt 0x1
	v_fmac_f64_e32 v[148:149], v[122:123], v[118:119]
	s_wait_loadcnt 0x5
	s_delay_alu instid0(VALU_DEP_1) | instskip(SKIP_4) | instid1(VALU_DEP_1)
	v_fmac_f64_e32 v[148:149], v[124:125], v[120:121]
	scratch_load_b128 v[118:121], off, off offset:264
	s_wait_dscnt 0x0
	v_fmac_f64_e32 v[148:149], v[126:127], v[136:137]
	s_wait_loadcnt 0x5
	v_fmac_f64_e32 v[148:149], v[128:129], v[138:139]
	ds_load_b128 v[122:125], v2 offset:624
	ds_load_b128 v[126:129], v2 offset:640
	scratch_load_b128 v[136:139], off, off offset:280
	s_wait_dscnt 0x1
	v_fmac_f64_e32 v[148:149], v[130:131], v[122:123]
	s_wait_loadcnt 0x5
	s_delay_alu instid0(VALU_DEP_1) | instskip(SKIP_4) | instid1(VALU_DEP_1)
	v_fmac_f64_e32 v[148:149], v[132:133], v[124:125]
	scratch_load_b128 v[122:125], off, off offset:296
	s_wait_dscnt 0x0
	v_fmac_f64_e32 v[148:149], v[134:135], v[126:127]
	s_wait_loadcnt 0x5
	v_fmac_f64_e32 v[148:149], v[144:145], v[128:129]
	ds_load_b128 v[126:129], v2 offset:656
	ds_load_b128 v[130:133], v2 offset:672
	s_wait_dscnt 0x1
	v_fmac_f64_e32 v[148:149], v[146:147], v[126:127]
	scratch_load_b128 v[144:147], off, off offset:312
	s_wait_loadcnt 0x5
	v_fmac_f64_e32 v[148:149], v[114:115], v[128:129]
	s_wait_dscnt 0x0
	s_delay_alu instid0(VALU_DEP_1)
	v_fmac_f64_e32 v[148:149], v[116:117], v[130:131]
	scratch_load_b128 v[114:117], off, off offset:328
	s_wait_loadcnt 0x5
	v_fmac_f64_e32 v[148:149], v[140:141], v[132:133]
	ds_load_b128 v[126:129], v2 offset:688
	ds_load_b128 v[130:133], v2 offset:704
	s_wait_dscnt 0x1
	v_fmac_f64_e32 v[148:149], v[142:143], v[126:127]
	scratch_load_b128 v[140:143], off, off offset:344
	s_wait_loadcnt 0x5
	v_fmac_f64_e32 v[148:149], v[118:119], v[128:129]
	s_wait_dscnt 0x0
	s_delay_alu instid0(VALU_DEP_1)
	v_fmac_f64_e32 v[148:149], v[120:121], v[130:131]
	scratch_load_b128 v[118:121], off, off offset:360
	s_wait_loadcnt 0x5
	v_fmac_f64_e32 v[148:149], v[136:137], v[132:133]
	ds_load_b128 v[126:129], v2 offset:720
	ds_load_b128 v[130:133], v2 offset:736
	s_wait_dscnt 0x1
	v_fmac_f64_e32 v[148:149], v[138:139], v[126:127]
	s_wait_loadcnt 0x4
	s_delay_alu instid0(VALU_DEP_1)
	v_fmac_f64_e32 v[148:149], v[122:123], v[128:129]
	scratch_load_b128 v[126:129], off, off offset:376
	s_wait_dscnt 0x0
	v_fmac_f64_e32 v[148:149], v[124:125], v[130:131]
	scratch_load_b128 v[122:125], off, off offset:392
	s_wait_loadcnt 0x5
	v_fmac_f64_e32 v[148:149], v[144:145], v[132:133]
	ds_load_b128 v[130:133], v2 offset:752
	ds_load_b128 v[134:137], v2 offset:768
	scratch_load_b64 v[138:139], off, off offset:424
	s_wait_dscnt 0x1
	v_fmac_f64_e32 v[148:149], v[146:147], v[130:131]
	s_wait_loadcnt 0x5
	s_delay_alu instid0(VALU_DEP_1) | instskip(SKIP_4) | instid1(VALU_DEP_1)
	v_fmac_f64_e32 v[148:149], v[114:115], v[132:133]
	scratch_load_b128 v[130:133], off, off offset:408
	s_wait_dscnt 0x0
	v_fmac_f64_e32 v[148:149], v[116:117], v[134:135]
	s_wait_loadcnt 0x5
	v_fmac_f64_e32 v[148:149], v[140:141], v[136:137]
	ds_load_b128 v[114:117], v2 offset:784
	ds_load_b128 v[134:137], v2 offset:800
	s_wait_dscnt 0x1
	v_fmac_f64_e32 v[148:149], v[142:143], v[114:115]
	s_wait_loadcnt 0x4
	s_delay_alu instid0(VALU_DEP_1) | instskip(SKIP_1) | instid1(VALU_DEP_1)
	v_fmac_f64_e32 v[148:149], v[118:119], v[116:117]
	s_wait_dscnt 0x0
	v_fmac_f64_e32 v[148:149], v[120:121], v[134:135]
	ds_load_b128 v[114:117], v2 offset:816
	ds_load_b128 v[118:121], v2 offset:832
	s_wait_loadcnt 0x3
	v_fmac_f64_e32 v[148:149], v[126:127], v[136:137]
	s_wait_dscnt 0x1
	s_delay_alu instid0(VALU_DEP_1) | instskip(SKIP_1) | instid1(VALU_DEP_1)
	v_fmac_f64_e32 v[148:149], v[128:129], v[114:115]
	s_wait_loadcnt 0x2
	v_fmac_f64_e32 v[148:149], v[122:123], v[116:117]
	ds_load_b128 v[114:117], v2 offset:848
	s_wait_dscnt 0x1
	v_fmac_f64_e32 v[148:149], v[124:125], v[118:119]
	s_wait_loadcnt 0x0
	s_delay_alu instid0(VALU_DEP_1) | instskip(SKIP_1) | instid1(VALU_DEP_1)
	v_fmac_f64_e32 v[148:149], v[130:131], v[120:121]
	s_wait_dscnt 0x0
	v_fmac_f64_e32 v[148:149], v[132:133], v[114:115]
	s_delay_alu instid0(VALU_DEP_1) | instskip(NEXT) | instid1(VALU_DEP_1)
	v_fmac_f64_e32 v[148:149], v[138:139], v[116:117]
	v_add_f64_e64 v[2:3], v[112:113], -v[148:149]
	scratch_store_b64 off, v[2:3], off offset:120
	s_wait_xcnt 0x0
	v_cmpx_lt_u32_e32 14, v0
	s_cbranch_execz .LBB117_305
; %bb.304:
	scratch_load_b64 v[2:3], off, off offset:112
	v_mov_b64_e32 v[112:113], 0
	scratch_store_b64 off, v[112:113], off offset:112
	s_wait_loadcnt 0x0
	ds_store_b64 v1, v[2:3]
.LBB117_305:
	s_wait_xcnt 0x0
	s_or_b32 exec_lo, exec_lo, s0
	s_wait_storecnt_dscnt 0x0
	s_barrier_signal -1
	s_barrier_wait -1
	s_clause 0x5
	scratch_load_b128 v[112:115], off, off offset:112
	scratch_load_b128 v[116:119], off, off offset:128
	;; [unrolled: 1-line block ×6, first 2 shown]
	v_mov_b32_e32 v2, 0
	ds_load_2addr_b64 v[136:139], v2 offset0:69 offset1:70
	ds_load_2addr_b64 v[140:143], v2 offset0:71 offset1:72
	scratch_load_b128 v[144:147], off, off offset:208
	s_mov_b32 s0, exec_lo
	s_wait_loadcnt_dscnt 0x601
	v_fma_f64 v[148:149], v[114:115], v[136:137], 0
	s_wait_loadcnt 0x5
	s_delay_alu instid0(VALU_DEP_1) | instskip(SKIP_4) | instid1(VALU_DEP_1)
	v_fmac_f64_e32 v[148:149], v[116:117], v[138:139]
	scratch_load_b128 v[114:117], off, off offset:224
	s_wait_dscnt 0x0
	v_fmac_f64_e32 v[148:149], v[118:119], v[140:141]
	s_wait_loadcnt 0x5
	v_fmac_f64_e32 v[148:149], v[120:121], v[142:143]
	ds_load_2addr_b64 v[118:121], v2 offset0:73 offset1:74
	ds_load_2addr_b64 v[136:139], v2 offset0:75 offset1:76
	scratch_load_b128 v[140:143], off, off offset:240
	s_wait_dscnt 0x1
	v_fmac_f64_e32 v[148:149], v[122:123], v[118:119]
	s_wait_loadcnt 0x5
	s_delay_alu instid0(VALU_DEP_1) | instskip(SKIP_4) | instid1(VALU_DEP_1)
	v_fmac_f64_e32 v[148:149], v[124:125], v[120:121]
	scratch_load_b128 v[118:121], off, off offset:256
	s_wait_dscnt 0x0
	v_fmac_f64_e32 v[148:149], v[126:127], v[136:137]
	s_wait_loadcnt 0x5
	v_fmac_f64_e32 v[148:149], v[128:129], v[138:139]
	ds_load_2addr_b64 v[122:125], v2 offset0:77 offset1:78
	ds_load_2addr_b64 v[126:129], v2 offset0:79 offset1:80
	scratch_load_b128 v[136:139], off, off offset:272
	s_wait_dscnt 0x1
	v_fmac_f64_e32 v[148:149], v[130:131], v[122:123]
	s_wait_loadcnt 0x5
	s_delay_alu instid0(VALU_DEP_1) | instskip(SKIP_4) | instid1(VALU_DEP_1)
	v_fmac_f64_e32 v[148:149], v[132:133], v[124:125]
	scratch_load_b128 v[122:125], off, off offset:288
	s_wait_dscnt 0x0
	v_fmac_f64_e32 v[148:149], v[134:135], v[126:127]
	s_wait_loadcnt 0x5
	v_fmac_f64_e32 v[148:149], v[144:145], v[128:129]
	ds_load_2addr_b64 v[126:129], v2 offset0:81 offset1:82
	ds_load_2addr_b64 v[130:133], v2 offset0:83 offset1:84
	s_wait_dscnt 0x1
	v_fmac_f64_e32 v[148:149], v[146:147], v[126:127]
	scratch_load_b128 v[144:147], off, off offset:304
	s_wait_loadcnt 0x5
	v_fmac_f64_e32 v[148:149], v[114:115], v[128:129]
	s_wait_dscnt 0x0
	s_delay_alu instid0(VALU_DEP_1)
	v_fmac_f64_e32 v[148:149], v[116:117], v[130:131]
	scratch_load_b128 v[114:117], off, off offset:320
	s_wait_loadcnt 0x5
	v_fmac_f64_e32 v[148:149], v[140:141], v[132:133]
	ds_load_2addr_b64 v[126:129], v2 offset0:85 offset1:86
	ds_load_2addr_b64 v[130:133], v2 offset0:87 offset1:88
	s_wait_dscnt 0x1
	v_fmac_f64_e32 v[148:149], v[142:143], v[126:127]
	scratch_load_b128 v[140:143], off, off offset:336
	s_wait_loadcnt 0x5
	v_fmac_f64_e32 v[148:149], v[118:119], v[128:129]
	s_wait_dscnt 0x0
	s_delay_alu instid0(VALU_DEP_1)
	v_fmac_f64_e32 v[148:149], v[120:121], v[130:131]
	scratch_load_b128 v[118:121], off, off offset:352
	s_wait_loadcnt 0x5
	v_fmac_f64_e32 v[148:149], v[136:137], v[132:133]
	ds_load_2addr_b64 v[126:129], v2 offset0:89 offset1:90
	ds_load_2addr_b64 v[130:133], v2 offset0:91 offset1:92
	s_wait_dscnt 0x1
	v_fmac_f64_e32 v[148:149], v[138:139], v[126:127]
	s_wait_loadcnt 0x4
	s_delay_alu instid0(VALU_DEP_1)
	v_fmac_f64_e32 v[148:149], v[122:123], v[128:129]
	scratch_load_b128 v[126:129], off, off offset:368
	s_wait_dscnt 0x0
	v_fmac_f64_e32 v[148:149], v[124:125], v[130:131]
	scratch_load_b128 v[122:125], off, off offset:384
	s_wait_loadcnt 0x5
	v_fmac_f64_e32 v[148:149], v[144:145], v[132:133]
	ds_load_2addr_b64 v[130:133], v2 offset0:93 offset1:94
	ds_load_2addr_b64 v[134:137], v2 offset0:95 offset1:96
	s_wait_dscnt 0x1
	v_fmac_f64_e32 v[148:149], v[146:147], v[130:131]
	s_wait_loadcnt 0x4
	s_delay_alu instid0(VALU_DEP_1)
	v_fmac_f64_e32 v[148:149], v[114:115], v[132:133]
	scratch_load_b128 v[130:133], off, off offset:400
	s_wait_dscnt 0x0
	v_fmac_f64_e32 v[148:149], v[116:117], v[134:135]
	scratch_load_b128 v[114:117], off, off offset:416
	s_wait_loadcnt 0x5
	v_fmac_f64_e32 v[148:149], v[140:141], v[136:137]
	ds_load_2addr_b64 v[134:137], v2 offset0:97 offset1:98
	ds_load_2addr_b64 v[138:141], v2 offset0:99 offset1:100
	s_wait_dscnt 0x1
	v_fmac_f64_e32 v[148:149], v[142:143], v[134:135]
	s_wait_loadcnt 0x4
	s_delay_alu instid0(VALU_DEP_1) | instskip(SKIP_1) | instid1(VALU_DEP_1)
	v_fmac_f64_e32 v[148:149], v[118:119], v[136:137]
	s_wait_dscnt 0x0
	v_fmac_f64_e32 v[148:149], v[120:121], v[138:139]
	ds_load_2addr_b64 v[118:121], v2 offset0:101 offset1:102
	ds_load_2addr_b64 v[134:137], v2 offset0:103 offset1:104
	s_wait_loadcnt 0x3
	v_fmac_f64_e32 v[148:149], v[126:127], v[140:141]
	s_wait_dscnt 0x1
	s_delay_alu instid0(VALU_DEP_1) | instskip(SKIP_1) | instid1(VALU_DEP_1)
	v_fmac_f64_e32 v[148:149], v[128:129], v[118:119]
	s_wait_loadcnt 0x2
	v_fmac_f64_e32 v[148:149], v[122:123], v[120:121]
	ds_load_2addr_b64 v[118:121], v2 offset0:105 offset1:106
	ds_load_b64 v[122:123], v2 offset:856
	s_wait_dscnt 0x2
	v_fmac_f64_e32 v[148:149], v[124:125], v[134:135]
	s_wait_loadcnt 0x1
	s_delay_alu instid0(VALU_DEP_1) | instskip(SKIP_1) | instid1(VALU_DEP_1)
	v_fmac_f64_e32 v[148:149], v[130:131], v[136:137]
	s_wait_dscnt 0x1
	v_fmac_f64_e32 v[148:149], v[132:133], v[118:119]
	s_wait_loadcnt 0x0
	s_delay_alu instid0(VALU_DEP_1) | instskip(SKIP_1) | instid1(VALU_DEP_1)
	v_fmac_f64_e32 v[148:149], v[114:115], v[120:121]
	s_wait_dscnt 0x0
	v_fmac_f64_e32 v[148:149], v[116:117], v[122:123]
	s_delay_alu instid0(VALU_DEP_1)
	v_add_f64_e64 v[112:113], v[112:113], -v[148:149]
	scratch_store_b64 off, v[112:113], off offset:112
	s_wait_xcnt 0x0
	v_cmpx_lt_u32_e32 13, v0
	s_cbranch_execz .LBB117_307
; %bb.306:
	scratch_load_b64 v[112:113], off, off offset:104
	v_mov_b64_e32 v[114:115], 0
	scratch_store_b64 off, v[114:115], off offset:104
	s_wait_loadcnt 0x0
	ds_store_b64 v1, v[112:113]
.LBB117_307:
	s_wait_xcnt 0x0
	s_or_b32 exec_lo, exec_lo, s0
	s_wait_storecnt_dscnt 0x0
	s_barrier_signal -1
	s_barrier_wait -1
	s_clause 0x5
	scratch_load_b128 v[112:115], off, off offset:104
	scratch_load_b128 v[116:119], off, off offset:120
	;; [unrolled: 1-line block ×6, first 2 shown]
	ds_load_b128 v[136:139], v2 offset:544
	ds_load_b128 v[140:143], v2 offset:560
	scratch_load_b128 v[144:147], off, off offset:200
	s_mov_b32 s0, exec_lo
	s_wait_loadcnt_dscnt 0x601
	v_fma_f64 v[148:149], v[114:115], v[136:137], 0
	s_wait_loadcnt 0x5
	s_delay_alu instid0(VALU_DEP_1) | instskip(SKIP_4) | instid1(VALU_DEP_1)
	v_fmac_f64_e32 v[148:149], v[116:117], v[138:139]
	scratch_load_b128 v[114:117], off, off offset:216
	s_wait_dscnt 0x0
	v_fmac_f64_e32 v[148:149], v[118:119], v[140:141]
	s_wait_loadcnt 0x5
	v_fmac_f64_e32 v[148:149], v[120:121], v[142:143]
	ds_load_b128 v[118:121], v2 offset:576
	ds_load_b128 v[136:139], v2 offset:592
	scratch_load_b128 v[140:143], off, off offset:232
	s_wait_dscnt 0x1
	v_fmac_f64_e32 v[148:149], v[122:123], v[118:119]
	s_wait_loadcnt 0x5
	s_delay_alu instid0(VALU_DEP_1) | instskip(SKIP_4) | instid1(VALU_DEP_1)
	v_fmac_f64_e32 v[148:149], v[124:125], v[120:121]
	scratch_load_b128 v[118:121], off, off offset:248
	s_wait_dscnt 0x0
	v_fmac_f64_e32 v[148:149], v[126:127], v[136:137]
	s_wait_loadcnt 0x5
	v_fmac_f64_e32 v[148:149], v[128:129], v[138:139]
	ds_load_b128 v[122:125], v2 offset:608
	ds_load_b128 v[126:129], v2 offset:624
	scratch_load_b128 v[136:139], off, off offset:264
	s_wait_dscnt 0x1
	v_fmac_f64_e32 v[148:149], v[130:131], v[122:123]
	s_wait_loadcnt 0x5
	s_delay_alu instid0(VALU_DEP_1) | instskip(SKIP_4) | instid1(VALU_DEP_1)
	v_fmac_f64_e32 v[148:149], v[132:133], v[124:125]
	scratch_load_b128 v[122:125], off, off offset:280
	s_wait_dscnt 0x0
	v_fmac_f64_e32 v[148:149], v[134:135], v[126:127]
	s_wait_loadcnt 0x5
	v_fmac_f64_e32 v[148:149], v[144:145], v[128:129]
	ds_load_b128 v[126:129], v2 offset:640
	ds_load_b128 v[130:133], v2 offset:656
	s_wait_dscnt 0x1
	v_fmac_f64_e32 v[148:149], v[146:147], v[126:127]
	scratch_load_b128 v[144:147], off, off offset:296
	s_wait_loadcnt 0x5
	v_fmac_f64_e32 v[148:149], v[114:115], v[128:129]
	s_wait_dscnt 0x0
	s_delay_alu instid0(VALU_DEP_1)
	v_fmac_f64_e32 v[148:149], v[116:117], v[130:131]
	scratch_load_b128 v[114:117], off, off offset:312
	s_wait_loadcnt 0x5
	v_fmac_f64_e32 v[148:149], v[140:141], v[132:133]
	ds_load_b128 v[126:129], v2 offset:672
	ds_load_b128 v[130:133], v2 offset:688
	s_wait_dscnt 0x1
	v_fmac_f64_e32 v[148:149], v[142:143], v[126:127]
	scratch_load_b128 v[140:143], off, off offset:328
	s_wait_loadcnt 0x5
	v_fmac_f64_e32 v[148:149], v[118:119], v[128:129]
	s_wait_dscnt 0x0
	s_delay_alu instid0(VALU_DEP_1)
	v_fmac_f64_e32 v[148:149], v[120:121], v[130:131]
	scratch_load_b128 v[118:121], off, off offset:344
	s_wait_loadcnt 0x5
	v_fmac_f64_e32 v[148:149], v[136:137], v[132:133]
	ds_load_b128 v[126:129], v2 offset:704
	ds_load_b128 v[130:133], v2 offset:720
	s_wait_dscnt 0x1
	v_fmac_f64_e32 v[148:149], v[138:139], v[126:127]
	s_wait_loadcnt 0x4
	s_delay_alu instid0(VALU_DEP_1)
	v_fmac_f64_e32 v[148:149], v[122:123], v[128:129]
	scratch_load_b128 v[126:129], off, off offset:360
	s_wait_dscnt 0x0
	v_fmac_f64_e32 v[148:149], v[124:125], v[130:131]
	scratch_load_b128 v[122:125], off, off offset:376
	s_wait_loadcnt 0x5
	v_fmac_f64_e32 v[148:149], v[144:145], v[132:133]
	ds_load_b128 v[130:133], v2 offset:736
	ds_load_b128 v[134:137], v2 offset:752
	s_wait_dscnt 0x1
	v_fmac_f64_e32 v[148:149], v[146:147], v[130:131]
	s_wait_loadcnt 0x4
	s_delay_alu instid0(VALU_DEP_1)
	v_fmac_f64_e32 v[148:149], v[114:115], v[132:133]
	scratch_load_b128 v[130:133], off, off offset:392
	s_wait_dscnt 0x0
	v_fmac_f64_e32 v[148:149], v[116:117], v[134:135]
	scratch_load_b128 v[114:117], off, off offset:408
	s_wait_loadcnt 0x5
	v_fmac_f64_e32 v[148:149], v[140:141], v[136:137]
	ds_load_b128 v[134:137], v2 offset:768
	ds_load_b128 v[138:141], v2 offset:784
	s_wait_dscnt 0x1
	v_fmac_f64_e32 v[148:149], v[142:143], v[134:135]
	scratch_load_b64 v[142:143], off, off offset:424
	s_wait_loadcnt 0x5
	v_fmac_f64_e32 v[148:149], v[118:119], v[136:137]
	s_wait_dscnt 0x0
	s_delay_alu instid0(VALU_DEP_1)
	v_fmac_f64_e32 v[148:149], v[120:121], v[138:139]
	ds_load_b128 v[118:121], v2 offset:800
	ds_load_b128 v[134:137], v2 offset:816
	s_wait_loadcnt 0x4
	v_fmac_f64_e32 v[148:149], v[126:127], v[140:141]
	s_wait_dscnt 0x1
	s_delay_alu instid0(VALU_DEP_1) | instskip(SKIP_1) | instid1(VALU_DEP_1)
	v_fmac_f64_e32 v[148:149], v[128:129], v[118:119]
	s_wait_loadcnt 0x3
	v_fmac_f64_e32 v[148:149], v[122:123], v[120:121]
	s_wait_dscnt 0x0
	s_delay_alu instid0(VALU_DEP_1)
	v_fmac_f64_e32 v[148:149], v[124:125], v[134:135]
	ds_load_b128 v[118:121], v2 offset:832
	ds_load_b128 v[122:125], v2 offset:848
	s_wait_loadcnt 0x2
	v_fmac_f64_e32 v[148:149], v[130:131], v[136:137]
	s_wait_dscnt 0x1
	s_delay_alu instid0(VALU_DEP_1) | instskip(SKIP_1) | instid1(VALU_DEP_1)
	v_fmac_f64_e32 v[148:149], v[132:133], v[118:119]
	s_wait_loadcnt 0x1
	v_fmac_f64_e32 v[148:149], v[114:115], v[120:121]
	s_wait_dscnt 0x0
	s_delay_alu instid0(VALU_DEP_1) | instskip(SKIP_1) | instid1(VALU_DEP_1)
	v_fmac_f64_e32 v[148:149], v[116:117], v[122:123]
	s_wait_loadcnt 0x0
	v_fmac_f64_e32 v[148:149], v[142:143], v[124:125]
	s_delay_alu instid0(VALU_DEP_1)
	v_add_f64_e64 v[2:3], v[112:113], -v[148:149]
	scratch_store_b64 off, v[2:3], off offset:104
	s_wait_xcnt 0x0
	v_cmpx_lt_u32_e32 12, v0
	s_cbranch_execz .LBB117_309
; %bb.308:
	scratch_load_b64 v[2:3], off, off offset:96
	v_mov_b64_e32 v[112:113], 0
	scratch_store_b64 off, v[112:113], off offset:96
	s_wait_loadcnt 0x0
	ds_store_b64 v1, v[2:3]
.LBB117_309:
	s_wait_xcnt 0x0
	s_or_b32 exec_lo, exec_lo, s0
	s_wait_storecnt_dscnt 0x0
	s_barrier_signal -1
	s_barrier_wait -1
	s_clause 0x5
	scratch_load_b128 v[112:115], off, off offset:96
	scratch_load_b128 v[116:119], off, off offset:112
	;; [unrolled: 1-line block ×6, first 2 shown]
	v_mov_b32_e32 v2, 0
	ds_load_2addr_b64 v[136:139], v2 offset0:67 offset1:68
	ds_load_2addr_b64 v[140:143], v2 offset0:69 offset1:70
	scratch_load_b128 v[144:147], off, off offset:192
	s_mov_b32 s0, exec_lo
	s_wait_loadcnt_dscnt 0x601
	v_fma_f64 v[148:149], v[114:115], v[136:137], 0
	s_wait_loadcnt 0x5
	s_delay_alu instid0(VALU_DEP_1) | instskip(SKIP_4) | instid1(VALU_DEP_1)
	v_fmac_f64_e32 v[148:149], v[116:117], v[138:139]
	scratch_load_b128 v[114:117], off, off offset:208
	s_wait_dscnt 0x0
	v_fmac_f64_e32 v[148:149], v[118:119], v[140:141]
	s_wait_loadcnt 0x5
	v_fmac_f64_e32 v[148:149], v[120:121], v[142:143]
	ds_load_2addr_b64 v[118:121], v2 offset0:71 offset1:72
	ds_load_2addr_b64 v[136:139], v2 offset0:73 offset1:74
	scratch_load_b128 v[140:143], off, off offset:224
	s_wait_dscnt 0x1
	v_fmac_f64_e32 v[148:149], v[122:123], v[118:119]
	s_wait_loadcnt 0x5
	s_delay_alu instid0(VALU_DEP_1) | instskip(SKIP_4) | instid1(VALU_DEP_1)
	v_fmac_f64_e32 v[148:149], v[124:125], v[120:121]
	scratch_load_b128 v[118:121], off, off offset:240
	s_wait_dscnt 0x0
	v_fmac_f64_e32 v[148:149], v[126:127], v[136:137]
	s_wait_loadcnt 0x5
	v_fmac_f64_e32 v[148:149], v[128:129], v[138:139]
	ds_load_2addr_b64 v[122:125], v2 offset0:75 offset1:76
	ds_load_2addr_b64 v[126:129], v2 offset0:77 offset1:78
	scratch_load_b128 v[136:139], off, off offset:256
	s_wait_dscnt 0x1
	v_fmac_f64_e32 v[148:149], v[130:131], v[122:123]
	s_wait_loadcnt 0x5
	s_delay_alu instid0(VALU_DEP_1) | instskip(SKIP_4) | instid1(VALU_DEP_1)
	v_fmac_f64_e32 v[148:149], v[132:133], v[124:125]
	scratch_load_b128 v[122:125], off, off offset:272
	s_wait_dscnt 0x0
	v_fmac_f64_e32 v[148:149], v[134:135], v[126:127]
	s_wait_loadcnt 0x5
	v_fmac_f64_e32 v[148:149], v[144:145], v[128:129]
	ds_load_2addr_b64 v[126:129], v2 offset0:79 offset1:80
	ds_load_2addr_b64 v[130:133], v2 offset0:81 offset1:82
	s_wait_dscnt 0x1
	v_fmac_f64_e32 v[148:149], v[146:147], v[126:127]
	scratch_load_b128 v[144:147], off, off offset:288
	s_wait_loadcnt 0x5
	v_fmac_f64_e32 v[148:149], v[114:115], v[128:129]
	s_wait_dscnt 0x0
	s_delay_alu instid0(VALU_DEP_1)
	v_fmac_f64_e32 v[148:149], v[116:117], v[130:131]
	scratch_load_b128 v[114:117], off, off offset:304
	s_wait_loadcnt 0x5
	v_fmac_f64_e32 v[148:149], v[140:141], v[132:133]
	ds_load_2addr_b64 v[126:129], v2 offset0:83 offset1:84
	ds_load_2addr_b64 v[130:133], v2 offset0:85 offset1:86
	s_wait_dscnt 0x1
	v_fmac_f64_e32 v[148:149], v[142:143], v[126:127]
	scratch_load_b128 v[140:143], off, off offset:320
	s_wait_loadcnt 0x5
	v_fmac_f64_e32 v[148:149], v[118:119], v[128:129]
	s_wait_dscnt 0x0
	s_delay_alu instid0(VALU_DEP_1)
	v_fmac_f64_e32 v[148:149], v[120:121], v[130:131]
	scratch_load_b128 v[118:121], off, off offset:336
	s_wait_loadcnt 0x5
	v_fmac_f64_e32 v[148:149], v[136:137], v[132:133]
	ds_load_2addr_b64 v[126:129], v2 offset0:87 offset1:88
	ds_load_2addr_b64 v[130:133], v2 offset0:89 offset1:90
	s_wait_dscnt 0x1
	v_fmac_f64_e32 v[148:149], v[138:139], v[126:127]
	s_wait_loadcnt 0x4
	s_delay_alu instid0(VALU_DEP_1)
	v_fmac_f64_e32 v[148:149], v[122:123], v[128:129]
	scratch_load_b128 v[126:129], off, off offset:352
	s_wait_dscnt 0x0
	v_fmac_f64_e32 v[148:149], v[124:125], v[130:131]
	scratch_load_b128 v[122:125], off, off offset:368
	s_wait_loadcnt 0x5
	v_fmac_f64_e32 v[148:149], v[144:145], v[132:133]
	ds_load_2addr_b64 v[130:133], v2 offset0:91 offset1:92
	ds_load_2addr_b64 v[134:137], v2 offset0:93 offset1:94
	s_wait_dscnt 0x1
	v_fmac_f64_e32 v[148:149], v[146:147], v[130:131]
	s_wait_loadcnt 0x4
	s_delay_alu instid0(VALU_DEP_1)
	v_fmac_f64_e32 v[148:149], v[114:115], v[132:133]
	scratch_load_b128 v[130:133], off, off offset:384
	s_wait_dscnt 0x0
	v_fmac_f64_e32 v[148:149], v[116:117], v[134:135]
	scratch_load_b128 v[114:117], off, off offset:400
	s_wait_loadcnt 0x5
	v_fmac_f64_e32 v[148:149], v[140:141], v[136:137]
	ds_load_2addr_b64 v[134:137], v2 offset0:95 offset1:96
	ds_load_2addr_b64 v[138:141], v2 offset0:97 offset1:98
	s_wait_dscnt 0x1
	v_fmac_f64_e32 v[148:149], v[142:143], v[134:135]
	s_wait_loadcnt 0x4
	s_delay_alu instid0(VALU_DEP_1) | instskip(SKIP_4) | instid1(VALU_DEP_1)
	v_fmac_f64_e32 v[148:149], v[118:119], v[136:137]
	scratch_load_b128 v[134:137], off, off offset:416
	s_wait_dscnt 0x0
	v_fmac_f64_e32 v[148:149], v[120:121], v[138:139]
	s_wait_loadcnt 0x4
	v_fmac_f64_e32 v[148:149], v[126:127], v[140:141]
	ds_load_2addr_b64 v[118:121], v2 offset0:99 offset1:100
	ds_load_2addr_b64 v[138:141], v2 offset0:101 offset1:102
	s_wait_dscnt 0x1
	v_fmac_f64_e32 v[148:149], v[128:129], v[118:119]
	s_wait_loadcnt 0x3
	s_delay_alu instid0(VALU_DEP_1) | instskip(SKIP_1) | instid1(VALU_DEP_1)
	v_fmac_f64_e32 v[148:149], v[122:123], v[120:121]
	s_wait_dscnt 0x0
	v_fmac_f64_e32 v[148:149], v[124:125], v[138:139]
	ds_load_2addr_b64 v[118:121], v2 offset0:103 offset1:104
	ds_load_2addr_b64 v[122:125], v2 offset0:105 offset1:106
	s_wait_loadcnt 0x2
	v_fmac_f64_e32 v[148:149], v[130:131], v[140:141]
	s_wait_dscnt 0x1
	s_delay_alu instid0(VALU_DEP_1) | instskip(SKIP_1) | instid1(VALU_DEP_1)
	v_fmac_f64_e32 v[148:149], v[132:133], v[118:119]
	s_wait_loadcnt 0x1
	v_fmac_f64_e32 v[148:149], v[114:115], v[120:121]
	ds_load_b64 v[114:115], v2 offset:856
	s_wait_dscnt 0x1
	v_fmac_f64_e32 v[148:149], v[116:117], v[122:123]
	s_wait_loadcnt 0x0
	s_delay_alu instid0(VALU_DEP_1) | instskip(SKIP_1) | instid1(VALU_DEP_1)
	v_fmac_f64_e32 v[148:149], v[134:135], v[124:125]
	s_wait_dscnt 0x0
	v_fmac_f64_e32 v[148:149], v[136:137], v[114:115]
	s_delay_alu instid0(VALU_DEP_1)
	v_add_f64_e64 v[112:113], v[112:113], -v[148:149]
	scratch_store_b64 off, v[112:113], off offset:96
	s_wait_xcnt 0x0
	v_cmpx_lt_u32_e32 11, v0
	s_cbranch_execz .LBB117_311
; %bb.310:
	scratch_load_b64 v[112:113], off, off offset:88
	v_mov_b64_e32 v[114:115], 0
	scratch_store_b64 off, v[114:115], off offset:88
	s_wait_loadcnt 0x0
	ds_store_b64 v1, v[112:113]
.LBB117_311:
	s_wait_xcnt 0x0
	s_or_b32 exec_lo, exec_lo, s0
	s_wait_storecnt_dscnt 0x0
	s_barrier_signal -1
	s_barrier_wait -1
	s_clause 0x5
	scratch_load_b128 v[112:115], off, off offset:88
	scratch_load_b128 v[116:119], off, off offset:104
	;; [unrolled: 1-line block ×6, first 2 shown]
	ds_load_b128 v[136:139], v2 offset:528
	ds_load_b128 v[140:143], v2 offset:544
	scratch_load_b128 v[144:147], off, off offset:184
	s_mov_b32 s0, exec_lo
	s_wait_loadcnt_dscnt 0x601
	v_fma_f64 v[148:149], v[114:115], v[136:137], 0
	s_wait_loadcnt 0x5
	s_delay_alu instid0(VALU_DEP_1) | instskip(SKIP_4) | instid1(VALU_DEP_1)
	v_fmac_f64_e32 v[148:149], v[116:117], v[138:139]
	scratch_load_b128 v[114:117], off, off offset:200
	s_wait_dscnt 0x0
	v_fmac_f64_e32 v[148:149], v[118:119], v[140:141]
	s_wait_loadcnt 0x5
	v_fmac_f64_e32 v[148:149], v[120:121], v[142:143]
	ds_load_b128 v[118:121], v2 offset:560
	ds_load_b128 v[136:139], v2 offset:576
	scratch_load_b128 v[140:143], off, off offset:216
	s_wait_dscnt 0x1
	v_fmac_f64_e32 v[148:149], v[122:123], v[118:119]
	s_wait_loadcnt 0x5
	s_delay_alu instid0(VALU_DEP_1) | instskip(SKIP_4) | instid1(VALU_DEP_1)
	v_fmac_f64_e32 v[148:149], v[124:125], v[120:121]
	scratch_load_b128 v[118:121], off, off offset:232
	s_wait_dscnt 0x0
	v_fmac_f64_e32 v[148:149], v[126:127], v[136:137]
	s_wait_loadcnt 0x5
	v_fmac_f64_e32 v[148:149], v[128:129], v[138:139]
	ds_load_b128 v[122:125], v2 offset:592
	ds_load_b128 v[126:129], v2 offset:608
	scratch_load_b128 v[136:139], off, off offset:248
	s_wait_dscnt 0x1
	v_fmac_f64_e32 v[148:149], v[130:131], v[122:123]
	s_wait_loadcnt 0x5
	s_delay_alu instid0(VALU_DEP_1) | instskip(SKIP_4) | instid1(VALU_DEP_1)
	v_fmac_f64_e32 v[148:149], v[132:133], v[124:125]
	scratch_load_b128 v[122:125], off, off offset:264
	s_wait_dscnt 0x0
	v_fmac_f64_e32 v[148:149], v[134:135], v[126:127]
	s_wait_loadcnt 0x5
	v_fmac_f64_e32 v[148:149], v[144:145], v[128:129]
	ds_load_b128 v[126:129], v2 offset:624
	ds_load_b128 v[130:133], v2 offset:640
	s_wait_dscnt 0x1
	v_fmac_f64_e32 v[148:149], v[146:147], v[126:127]
	scratch_load_b128 v[144:147], off, off offset:280
	s_wait_loadcnt 0x5
	v_fmac_f64_e32 v[148:149], v[114:115], v[128:129]
	s_wait_dscnt 0x0
	s_delay_alu instid0(VALU_DEP_1)
	v_fmac_f64_e32 v[148:149], v[116:117], v[130:131]
	scratch_load_b128 v[114:117], off, off offset:296
	s_wait_loadcnt 0x5
	v_fmac_f64_e32 v[148:149], v[140:141], v[132:133]
	ds_load_b128 v[126:129], v2 offset:656
	ds_load_b128 v[130:133], v2 offset:672
	s_wait_dscnt 0x1
	v_fmac_f64_e32 v[148:149], v[142:143], v[126:127]
	scratch_load_b128 v[140:143], off, off offset:312
	s_wait_loadcnt 0x5
	v_fmac_f64_e32 v[148:149], v[118:119], v[128:129]
	s_wait_dscnt 0x0
	s_delay_alu instid0(VALU_DEP_1)
	v_fmac_f64_e32 v[148:149], v[120:121], v[130:131]
	scratch_load_b128 v[118:121], off, off offset:328
	s_wait_loadcnt 0x5
	v_fmac_f64_e32 v[148:149], v[136:137], v[132:133]
	ds_load_b128 v[126:129], v2 offset:688
	ds_load_b128 v[130:133], v2 offset:704
	scratch_load_b128 v[134:137], off, off offset:344
	s_wait_dscnt 0x1
	v_fmac_f64_e32 v[148:149], v[138:139], v[126:127]
	s_wait_loadcnt 0x5
	s_delay_alu instid0(VALU_DEP_1) | instskip(SKIP_1) | instid1(VALU_DEP_1)
	v_fmac_f64_e32 v[148:149], v[122:123], v[128:129]
	s_wait_dscnt 0x0
	v_fmac_f64_e32 v[148:149], v[124:125], v[130:131]
	scratch_load_b128 v[122:125], off, off offset:360
	s_wait_loadcnt 0x5
	v_fmac_f64_e32 v[148:149], v[144:145], v[132:133]
	ds_load_b128 v[126:129], v2 offset:720
	ds_load_b128 v[130:133], v2 offset:736
	s_wait_dscnt 0x1
	v_fmac_f64_e32 v[148:149], v[146:147], v[126:127]
	s_wait_loadcnt 0x4
	s_delay_alu instid0(VALU_DEP_1)
	v_fmac_f64_e32 v[148:149], v[114:115], v[128:129]
	scratch_load_b128 v[126:129], off, off offset:376
	s_wait_dscnt 0x0
	v_fmac_f64_e32 v[148:149], v[116:117], v[130:131]
	scratch_load_b128 v[114:117], off, off offset:392
	s_wait_loadcnt 0x5
	v_fmac_f64_e32 v[148:149], v[140:141], v[132:133]
	ds_load_b128 v[130:133], v2 offset:752
	ds_load_b128 v[138:141], v2 offset:768
	s_wait_dscnt 0x1
	v_fmac_f64_e32 v[148:149], v[142:143], v[130:131]
	s_wait_loadcnt 0x4
	s_delay_alu instid0(VALU_DEP_1) | instskip(SKIP_4) | instid1(VALU_DEP_1)
	v_fmac_f64_e32 v[148:149], v[118:119], v[132:133]
	scratch_load_b128 v[130:133], off, off offset:408
	s_wait_dscnt 0x0
	v_fmac_f64_e32 v[148:149], v[120:121], v[138:139]
	s_wait_loadcnt 0x4
	v_fmac_f64_e32 v[148:149], v[134:135], v[140:141]
	scratch_load_b64 v[134:135], off, off offset:424
	ds_load_b128 v[118:121], v2 offset:784
	ds_load_b128 v[138:141], v2 offset:800
	s_wait_dscnt 0x1
	v_fmac_f64_e32 v[148:149], v[136:137], v[118:119]
	s_wait_loadcnt 0x4
	s_delay_alu instid0(VALU_DEP_1) | instskip(SKIP_1) | instid1(VALU_DEP_1)
	v_fmac_f64_e32 v[148:149], v[122:123], v[120:121]
	s_wait_dscnt 0x0
	v_fmac_f64_e32 v[148:149], v[124:125], v[138:139]
	ds_load_b128 v[118:121], v2 offset:816
	ds_load_b128 v[122:125], v2 offset:832
	s_wait_loadcnt 0x3
	v_fmac_f64_e32 v[148:149], v[126:127], v[140:141]
	s_wait_dscnt 0x1
	s_delay_alu instid0(VALU_DEP_1) | instskip(SKIP_1) | instid1(VALU_DEP_1)
	v_fmac_f64_e32 v[148:149], v[128:129], v[118:119]
	s_wait_loadcnt 0x2
	v_fmac_f64_e32 v[148:149], v[114:115], v[120:121]
	s_wait_dscnt 0x0
	s_delay_alu instid0(VALU_DEP_1) | instskip(SKIP_4) | instid1(VALU_DEP_1)
	v_fmac_f64_e32 v[148:149], v[116:117], v[122:123]
	ds_load_b128 v[114:117], v2 offset:848
	s_wait_loadcnt 0x1
	v_fmac_f64_e32 v[148:149], v[130:131], v[124:125]
	s_wait_dscnt 0x0
	v_fmac_f64_e32 v[148:149], v[132:133], v[114:115]
	s_wait_loadcnt 0x0
	s_delay_alu instid0(VALU_DEP_1) | instskip(NEXT) | instid1(VALU_DEP_1)
	v_fmac_f64_e32 v[148:149], v[134:135], v[116:117]
	v_add_f64_e64 v[2:3], v[112:113], -v[148:149]
	scratch_store_b64 off, v[2:3], off offset:88
	s_wait_xcnt 0x0
	v_cmpx_lt_u32_e32 10, v0
	s_cbranch_execz .LBB117_313
; %bb.312:
	scratch_load_b64 v[2:3], off, off offset:80
	v_mov_b64_e32 v[112:113], 0
	scratch_store_b64 off, v[112:113], off offset:80
	s_wait_loadcnt 0x0
	ds_store_b64 v1, v[2:3]
.LBB117_313:
	s_wait_xcnt 0x0
	s_or_b32 exec_lo, exec_lo, s0
	s_wait_storecnt_dscnt 0x0
	s_barrier_signal -1
	s_barrier_wait -1
	s_clause 0x5
	scratch_load_b128 v[112:115], off, off offset:80
	scratch_load_b128 v[116:119], off, off offset:96
	;; [unrolled: 1-line block ×6, first 2 shown]
	v_mov_b32_e32 v2, 0
	ds_load_2addr_b64 v[136:139], v2 offset0:65 offset1:66
	ds_load_2addr_b64 v[140:143], v2 offset0:67 offset1:68
	scratch_load_b128 v[144:147], off, off offset:176
	s_mov_b32 s0, exec_lo
	s_wait_loadcnt_dscnt 0x601
	v_fma_f64 v[148:149], v[114:115], v[136:137], 0
	s_wait_loadcnt 0x5
	s_delay_alu instid0(VALU_DEP_1) | instskip(SKIP_4) | instid1(VALU_DEP_1)
	v_fmac_f64_e32 v[148:149], v[116:117], v[138:139]
	scratch_load_b128 v[114:117], off, off offset:192
	s_wait_dscnt 0x0
	v_fmac_f64_e32 v[148:149], v[118:119], v[140:141]
	s_wait_loadcnt 0x5
	v_fmac_f64_e32 v[148:149], v[120:121], v[142:143]
	ds_load_2addr_b64 v[118:121], v2 offset0:69 offset1:70
	ds_load_2addr_b64 v[136:139], v2 offset0:71 offset1:72
	scratch_load_b128 v[140:143], off, off offset:208
	s_wait_dscnt 0x1
	v_fmac_f64_e32 v[148:149], v[122:123], v[118:119]
	s_wait_loadcnt 0x5
	s_delay_alu instid0(VALU_DEP_1) | instskip(SKIP_4) | instid1(VALU_DEP_1)
	v_fmac_f64_e32 v[148:149], v[124:125], v[120:121]
	scratch_load_b128 v[118:121], off, off offset:224
	s_wait_dscnt 0x0
	v_fmac_f64_e32 v[148:149], v[126:127], v[136:137]
	s_wait_loadcnt 0x5
	v_fmac_f64_e32 v[148:149], v[128:129], v[138:139]
	ds_load_2addr_b64 v[122:125], v2 offset0:73 offset1:74
	ds_load_2addr_b64 v[126:129], v2 offset0:75 offset1:76
	scratch_load_b128 v[136:139], off, off offset:240
	s_wait_dscnt 0x1
	v_fmac_f64_e32 v[148:149], v[130:131], v[122:123]
	s_wait_loadcnt 0x5
	s_delay_alu instid0(VALU_DEP_1) | instskip(SKIP_4) | instid1(VALU_DEP_1)
	v_fmac_f64_e32 v[148:149], v[132:133], v[124:125]
	scratch_load_b128 v[122:125], off, off offset:256
	s_wait_dscnt 0x0
	v_fmac_f64_e32 v[148:149], v[134:135], v[126:127]
	s_wait_loadcnt 0x5
	v_fmac_f64_e32 v[148:149], v[144:145], v[128:129]
	ds_load_2addr_b64 v[126:129], v2 offset0:77 offset1:78
	ds_load_2addr_b64 v[130:133], v2 offset0:79 offset1:80
	s_wait_dscnt 0x1
	v_fmac_f64_e32 v[148:149], v[146:147], v[126:127]
	scratch_load_b128 v[144:147], off, off offset:272
	s_wait_loadcnt 0x5
	v_fmac_f64_e32 v[148:149], v[114:115], v[128:129]
	s_wait_dscnt 0x0
	s_delay_alu instid0(VALU_DEP_1)
	v_fmac_f64_e32 v[148:149], v[116:117], v[130:131]
	scratch_load_b128 v[114:117], off, off offset:288
	s_wait_loadcnt 0x5
	v_fmac_f64_e32 v[148:149], v[140:141], v[132:133]
	ds_load_2addr_b64 v[126:129], v2 offset0:81 offset1:82
	ds_load_2addr_b64 v[130:133], v2 offset0:83 offset1:84
	s_wait_dscnt 0x1
	v_fmac_f64_e32 v[148:149], v[142:143], v[126:127]
	scratch_load_b128 v[140:143], off, off offset:304
	s_wait_loadcnt 0x5
	v_fmac_f64_e32 v[148:149], v[118:119], v[128:129]
	s_wait_dscnt 0x0
	s_delay_alu instid0(VALU_DEP_1)
	v_fmac_f64_e32 v[148:149], v[120:121], v[130:131]
	scratch_load_b128 v[118:121], off, off offset:320
	s_wait_loadcnt 0x5
	v_fmac_f64_e32 v[148:149], v[136:137], v[132:133]
	ds_load_2addr_b64 v[126:129], v2 offset0:85 offset1:86
	ds_load_2addr_b64 v[130:133], v2 offset0:87 offset1:88
	scratch_load_b128 v[134:137], off, off offset:336
	s_wait_dscnt 0x1
	v_fmac_f64_e32 v[148:149], v[138:139], v[126:127]
	s_wait_loadcnt 0x5
	s_delay_alu instid0(VALU_DEP_1) | instskip(SKIP_1) | instid1(VALU_DEP_1)
	v_fmac_f64_e32 v[148:149], v[122:123], v[128:129]
	s_wait_dscnt 0x0
	v_fmac_f64_e32 v[148:149], v[124:125], v[130:131]
	scratch_load_b128 v[122:125], off, off offset:352
	s_wait_loadcnt 0x5
	v_fmac_f64_e32 v[148:149], v[144:145], v[132:133]
	ds_load_2addr_b64 v[126:129], v2 offset0:89 offset1:90
	ds_load_2addr_b64 v[130:133], v2 offset0:91 offset1:92
	s_wait_dscnt 0x1
	v_fmac_f64_e32 v[148:149], v[146:147], v[126:127]
	s_wait_loadcnt 0x4
	s_delay_alu instid0(VALU_DEP_1)
	v_fmac_f64_e32 v[148:149], v[114:115], v[128:129]
	scratch_load_b128 v[126:129], off, off offset:368
	s_wait_dscnt 0x0
	v_fmac_f64_e32 v[148:149], v[116:117], v[130:131]
	scratch_load_b128 v[114:117], off, off offset:384
	s_wait_loadcnt 0x5
	v_fmac_f64_e32 v[148:149], v[140:141], v[132:133]
	ds_load_2addr_b64 v[130:133], v2 offset0:93 offset1:94
	ds_load_2addr_b64 v[138:141], v2 offset0:95 offset1:96
	s_wait_dscnt 0x1
	v_fmac_f64_e32 v[148:149], v[142:143], v[130:131]
	s_wait_loadcnt 0x4
	s_delay_alu instid0(VALU_DEP_1)
	v_fmac_f64_e32 v[148:149], v[118:119], v[132:133]
	scratch_load_b128 v[130:133], off, off offset:400
	s_wait_dscnt 0x0
	v_fmac_f64_e32 v[148:149], v[120:121], v[138:139]
	scratch_load_b128 v[118:121], off, off offset:416
	s_wait_loadcnt 0x5
	v_fmac_f64_e32 v[148:149], v[134:135], v[140:141]
	ds_load_2addr_b64 v[138:141], v2 offset0:97 offset1:98
	ds_load_2addr_b64 v[142:145], v2 offset0:99 offset1:100
	s_wait_dscnt 0x1
	v_fmac_f64_e32 v[148:149], v[136:137], v[138:139]
	s_wait_loadcnt 0x4
	s_delay_alu instid0(VALU_DEP_1) | instskip(SKIP_1) | instid1(VALU_DEP_1)
	v_fmac_f64_e32 v[148:149], v[122:123], v[140:141]
	s_wait_dscnt 0x0
	v_fmac_f64_e32 v[148:149], v[124:125], v[142:143]
	ds_load_2addr_b64 v[122:125], v2 offset0:101 offset1:102
	ds_load_2addr_b64 v[134:137], v2 offset0:103 offset1:104
	s_wait_loadcnt 0x3
	v_fmac_f64_e32 v[148:149], v[126:127], v[144:145]
	s_wait_dscnt 0x1
	s_delay_alu instid0(VALU_DEP_1) | instskip(SKIP_1) | instid1(VALU_DEP_1)
	v_fmac_f64_e32 v[148:149], v[128:129], v[122:123]
	s_wait_loadcnt 0x2
	v_fmac_f64_e32 v[148:149], v[114:115], v[124:125]
	s_wait_dscnt 0x0
	s_delay_alu instid0(VALU_DEP_1)
	v_fmac_f64_e32 v[148:149], v[116:117], v[134:135]
	ds_load_2addr_b64 v[114:117], v2 offset0:105 offset1:106
	ds_load_b64 v[122:123], v2 offset:856
	s_wait_loadcnt 0x1
	v_fmac_f64_e32 v[148:149], v[130:131], v[136:137]
	s_wait_dscnt 0x1
	s_delay_alu instid0(VALU_DEP_1) | instskip(SKIP_1) | instid1(VALU_DEP_1)
	v_fmac_f64_e32 v[148:149], v[132:133], v[114:115]
	s_wait_loadcnt 0x0
	v_fmac_f64_e32 v[148:149], v[118:119], v[116:117]
	s_wait_dscnt 0x0
	s_delay_alu instid0(VALU_DEP_1) | instskip(NEXT) | instid1(VALU_DEP_1)
	v_fmac_f64_e32 v[148:149], v[120:121], v[122:123]
	v_add_f64_e64 v[112:113], v[112:113], -v[148:149]
	scratch_store_b64 off, v[112:113], off offset:80
	s_wait_xcnt 0x0
	v_cmpx_lt_u32_e32 9, v0
	s_cbranch_execz .LBB117_315
; %bb.314:
	scratch_load_b64 v[112:113], off, off offset:72
	v_mov_b64_e32 v[114:115], 0
	scratch_store_b64 off, v[114:115], off offset:72
	s_wait_loadcnt 0x0
	ds_store_b64 v1, v[112:113]
.LBB117_315:
	s_wait_xcnt 0x0
	s_or_b32 exec_lo, exec_lo, s0
	s_wait_storecnt_dscnt 0x0
	s_barrier_signal -1
	s_barrier_wait -1
	s_clause 0x5
	scratch_load_b128 v[112:115], off, off offset:72
	scratch_load_b128 v[116:119], off, off offset:88
	;; [unrolled: 1-line block ×6, first 2 shown]
	ds_load_b128 v[136:139], v2 offset:512
	ds_load_b128 v[140:143], v2 offset:528
	scratch_load_b128 v[144:147], off, off offset:168
	s_mov_b32 s0, exec_lo
	s_wait_loadcnt_dscnt 0x601
	v_fma_f64 v[148:149], v[114:115], v[136:137], 0
	s_wait_loadcnt 0x5
	s_delay_alu instid0(VALU_DEP_1) | instskip(SKIP_4) | instid1(VALU_DEP_1)
	v_fmac_f64_e32 v[148:149], v[116:117], v[138:139]
	scratch_load_b128 v[114:117], off, off offset:184
	s_wait_dscnt 0x0
	v_fmac_f64_e32 v[148:149], v[118:119], v[140:141]
	s_wait_loadcnt 0x5
	v_fmac_f64_e32 v[148:149], v[120:121], v[142:143]
	ds_load_b128 v[118:121], v2 offset:544
	ds_load_b128 v[136:139], v2 offset:560
	scratch_load_b128 v[140:143], off, off offset:200
	s_wait_dscnt 0x1
	v_fmac_f64_e32 v[148:149], v[122:123], v[118:119]
	s_wait_loadcnt 0x5
	s_delay_alu instid0(VALU_DEP_1) | instskip(SKIP_4) | instid1(VALU_DEP_1)
	v_fmac_f64_e32 v[148:149], v[124:125], v[120:121]
	scratch_load_b128 v[118:121], off, off offset:216
	s_wait_dscnt 0x0
	v_fmac_f64_e32 v[148:149], v[126:127], v[136:137]
	s_wait_loadcnt 0x5
	v_fmac_f64_e32 v[148:149], v[128:129], v[138:139]
	ds_load_b128 v[122:125], v2 offset:576
	ds_load_b128 v[126:129], v2 offset:592
	scratch_load_b128 v[136:139], off, off offset:232
	s_wait_dscnt 0x1
	v_fmac_f64_e32 v[148:149], v[130:131], v[122:123]
	s_wait_loadcnt 0x5
	s_delay_alu instid0(VALU_DEP_1) | instskip(SKIP_4) | instid1(VALU_DEP_1)
	v_fmac_f64_e32 v[148:149], v[132:133], v[124:125]
	scratch_load_b128 v[122:125], off, off offset:248
	s_wait_dscnt 0x0
	v_fmac_f64_e32 v[148:149], v[134:135], v[126:127]
	s_wait_loadcnt 0x5
	v_fmac_f64_e32 v[148:149], v[144:145], v[128:129]
	ds_load_b128 v[126:129], v2 offset:608
	ds_load_b128 v[130:133], v2 offset:624
	s_wait_dscnt 0x1
	v_fmac_f64_e32 v[148:149], v[146:147], v[126:127]
	scratch_load_b128 v[144:147], off, off offset:264
	s_wait_loadcnt 0x5
	v_fmac_f64_e32 v[148:149], v[114:115], v[128:129]
	s_wait_dscnt 0x0
	s_delay_alu instid0(VALU_DEP_1)
	v_fmac_f64_e32 v[148:149], v[116:117], v[130:131]
	scratch_load_b128 v[114:117], off, off offset:280
	s_wait_loadcnt 0x5
	v_fmac_f64_e32 v[148:149], v[140:141], v[132:133]
	ds_load_b128 v[126:129], v2 offset:640
	ds_load_b128 v[130:133], v2 offset:656
	s_wait_dscnt 0x1
	v_fmac_f64_e32 v[148:149], v[142:143], v[126:127]
	scratch_load_b128 v[140:143], off, off offset:296
	s_wait_loadcnt 0x5
	v_fmac_f64_e32 v[148:149], v[118:119], v[128:129]
	s_wait_dscnt 0x0
	s_delay_alu instid0(VALU_DEP_1)
	v_fmac_f64_e32 v[148:149], v[120:121], v[130:131]
	scratch_load_b128 v[118:121], off, off offset:312
	s_wait_loadcnt 0x5
	v_fmac_f64_e32 v[148:149], v[136:137], v[132:133]
	ds_load_b128 v[126:129], v2 offset:672
	ds_load_b128 v[130:133], v2 offset:688
	scratch_load_b128 v[134:137], off, off offset:328
	s_wait_dscnt 0x1
	v_fmac_f64_e32 v[148:149], v[138:139], v[126:127]
	s_wait_loadcnt 0x5
	s_delay_alu instid0(VALU_DEP_1) | instskip(SKIP_1) | instid1(VALU_DEP_1)
	v_fmac_f64_e32 v[148:149], v[122:123], v[128:129]
	s_wait_dscnt 0x0
	v_fmac_f64_e32 v[148:149], v[124:125], v[130:131]
	scratch_load_b128 v[122:125], off, off offset:344
	s_wait_loadcnt 0x5
	v_fmac_f64_e32 v[148:149], v[144:145], v[132:133]
	ds_load_b128 v[126:129], v2 offset:704
	ds_load_b128 v[130:133], v2 offset:720
	s_wait_dscnt 0x1
	v_fmac_f64_e32 v[148:149], v[146:147], v[126:127]
	s_wait_loadcnt 0x4
	s_delay_alu instid0(VALU_DEP_1)
	v_fmac_f64_e32 v[148:149], v[114:115], v[128:129]
	scratch_load_b128 v[126:129], off, off offset:360
	s_wait_dscnt 0x0
	v_fmac_f64_e32 v[148:149], v[116:117], v[130:131]
	scratch_load_b128 v[114:117], off, off offset:376
	s_wait_loadcnt 0x5
	v_fmac_f64_e32 v[148:149], v[140:141], v[132:133]
	ds_load_b128 v[130:133], v2 offset:736
	ds_load_b128 v[138:141], v2 offset:752
	s_wait_dscnt 0x1
	v_fmac_f64_e32 v[148:149], v[142:143], v[130:131]
	s_wait_loadcnt 0x4
	s_delay_alu instid0(VALU_DEP_1)
	v_fmac_f64_e32 v[148:149], v[118:119], v[132:133]
	scratch_load_b128 v[130:133], off, off offset:392
	s_wait_dscnt 0x0
	v_fmac_f64_e32 v[148:149], v[120:121], v[138:139]
	scratch_load_b128 v[118:121], off, off offset:408
	s_wait_loadcnt 0x5
	v_fmac_f64_e32 v[148:149], v[134:135], v[140:141]
	ds_load_b128 v[138:141], v2 offset:768
	ds_load_b128 v[142:145], v2 offset:784
	s_wait_dscnt 0x1
	v_fmac_f64_e32 v[148:149], v[136:137], v[138:139]
	scratch_load_b64 v[138:139], off, off offset:424
	s_wait_loadcnt 0x5
	v_fmac_f64_e32 v[148:149], v[122:123], v[140:141]
	s_wait_dscnt 0x0
	s_delay_alu instid0(VALU_DEP_1)
	v_fmac_f64_e32 v[148:149], v[124:125], v[142:143]
	ds_load_b128 v[122:125], v2 offset:800
	ds_load_b128 v[134:137], v2 offset:816
	s_wait_loadcnt 0x4
	v_fmac_f64_e32 v[148:149], v[126:127], v[144:145]
	s_wait_dscnt 0x1
	s_delay_alu instid0(VALU_DEP_1) | instskip(SKIP_1) | instid1(VALU_DEP_1)
	v_fmac_f64_e32 v[148:149], v[128:129], v[122:123]
	s_wait_loadcnt 0x3
	v_fmac_f64_e32 v[148:149], v[114:115], v[124:125]
	s_wait_dscnt 0x0
	s_delay_alu instid0(VALU_DEP_1)
	v_fmac_f64_e32 v[148:149], v[116:117], v[134:135]
	ds_load_b128 v[114:117], v2 offset:832
	ds_load_b128 v[122:125], v2 offset:848
	s_wait_loadcnt 0x2
	v_fmac_f64_e32 v[148:149], v[130:131], v[136:137]
	s_wait_dscnt 0x1
	s_delay_alu instid0(VALU_DEP_1) | instskip(SKIP_1) | instid1(VALU_DEP_1)
	v_fmac_f64_e32 v[148:149], v[132:133], v[114:115]
	s_wait_loadcnt 0x1
	v_fmac_f64_e32 v[148:149], v[118:119], v[116:117]
	s_wait_dscnt 0x0
	s_delay_alu instid0(VALU_DEP_1) | instskip(SKIP_1) | instid1(VALU_DEP_1)
	v_fmac_f64_e32 v[148:149], v[120:121], v[122:123]
	s_wait_loadcnt 0x0
	v_fmac_f64_e32 v[148:149], v[138:139], v[124:125]
	s_delay_alu instid0(VALU_DEP_1)
	v_add_f64_e64 v[2:3], v[112:113], -v[148:149]
	scratch_store_b64 off, v[2:3], off offset:72
	s_wait_xcnt 0x0
	v_cmpx_lt_u32_e32 8, v0
	s_cbranch_execz .LBB117_317
; %bb.316:
	scratch_load_b64 v[2:3], off, off offset:64
	v_mov_b64_e32 v[112:113], 0
	scratch_store_b64 off, v[112:113], off offset:64
	s_wait_loadcnt 0x0
	ds_store_b64 v1, v[2:3]
.LBB117_317:
	s_wait_xcnt 0x0
	s_or_b32 exec_lo, exec_lo, s0
	s_wait_storecnt_dscnt 0x0
	s_barrier_signal -1
	s_barrier_wait -1
	s_clause 0x5
	scratch_load_b128 v[112:115], off, off offset:64
	scratch_load_b128 v[116:119], off, off offset:80
	;; [unrolled: 1-line block ×6, first 2 shown]
	v_mov_b32_e32 v2, 0
	ds_load_2addr_b64 v[136:139], v2 offset0:63 offset1:64
	ds_load_2addr_b64 v[140:143], v2 offset0:65 offset1:66
	scratch_load_b128 v[144:147], off, off offset:160
	s_mov_b32 s0, exec_lo
	s_wait_loadcnt_dscnt 0x601
	v_fma_f64 v[148:149], v[114:115], v[136:137], 0
	s_wait_loadcnt 0x5
	s_delay_alu instid0(VALU_DEP_1) | instskip(SKIP_4) | instid1(VALU_DEP_1)
	v_fmac_f64_e32 v[148:149], v[116:117], v[138:139]
	scratch_load_b128 v[114:117], off, off offset:176
	s_wait_dscnt 0x0
	v_fmac_f64_e32 v[148:149], v[118:119], v[140:141]
	s_wait_loadcnt 0x5
	v_fmac_f64_e32 v[148:149], v[120:121], v[142:143]
	ds_load_2addr_b64 v[118:121], v2 offset0:67 offset1:68
	ds_load_2addr_b64 v[136:139], v2 offset0:69 offset1:70
	scratch_load_b128 v[140:143], off, off offset:192
	s_wait_dscnt 0x1
	v_fmac_f64_e32 v[148:149], v[122:123], v[118:119]
	s_wait_loadcnt 0x5
	s_delay_alu instid0(VALU_DEP_1) | instskip(SKIP_4) | instid1(VALU_DEP_1)
	v_fmac_f64_e32 v[148:149], v[124:125], v[120:121]
	scratch_load_b128 v[118:121], off, off offset:208
	s_wait_dscnt 0x0
	v_fmac_f64_e32 v[148:149], v[126:127], v[136:137]
	s_wait_loadcnt 0x5
	v_fmac_f64_e32 v[148:149], v[128:129], v[138:139]
	ds_load_2addr_b64 v[122:125], v2 offset0:71 offset1:72
	ds_load_2addr_b64 v[126:129], v2 offset0:73 offset1:74
	scratch_load_b128 v[136:139], off, off offset:224
	s_wait_dscnt 0x1
	v_fmac_f64_e32 v[148:149], v[130:131], v[122:123]
	s_wait_loadcnt 0x5
	s_delay_alu instid0(VALU_DEP_1) | instskip(SKIP_4) | instid1(VALU_DEP_1)
	v_fmac_f64_e32 v[148:149], v[132:133], v[124:125]
	scratch_load_b128 v[122:125], off, off offset:240
	s_wait_dscnt 0x0
	v_fmac_f64_e32 v[148:149], v[134:135], v[126:127]
	s_wait_loadcnt 0x5
	v_fmac_f64_e32 v[148:149], v[144:145], v[128:129]
	ds_load_2addr_b64 v[126:129], v2 offset0:75 offset1:76
	ds_load_2addr_b64 v[130:133], v2 offset0:77 offset1:78
	s_wait_dscnt 0x1
	v_fmac_f64_e32 v[148:149], v[146:147], v[126:127]
	scratch_load_b128 v[144:147], off, off offset:256
	s_wait_loadcnt 0x5
	v_fmac_f64_e32 v[148:149], v[114:115], v[128:129]
	s_wait_dscnt 0x0
	s_delay_alu instid0(VALU_DEP_1)
	v_fmac_f64_e32 v[148:149], v[116:117], v[130:131]
	scratch_load_b128 v[114:117], off, off offset:272
	s_wait_loadcnt 0x5
	v_fmac_f64_e32 v[148:149], v[140:141], v[132:133]
	ds_load_2addr_b64 v[126:129], v2 offset0:79 offset1:80
	ds_load_2addr_b64 v[130:133], v2 offset0:81 offset1:82
	s_wait_dscnt 0x1
	v_fmac_f64_e32 v[148:149], v[142:143], v[126:127]
	scratch_load_b128 v[140:143], off, off offset:288
	s_wait_loadcnt 0x5
	v_fmac_f64_e32 v[148:149], v[118:119], v[128:129]
	s_wait_dscnt 0x0
	s_delay_alu instid0(VALU_DEP_1)
	v_fmac_f64_e32 v[148:149], v[120:121], v[130:131]
	scratch_load_b128 v[118:121], off, off offset:304
	s_wait_loadcnt 0x5
	v_fmac_f64_e32 v[148:149], v[136:137], v[132:133]
	ds_load_2addr_b64 v[126:129], v2 offset0:83 offset1:84
	ds_load_2addr_b64 v[130:133], v2 offset0:85 offset1:86
	scratch_load_b128 v[134:137], off, off offset:320
	s_wait_dscnt 0x1
	v_fmac_f64_e32 v[148:149], v[138:139], v[126:127]
	s_wait_loadcnt 0x5
	s_delay_alu instid0(VALU_DEP_1) | instskip(SKIP_1) | instid1(VALU_DEP_1)
	v_fmac_f64_e32 v[148:149], v[122:123], v[128:129]
	s_wait_dscnt 0x0
	v_fmac_f64_e32 v[148:149], v[124:125], v[130:131]
	scratch_load_b128 v[122:125], off, off offset:336
	s_wait_loadcnt 0x5
	v_fmac_f64_e32 v[148:149], v[144:145], v[132:133]
	ds_load_2addr_b64 v[126:129], v2 offset0:87 offset1:88
	ds_load_2addr_b64 v[130:133], v2 offset0:89 offset1:90
	s_wait_dscnt 0x1
	v_fmac_f64_e32 v[148:149], v[146:147], v[126:127]
	s_wait_loadcnt 0x4
	s_delay_alu instid0(VALU_DEP_1)
	v_fmac_f64_e32 v[148:149], v[114:115], v[128:129]
	scratch_load_b128 v[126:129], off, off offset:352
	s_wait_dscnt 0x0
	v_fmac_f64_e32 v[148:149], v[116:117], v[130:131]
	scratch_load_b128 v[114:117], off, off offset:368
	s_wait_loadcnt 0x5
	v_fmac_f64_e32 v[148:149], v[140:141], v[132:133]
	ds_load_2addr_b64 v[130:133], v2 offset0:91 offset1:92
	ds_load_2addr_b64 v[138:141], v2 offset0:93 offset1:94
	s_wait_dscnt 0x1
	v_fmac_f64_e32 v[148:149], v[142:143], v[130:131]
	s_wait_loadcnt 0x4
	s_delay_alu instid0(VALU_DEP_1)
	v_fmac_f64_e32 v[148:149], v[118:119], v[132:133]
	scratch_load_b128 v[130:133], off, off offset:384
	s_wait_dscnt 0x0
	v_fmac_f64_e32 v[148:149], v[120:121], v[138:139]
	scratch_load_b128 v[118:121], off, off offset:400
	s_wait_loadcnt 0x5
	v_fmac_f64_e32 v[148:149], v[134:135], v[140:141]
	ds_load_2addr_b64 v[138:141], v2 offset0:95 offset1:96
	ds_load_2addr_b64 v[142:145], v2 offset0:97 offset1:98
	s_wait_dscnt 0x1
	v_fmac_f64_e32 v[148:149], v[136:137], v[138:139]
	scratch_load_b128 v[134:137], off, off offset:416
	s_wait_loadcnt 0x5
	v_fmac_f64_e32 v[148:149], v[122:123], v[140:141]
	s_wait_dscnt 0x0
	s_delay_alu instid0(VALU_DEP_1)
	v_fmac_f64_e32 v[148:149], v[124:125], v[142:143]
	ds_load_2addr_b64 v[122:125], v2 offset0:99 offset1:100
	ds_load_2addr_b64 v[138:141], v2 offset0:101 offset1:102
	s_wait_loadcnt 0x4
	v_fmac_f64_e32 v[148:149], v[126:127], v[144:145]
	s_wait_dscnt 0x1
	s_delay_alu instid0(VALU_DEP_1) | instskip(SKIP_1) | instid1(VALU_DEP_1)
	v_fmac_f64_e32 v[148:149], v[128:129], v[122:123]
	s_wait_loadcnt 0x3
	v_fmac_f64_e32 v[148:149], v[114:115], v[124:125]
	s_wait_dscnt 0x0
	s_delay_alu instid0(VALU_DEP_1)
	v_fmac_f64_e32 v[148:149], v[116:117], v[138:139]
	ds_load_2addr_b64 v[114:117], v2 offset0:103 offset1:104
	ds_load_2addr_b64 v[122:125], v2 offset0:105 offset1:106
	s_wait_loadcnt 0x2
	v_fmac_f64_e32 v[148:149], v[130:131], v[140:141]
	s_wait_dscnt 0x1
	s_delay_alu instid0(VALU_DEP_1) | instskip(SKIP_4) | instid1(VALU_DEP_1)
	v_fmac_f64_e32 v[148:149], v[132:133], v[114:115]
	ds_load_b64 v[114:115], v2 offset:856
	s_wait_loadcnt 0x1
	v_fmac_f64_e32 v[148:149], v[118:119], v[116:117]
	s_wait_dscnt 0x1
	v_fmac_f64_e32 v[148:149], v[120:121], v[122:123]
	s_wait_loadcnt 0x0
	s_delay_alu instid0(VALU_DEP_1) | instskip(SKIP_1) | instid1(VALU_DEP_1)
	v_fmac_f64_e32 v[148:149], v[134:135], v[124:125]
	s_wait_dscnt 0x0
	v_fmac_f64_e32 v[148:149], v[136:137], v[114:115]
	s_delay_alu instid0(VALU_DEP_1)
	v_add_f64_e64 v[112:113], v[112:113], -v[148:149]
	scratch_store_b64 off, v[112:113], off offset:64
	s_wait_xcnt 0x0
	v_cmpx_lt_u32_e32 7, v0
	s_cbranch_execz .LBB117_319
; %bb.318:
	scratch_load_b64 v[112:113], off, off offset:56
	v_mov_b64_e32 v[114:115], 0
	scratch_store_b64 off, v[114:115], off offset:56
	s_wait_loadcnt 0x0
	ds_store_b64 v1, v[112:113]
.LBB117_319:
	s_wait_xcnt 0x0
	s_or_b32 exec_lo, exec_lo, s0
	s_wait_storecnt_dscnt 0x0
	s_barrier_signal -1
	s_barrier_wait -1
	s_clause 0x5
	scratch_load_b128 v[112:115], off, off offset:56
	scratch_load_b128 v[116:119], off, off offset:72
	;; [unrolled: 1-line block ×6, first 2 shown]
	ds_load_b128 v[136:139], v2 offset:496
	ds_load_b128 v[140:143], v2 offset:512
	scratch_load_b128 v[144:147], off, off offset:152
	s_mov_b32 s0, exec_lo
	s_wait_loadcnt_dscnt 0x601
	v_fma_f64 v[148:149], v[114:115], v[136:137], 0
	s_wait_loadcnt 0x5
	s_delay_alu instid0(VALU_DEP_1) | instskip(SKIP_4) | instid1(VALU_DEP_1)
	v_fmac_f64_e32 v[148:149], v[116:117], v[138:139]
	scratch_load_b128 v[114:117], off, off offset:168
	s_wait_dscnt 0x0
	v_fmac_f64_e32 v[148:149], v[118:119], v[140:141]
	s_wait_loadcnt 0x5
	v_fmac_f64_e32 v[148:149], v[120:121], v[142:143]
	ds_load_b128 v[118:121], v2 offset:528
	ds_load_b128 v[136:139], v2 offset:544
	scratch_load_b128 v[140:143], off, off offset:184
	s_wait_dscnt 0x1
	v_fmac_f64_e32 v[148:149], v[122:123], v[118:119]
	s_wait_loadcnt 0x5
	s_delay_alu instid0(VALU_DEP_1) | instskip(SKIP_4) | instid1(VALU_DEP_1)
	v_fmac_f64_e32 v[148:149], v[124:125], v[120:121]
	scratch_load_b128 v[118:121], off, off offset:200
	s_wait_dscnt 0x0
	v_fmac_f64_e32 v[148:149], v[126:127], v[136:137]
	s_wait_loadcnt 0x5
	v_fmac_f64_e32 v[148:149], v[128:129], v[138:139]
	ds_load_b128 v[122:125], v2 offset:560
	ds_load_b128 v[126:129], v2 offset:576
	scratch_load_b128 v[136:139], off, off offset:216
	s_wait_dscnt 0x1
	v_fmac_f64_e32 v[148:149], v[130:131], v[122:123]
	s_wait_loadcnt 0x5
	s_delay_alu instid0(VALU_DEP_1) | instskip(SKIP_4) | instid1(VALU_DEP_1)
	v_fmac_f64_e32 v[148:149], v[132:133], v[124:125]
	scratch_load_b128 v[122:125], off, off offset:232
	s_wait_dscnt 0x0
	v_fmac_f64_e32 v[148:149], v[134:135], v[126:127]
	s_wait_loadcnt 0x5
	v_fmac_f64_e32 v[148:149], v[144:145], v[128:129]
	ds_load_b128 v[126:129], v2 offset:592
	ds_load_b128 v[130:133], v2 offset:608
	s_wait_dscnt 0x1
	v_fmac_f64_e32 v[148:149], v[146:147], v[126:127]
	scratch_load_b128 v[144:147], off, off offset:248
	s_wait_loadcnt 0x5
	v_fmac_f64_e32 v[148:149], v[114:115], v[128:129]
	s_wait_dscnt 0x0
	s_delay_alu instid0(VALU_DEP_1)
	v_fmac_f64_e32 v[148:149], v[116:117], v[130:131]
	scratch_load_b128 v[114:117], off, off offset:264
	s_wait_loadcnt 0x5
	v_fmac_f64_e32 v[148:149], v[140:141], v[132:133]
	ds_load_b128 v[126:129], v2 offset:624
	ds_load_b128 v[130:133], v2 offset:640
	s_wait_dscnt 0x1
	v_fmac_f64_e32 v[148:149], v[142:143], v[126:127]
	scratch_load_b128 v[140:143], off, off offset:280
	s_wait_loadcnt 0x5
	v_fmac_f64_e32 v[148:149], v[118:119], v[128:129]
	s_wait_dscnt 0x0
	s_delay_alu instid0(VALU_DEP_1)
	v_fmac_f64_e32 v[148:149], v[120:121], v[130:131]
	scratch_load_b128 v[118:121], off, off offset:296
	s_wait_loadcnt 0x5
	v_fmac_f64_e32 v[148:149], v[136:137], v[132:133]
	ds_load_b128 v[126:129], v2 offset:656
	ds_load_b128 v[130:133], v2 offset:672
	scratch_load_b128 v[134:137], off, off offset:312
	s_wait_dscnt 0x1
	v_fmac_f64_e32 v[148:149], v[138:139], v[126:127]
	s_wait_loadcnt 0x5
	s_delay_alu instid0(VALU_DEP_1) | instskip(SKIP_1) | instid1(VALU_DEP_1)
	v_fmac_f64_e32 v[148:149], v[122:123], v[128:129]
	s_wait_dscnt 0x0
	v_fmac_f64_e32 v[148:149], v[124:125], v[130:131]
	scratch_load_b128 v[122:125], off, off offset:328
	s_wait_loadcnt 0x5
	v_fmac_f64_e32 v[148:149], v[144:145], v[132:133]
	ds_load_b128 v[126:129], v2 offset:688
	ds_load_b128 v[130:133], v2 offset:704
	s_wait_dscnt 0x1
	v_fmac_f64_e32 v[148:149], v[146:147], v[126:127]
	scratch_load_b128 v[144:147], off, off offset:344
	s_wait_loadcnt 0x5
	v_fmac_f64_e32 v[148:149], v[114:115], v[128:129]
	s_wait_dscnt 0x0
	s_delay_alu instid0(VALU_DEP_1)
	v_fmac_f64_e32 v[148:149], v[116:117], v[130:131]
	scratch_load_b128 v[114:117], off, off offset:360
	s_wait_loadcnt 0x5
	v_fmac_f64_e32 v[148:149], v[140:141], v[132:133]
	ds_load_b128 v[126:129], v2 offset:720
	ds_load_b128 v[130:133], v2 offset:736
	s_wait_dscnt 0x1
	v_fmac_f64_e32 v[148:149], v[142:143], v[126:127]
	s_wait_loadcnt 0x4
	s_delay_alu instid0(VALU_DEP_1)
	v_fmac_f64_e32 v[148:149], v[118:119], v[128:129]
	scratch_load_b128 v[126:129], off, off offset:376
	s_wait_dscnt 0x0
	v_fmac_f64_e32 v[148:149], v[120:121], v[130:131]
	scratch_load_b128 v[118:121], off, off offset:392
	s_wait_loadcnt 0x5
	v_fmac_f64_e32 v[148:149], v[134:135], v[132:133]
	ds_load_b128 v[130:133], v2 offset:752
	ds_load_b128 v[138:141], v2 offset:768
	s_wait_dscnt 0x1
	v_fmac_f64_e32 v[148:149], v[136:137], v[130:131]
	s_wait_loadcnt 0x4
	s_delay_alu instid0(VALU_DEP_1)
	v_fmac_f64_e32 v[148:149], v[122:123], v[132:133]
	scratch_load_b128 v[130:133], off, off offset:408
	s_wait_dscnt 0x0
	v_fmac_f64_e32 v[148:149], v[124:125], v[138:139]
	scratch_load_b64 v[138:139], off, off offset:424
	ds_load_b128 v[122:125], v2 offset:784
	ds_load_b128 v[134:137], v2 offset:800
	s_wait_loadcnt 0x5
	v_fmac_f64_e32 v[148:149], v[144:145], v[140:141]
	s_wait_dscnt 0x1
	s_delay_alu instid0(VALU_DEP_1) | instskip(SKIP_1) | instid1(VALU_DEP_1)
	v_fmac_f64_e32 v[148:149], v[146:147], v[122:123]
	s_wait_loadcnt 0x4
	v_fmac_f64_e32 v[148:149], v[114:115], v[124:125]
	s_wait_dscnt 0x0
	s_delay_alu instid0(VALU_DEP_1)
	v_fmac_f64_e32 v[148:149], v[116:117], v[134:135]
	ds_load_b128 v[114:117], v2 offset:816
	ds_load_b128 v[122:125], v2 offset:832
	s_wait_loadcnt 0x3
	v_fmac_f64_e32 v[148:149], v[126:127], v[136:137]
	s_wait_dscnt 0x1
	s_delay_alu instid0(VALU_DEP_1) | instskip(SKIP_1) | instid1(VALU_DEP_1)
	v_fmac_f64_e32 v[148:149], v[128:129], v[114:115]
	s_wait_loadcnt 0x2
	v_fmac_f64_e32 v[148:149], v[118:119], v[116:117]
	ds_load_b128 v[114:117], v2 offset:848
	s_wait_dscnt 0x1
	v_fmac_f64_e32 v[148:149], v[120:121], v[122:123]
	s_wait_loadcnt 0x1
	s_delay_alu instid0(VALU_DEP_1) | instskip(SKIP_1) | instid1(VALU_DEP_1)
	v_fmac_f64_e32 v[148:149], v[130:131], v[124:125]
	s_wait_dscnt 0x0
	v_fmac_f64_e32 v[148:149], v[132:133], v[114:115]
	s_wait_loadcnt 0x0
	s_delay_alu instid0(VALU_DEP_1) | instskip(NEXT) | instid1(VALU_DEP_1)
	v_fmac_f64_e32 v[148:149], v[138:139], v[116:117]
	v_add_f64_e64 v[2:3], v[112:113], -v[148:149]
	scratch_store_b64 off, v[2:3], off offset:56
	s_wait_xcnt 0x0
	v_cmpx_lt_u32_e32 6, v0
	s_cbranch_execz .LBB117_321
; %bb.320:
	scratch_load_b64 v[2:3], off, off offset:48
	v_mov_b64_e32 v[112:113], 0
	scratch_store_b64 off, v[112:113], off offset:48
	s_wait_loadcnt 0x0
	ds_store_b64 v1, v[2:3]
.LBB117_321:
	s_wait_xcnt 0x0
	s_or_b32 exec_lo, exec_lo, s0
	s_wait_storecnt_dscnt 0x0
	s_barrier_signal -1
	s_barrier_wait -1
	s_clause 0x5
	scratch_load_b128 v[112:115], off, off offset:48
	scratch_load_b128 v[116:119], off, off offset:64
	;; [unrolled: 1-line block ×6, first 2 shown]
	v_mov_b32_e32 v2, 0
	ds_load_2addr_b64 v[136:139], v2 offset0:61 offset1:62
	ds_load_2addr_b64 v[140:143], v2 offset0:63 offset1:64
	scratch_load_b128 v[144:147], off, off offset:144
	s_mov_b32 s0, exec_lo
	s_wait_loadcnt_dscnt 0x601
	v_fma_f64 v[148:149], v[114:115], v[136:137], 0
	s_wait_loadcnt 0x5
	s_delay_alu instid0(VALU_DEP_1) | instskip(SKIP_4) | instid1(VALU_DEP_1)
	v_fmac_f64_e32 v[148:149], v[116:117], v[138:139]
	scratch_load_b128 v[114:117], off, off offset:160
	s_wait_dscnt 0x0
	v_fmac_f64_e32 v[148:149], v[118:119], v[140:141]
	s_wait_loadcnt 0x5
	v_fmac_f64_e32 v[148:149], v[120:121], v[142:143]
	ds_load_2addr_b64 v[118:121], v2 offset0:65 offset1:66
	ds_load_2addr_b64 v[136:139], v2 offset0:67 offset1:68
	scratch_load_b128 v[140:143], off, off offset:176
	s_wait_dscnt 0x1
	v_fmac_f64_e32 v[148:149], v[122:123], v[118:119]
	s_wait_loadcnt 0x5
	s_delay_alu instid0(VALU_DEP_1) | instskip(SKIP_4) | instid1(VALU_DEP_1)
	v_fmac_f64_e32 v[148:149], v[124:125], v[120:121]
	scratch_load_b128 v[118:121], off, off offset:192
	s_wait_dscnt 0x0
	v_fmac_f64_e32 v[148:149], v[126:127], v[136:137]
	s_wait_loadcnt 0x5
	v_fmac_f64_e32 v[148:149], v[128:129], v[138:139]
	ds_load_2addr_b64 v[122:125], v2 offset0:69 offset1:70
	ds_load_2addr_b64 v[126:129], v2 offset0:71 offset1:72
	scratch_load_b128 v[136:139], off, off offset:208
	s_wait_dscnt 0x1
	v_fmac_f64_e32 v[148:149], v[130:131], v[122:123]
	s_wait_loadcnt 0x5
	s_delay_alu instid0(VALU_DEP_1) | instskip(SKIP_4) | instid1(VALU_DEP_1)
	v_fmac_f64_e32 v[148:149], v[132:133], v[124:125]
	scratch_load_b128 v[122:125], off, off offset:224
	s_wait_dscnt 0x0
	v_fmac_f64_e32 v[148:149], v[134:135], v[126:127]
	s_wait_loadcnt 0x5
	v_fmac_f64_e32 v[148:149], v[144:145], v[128:129]
	ds_load_2addr_b64 v[126:129], v2 offset0:73 offset1:74
	ds_load_2addr_b64 v[130:133], v2 offset0:75 offset1:76
	s_wait_dscnt 0x1
	v_fmac_f64_e32 v[148:149], v[146:147], v[126:127]
	scratch_load_b128 v[144:147], off, off offset:240
	s_wait_loadcnt 0x5
	v_fmac_f64_e32 v[148:149], v[114:115], v[128:129]
	s_wait_dscnt 0x0
	s_delay_alu instid0(VALU_DEP_1)
	v_fmac_f64_e32 v[148:149], v[116:117], v[130:131]
	scratch_load_b128 v[114:117], off, off offset:256
	s_wait_loadcnt 0x5
	v_fmac_f64_e32 v[148:149], v[140:141], v[132:133]
	ds_load_2addr_b64 v[126:129], v2 offset0:77 offset1:78
	ds_load_2addr_b64 v[130:133], v2 offset0:79 offset1:80
	s_wait_dscnt 0x1
	v_fmac_f64_e32 v[148:149], v[142:143], v[126:127]
	scratch_load_b128 v[140:143], off, off offset:272
	s_wait_loadcnt 0x5
	v_fmac_f64_e32 v[148:149], v[118:119], v[128:129]
	s_wait_dscnt 0x0
	s_delay_alu instid0(VALU_DEP_1)
	v_fmac_f64_e32 v[148:149], v[120:121], v[130:131]
	scratch_load_b128 v[118:121], off, off offset:288
	s_wait_loadcnt 0x5
	v_fmac_f64_e32 v[148:149], v[136:137], v[132:133]
	ds_load_2addr_b64 v[126:129], v2 offset0:81 offset1:82
	ds_load_2addr_b64 v[130:133], v2 offset0:83 offset1:84
	scratch_load_b128 v[134:137], off, off offset:304
	s_wait_dscnt 0x1
	v_fmac_f64_e32 v[148:149], v[138:139], v[126:127]
	s_wait_loadcnt 0x5
	s_delay_alu instid0(VALU_DEP_1) | instskip(SKIP_1) | instid1(VALU_DEP_1)
	v_fmac_f64_e32 v[148:149], v[122:123], v[128:129]
	s_wait_dscnt 0x0
	v_fmac_f64_e32 v[148:149], v[124:125], v[130:131]
	scratch_load_b128 v[122:125], off, off offset:320
	s_wait_loadcnt 0x5
	v_fmac_f64_e32 v[148:149], v[144:145], v[132:133]
	ds_load_2addr_b64 v[126:129], v2 offset0:85 offset1:86
	ds_load_2addr_b64 v[130:133], v2 offset0:87 offset1:88
	s_wait_dscnt 0x1
	v_fmac_f64_e32 v[148:149], v[146:147], v[126:127]
	scratch_load_b128 v[144:147], off, off offset:336
	s_wait_loadcnt 0x5
	v_fmac_f64_e32 v[148:149], v[114:115], v[128:129]
	s_wait_dscnt 0x0
	s_delay_alu instid0(VALU_DEP_1)
	v_fmac_f64_e32 v[148:149], v[116:117], v[130:131]
	scratch_load_b128 v[114:117], off, off offset:352
	s_wait_loadcnt 0x5
	v_fmac_f64_e32 v[148:149], v[140:141], v[132:133]
	ds_load_2addr_b64 v[126:129], v2 offset0:89 offset1:90
	ds_load_2addr_b64 v[130:133], v2 offset0:91 offset1:92
	s_wait_dscnt 0x1
	v_fmac_f64_e32 v[148:149], v[142:143], v[126:127]
	s_wait_loadcnt 0x4
	s_delay_alu instid0(VALU_DEP_1)
	v_fmac_f64_e32 v[148:149], v[118:119], v[128:129]
	scratch_load_b128 v[126:129], off, off offset:368
	s_wait_dscnt 0x0
	v_fmac_f64_e32 v[148:149], v[120:121], v[130:131]
	scratch_load_b128 v[118:121], off, off offset:384
	s_wait_loadcnt 0x5
	v_fmac_f64_e32 v[148:149], v[134:135], v[132:133]
	ds_load_2addr_b64 v[130:133], v2 offset0:93 offset1:94
	ds_load_2addr_b64 v[138:141], v2 offset0:95 offset1:96
	s_wait_dscnt 0x1
	v_fmac_f64_e32 v[148:149], v[136:137], v[130:131]
	s_wait_loadcnt 0x4
	s_delay_alu instid0(VALU_DEP_1)
	v_fmac_f64_e32 v[148:149], v[122:123], v[132:133]
	scratch_load_b128 v[130:133], off, off offset:400
	s_wait_dscnt 0x0
	v_fmac_f64_e32 v[148:149], v[124:125], v[138:139]
	scratch_load_b128 v[122:125], off, off offset:416
	s_wait_loadcnt 0x5
	v_fmac_f64_e32 v[148:149], v[144:145], v[140:141]
	ds_load_2addr_b64 v[134:137], v2 offset0:97 offset1:98
	ds_load_2addr_b64 v[138:141], v2 offset0:99 offset1:100
	s_wait_dscnt 0x1
	v_fmac_f64_e32 v[148:149], v[146:147], v[134:135]
	s_wait_loadcnt 0x4
	s_delay_alu instid0(VALU_DEP_1) | instskip(SKIP_1) | instid1(VALU_DEP_1)
	v_fmac_f64_e32 v[148:149], v[114:115], v[136:137]
	s_wait_dscnt 0x0
	v_fmac_f64_e32 v[148:149], v[116:117], v[138:139]
	ds_load_2addr_b64 v[114:117], v2 offset0:101 offset1:102
	ds_load_2addr_b64 v[134:137], v2 offset0:103 offset1:104
	s_wait_loadcnt 0x3
	v_fmac_f64_e32 v[148:149], v[126:127], v[140:141]
	s_wait_dscnt 0x1
	s_delay_alu instid0(VALU_DEP_1) | instskip(SKIP_1) | instid1(VALU_DEP_1)
	v_fmac_f64_e32 v[148:149], v[128:129], v[114:115]
	s_wait_loadcnt 0x2
	v_fmac_f64_e32 v[148:149], v[118:119], v[116:117]
	ds_load_2addr_b64 v[114:117], v2 offset0:105 offset1:106
	ds_load_b64 v[118:119], v2 offset:856
	s_wait_dscnt 0x2
	v_fmac_f64_e32 v[148:149], v[120:121], v[134:135]
	s_wait_loadcnt 0x1
	s_delay_alu instid0(VALU_DEP_1) | instskip(SKIP_1) | instid1(VALU_DEP_1)
	v_fmac_f64_e32 v[148:149], v[130:131], v[136:137]
	s_wait_dscnt 0x1
	v_fmac_f64_e32 v[148:149], v[132:133], v[114:115]
	s_wait_loadcnt 0x0
	s_delay_alu instid0(VALU_DEP_1) | instskip(SKIP_1) | instid1(VALU_DEP_1)
	v_fmac_f64_e32 v[148:149], v[122:123], v[116:117]
	s_wait_dscnt 0x0
	v_fmac_f64_e32 v[148:149], v[124:125], v[118:119]
	s_delay_alu instid0(VALU_DEP_1)
	v_add_f64_e64 v[112:113], v[112:113], -v[148:149]
	scratch_store_b64 off, v[112:113], off offset:48
	s_wait_xcnt 0x0
	v_cmpx_lt_u32_e32 5, v0
	s_cbranch_execz .LBB117_323
; %bb.322:
	scratch_load_b64 v[112:113], off, off offset:40
	v_mov_b64_e32 v[114:115], 0
	scratch_store_b64 off, v[114:115], off offset:40
	s_wait_loadcnt 0x0
	ds_store_b64 v1, v[112:113]
.LBB117_323:
	s_wait_xcnt 0x0
	s_or_b32 exec_lo, exec_lo, s0
	s_wait_storecnt_dscnt 0x0
	s_barrier_signal -1
	s_barrier_wait -1
	s_clause 0x5
	scratch_load_b128 v[112:115], off, off offset:40
	scratch_load_b128 v[116:119], off, off offset:56
	;; [unrolled: 1-line block ×6, first 2 shown]
	ds_load_b128 v[136:139], v2 offset:480
	ds_load_b128 v[140:143], v2 offset:496
	scratch_load_b128 v[144:147], off, off offset:136
	s_mov_b32 s0, exec_lo
	s_wait_loadcnt_dscnt 0x601
	v_fma_f64 v[148:149], v[114:115], v[136:137], 0
	s_wait_loadcnt 0x5
	s_delay_alu instid0(VALU_DEP_1) | instskip(SKIP_4) | instid1(VALU_DEP_1)
	v_fmac_f64_e32 v[148:149], v[116:117], v[138:139]
	scratch_load_b128 v[114:117], off, off offset:152
	s_wait_dscnt 0x0
	v_fmac_f64_e32 v[148:149], v[118:119], v[140:141]
	s_wait_loadcnt 0x5
	v_fmac_f64_e32 v[148:149], v[120:121], v[142:143]
	ds_load_b128 v[118:121], v2 offset:512
	ds_load_b128 v[136:139], v2 offset:528
	scratch_load_b128 v[140:143], off, off offset:168
	s_wait_dscnt 0x1
	v_fmac_f64_e32 v[148:149], v[122:123], v[118:119]
	s_wait_loadcnt 0x5
	s_delay_alu instid0(VALU_DEP_1) | instskip(SKIP_4) | instid1(VALU_DEP_1)
	v_fmac_f64_e32 v[148:149], v[124:125], v[120:121]
	scratch_load_b128 v[118:121], off, off offset:184
	s_wait_dscnt 0x0
	v_fmac_f64_e32 v[148:149], v[126:127], v[136:137]
	s_wait_loadcnt 0x5
	v_fmac_f64_e32 v[148:149], v[128:129], v[138:139]
	ds_load_b128 v[122:125], v2 offset:544
	ds_load_b128 v[126:129], v2 offset:560
	scratch_load_b128 v[136:139], off, off offset:200
	s_wait_dscnt 0x1
	v_fmac_f64_e32 v[148:149], v[130:131], v[122:123]
	s_wait_loadcnt 0x5
	s_delay_alu instid0(VALU_DEP_1) | instskip(SKIP_4) | instid1(VALU_DEP_1)
	v_fmac_f64_e32 v[148:149], v[132:133], v[124:125]
	scratch_load_b128 v[122:125], off, off offset:216
	s_wait_dscnt 0x0
	v_fmac_f64_e32 v[148:149], v[134:135], v[126:127]
	s_wait_loadcnt 0x5
	v_fmac_f64_e32 v[148:149], v[144:145], v[128:129]
	ds_load_b128 v[126:129], v2 offset:576
	ds_load_b128 v[130:133], v2 offset:592
	s_wait_dscnt 0x1
	v_fmac_f64_e32 v[148:149], v[146:147], v[126:127]
	scratch_load_b128 v[144:147], off, off offset:232
	s_wait_loadcnt 0x5
	v_fmac_f64_e32 v[148:149], v[114:115], v[128:129]
	s_wait_dscnt 0x0
	s_delay_alu instid0(VALU_DEP_1)
	v_fmac_f64_e32 v[148:149], v[116:117], v[130:131]
	scratch_load_b128 v[114:117], off, off offset:248
	s_wait_loadcnt 0x5
	v_fmac_f64_e32 v[148:149], v[140:141], v[132:133]
	ds_load_b128 v[126:129], v2 offset:608
	ds_load_b128 v[130:133], v2 offset:624
	s_wait_dscnt 0x1
	v_fmac_f64_e32 v[148:149], v[142:143], v[126:127]
	scratch_load_b128 v[140:143], off, off offset:264
	s_wait_loadcnt 0x5
	v_fmac_f64_e32 v[148:149], v[118:119], v[128:129]
	s_wait_dscnt 0x0
	s_delay_alu instid0(VALU_DEP_1)
	v_fmac_f64_e32 v[148:149], v[120:121], v[130:131]
	scratch_load_b128 v[118:121], off, off offset:280
	s_wait_loadcnt 0x5
	v_fmac_f64_e32 v[148:149], v[136:137], v[132:133]
	ds_load_b128 v[126:129], v2 offset:640
	ds_load_b128 v[130:133], v2 offset:656
	scratch_load_b128 v[134:137], off, off offset:296
	s_wait_dscnt 0x1
	v_fmac_f64_e32 v[148:149], v[138:139], v[126:127]
	s_wait_loadcnt 0x5
	s_delay_alu instid0(VALU_DEP_1) | instskip(SKIP_1) | instid1(VALU_DEP_1)
	v_fmac_f64_e32 v[148:149], v[122:123], v[128:129]
	s_wait_dscnt 0x0
	v_fmac_f64_e32 v[148:149], v[124:125], v[130:131]
	scratch_load_b128 v[122:125], off, off offset:312
	s_wait_loadcnt 0x5
	v_fmac_f64_e32 v[148:149], v[144:145], v[132:133]
	ds_load_b128 v[126:129], v2 offset:672
	ds_load_b128 v[130:133], v2 offset:688
	s_wait_dscnt 0x1
	v_fmac_f64_e32 v[148:149], v[146:147], v[126:127]
	scratch_load_b128 v[144:147], off, off offset:328
	s_wait_loadcnt 0x5
	v_fmac_f64_e32 v[148:149], v[114:115], v[128:129]
	s_wait_dscnt 0x0
	s_delay_alu instid0(VALU_DEP_1)
	v_fmac_f64_e32 v[148:149], v[116:117], v[130:131]
	scratch_load_b128 v[114:117], off, off offset:344
	s_wait_loadcnt 0x5
	v_fmac_f64_e32 v[148:149], v[140:141], v[132:133]
	ds_load_b128 v[126:129], v2 offset:704
	ds_load_b128 v[130:133], v2 offset:720
	s_wait_dscnt 0x1
	v_fmac_f64_e32 v[148:149], v[142:143], v[126:127]
	s_wait_loadcnt 0x4
	s_delay_alu instid0(VALU_DEP_1)
	v_fmac_f64_e32 v[148:149], v[118:119], v[128:129]
	scratch_load_b128 v[126:129], off, off offset:360
	s_wait_dscnt 0x0
	v_fmac_f64_e32 v[148:149], v[120:121], v[130:131]
	scratch_load_b128 v[118:121], off, off offset:376
	s_wait_loadcnt 0x5
	v_fmac_f64_e32 v[148:149], v[134:135], v[132:133]
	ds_load_b128 v[130:133], v2 offset:736
	ds_load_b128 v[138:141], v2 offset:752
	s_wait_dscnt 0x1
	v_fmac_f64_e32 v[148:149], v[136:137], v[130:131]
	s_wait_loadcnt 0x4
	s_delay_alu instid0(VALU_DEP_1)
	v_fmac_f64_e32 v[148:149], v[122:123], v[132:133]
	scratch_load_b128 v[130:133], off, off offset:392
	s_wait_dscnt 0x0
	v_fmac_f64_e32 v[148:149], v[124:125], v[138:139]
	scratch_load_b128 v[122:125], off, off offset:408
	s_wait_loadcnt 0x5
	v_fmac_f64_e32 v[148:149], v[144:145], v[140:141]
	ds_load_b128 v[134:137], v2 offset:768
	ds_load_b128 v[138:141], v2 offset:784
	scratch_load_b64 v[142:143], off, off offset:424
	s_wait_dscnt 0x1
	v_fmac_f64_e32 v[148:149], v[146:147], v[134:135]
	s_wait_loadcnt 0x5
	s_delay_alu instid0(VALU_DEP_1) | instskip(SKIP_1) | instid1(VALU_DEP_1)
	v_fmac_f64_e32 v[148:149], v[114:115], v[136:137]
	s_wait_dscnt 0x0
	v_fmac_f64_e32 v[148:149], v[116:117], v[138:139]
	ds_load_b128 v[114:117], v2 offset:800
	ds_load_b128 v[134:137], v2 offset:816
	s_wait_loadcnt 0x4
	v_fmac_f64_e32 v[148:149], v[126:127], v[140:141]
	s_wait_dscnt 0x1
	s_delay_alu instid0(VALU_DEP_1) | instskip(SKIP_1) | instid1(VALU_DEP_1)
	v_fmac_f64_e32 v[148:149], v[128:129], v[114:115]
	s_wait_loadcnt 0x3
	v_fmac_f64_e32 v[148:149], v[118:119], v[116:117]
	s_wait_dscnt 0x0
	s_delay_alu instid0(VALU_DEP_1)
	v_fmac_f64_e32 v[148:149], v[120:121], v[134:135]
	ds_load_b128 v[114:117], v2 offset:832
	ds_load_b128 v[118:121], v2 offset:848
	s_wait_loadcnt 0x2
	v_fmac_f64_e32 v[148:149], v[130:131], v[136:137]
	s_wait_dscnt 0x1
	s_delay_alu instid0(VALU_DEP_1) | instskip(SKIP_1) | instid1(VALU_DEP_1)
	v_fmac_f64_e32 v[148:149], v[132:133], v[114:115]
	s_wait_loadcnt 0x1
	v_fmac_f64_e32 v[148:149], v[122:123], v[116:117]
	s_wait_dscnt 0x0
	s_delay_alu instid0(VALU_DEP_1) | instskip(SKIP_1) | instid1(VALU_DEP_1)
	v_fmac_f64_e32 v[148:149], v[124:125], v[118:119]
	s_wait_loadcnt 0x0
	v_fmac_f64_e32 v[148:149], v[142:143], v[120:121]
	s_delay_alu instid0(VALU_DEP_1)
	v_add_f64_e64 v[2:3], v[112:113], -v[148:149]
	scratch_store_b64 off, v[2:3], off offset:40
	s_wait_xcnt 0x0
	v_cmpx_lt_u32_e32 4, v0
	s_cbranch_execz .LBB117_325
; %bb.324:
	scratch_load_b64 v[2:3], off, off offset:32
	v_mov_b64_e32 v[112:113], 0
	scratch_store_b64 off, v[112:113], off offset:32
	s_wait_loadcnt 0x0
	ds_store_b64 v1, v[2:3]
.LBB117_325:
	s_wait_xcnt 0x0
	s_or_b32 exec_lo, exec_lo, s0
	s_wait_storecnt_dscnt 0x0
	s_barrier_signal -1
	s_barrier_wait -1
	s_clause 0x5
	scratch_load_b128 v[112:115], off, off offset:32
	scratch_load_b128 v[116:119], off, off offset:48
	;; [unrolled: 1-line block ×6, first 2 shown]
	v_mov_b32_e32 v2, 0
	ds_load_2addr_b64 v[136:139], v2 offset0:59 offset1:60
	ds_load_2addr_b64 v[140:143], v2 offset0:61 offset1:62
	scratch_load_b128 v[144:147], off, off offset:128
	s_mov_b32 s0, exec_lo
	s_wait_loadcnt_dscnt 0x601
	v_fma_f64 v[148:149], v[114:115], v[136:137], 0
	s_wait_loadcnt 0x5
	s_delay_alu instid0(VALU_DEP_1) | instskip(SKIP_4) | instid1(VALU_DEP_1)
	v_fmac_f64_e32 v[148:149], v[116:117], v[138:139]
	scratch_load_b128 v[114:117], off, off offset:144
	s_wait_dscnt 0x0
	v_fmac_f64_e32 v[148:149], v[118:119], v[140:141]
	s_wait_loadcnt 0x5
	v_fmac_f64_e32 v[148:149], v[120:121], v[142:143]
	ds_load_2addr_b64 v[118:121], v2 offset0:63 offset1:64
	ds_load_2addr_b64 v[136:139], v2 offset0:65 offset1:66
	scratch_load_b128 v[140:143], off, off offset:160
	s_wait_dscnt 0x1
	v_fmac_f64_e32 v[148:149], v[122:123], v[118:119]
	s_wait_loadcnt 0x5
	s_delay_alu instid0(VALU_DEP_1) | instskip(SKIP_4) | instid1(VALU_DEP_1)
	v_fmac_f64_e32 v[148:149], v[124:125], v[120:121]
	scratch_load_b128 v[118:121], off, off offset:176
	s_wait_dscnt 0x0
	v_fmac_f64_e32 v[148:149], v[126:127], v[136:137]
	s_wait_loadcnt 0x5
	v_fmac_f64_e32 v[148:149], v[128:129], v[138:139]
	ds_load_2addr_b64 v[122:125], v2 offset0:67 offset1:68
	ds_load_2addr_b64 v[126:129], v2 offset0:69 offset1:70
	scratch_load_b128 v[136:139], off, off offset:192
	s_wait_dscnt 0x1
	v_fmac_f64_e32 v[148:149], v[130:131], v[122:123]
	s_wait_loadcnt 0x5
	s_delay_alu instid0(VALU_DEP_1) | instskip(SKIP_4) | instid1(VALU_DEP_1)
	v_fmac_f64_e32 v[148:149], v[132:133], v[124:125]
	scratch_load_b128 v[122:125], off, off offset:208
	s_wait_dscnt 0x0
	v_fmac_f64_e32 v[148:149], v[134:135], v[126:127]
	s_wait_loadcnt 0x5
	v_fmac_f64_e32 v[148:149], v[144:145], v[128:129]
	ds_load_2addr_b64 v[126:129], v2 offset0:71 offset1:72
	ds_load_2addr_b64 v[130:133], v2 offset0:73 offset1:74
	s_wait_dscnt 0x1
	v_fmac_f64_e32 v[148:149], v[146:147], v[126:127]
	scratch_load_b128 v[144:147], off, off offset:224
	s_wait_loadcnt 0x5
	v_fmac_f64_e32 v[148:149], v[114:115], v[128:129]
	s_wait_dscnt 0x0
	s_delay_alu instid0(VALU_DEP_1)
	v_fmac_f64_e32 v[148:149], v[116:117], v[130:131]
	scratch_load_b128 v[114:117], off, off offset:240
	s_wait_loadcnt 0x5
	v_fmac_f64_e32 v[148:149], v[140:141], v[132:133]
	ds_load_2addr_b64 v[126:129], v2 offset0:75 offset1:76
	ds_load_2addr_b64 v[130:133], v2 offset0:77 offset1:78
	s_wait_dscnt 0x1
	v_fmac_f64_e32 v[148:149], v[142:143], v[126:127]
	scratch_load_b128 v[140:143], off, off offset:256
	s_wait_loadcnt 0x5
	v_fmac_f64_e32 v[148:149], v[118:119], v[128:129]
	s_wait_dscnt 0x0
	s_delay_alu instid0(VALU_DEP_1)
	v_fmac_f64_e32 v[148:149], v[120:121], v[130:131]
	scratch_load_b128 v[118:121], off, off offset:272
	s_wait_loadcnt 0x5
	v_fmac_f64_e32 v[148:149], v[136:137], v[132:133]
	ds_load_2addr_b64 v[126:129], v2 offset0:79 offset1:80
	ds_load_2addr_b64 v[130:133], v2 offset0:81 offset1:82
	scratch_load_b128 v[134:137], off, off offset:288
	s_wait_dscnt 0x1
	v_fmac_f64_e32 v[148:149], v[138:139], v[126:127]
	s_wait_loadcnt 0x5
	s_delay_alu instid0(VALU_DEP_1) | instskip(SKIP_1) | instid1(VALU_DEP_1)
	v_fmac_f64_e32 v[148:149], v[122:123], v[128:129]
	s_wait_dscnt 0x0
	v_fmac_f64_e32 v[148:149], v[124:125], v[130:131]
	scratch_load_b128 v[122:125], off, off offset:304
	s_wait_loadcnt 0x5
	v_fmac_f64_e32 v[148:149], v[144:145], v[132:133]
	ds_load_2addr_b64 v[126:129], v2 offset0:83 offset1:84
	ds_load_2addr_b64 v[130:133], v2 offset0:85 offset1:86
	s_wait_dscnt 0x1
	v_fmac_f64_e32 v[148:149], v[146:147], v[126:127]
	scratch_load_b128 v[144:147], off, off offset:320
	s_wait_loadcnt 0x5
	v_fmac_f64_e32 v[148:149], v[114:115], v[128:129]
	s_wait_dscnt 0x0
	s_delay_alu instid0(VALU_DEP_1)
	v_fmac_f64_e32 v[148:149], v[116:117], v[130:131]
	scratch_load_b128 v[114:117], off, off offset:336
	s_wait_loadcnt 0x5
	v_fmac_f64_e32 v[148:149], v[140:141], v[132:133]
	ds_load_2addr_b64 v[126:129], v2 offset0:87 offset1:88
	ds_load_2addr_b64 v[130:133], v2 offset0:89 offset1:90
	s_wait_dscnt 0x1
	v_fmac_f64_e32 v[148:149], v[142:143], v[126:127]
	s_wait_loadcnt 0x4
	s_delay_alu instid0(VALU_DEP_1)
	v_fmac_f64_e32 v[148:149], v[118:119], v[128:129]
	scratch_load_b128 v[126:129], off, off offset:352
	s_wait_dscnt 0x0
	v_fmac_f64_e32 v[148:149], v[120:121], v[130:131]
	scratch_load_b128 v[118:121], off, off offset:368
	s_wait_loadcnt 0x5
	v_fmac_f64_e32 v[148:149], v[134:135], v[132:133]
	ds_load_2addr_b64 v[130:133], v2 offset0:91 offset1:92
	ds_load_2addr_b64 v[138:141], v2 offset0:93 offset1:94
	s_wait_dscnt 0x1
	v_fmac_f64_e32 v[148:149], v[136:137], v[130:131]
	s_wait_loadcnt 0x4
	s_delay_alu instid0(VALU_DEP_1)
	v_fmac_f64_e32 v[148:149], v[122:123], v[132:133]
	scratch_load_b128 v[130:133], off, off offset:384
	s_wait_dscnt 0x0
	v_fmac_f64_e32 v[148:149], v[124:125], v[138:139]
	scratch_load_b128 v[122:125], off, off offset:400
	s_wait_loadcnt 0x5
	v_fmac_f64_e32 v[148:149], v[144:145], v[140:141]
	ds_load_2addr_b64 v[134:137], v2 offset0:95 offset1:96
	ds_load_2addr_b64 v[138:141], v2 offset0:97 offset1:98
	s_wait_dscnt 0x1
	v_fmac_f64_e32 v[148:149], v[146:147], v[134:135]
	s_wait_loadcnt 0x4
	s_delay_alu instid0(VALU_DEP_1) | instskip(SKIP_4) | instid1(VALU_DEP_1)
	v_fmac_f64_e32 v[148:149], v[114:115], v[136:137]
	scratch_load_b128 v[134:137], off, off offset:416
	s_wait_dscnt 0x0
	v_fmac_f64_e32 v[148:149], v[116:117], v[138:139]
	s_wait_loadcnt 0x4
	v_fmac_f64_e32 v[148:149], v[126:127], v[140:141]
	ds_load_2addr_b64 v[114:117], v2 offset0:99 offset1:100
	ds_load_2addr_b64 v[138:141], v2 offset0:101 offset1:102
	s_wait_dscnt 0x1
	v_fmac_f64_e32 v[148:149], v[128:129], v[114:115]
	s_wait_loadcnt 0x3
	s_delay_alu instid0(VALU_DEP_1) | instskip(SKIP_1) | instid1(VALU_DEP_1)
	v_fmac_f64_e32 v[148:149], v[118:119], v[116:117]
	s_wait_dscnt 0x0
	v_fmac_f64_e32 v[148:149], v[120:121], v[138:139]
	ds_load_2addr_b64 v[114:117], v2 offset0:103 offset1:104
	ds_load_2addr_b64 v[118:121], v2 offset0:105 offset1:106
	s_wait_loadcnt 0x2
	v_fmac_f64_e32 v[148:149], v[130:131], v[140:141]
	s_wait_dscnt 0x1
	s_delay_alu instid0(VALU_DEP_1) | instskip(SKIP_4) | instid1(VALU_DEP_1)
	v_fmac_f64_e32 v[148:149], v[132:133], v[114:115]
	ds_load_b64 v[114:115], v2 offset:856
	s_wait_loadcnt 0x1
	v_fmac_f64_e32 v[148:149], v[122:123], v[116:117]
	s_wait_dscnt 0x1
	v_fmac_f64_e32 v[148:149], v[124:125], v[118:119]
	s_wait_loadcnt 0x0
	s_delay_alu instid0(VALU_DEP_1) | instskip(SKIP_1) | instid1(VALU_DEP_1)
	v_fmac_f64_e32 v[148:149], v[134:135], v[120:121]
	s_wait_dscnt 0x0
	v_fmac_f64_e32 v[148:149], v[136:137], v[114:115]
	s_delay_alu instid0(VALU_DEP_1)
	v_add_f64_e64 v[112:113], v[112:113], -v[148:149]
	scratch_store_b64 off, v[112:113], off offset:32
	s_wait_xcnt 0x0
	v_cmpx_lt_u32_e32 3, v0
	s_cbranch_execz .LBB117_327
; %bb.326:
	scratch_load_b64 v[112:113], off, off offset:24
	v_mov_b64_e32 v[114:115], 0
	scratch_store_b64 off, v[114:115], off offset:24
	s_wait_loadcnt 0x0
	ds_store_b64 v1, v[112:113]
.LBB117_327:
	s_wait_xcnt 0x0
	s_or_b32 exec_lo, exec_lo, s0
	s_wait_storecnt_dscnt 0x0
	s_barrier_signal -1
	s_barrier_wait -1
	s_clause 0x5
	scratch_load_b128 v[112:115], off, off offset:24
	scratch_load_b128 v[116:119], off, off offset:40
	;; [unrolled: 1-line block ×6, first 2 shown]
	ds_load_b128 v[136:139], v2 offset:464
	ds_load_b128 v[140:143], v2 offset:480
	scratch_load_b128 v[144:147], off, off offset:120
	s_mov_b32 s0, exec_lo
	s_wait_loadcnt_dscnt 0x601
	v_fma_f64 v[148:149], v[114:115], v[136:137], 0
	s_wait_loadcnt 0x5
	s_delay_alu instid0(VALU_DEP_1) | instskip(SKIP_4) | instid1(VALU_DEP_1)
	v_fmac_f64_e32 v[148:149], v[116:117], v[138:139]
	scratch_load_b128 v[114:117], off, off offset:136
	s_wait_dscnt 0x0
	v_fmac_f64_e32 v[148:149], v[118:119], v[140:141]
	s_wait_loadcnt 0x5
	v_fmac_f64_e32 v[148:149], v[120:121], v[142:143]
	ds_load_b128 v[118:121], v2 offset:496
	ds_load_b128 v[136:139], v2 offset:512
	scratch_load_b128 v[140:143], off, off offset:152
	s_wait_dscnt 0x1
	v_fmac_f64_e32 v[148:149], v[122:123], v[118:119]
	s_wait_loadcnt 0x5
	s_delay_alu instid0(VALU_DEP_1) | instskip(SKIP_4) | instid1(VALU_DEP_1)
	v_fmac_f64_e32 v[148:149], v[124:125], v[120:121]
	scratch_load_b128 v[118:121], off, off offset:168
	s_wait_dscnt 0x0
	v_fmac_f64_e32 v[148:149], v[126:127], v[136:137]
	s_wait_loadcnt 0x5
	v_fmac_f64_e32 v[148:149], v[128:129], v[138:139]
	ds_load_b128 v[122:125], v2 offset:528
	ds_load_b128 v[126:129], v2 offset:544
	scratch_load_b128 v[136:139], off, off offset:184
	s_wait_dscnt 0x1
	v_fmac_f64_e32 v[148:149], v[130:131], v[122:123]
	s_wait_loadcnt 0x5
	s_delay_alu instid0(VALU_DEP_1) | instskip(SKIP_4) | instid1(VALU_DEP_1)
	v_fmac_f64_e32 v[148:149], v[132:133], v[124:125]
	scratch_load_b128 v[122:125], off, off offset:200
	s_wait_dscnt 0x0
	v_fmac_f64_e32 v[148:149], v[134:135], v[126:127]
	s_wait_loadcnt 0x5
	v_fmac_f64_e32 v[148:149], v[144:145], v[128:129]
	ds_load_b128 v[126:129], v2 offset:560
	ds_load_b128 v[130:133], v2 offset:576
	s_wait_dscnt 0x1
	v_fmac_f64_e32 v[148:149], v[146:147], v[126:127]
	scratch_load_b128 v[144:147], off, off offset:216
	s_wait_loadcnt 0x5
	v_fmac_f64_e32 v[148:149], v[114:115], v[128:129]
	s_wait_dscnt 0x0
	s_delay_alu instid0(VALU_DEP_1)
	v_fmac_f64_e32 v[148:149], v[116:117], v[130:131]
	scratch_load_b128 v[114:117], off, off offset:232
	s_wait_loadcnt 0x5
	v_fmac_f64_e32 v[148:149], v[140:141], v[132:133]
	ds_load_b128 v[126:129], v2 offset:592
	ds_load_b128 v[130:133], v2 offset:608
	s_wait_dscnt 0x1
	v_fmac_f64_e32 v[148:149], v[142:143], v[126:127]
	scratch_load_b128 v[140:143], off, off offset:248
	s_wait_loadcnt 0x5
	v_fmac_f64_e32 v[148:149], v[118:119], v[128:129]
	s_wait_dscnt 0x0
	s_delay_alu instid0(VALU_DEP_1)
	v_fmac_f64_e32 v[148:149], v[120:121], v[130:131]
	scratch_load_b128 v[118:121], off, off offset:264
	s_wait_loadcnt 0x5
	v_fmac_f64_e32 v[148:149], v[136:137], v[132:133]
	ds_load_b128 v[126:129], v2 offset:624
	ds_load_b128 v[130:133], v2 offset:640
	scratch_load_b128 v[134:137], off, off offset:280
	s_wait_dscnt 0x1
	v_fmac_f64_e32 v[148:149], v[138:139], v[126:127]
	s_wait_loadcnt 0x5
	s_delay_alu instid0(VALU_DEP_1) | instskip(SKIP_1) | instid1(VALU_DEP_1)
	v_fmac_f64_e32 v[148:149], v[122:123], v[128:129]
	s_wait_dscnt 0x0
	v_fmac_f64_e32 v[148:149], v[124:125], v[130:131]
	scratch_load_b128 v[122:125], off, off offset:296
	s_wait_loadcnt 0x5
	v_fmac_f64_e32 v[148:149], v[144:145], v[132:133]
	ds_load_b128 v[126:129], v2 offset:656
	ds_load_b128 v[130:133], v2 offset:672
	s_wait_dscnt 0x1
	v_fmac_f64_e32 v[148:149], v[146:147], v[126:127]
	scratch_load_b128 v[144:147], off, off offset:312
	s_wait_loadcnt 0x5
	v_fmac_f64_e32 v[148:149], v[114:115], v[128:129]
	s_wait_dscnt 0x0
	s_delay_alu instid0(VALU_DEP_1)
	v_fmac_f64_e32 v[148:149], v[116:117], v[130:131]
	scratch_load_b128 v[114:117], off, off offset:328
	s_wait_loadcnt 0x5
	v_fmac_f64_e32 v[148:149], v[140:141], v[132:133]
	ds_load_b128 v[126:129], v2 offset:688
	ds_load_b128 v[130:133], v2 offset:704
	scratch_load_b128 v[138:141], off, off offset:344
	s_wait_dscnt 0x1
	v_fmac_f64_e32 v[148:149], v[142:143], v[126:127]
	s_wait_loadcnt 0x5
	s_delay_alu instid0(VALU_DEP_1) | instskip(SKIP_1) | instid1(VALU_DEP_1)
	v_fmac_f64_e32 v[148:149], v[118:119], v[128:129]
	s_wait_dscnt 0x0
	v_fmac_f64_e32 v[148:149], v[120:121], v[130:131]
	scratch_load_b128 v[118:121], off, off offset:360
	s_wait_loadcnt 0x5
	v_fmac_f64_e32 v[148:149], v[134:135], v[132:133]
	ds_load_b128 v[126:129], v2 offset:720
	ds_load_b128 v[130:133], v2 offset:736
	s_wait_dscnt 0x1
	v_fmac_f64_e32 v[148:149], v[136:137], v[126:127]
	s_wait_loadcnt 0x4
	s_delay_alu instid0(VALU_DEP_1)
	v_fmac_f64_e32 v[148:149], v[122:123], v[128:129]
	scratch_load_b128 v[126:129], off, off offset:376
	s_wait_dscnt 0x0
	v_fmac_f64_e32 v[148:149], v[124:125], v[130:131]
	scratch_load_b128 v[122:125], off, off offset:392
	s_wait_loadcnt 0x5
	v_fmac_f64_e32 v[148:149], v[144:145], v[132:133]
	ds_load_b128 v[130:133], v2 offset:752
	ds_load_b128 v[134:137], v2 offset:768
	s_wait_dscnt 0x1
	v_fmac_f64_e32 v[148:149], v[146:147], v[130:131]
	s_wait_loadcnt 0x4
	s_delay_alu instid0(VALU_DEP_1) | instskip(SKIP_4) | instid1(VALU_DEP_1)
	v_fmac_f64_e32 v[148:149], v[114:115], v[132:133]
	scratch_load_b128 v[130:133], off, off offset:408
	s_wait_dscnt 0x0
	v_fmac_f64_e32 v[148:149], v[116:117], v[134:135]
	s_wait_loadcnt 0x4
	v_fmac_f64_e32 v[148:149], v[138:139], v[136:137]
	scratch_load_b64 v[138:139], off, off offset:424
	ds_load_b128 v[114:117], v2 offset:784
	ds_load_b128 v[134:137], v2 offset:800
	s_wait_dscnt 0x1
	v_fmac_f64_e32 v[148:149], v[140:141], v[114:115]
	s_wait_loadcnt 0x4
	s_delay_alu instid0(VALU_DEP_1) | instskip(SKIP_1) | instid1(VALU_DEP_1)
	v_fmac_f64_e32 v[148:149], v[118:119], v[116:117]
	s_wait_dscnt 0x0
	v_fmac_f64_e32 v[148:149], v[120:121], v[134:135]
	ds_load_b128 v[114:117], v2 offset:816
	ds_load_b128 v[118:121], v2 offset:832
	s_wait_loadcnt 0x3
	v_fmac_f64_e32 v[148:149], v[126:127], v[136:137]
	s_wait_dscnt 0x1
	s_delay_alu instid0(VALU_DEP_1) | instskip(SKIP_1) | instid1(VALU_DEP_1)
	v_fmac_f64_e32 v[148:149], v[128:129], v[114:115]
	s_wait_loadcnt 0x2
	v_fmac_f64_e32 v[148:149], v[122:123], v[116:117]
	ds_load_b128 v[114:117], v2 offset:848
	s_wait_dscnt 0x1
	v_fmac_f64_e32 v[148:149], v[124:125], v[118:119]
	s_wait_loadcnt 0x1
	s_delay_alu instid0(VALU_DEP_1) | instskip(SKIP_1) | instid1(VALU_DEP_1)
	v_fmac_f64_e32 v[148:149], v[130:131], v[120:121]
	s_wait_dscnt 0x0
	v_fmac_f64_e32 v[148:149], v[132:133], v[114:115]
	s_wait_loadcnt 0x0
	s_delay_alu instid0(VALU_DEP_1) | instskip(NEXT) | instid1(VALU_DEP_1)
	v_fmac_f64_e32 v[148:149], v[138:139], v[116:117]
	v_add_f64_e64 v[2:3], v[112:113], -v[148:149]
	scratch_store_b64 off, v[2:3], off offset:24
	s_wait_xcnt 0x0
	v_cmpx_lt_u32_e32 2, v0
	s_cbranch_execz .LBB117_329
; %bb.328:
	scratch_load_b64 v[2:3], off, off offset:16
	v_mov_b64_e32 v[112:113], 0
	scratch_store_b64 off, v[112:113], off offset:16
	s_wait_loadcnt 0x0
	ds_store_b64 v1, v[2:3]
.LBB117_329:
	s_wait_xcnt 0x0
	s_or_b32 exec_lo, exec_lo, s0
	s_wait_storecnt_dscnt 0x0
	s_barrier_signal -1
	s_barrier_wait -1
	s_clause 0x5
	scratch_load_b128 v[112:115], off, off offset:16
	scratch_load_b128 v[116:119], off, off offset:32
	scratch_load_b128 v[120:123], off, off offset:48
	scratch_load_b128 v[124:127], off, off offset:64
	scratch_load_b128 v[128:131], off, off offset:80
	scratch_load_b128 v[132:135], off, off offset:96
	v_mov_b32_e32 v2, 0
	ds_load_2addr_b64 v[136:139], v2 offset0:57 offset1:58
	ds_load_2addr_b64 v[140:143], v2 offset0:59 offset1:60
	scratch_load_b128 v[144:147], off, off offset:112
	s_mov_b32 s0, exec_lo
	s_wait_loadcnt_dscnt 0x601
	v_fma_f64 v[148:149], v[114:115], v[136:137], 0
	s_wait_loadcnt 0x5
	s_delay_alu instid0(VALU_DEP_1) | instskip(SKIP_4) | instid1(VALU_DEP_1)
	v_fmac_f64_e32 v[148:149], v[116:117], v[138:139]
	scratch_load_b128 v[114:117], off, off offset:128
	s_wait_dscnt 0x0
	v_fmac_f64_e32 v[148:149], v[118:119], v[140:141]
	s_wait_loadcnt 0x5
	v_fmac_f64_e32 v[148:149], v[120:121], v[142:143]
	ds_load_2addr_b64 v[118:121], v2 offset0:61 offset1:62
	ds_load_2addr_b64 v[136:139], v2 offset0:63 offset1:64
	scratch_load_b128 v[140:143], off, off offset:144
	s_wait_dscnt 0x1
	v_fmac_f64_e32 v[148:149], v[122:123], v[118:119]
	s_wait_loadcnt 0x5
	s_delay_alu instid0(VALU_DEP_1) | instskip(SKIP_4) | instid1(VALU_DEP_1)
	v_fmac_f64_e32 v[148:149], v[124:125], v[120:121]
	scratch_load_b128 v[118:121], off, off offset:160
	s_wait_dscnt 0x0
	v_fmac_f64_e32 v[148:149], v[126:127], v[136:137]
	s_wait_loadcnt 0x5
	v_fmac_f64_e32 v[148:149], v[128:129], v[138:139]
	ds_load_2addr_b64 v[122:125], v2 offset0:65 offset1:66
	ds_load_2addr_b64 v[126:129], v2 offset0:67 offset1:68
	scratch_load_b128 v[136:139], off, off offset:176
	s_wait_dscnt 0x1
	v_fmac_f64_e32 v[148:149], v[130:131], v[122:123]
	s_wait_loadcnt 0x5
	s_delay_alu instid0(VALU_DEP_1) | instskip(SKIP_4) | instid1(VALU_DEP_1)
	v_fmac_f64_e32 v[148:149], v[132:133], v[124:125]
	scratch_load_b128 v[122:125], off, off offset:192
	s_wait_dscnt 0x0
	v_fmac_f64_e32 v[148:149], v[134:135], v[126:127]
	s_wait_loadcnt 0x5
	v_fmac_f64_e32 v[148:149], v[144:145], v[128:129]
	ds_load_2addr_b64 v[126:129], v2 offset0:69 offset1:70
	ds_load_2addr_b64 v[130:133], v2 offset0:71 offset1:72
	s_wait_dscnt 0x1
	v_fmac_f64_e32 v[148:149], v[146:147], v[126:127]
	scratch_load_b128 v[144:147], off, off offset:208
	s_wait_loadcnt 0x5
	v_fmac_f64_e32 v[148:149], v[114:115], v[128:129]
	s_wait_dscnt 0x0
	s_delay_alu instid0(VALU_DEP_1)
	v_fmac_f64_e32 v[148:149], v[116:117], v[130:131]
	scratch_load_b128 v[114:117], off, off offset:224
	s_wait_loadcnt 0x5
	v_fmac_f64_e32 v[148:149], v[140:141], v[132:133]
	ds_load_2addr_b64 v[126:129], v2 offset0:73 offset1:74
	ds_load_2addr_b64 v[130:133], v2 offset0:75 offset1:76
	s_wait_dscnt 0x1
	v_fmac_f64_e32 v[148:149], v[142:143], v[126:127]
	scratch_load_b128 v[140:143], off, off offset:240
	s_wait_loadcnt 0x5
	v_fmac_f64_e32 v[148:149], v[118:119], v[128:129]
	s_wait_dscnt 0x0
	s_delay_alu instid0(VALU_DEP_1)
	v_fmac_f64_e32 v[148:149], v[120:121], v[130:131]
	scratch_load_b128 v[118:121], off, off offset:256
	s_wait_loadcnt 0x5
	v_fmac_f64_e32 v[148:149], v[136:137], v[132:133]
	ds_load_2addr_b64 v[126:129], v2 offset0:77 offset1:78
	ds_load_2addr_b64 v[130:133], v2 offset0:79 offset1:80
	scratch_load_b128 v[134:137], off, off offset:272
	s_wait_dscnt 0x1
	v_fmac_f64_e32 v[148:149], v[138:139], v[126:127]
	s_wait_loadcnt 0x5
	s_delay_alu instid0(VALU_DEP_1) | instskip(SKIP_1) | instid1(VALU_DEP_1)
	v_fmac_f64_e32 v[148:149], v[122:123], v[128:129]
	s_wait_dscnt 0x0
	v_fmac_f64_e32 v[148:149], v[124:125], v[130:131]
	scratch_load_b128 v[122:125], off, off offset:288
	s_wait_loadcnt 0x5
	v_fmac_f64_e32 v[148:149], v[144:145], v[132:133]
	ds_load_2addr_b64 v[126:129], v2 offset0:81 offset1:82
	ds_load_2addr_b64 v[130:133], v2 offset0:83 offset1:84
	s_wait_dscnt 0x1
	v_fmac_f64_e32 v[148:149], v[146:147], v[126:127]
	scratch_load_b128 v[144:147], off, off offset:304
	s_wait_loadcnt 0x5
	v_fmac_f64_e32 v[148:149], v[114:115], v[128:129]
	s_wait_dscnt 0x0
	s_delay_alu instid0(VALU_DEP_1)
	v_fmac_f64_e32 v[148:149], v[116:117], v[130:131]
	scratch_load_b128 v[114:117], off, off offset:320
	s_wait_loadcnt 0x5
	v_fmac_f64_e32 v[148:149], v[140:141], v[132:133]
	ds_load_2addr_b64 v[126:129], v2 offset0:85 offset1:86
	ds_load_2addr_b64 v[130:133], v2 offset0:87 offset1:88
	scratch_load_b128 v[138:141], off, off offset:336
	s_wait_dscnt 0x1
	v_fmac_f64_e32 v[148:149], v[142:143], v[126:127]
	s_wait_loadcnt 0x5
	s_delay_alu instid0(VALU_DEP_1) | instskip(SKIP_1) | instid1(VALU_DEP_1)
	v_fmac_f64_e32 v[148:149], v[118:119], v[128:129]
	s_wait_dscnt 0x0
	v_fmac_f64_e32 v[148:149], v[120:121], v[130:131]
	scratch_load_b128 v[118:121], off, off offset:352
	s_wait_loadcnt 0x5
	v_fmac_f64_e32 v[148:149], v[134:135], v[132:133]
	ds_load_2addr_b64 v[126:129], v2 offset0:89 offset1:90
	ds_load_2addr_b64 v[130:133], v2 offset0:91 offset1:92
	s_wait_dscnt 0x1
	v_fmac_f64_e32 v[148:149], v[136:137], v[126:127]
	s_wait_loadcnt 0x4
	s_delay_alu instid0(VALU_DEP_1)
	v_fmac_f64_e32 v[148:149], v[122:123], v[128:129]
	scratch_load_b128 v[126:129], off, off offset:368
	s_wait_dscnt 0x0
	v_fmac_f64_e32 v[148:149], v[124:125], v[130:131]
	scratch_load_b128 v[122:125], off, off offset:384
	s_wait_loadcnt 0x5
	v_fmac_f64_e32 v[148:149], v[144:145], v[132:133]
	ds_load_2addr_b64 v[130:133], v2 offset0:93 offset1:94
	ds_load_2addr_b64 v[134:137], v2 offset0:95 offset1:96
	s_wait_dscnt 0x1
	v_fmac_f64_e32 v[148:149], v[146:147], v[130:131]
	s_wait_loadcnt 0x4
	s_delay_alu instid0(VALU_DEP_1)
	v_fmac_f64_e32 v[148:149], v[114:115], v[132:133]
	scratch_load_b128 v[130:133], off, off offset:400
	s_wait_dscnt 0x0
	v_fmac_f64_e32 v[148:149], v[116:117], v[134:135]
	scratch_load_b128 v[114:117], off, off offset:416
	s_wait_loadcnt 0x5
	v_fmac_f64_e32 v[148:149], v[138:139], v[136:137]
	ds_load_2addr_b64 v[134:137], v2 offset0:97 offset1:98
	ds_load_2addr_b64 v[142:145], v2 offset0:99 offset1:100
	s_wait_dscnt 0x1
	v_fmac_f64_e32 v[148:149], v[140:141], v[134:135]
	s_wait_loadcnt 0x4
	s_delay_alu instid0(VALU_DEP_1) | instskip(SKIP_1) | instid1(VALU_DEP_1)
	v_fmac_f64_e32 v[148:149], v[118:119], v[136:137]
	s_wait_dscnt 0x0
	v_fmac_f64_e32 v[148:149], v[120:121], v[142:143]
	ds_load_2addr_b64 v[118:121], v2 offset0:101 offset1:102
	ds_load_2addr_b64 v[134:137], v2 offset0:103 offset1:104
	s_wait_loadcnt 0x3
	v_fmac_f64_e32 v[148:149], v[126:127], v[144:145]
	s_wait_dscnt 0x1
	s_delay_alu instid0(VALU_DEP_1) | instskip(SKIP_1) | instid1(VALU_DEP_1)
	v_fmac_f64_e32 v[148:149], v[128:129], v[118:119]
	s_wait_loadcnt 0x2
	v_fmac_f64_e32 v[148:149], v[122:123], v[120:121]
	ds_load_2addr_b64 v[118:121], v2 offset0:105 offset1:106
	ds_load_b64 v[122:123], v2 offset:856
	s_wait_dscnt 0x2
	v_fmac_f64_e32 v[148:149], v[124:125], v[134:135]
	s_wait_loadcnt 0x1
	s_delay_alu instid0(VALU_DEP_1) | instskip(SKIP_1) | instid1(VALU_DEP_1)
	v_fmac_f64_e32 v[148:149], v[130:131], v[136:137]
	s_wait_dscnt 0x1
	v_fmac_f64_e32 v[148:149], v[132:133], v[118:119]
	s_wait_loadcnt 0x0
	s_delay_alu instid0(VALU_DEP_1) | instskip(SKIP_1) | instid1(VALU_DEP_1)
	v_fmac_f64_e32 v[148:149], v[114:115], v[120:121]
	s_wait_dscnt 0x0
	v_fmac_f64_e32 v[148:149], v[116:117], v[122:123]
	s_delay_alu instid0(VALU_DEP_1)
	v_add_f64_e64 v[112:113], v[112:113], -v[148:149]
	scratch_store_b64 off, v[112:113], off offset:16
	s_wait_xcnt 0x0
	v_cmpx_lt_u32_e32 1, v0
	s_cbranch_execz .LBB117_331
; %bb.330:
	scratch_load_b64 v[112:113], off, off offset:8
	v_mov_b64_e32 v[114:115], 0
	scratch_store_b64 off, v[114:115], off offset:8
	s_wait_loadcnt 0x0
	ds_store_b64 v1, v[112:113]
.LBB117_331:
	s_wait_xcnt 0x0
	s_or_b32 exec_lo, exec_lo, s0
	s_wait_storecnt_dscnt 0x0
	s_barrier_signal -1
	s_barrier_wait -1
	s_clause 0x4
	scratch_load_b128 v[112:115], off, off offset:8
	scratch_load_b128 v[116:119], off, off offset:24
	;; [unrolled: 1-line block ×5, first 2 shown]
	ds_load_b128 v[132:135], v2 offset:448
	ds_load_b128 v[136:139], v2 offset:464
	scratch_load_b128 v[140:143], off, off offset:88
	v_dual_ashrrev_i32 v9, 31, v8 :: v_dual_ashrrev_i32 v11, 31, v10
	v_dual_ashrrev_i32 v13, 31, v12 :: v_dual_ashrrev_i32 v15, 31, v14
	;; [unrolled: 1-line block ×25, first 2 shown]
	v_ashrrev_i32_e32 v109, 31, v108
	s_mov_b32 s0, exec_lo
	v_ashrrev_i32_e32 v59, 31, v58
	s_wait_loadcnt_dscnt 0x501
	v_fma_f64 v[144:145], v[114:115], v[132:133], 0
	s_wait_loadcnt 0x4
	s_delay_alu instid0(VALU_DEP_1) | instskip(SKIP_4) | instid1(VALU_DEP_1)
	v_fmac_f64_e32 v[144:145], v[116:117], v[134:135]
	scratch_load_b128 v[114:117], off, off offset:104
	s_wait_dscnt 0x0
	v_fmac_f64_e32 v[144:145], v[118:119], v[136:137]
	s_wait_loadcnt 0x4
	v_fmac_f64_e32 v[144:145], v[120:121], v[138:139]
	ds_load_b128 v[118:121], v2 offset:480
	ds_load_b128 v[132:135], v2 offset:496
	scratch_load_b128 v[136:139], off, off offset:120
	s_wait_dscnt 0x1
	v_fmac_f64_e32 v[144:145], v[122:123], v[118:119]
	s_wait_loadcnt 0x4
	s_delay_alu instid0(VALU_DEP_1) | instskip(SKIP_4) | instid1(VALU_DEP_1)
	v_fmac_f64_e32 v[144:145], v[124:125], v[120:121]
	scratch_load_b128 v[118:121], off, off offset:136
	s_wait_dscnt 0x0
	v_fmac_f64_e32 v[144:145], v[126:127], v[132:133]
	s_wait_loadcnt 0x4
	v_fmac_f64_e32 v[144:145], v[128:129], v[134:135]
	ds_load_b128 v[122:125], v2 offset:512
	ds_load_b128 v[126:129], v2 offset:528
	s_wait_dscnt 0x1
	v_fmac_f64_e32 v[144:145], v[130:131], v[122:123]
	scratch_load_b128 v[130:133], off, off offset:152
	s_wait_loadcnt 0x4
	v_fmac_f64_e32 v[144:145], v[140:141], v[124:125]
	scratch_load_b128 v[122:125], off, off offset:168
	s_wait_dscnt 0x0
	v_fmac_f64_e32 v[144:145], v[142:143], v[126:127]
	s_wait_loadcnt 0x4
	s_delay_alu instid0(VALU_DEP_1)
	v_fmac_f64_e32 v[144:145], v[114:115], v[128:129]
	ds_load_b128 v[126:129], v2 offset:544
	ds_load_b128 v[140:143], v2 offset:560
	s_wait_dscnt 0x1
	v_fmac_f64_e32 v[144:145], v[116:117], v[126:127]
	scratch_load_b128 v[114:117], off, off offset:184
	s_wait_loadcnt 0x4
	v_fmac_f64_e32 v[144:145], v[136:137], v[128:129]
	scratch_load_b128 v[126:129], off, off offset:200
	s_wait_dscnt 0x0
	v_fmac_f64_e32 v[144:145], v[138:139], v[140:141]
	ds_load_b128 v[134:137], v2 offset:576
	ds_load_b128 v[138:141], v2 offset:592
	s_wait_loadcnt 0x4
	v_fmac_f64_e32 v[144:145], v[118:119], v[142:143]
	s_wait_dscnt 0x1
	s_delay_alu instid0(VALU_DEP_1)
	v_fmac_f64_e32 v[144:145], v[120:121], v[134:135]
	scratch_load_b128 v[118:121], off, off offset:216
	s_wait_loadcnt 0x4
	v_fmac_f64_e32 v[144:145], v[130:131], v[136:137]
	scratch_load_b128 v[134:137], off, off offset:232
	s_wait_dscnt 0x0
	v_fmac_f64_e32 v[144:145], v[132:133], v[138:139]
	s_wait_loadcnt 0x4
	s_delay_alu instid0(VALU_DEP_1)
	v_fmac_f64_e32 v[144:145], v[122:123], v[140:141]
	ds_load_b128 v[130:133], v2 offset:608
	ds_load_b128 v[138:141], v2 offset:624
	s_wait_dscnt 0x1
	v_fmac_f64_e32 v[144:145], v[124:125], v[130:131]
	scratch_load_b128 v[122:125], off, off offset:248
	s_wait_loadcnt 0x4
	v_fmac_f64_e32 v[144:145], v[114:115], v[132:133]
	scratch_load_b128 v[130:133], off, off offset:264
	s_wait_dscnt 0x0
	v_fmac_f64_e32 v[144:145], v[116:117], v[138:139]
	s_wait_loadcnt 0x4
	s_delay_alu instid0(VALU_DEP_1)
	v_fmac_f64_e32 v[144:145], v[126:127], v[140:141]
	ds_load_b128 v[114:117], v2 offset:640
	ds_load_b128 v[138:141], v2 offset:656
	s_wait_dscnt 0x1
	;; [unrolled: 13-line block ×5, first 2 shown]
	v_fmac_f64_e32 v[144:145], v[116:117], v[126:127]
	scratch_load_b128 v[114:117], off, off offset:376
	s_wait_loadcnt 0x4
	v_fmac_f64_e32 v[144:145], v[134:135], v[128:129]
	scratch_load_b128 v[126:129], off, off offset:392
	s_wait_dscnt 0x0
	v_fmac_f64_e32 v[144:145], v[136:137], v[138:139]
	s_wait_loadcnt 0x4
	s_delay_alu instid0(VALU_DEP_1)
	v_fmac_f64_e32 v[144:145], v[118:119], v[140:141]
	ds_load_b128 v[134:137], v2 offset:768
	ds_load_b128 v[138:141], v2 offset:784
	scratch_load_b64 v[142:143], off, off offset:424
	s_wait_dscnt 0x1
	v_fmac_f64_e32 v[144:145], v[120:121], v[134:135]
	scratch_load_b128 v[118:121], off, off offset:408
	s_wait_loadcnt 0x5
	v_fmac_f64_e32 v[144:145], v[130:131], v[136:137]
	s_wait_dscnt 0x0
	s_delay_alu instid0(VALU_DEP_1)
	v_fmac_f64_e32 v[144:145], v[132:133], v[138:139]
	ds_load_b128 v[130:133], v2 offset:800
	ds_load_b128 v[134:137], v2 offset:816
	s_wait_loadcnt 0x4
	v_fmac_f64_e32 v[144:145], v[122:123], v[140:141]
	s_wait_dscnt 0x1
	s_delay_alu instid0(VALU_DEP_1) | instskip(SKIP_1) | instid1(VALU_DEP_1)
	v_fmac_f64_e32 v[144:145], v[124:125], v[130:131]
	s_wait_loadcnt 0x3
	v_fmac_f64_e32 v[144:145], v[114:115], v[132:133]
	s_wait_dscnt 0x0
	s_delay_alu instid0(VALU_DEP_1)
	v_fmac_f64_e32 v[144:145], v[116:117], v[134:135]
	ds_load_b128 v[114:117], v2 offset:832
	ds_load_b128 v[122:125], v2 offset:848
	s_wait_loadcnt 0x2
	v_fmac_f64_e32 v[144:145], v[126:127], v[136:137]
	s_wait_dscnt 0x1
	s_delay_alu instid0(VALU_DEP_1) | instskip(SKIP_1) | instid1(VALU_DEP_1)
	v_fmac_f64_e32 v[144:145], v[128:129], v[114:115]
	s_wait_loadcnt 0x0
	v_fmac_f64_e32 v[144:145], v[118:119], v[116:117]
	s_wait_dscnt 0x0
	s_delay_alu instid0(VALU_DEP_1) | instskip(NEXT) | instid1(VALU_DEP_1)
	v_fmac_f64_e32 v[144:145], v[120:121], v[122:123]
	v_fmac_f64_e32 v[144:145], v[142:143], v[124:125]
	s_delay_alu instid0(VALU_DEP_1)
	v_add_f64_e64 v[2:3], v[112:113], -v[144:145]
	scratch_store_b64 off, v[2:3], off offset:8
	s_wait_xcnt 0x0
	v_cmpx_ne_u32_e32 0, v0
	s_cbranch_execz .LBB117_333
; %bb.332:
	scratch_load_b64 v[2:3], off, off
	v_mov_b64_e32 v[112:113], 0
	scratch_store_b64 off, v[112:113], off
	s_wait_loadcnt 0x0
	ds_store_b64 v1, v[2:3]
.LBB117_333:
	s_wait_xcnt 0x0
	s_or_b32 exec_lo, exec_lo, s0
	s_wait_storecnt_dscnt 0x0
	s_barrier_signal -1
	s_barrier_wait -1
	s_clause 0x5
	scratch_load_b128 v[114:117], off, off
	scratch_load_b128 v[0:3], off, off offset:16
	scratch_load_b128 v[118:121], off, off offset:32
	;; [unrolled: 1-line block ×5, first 2 shown]
	v_mov_b32_e32 v112, 0
	scratch_load_b128 v[138:141], off, off offset:96
	s_and_b32 vcc_lo, exec_lo, s12
	ds_load_2addr_b64 v[134:137], v112 offset0:55 offset1:56
	s_wait_loadcnt_dscnt 0x600
	v_fma_f64 v[144:145], v[116:117], v[134:135], 0
	s_wait_loadcnt 0x5
	s_delay_alu instid0(VALU_DEP_1)
	v_fmac_f64_e32 v[144:145], v[0:1], v[136:137]
	ds_load_2addr_b64 v[134:137], v112 offset0:57 offset1:58
	s_wait_dscnt 0x0
	v_fmac_f64_e32 v[144:145], v[2:3], v[134:135]
	scratch_load_b128 v[0:3], off, off offset:112
	s_wait_loadcnt 0x5
	v_fmac_f64_e32 v[144:145], v[118:119], v[136:137]
	ds_load_2addr_b64 v[116:119], v112 offset0:59 offset1:60
	scratch_load_b128 v[134:137], off, off offset:128
	s_wait_dscnt 0x0
	v_fmac_f64_e32 v[144:145], v[120:121], v[116:117]
	s_wait_loadcnt 0x5
	s_delay_alu instid0(VALU_DEP_1)
	v_fmac_f64_e32 v[144:145], v[122:123], v[118:119]
	ds_load_2addr_b64 v[116:119], v112 offset0:61 offset1:62
	scratch_load_b128 v[120:123], off, off offset:144
	s_wait_dscnt 0x0
	v_fmac_f64_e32 v[144:145], v[124:125], v[116:117]
	s_wait_loadcnt 0x5
	s_delay_alu instid0(VALU_DEP_1)
	;; [unrolled: 7-line block ×4, first 2 shown]
	v_fmac_f64_e32 v[144:145], v[138:139], v[118:119]
	ds_load_2addr_b64 v[116:119], v112 offset0:67 offset1:68
	s_wait_dscnt 0x0
	v_fmac_f64_e32 v[144:145], v[140:141], v[116:117]
	scratch_load_b128 v[138:141], off, off offset:192
	s_wait_loadcnt 0x5
	v_fmac_f64_e32 v[144:145], v[0:1], v[118:119]
	ds_load_2addr_b64 v[116:119], v112 offset0:69 offset1:70
	s_wait_dscnt 0x0
	v_fmac_f64_e32 v[144:145], v[2:3], v[116:117]
	scratch_load_b128 v[0:3], off, off offset:208
	s_wait_loadcnt 0x5
	v_fmac_f64_e32 v[144:145], v[134:135], v[118:119]
	ds_load_2addr_b64 v[116:119], v112 offset0:71 offset1:72
	scratch_load_b128 v[132:135], off, off offset:224
	s_wait_dscnt 0x0
	v_fmac_f64_e32 v[144:145], v[136:137], v[116:117]
	s_wait_loadcnt 0x5
	s_delay_alu instid0(VALU_DEP_1)
	v_fmac_f64_e32 v[144:145], v[120:121], v[118:119]
	ds_load_2addr_b64 v[116:119], v112 offset0:73 offset1:74
	s_wait_dscnt 0x0
	v_fmac_f64_e32 v[144:145], v[122:123], v[116:117]
	scratch_load_b128 v[120:123], off, off offset:240
	s_wait_loadcnt 0x5
	v_fmac_f64_e32 v[144:145], v[124:125], v[118:119]
	ds_load_2addr_b64 v[116:119], v112 offset0:75 offset1:76
	s_wait_dscnt 0x0
	v_fmac_f64_e32 v[144:145], v[126:127], v[116:117]
	scratch_load_b128 v[124:127], off, off offset:256
	s_wait_loadcnt 0x5
	;; [unrolled: 6-line block ×3, first 2 shown]
	v_fmac_f64_e32 v[144:145], v[138:139], v[118:119]
	ds_load_2addr_b64 v[116:119], v112 offset0:79 offset1:80
	scratch_load_b128 v[136:139], off, off offset:288
	s_wait_dscnt 0x0
	v_fmac_f64_e32 v[144:145], v[140:141], v[116:117]
	scratch_load_b128 v[140:143], off, off offset:400
	s_wait_loadcnt 0x6
	v_fmac_f64_e32 v[144:145], v[0:1], v[118:119]
	ds_load_2addr_b64 v[116:119], v112 offset0:81 offset1:82
	s_wait_dscnt 0x0
	v_fmac_f64_e32 v[144:145], v[2:3], v[116:117]
	scratch_load_b128 v[0:3], off, off offset:304
	s_wait_loadcnt 0x6
	v_fmac_f64_e32 v[144:145], v[132:133], v[118:119]
	ds_load_2addr_b64 v[116:119], v112 offset0:83 offset1:84
	;; [unrolled: 6-line block ×8, first 2 shown]
	s_wait_dscnt 0x0
	v_fmac_f64_e32 v[144:145], v[134:135], v[116:117]
	s_wait_loadcnt 0x4
	s_delay_alu instid0(VALU_DEP_1) | instskip(SKIP_4) | instid1(VALU_DEP_1)
	v_fmac_f64_e32 v[144:145], v[120:121], v[118:119]
	ds_load_2addr_b64 v[116:119], v112 offset0:97 offset1:98
	s_wait_dscnt 0x0
	v_fmac_f64_e32 v[144:145], v[122:123], v[116:117]
	s_wait_loadcnt 0x3
	v_fmac_f64_e32 v[144:145], v[124:125], v[118:119]
	ds_load_2addr_b64 v[116:119], v112 offset0:99 offset1:100
	s_wait_dscnt 0x0
	v_fmac_f64_e32 v[144:145], v[126:127], v[116:117]
	s_wait_loadcnt 0x2
	s_delay_alu instid0(VALU_DEP_1) | instskip(SKIP_4) | instid1(VALU_DEP_1)
	v_fmac_f64_e32 v[144:145], v[128:129], v[118:119]
	ds_load_2addr_b64 v[116:119], v112 offset0:101 offset1:102
	s_wait_dscnt 0x0
	v_fmac_f64_e32 v[144:145], v[130:131], v[116:117]
	s_wait_loadcnt 0x1
	v_fmac_f64_e32 v[144:145], v[136:137], v[118:119]
	ds_load_2addr_b64 v[116:119], v112 offset0:103 offset1:104
	s_wait_dscnt 0x0
	v_fmac_f64_e32 v[144:145], v[138:139], v[116:117]
	s_delay_alu instid0(VALU_DEP_1)
	v_fmac_f64_e32 v[144:145], v[140:141], v[118:119]
	ds_load_2addr_b64 v[116:119], v112 offset0:105 offset1:106
	s_wait_dscnt 0x0
	v_fmac_f64_e32 v[144:145], v[142:143], v[116:117]
	ds_load_b64 v[116:117], v112 offset:856
	s_wait_loadcnt 0x0
	v_fmac_f64_e32 v[144:145], v[0:1], v[118:119]
	s_wait_dscnt 0x0
	s_delay_alu instid0(VALU_DEP_1) | instskip(NEXT) | instid1(VALU_DEP_1)
	v_fmac_f64_e32 v[144:145], v[2:3], v[116:117]
	v_add_f64_e64 v[114:115], v[114:115], -v[144:145]
	scratch_store_b64 off, v[114:115], off
	s_cbranch_vccz .LBB117_440
; %bb.334:
	global_load_b32 v2, v112, s[8:9] offset:208
	s_wait_loadcnt 0x0
	v_cmp_ne_u32_e32 vcc_lo, 53, v2
	s_cbranch_vccz .LBB117_336
; %bb.335:
	v_lshlrev_b32_e32 v2, 3, v2
	s_wait_xcnt 0x0
	s_delay_alu instid0(VALU_DEP_1)
	v_mov_b32_e32 v112, v2
	scratch_load_b64 v[2:3], v112, off offset:-8
	s_wait_loadcnt 0x0
	scratch_store_b64 off, v[2:3], off offset:416
	scratch_store_b64 v112, v[0:1], off offset:-8
.LBB117_336:
	s_wait_xcnt 0x0
	v_mov_b32_e32 v0, 0
	global_load_b32 v1, v0, s[8:9] offset:204
	s_wait_loadcnt 0x0
	v_cmp_eq_u32_e32 vcc_lo, 52, v1
	s_cbranch_vccnz .LBB117_338
; %bb.337:
	v_lshlrev_b32_e32 v1, 3, v1
	scratch_load_b64 v[2:3], v1, off offset:-8
	scratch_load_b64 v[112:113], off, off offset:408
	s_wait_loadcnt 0x1
	scratch_store_b64 off, v[2:3], off offset:408
	s_wait_loadcnt 0x0
	scratch_store_b64 v1, v[112:113], off offset:-8
.LBB117_338:
	global_load_b32 v0, v0, s[8:9] offset:200
	s_wait_loadcnt 0x0
	v_cmp_eq_u32_e32 vcc_lo, 51, v0
	s_cbranch_vccnz .LBB117_340
; %bb.339:
	s_wait_xcnt 0x0
	v_lshlrev_b32_e32 v0, 3, v0
	s_delay_alu instid0(VALU_DEP_1)
	v_mov_b32_e32 v112, v0
	scratch_load_b64 v[0:1], v112, off offset:-8
	scratch_load_b64 v[2:3], off, off offset:400
	s_wait_loadcnt 0x1
	scratch_store_b64 off, v[0:1], off offset:400
	s_wait_loadcnt 0x0
	scratch_store_b64 v112, v[2:3], off offset:-8
.LBB117_340:
	s_wait_xcnt 0x0
	v_mov_b32_e32 v0, 0
	global_load_b32 v1, v0, s[8:9] offset:196
	s_wait_loadcnt 0x0
	v_cmp_eq_u32_e32 vcc_lo, 50, v1
	s_cbranch_vccnz .LBB117_342
; %bb.341:
	v_lshlrev_b32_e32 v1, 3, v1
	scratch_load_b64 v[2:3], v1, off offset:-8
	scratch_load_b64 v[112:113], off, off offset:392
	s_wait_loadcnt 0x1
	scratch_store_b64 off, v[2:3], off offset:392
	s_wait_loadcnt 0x0
	scratch_store_b64 v1, v[112:113], off offset:-8
.LBB117_342:
	global_load_b32 v0, v0, s[8:9] offset:192
	s_wait_loadcnt 0x0
	v_cmp_eq_u32_e32 vcc_lo, 49, v0
	s_cbranch_vccnz .LBB117_344
; %bb.343:
	s_wait_xcnt 0x0
	v_lshlrev_b32_e32 v0, 3, v0
	s_delay_alu instid0(VALU_DEP_1)
	v_mov_b32_e32 v112, v0
	scratch_load_b64 v[0:1], v112, off offset:-8
	scratch_load_b64 v[2:3], off, off offset:384
	s_wait_loadcnt 0x1
	scratch_store_b64 off, v[0:1], off offset:384
	s_wait_loadcnt 0x0
	scratch_store_b64 v112, v[2:3], off offset:-8
.LBB117_344:
	;; [unrolled: 31-line block ×25, first 2 shown]
	s_wait_xcnt 0x0
	v_mov_b32_e32 v0, 0
	global_load_b32 v1, v0, s[8:9] offset:4
	s_wait_loadcnt 0x0
	v_cmp_eq_u32_e32 vcc_lo, 2, v1
	s_cbranch_vccnz .LBB117_438
; %bb.437:
	v_lshlrev_b32_e32 v1, 3, v1
	scratch_load_b64 v[2:3], v1, off offset:-8
	scratch_load_b64 v[112:113], off, off offset:8
	s_wait_loadcnt 0x1
	scratch_store_b64 off, v[2:3], off offset:8
	s_wait_loadcnt 0x0
	scratch_store_b64 v1, v[112:113], off offset:-8
.LBB117_438:
	global_load_b32 v0, v0, s[8:9]
	scratch_load_b64 v[114:115], off, off
	s_wait_loadcnt 0x1
	v_cmp_eq_u32_e32 vcc_lo, 1, v0
	s_cbranch_vccnz .LBB117_440
; %bb.439:
	s_wait_xcnt 0x1
	v_lshlrev_b32_e32 v0, 3, v0
	s_delay_alu instid0(VALU_DEP_1)
	v_mov_b32_e32 v2, v0
	scratch_load_b64 v[0:1], v2, off offset:-8
	s_wait_loadcnt 0x0
	scratch_store_b64 off, v[0:1], off
	scratch_store_b64 v2, v[114:115], off offset:-8
	scratch_load_b64 v[114:115], off, off
.LBB117_440:
	s_wait_loadcnt 0x0
	flat_store_b64 v[4:5], v[114:115]
	scratch_load_b64 v[4:5], off, off offset:8
	v_lshl_add_u64 v[162:163], v[8:9], 3, s[2:3]
	v_lshl_add_u64 v[160:161], v[10:11], 3, s[2:3]
	v_lshl_add_u64 v[158:159], v[12:13], 3, s[2:3]
	v_lshl_add_u64 v[156:157], v[14:15], 3, s[2:3]
	v_lshl_add_u64 v[154:155], v[16:17], 3, s[2:3]
	v_lshl_add_u64 v[152:153], v[18:19], 3, s[2:3]
	v_lshl_add_u64 v[150:151], v[20:21], 3, s[2:3]
	v_lshl_add_u64 v[148:149], v[22:23], 3, s[2:3]
	v_lshl_add_u64 v[146:147], v[24:25], 3, s[2:3]
	v_lshl_add_u64 v[144:145], v[26:27], 3, s[2:3]
	v_lshl_add_u64 v[142:143], v[28:29], 3, s[2:3]
	v_lshl_add_u64 v[140:141], v[30:31], 3, s[2:3]
	v_lshl_add_u64 v[138:139], v[32:33], 3, s[2:3]
	v_lshl_add_u64 v[136:137], v[34:35], 3, s[2:3]
	v_lshl_add_u64 v[134:135], v[36:37], 3, s[2:3]
	v_lshl_add_u64 v[132:133], v[38:39], 3, s[2:3]
	v_lshl_add_u64 v[130:131], v[40:41], 3, s[2:3]
	v_lshl_add_u64 v[128:129], v[42:43], 3, s[2:3]
	v_lshl_add_u64 v[126:127], v[44:45], 3, s[2:3]
	v_lshl_add_u64 v[124:125], v[46:47], 3, s[2:3]
	v_lshl_add_u64 v[122:123], v[48:49], 3, s[2:3]
	v_lshl_add_u64 v[120:121], v[50:51], 3, s[2:3]
	v_lshl_add_u64 v[118:119], v[52:53], 3, s[2:3]
	v_lshl_add_u64 v[116:117], v[54:55], 3, s[2:3]
	v_lshl_add_u64 v[112:113], v[56:57], 3, s[2:3]
	v_lshl_add_u64 v[56:57], v[58:59], 3, s[2:3]
	v_lshl_add_u64 v[54:55], v[60:61], 3, s[2:3]
	v_lshl_add_u64 v[52:53], v[62:63], 3, s[2:3]
	v_lshl_add_u64 v[50:51], v[64:65], 3, s[2:3]
	v_lshl_add_u64 v[48:49], v[66:67], 3, s[2:3]
	v_lshl_add_u64 v[46:47], v[68:69], 3, s[2:3]
	v_lshl_add_u64 v[44:45], v[70:71], 3, s[2:3]
	v_lshl_add_u64 v[42:43], v[72:73], 3, s[2:3]
	v_lshl_add_u64 v[40:41], v[74:75], 3, s[2:3]
	v_lshl_add_u64 v[38:39], v[76:77], 3, s[2:3]
	v_lshl_add_u64 v[36:37], v[78:79], 3, s[2:3]
	v_lshl_add_u64 v[34:35], v[80:81], 3, s[2:3]
	v_lshl_add_u64 v[32:33], v[82:83], 3, s[2:3]
	v_lshl_add_u64 v[30:31], v[84:85], 3, s[2:3]
	v_lshl_add_u64 v[28:29], v[86:87], 3, s[2:3]
	v_lshl_add_u64 v[26:27], v[88:89], 3, s[2:3]
	v_lshl_add_u64 v[24:25], v[90:91], 3, s[2:3]
	v_lshl_add_u64 v[22:23], v[92:93], 3, s[2:3]
	v_lshl_add_u64 v[20:21], v[94:95], 3, s[2:3]
	v_lshl_add_u64 v[18:19], v[96:97], 3, s[2:3]
	v_lshl_add_u64 v[16:17], v[98:99], 3, s[2:3]
	v_lshl_add_u64 v[14:15], v[100:101], 3, s[2:3]
	v_lshl_add_u64 v[12:13], v[102:103], 3, s[2:3]
	v_lshl_add_u64 v[10:11], v[104:105], 3, s[2:3]
	v_lshl_add_u64 v[8:9], v[106:107], 3, s[2:3]
	v_lshl_add_u64 v[2:3], v[108:109], 3, s[2:3]
	v_lshl_add_u64 v[0:1], v[110:111], 3, s[2:3]
	s_wait_loadcnt 0x0
	flat_store_b64 v[6:7], v[4:5]
	scratch_load_b64 v[4:5], off, off offset:16
	s_wait_loadcnt 0x0
	flat_store_b64 v[162:163], v[4:5]
	scratch_load_b64 v[4:5], off, off offset:24
	s_wait_loadcnt 0x0
	flat_store_b64 v[160:161], v[4:5]
	scratch_load_b64 v[4:5], off, off offset:32
	s_wait_loadcnt 0x0
	flat_store_b64 v[158:159], v[4:5]
	scratch_load_b64 v[4:5], off, off offset:40
	s_wait_loadcnt 0x0
	flat_store_b64 v[156:157], v[4:5]
	scratch_load_b64 v[4:5], off, off offset:48
	s_wait_loadcnt 0x0
	flat_store_b64 v[154:155], v[4:5]
	scratch_load_b64 v[4:5], off, off offset:56
	s_wait_loadcnt 0x0
	flat_store_b64 v[152:153], v[4:5]
	scratch_load_b64 v[4:5], off, off offset:64
	s_wait_loadcnt 0x0
	flat_store_b64 v[150:151], v[4:5]
	scratch_load_b64 v[4:5], off, off offset:72
	s_wait_loadcnt 0x0
	flat_store_b64 v[148:149], v[4:5]
	scratch_load_b64 v[4:5], off, off offset:80
	s_wait_loadcnt 0x0
	flat_store_b64 v[146:147], v[4:5]
	scratch_load_b64 v[4:5], off, off offset:88
	s_wait_loadcnt 0x0
	flat_store_b64 v[144:145], v[4:5]
	scratch_load_b64 v[4:5], off, off offset:96
	s_wait_loadcnt 0x0
	flat_store_b64 v[142:143], v[4:5]
	scratch_load_b64 v[4:5], off, off offset:104
	s_wait_loadcnt 0x0
	flat_store_b64 v[140:141], v[4:5]
	scratch_load_b64 v[4:5], off, off offset:112
	s_wait_loadcnt 0x0
	flat_store_b64 v[138:139], v[4:5]
	scratch_load_b64 v[4:5], off, off offset:120
	s_wait_loadcnt 0x0
	flat_store_b64 v[136:137], v[4:5]
	scratch_load_b64 v[4:5], off, off offset:128
	s_wait_loadcnt 0x0
	flat_store_b64 v[134:135], v[4:5]
	scratch_load_b64 v[4:5], off, off offset:136
	s_wait_loadcnt 0x0
	flat_store_b64 v[132:133], v[4:5]
	scratch_load_b64 v[4:5], off, off offset:144
	s_wait_loadcnt 0x0
	flat_store_b64 v[130:131], v[4:5]
	scratch_load_b64 v[4:5], off, off offset:152
	s_wait_loadcnt 0x0
	flat_store_b64 v[128:129], v[4:5]
	scratch_load_b64 v[4:5], off, off offset:160
	s_wait_loadcnt 0x0
	flat_store_b64 v[126:127], v[4:5]
	scratch_load_b64 v[4:5], off, off offset:168
	s_wait_loadcnt 0x0
	flat_store_b64 v[124:125], v[4:5]
	scratch_load_b64 v[4:5], off, off offset:176
	s_wait_loadcnt 0x0
	flat_store_b64 v[122:123], v[4:5]
	scratch_load_b64 v[4:5], off, off offset:184
	s_wait_loadcnt 0x0
	flat_store_b64 v[120:121], v[4:5]
	scratch_load_b64 v[4:5], off, off offset:192
	s_wait_loadcnt 0x0
	flat_store_b64 v[118:119], v[4:5]
	scratch_load_b64 v[4:5], off, off offset:200
	s_wait_loadcnt 0x0
	flat_store_b64 v[116:117], v[4:5]
	scratch_load_b64 v[4:5], off, off offset:208
	s_wait_loadcnt 0x0
	flat_store_b64 v[112:113], v[4:5]
	scratch_load_b64 v[4:5], off, off offset:216
	s_wait_loadcnt 0x0
	flat_store_b64 v[56:57], v[4:5]
	scratch_load_b64 v[4:5], off, off offset:224
	s_wait_loadcnt 0x0
	flat_store_b64 v[54:55], v[4:5]
	scratch_load_b64 v[4:5], off, off offset:232
	s_wait_loadcnt 0x0
	flat_store_b64 v[52:53], v[4:5]
	scratch_load_b64 v[4:5], off, off offset:240
	s_wait_loadcnt 0x0
	flat_store_b64 v[50:51], v[4:5]
	scratch_load_b64 v[4:5], off, off offset:248
	s_wait_loadcnt 0x0
	flat_store_b64 v[48:49], v[4:5]
	scratch_load_b64 v[4:5], off, off offset:256
	s_wait_loadcnt 0x0
	flat_store_b64 v[46:47], v[4:5]
	scratch_load_b64 v[4:5], off, off offset:264
	s_wait_loadcnt 0x0
	flat_store_b64 v[44:45], v[4:5]
	scratch_load_b64 v[4:5], off, off offset:272
	s_wait_loadcnt 0x0
	flat_store_b64 v[42:43], v[4:5]
	scratch_load_b64 v[4:5], off, off offset:280
	s_wait_loadcnt 0x0
	flat_store_b64 v[40:41], v[4:5]
	scratch_load_b64 v[4:5], off, off offset:288
	s_wait_loadcnt 0x0
	flat_store_b64 v[38:39], v[4:5]
	scratch_load_b64 v[4:5], off, off offset:296
	s_wait_loadcnt 0x0
	flat_store_b64 v[36:37], v[4:5]
	scratch_load_b64 v[4:5], off, off offset:304
	s_wait_loadcnt 0x0
	flat_store_b64 v[34:35], v[4:5]
	scratch_load_b64 v[4:5], off, off offset:312
	s_wait_loadcnt 0x0
	flat_store_b64 v[32:33], v[4:5]
	scratch_load_b64 v[4:5], off, off offset:320
	s_wait_loadcnt 0x0
	flat_store_b64 v[30:31], v[4:5]
	scratch_load_b64 v[4:5], off, off offset:328
	s_wait_loadcnt 0x0
	flat_store_b64 v[28:29], v[4:5]
	scratch_load_b64 v[4:5], off, off offset:336
	s_wait_loadcnt 0x0
	flat_store_b64 v[26:27], v[4:5]
	scratch_load_b64 v[4:5], off, off offset:344
	s_wait_loadcnt 0x0
	flat_store_b64 v[24:25], v[4:5]
	scratch_load_b64 v[4:5], off, off offset:352
	s_wait_loadcnt 0x0
	flat_store_b64 v[22:23], v[4:5]
	scratch_load_b64 v[4:5], off, off offset:360
	s_wait_loadcnt 0x0
	flat_store_b64 v[20:21], v[4:5]
	scratch_load_b64 v[4:5], off, off offset:368
	s_wait_loadcnt 0x0
	flat_store_b64 v[18:19], v[4:5]
	scratch_load_b64 v[4:5], off, off offset:376
	s_wait_loadcnt 0x0
	flat_store_b64 v[16:17], v[4:5]
	scratch_load_b64 v[4:5], off, off offset:384
	s_wait_loadcnt 0x0
	flat_store_b64 v[14:15], v[4:5]
	scratch_load_b64 v[4:5], off, off offset:392
	s_wait_loadcnt 0x0
	flat_store_b64 v[12:13], v[4:5]
	scratch_load_b64 v[4:5], off, off offset:400
	s_wait_loadcnt 0x0
	flat_store_b64 v[10:11], v[4:5]
	scratch_load_b64 v[4:5], off, off offset:408
	s_wait_loadcnt 0x0
	flat_store_b64 v[8:9], v[4:5]
	scratch_load_b64 v[4:5], off, off offset:416
	s_wait_loadcnt 0x0
	flat_store_b64 v[2:3], v[4:5]
	scratch_load_b64 v[2:3], off, off offset:424
	s_wait_loadcnt 0x0
	flat_store_b64 v[0:1], v[2:3]
	s_sendmsg sendmsg(MSG_DEALLOC_VGPRS)
	s_endpgm
	.section	.rodata,"a",@progbits
	.p2align	6, 0x0
	.amdhsa_kernel _ZN9rocsolver6v33100L18getri_kernel_smallILi54EdPKPdEEvT1_iilPiilS6_bb
		.amdhsa_group_segment_fixed_size 872
		.amdhsa_private_segment_fixed_size 448
		.amdhsa_kernarg_size 60
		.amdhsa_user_sgpr_count 2
		.amdhsa_user_sgpr_dispatch_ptr 0
		.amdhsa_user_sgpr_queue_ptr 0
		.amdhsa_user_sgpr_kernarg_segment_ptr 1
		.amdhsa_user_sgpr_dispatch_id 0
		.amdhsa_user_sgpr_kernarg_preload_length 0
		.amdhsa_user_sgpr_kernarg_preload_offset 0
		.amdhsa_user_sgpr_private_segment_size 0
		.amdhsa_wavefront_size32 1
		.amdhsa_uses_dynamic_stack 0
		.amdhsa_enable_private_segment 1
		.amdhsa_system_sgpr_workgroup_id_x 1
		.amdhsa_system_sgpr_workgroup_id_y 0
		.amdhsa_system_sgpr_workgroup_id_z 0
		.amdhsa_system_sgpr_workgroup_info 0
		.amdhsa_system_vgpr_workitem_id 0
		.amdhsa_next_free_vgpr 164
		.amdhsa_next_free_sgpr 19
		.amdhsa_named_barrier_count 0
		.amdhsa_reserve_vcc 1
		.amdhsa_float_round_mode_32 0
		.amdhsa_float_round_mode_16_64 0
		.amdhsa_float_denorm_mode_32 3
		.amdhsa_float_denorm_mode_16_64 3
		.amdhsa_fp16_overflow 0
		.amdhsa_memory_ordered 1
		.amdhsa_forward_progress 1
		.amdhsa_inst_pref_size 255
		.amdhsa_round_robin_scheduling 0
		.amdhsa_exception_fp_ieee_invalid_op 0
		.amdhsa_exception_fp_denorm_src 0
		.amdhsa_exception_fp_ieee_div_zero 0
		.amdhsa_exception_fp_ieee_overflow 0
		.amdhsa_exception_fp_ieee_underflow 0
		.amdhsa_exception_fp_ieee_inexact 0
		.amdhsa_exception_int_div_zero 0
	.end_amdhsa_kernel
	.section	.text._ZN9rocsolver6v33100L18getri_kernel_smallILi54EdPKPdEEvT1_iilPiilS6_bb,"axG",@progbits,_ZN9rocsolver6v33100L18getri_kernel_smallILi54EdPKPdEEvT1_iilPiilS6_bb,comdat
.Lfunc_end117:
	.size	_ZN9rocsolver6v33100L18getri_kernel_smallILi54EdPKPdEEvT1_iilPiilS6_bb, .Lfunc_end117-_ZN9rocsolver6v33100L18getri_kernel_smallILi54EdPKPdEEvT1_iilPiilS6_bb
                                        ; -- End function
	.set _ZN9rocsolver6v33100L18getri_kernel_smallILi54EdPKPdEEvT1_iilPiilS6_bb.num_vgpr, 164
	.set _ZN9rocsolver6v33100L18getri_kernel_smallILi54EdPKPdEEvT1_iilPiilS6_bb.num_agpr, 0
	.set _ZN9rocsolver6v33100L18getri_kernel_smallILi54EdPKPdEEvT1_iilPiilS6_bb.numbered_sgpr, 19
	.set _ZN9rocsolver6v33100L18getri_kernel_smallILi54EdPKPdEEvT1_iilPiilS6_bb.num_named_barrier, 0
	.set _ZN9rocsolver6v33100L18getri_kernel_smallILi54EdPKPdEEvT1_iilPiilS6_bb.private_seg_size, 448
	.set _ZN9rocsolver6v33100L18getri_kernel_smallILi54EdPKPdEEvT1_iilPiilS6_bb.uses_vcc, 1
	.set _ZN9rocsolver6v33100L18getri_kernel_smallILi54EdPKPdEEvT1_iilPiilS6_bb.uses_flat_scratch, 1
	.set _ZN9rocsolver6v33100L18getri_kernel_smallILi54EdPKPdEEvT1_iilPiilS6_bb.has_dyn_sized_stack, 0
	.set _ZN9rocsolver6v33100L18getri_kernel_smallILi54EdPKPdEEvT1_iilPiilS6_bb.has_recursion, 0
	.set _ZN9rocsolver6v33100L18getri_kernel_smallILi54EdPKPdEEvT1_iilPiilS6_bb.has_indirect_call, 0
	.section	.AMDGPU.csdata,"",@progbits
; Kernel info:
; codeLenInByte = 54236
; TotalNumSgprs: 21
; NumVgprs: 164
; ScratchSize: 448
; MemoryBound: 0
; FloatMode: 240
; IeeeMode: 1
; LDSByteSize: 872 bytes/workgroup (compile time only)
; SGPRBlocks: 0
; VGPRBlocks: 10
; NumSGPRsForWavesPerEU: 21
; NumVGPRsForWavesPerEU: 164
; NamedBarCnt: 0
; Occupancy: 5
; WaveLimiterHint : 1
; COMPUTE_PGM_RSRC2:SCRATCH_EN: 1
; COMPUTE_PGM_RSRC2:USER_SGPR: 2
; COMPUTE_PGM_RSRC2:TRAP_HANDLER: 0
; COMPUTE_PGM_RSRC2:TGID_X_EN: 1
; COMPUTE_PGM_RSRC2:TGID_Y_EN: 0
; COMPUTE_PGM_RSRC2:TGID_Z_EN: 0
; COMPUTE_PGM_RSRC2:TIDIG_COMP_CNT: 0
	.section	.text._ZN9rocsolver6v33100L18getri_kernel_smallILi55EdPKPdEEvT1_iilPiilS6_bb,"axG",@progbits,_ZN9rocsolver6v33100L18getri_kernel_smallILi55EdPKPdEEvT1_iilPiilS6_bb,comdat
	.globl	_ZN9rocsolver6v33100L18getri_kernel_smallILi55EdPKPdEEvT1_iilPiilS6_bb ; -- Begin function _ZN9rocsolver6v33100L18getri_kernel_smallILi55EdPKPdEEvT1_iilPiilS6_bb
	.p2align	8
	.type	_ZN9rocsolver6v33100L18getri_kernel_smallILi55EdPKPdEEvT1_iilPiilS6_bb,@function
_ZN9rocsolver6v33100L18getri_kernel_smallILi55EdPKPdEEvT1_iilPiilS6_bb: ; @_ZN9rocsolver6v33100L18getri_kernel_smallILi55EdPKPdEEvT1_iilPiilS6_bb
; %bb.0:
	s_mov_b32 s2, exec_lo
	v_cmpx_gt_u32_e32 55, v0
	s_cbranch_execz .LBB118_230
; %bb.1:
	s_clause 0x1
	s_load_b32 s13, s[0:1], 0x38
	s_load_b64 s[2:3], s[0:1], 0x0
	s_getreg_b32 s6, hwreg(HW_REG_IB_STS2, 6, 4)
	s_wait_kmcnt 0x0
	s_bitcmp1_b32 s13, 8
	s_cselect_b32 s12, -1, 0
	s_bfe_u32 s4, ttmp6, 0x4000c
	s_and_b32 s5, ttmp6, 15
	s_add_co_i32 s4, s4, 1
	s_delay_alu instid0(SALU_CYCLE_1) | instskip(NEXT) | instid1(SALU_CYCLE_1)
	s_mul_i32 s4, ttmp9, s4
	s_add_co_i32 s5, s5, s4
	s_cmp_eq_u32 s6, 0
	s_cselect_b32 s10, ttmp9, s5
	s_load_b128 s[4:7], s[0:1], 0x28
	s_ashr_i32 s11, s10, 31
	s_delay_alu instid0(SALU_CYCLE_1) | instskip(NEXT) | instid1(SALU_CYCLE_1)
	s_lshl_b64 s[8:9], s[10:11], 3
	s_add_nc_u64 s[2:3], s[2:3], s[8:9]
	s_bfe_u32 s8, s13, 0x10008
	s_load_b64 s[2:3], s[2:3], 0x0
	s_cmp_eq_u32 s8, 0
                                        ; implicit-def: $sgpr8_sgpr9
	s_cbranch_scc1 .LBB118_3
; %bb.2:
	s_load_b96 s[16:18], s[0:1], 0x18
	s_wait_kmcnt 0x0
	s_mul_u64 s[4:5], s[4:5], s[10:11]
	s_delay_alu instid0(SALU_CYCLE_1) | instskip(SKIP_4) | instid1(SALU_CYCLE_1)
	s_lshl_b64 s[4:5], s[4:5], 2
	s_ashr_i32 s9, s18, 31
	s_mov_b32 s8, s18
	s_add_nc_u64 s[4:5], s[16:17], s[4:5]
	s_lshl_b64 s[8:9], s[8:9], 2
	s_add_nc_u64 s[8:9], s[4:5], s[8:9]
.LBB118_3:
	s_wait_kmcnt 0x0
	s_clause 0x1
	s_load_b64 s[4:5], s[0:1], 0x8
	s_load_b32 s13, s[0:1], 0x38
	v_dual_mov_b32 v3, 0 :: v_dual_lshlrev_b32 v2, 3, v0
	s_wait_kmcnt 0x0
	s_ashr_i32 s1, s4, 31
	s_mov_b32 s0, s4
	s_delay_alu instid0(SALU_CYCLE_1) | instskip(NEXT) | instid1(SALU_CYCLE_1)
	s_lshl_b64 s[0:1], s[0:1], 3
	s_add_nc_u64 s[2:3], s[2:3], s[0:1]
	s_ashr_i32 s1, s5, 31
	flat_load_b64 v[8:9], v0, s[2:3] scale_offset
	v_add_nc_u64_e32 v[4:5], s[2:3], v[2:3]
	s_mov_b32 s0, s5
	s_bitcmp0_b32 s13, 0
	s_delay_alu instid0(VALU_DEP_1)
	v_lshl_add_u64 v[6:7], s[0:1], 3, v[4:5]
	s_mov_b32 s1, -1
	s_wait_loadcnt_dscnt 0x0
	scratch_store_b64 off, v[8:9], off
	flat_load_b64 v[10:11], v[6:7]
	s_wait_xcnt 0x1
	v_add3_u32 v8, s5, s5, v0
	s_wait_loadcnt_dscnt 0x0
	scratch_store_b64 off, v[10:11], off offset:8
	flat_load_b64 v[12:13], v8, s[2:3] scale_offset
	s_wait_xcnt 0x1
	v_add_nc_u32_e32 v10, s5, v8
	s_wait_loadcnt_dscnt 0x0
	scratch_store_b64 off, v[12:13], off offset:16
	flat_load_b64 v[14:15], v10, s[2:3] scale_offset
	s_wait_xcnt 0x1
	v_add_nc_u32_e32 v12, s5, v10
	;; [unrolled: 5-line block ×52, first 2 shown]
	s_wait_loadcnt_dscnt 0x0
	scratch_store_b64 off, v[114:115], off offset:424
	flat_load_b64 v[114:115], v112, s[2:3] scale_offset
	s_wait_loadcnt_dscnt 0x0
	scratch_store_b64 off, v[114:115], off offset:432
	s_cbranch_scc1 .LBB118_228
; %bb.4:
	v_cmp_eq_u32_e64 s0, 0, v0
	s_wait_xcnt 0x0
	s_and_saveexec_b32 s1, s0
; %bb.5:
	v_mov_b32_e32 v1, 0
	ds_store_b32 v1, v1 offset:440
; %bb.6:
	s_or_b32 exec_lo, exec_lo, s1
	s_wait_storecnt_dscnt 0x0
	s_barrier_signal -1
	s_barrier_wait -1
	scratch_load_b64 v[114:115], v0, off scale_offset
	s_mov_b32 s4, exec_lo
	s_wait_loadcnt 0x0
	v_cmpx_eq_f64_e32 0, v[114:115]
	s_cbranch_execz .LBB118_10
; %bb.7:
	v_mov_b32_e32 v1, 0
	s_mov_b32 s5, 0
	ds_load_b32 v3, v1 offset:440
	s_wait_dscnt 0x0
	v_readfirstlane_b32 s1, v3
	v_add_nc_u32_e32 v3, 1, v0
	s_cmp_eq_u32 s1, 0
	s_delay_alu instid0(VALU_DEP_1) | instskip(SKIP_1) | instid1(SALU_CYCLE_1)
	v_cmp_gt_i32_e32 vcc_lo, s1, v3
	s_cselect_b32 s13, -1, 0
	s_or_b32 s13, s13, vcc_lo
	s_delay_alu instid0(SALU_CYCLE_1)
	s_and_b32 exec_lo, exec_lo, s13
	s_cbranch_execz .LBB118_10
; %bb.8:
	v_mov_b32_e32 v9, s1
.LBB118_9:                              ; =>This Inner Loop Header: Depth=1
	ds_cmpstore_rtn_b32 v9, v1, v3, v9 offset:440
	s_wait_dscnt 0x0
	v_cmp_ne_u32_e32 vcc_lo, 0, v9
	v_cmp_le_i32_e64 s1, v9, v3
	s_and_b32 s1, vcc_lo, s1
	s_delay_alu instid0(SALU_CYCLE_1) | instskip(NEXT) | instid1(SALU_CYCLE_1)
	s_and_b32 s1, exec_lo, s1
	s_or_b32 s5, s1, s5
	s_delay_alu instid0(SALU_CYCLE_1)
	s_and_not1_b32 exec_lo, exec_lo, s5
	s_cbranch_execnz .LBB118_9
.LBB118_10:
	s_or_b32 exec_lo, exec_lo, s4
	v_mov_b32_e32 v1, 0
	s_barrier_signal -1
	s_barrier_wait -1
	ds_load_b32 v3, v1 offset:440
	s_and_saveexec_b32 s1, s0
	s_cbranch_execz .LBB118_12
; %bb.11:
	s_lshl_b64 s[4:5], s[10:11], 2
	s_delay_alu instid0(SALU_CYCLE_1)
	s_add_nc_u64 s[4:5], s[6:7], s[4:5]
	s_wait_dscnt 0x0
	global_store_b32 v1, v3, s[4:5]
.LBB118_12:
	s_wait_xcnt 0x0
	s_or_b32 exec_lo, exec_lo, s1
	s_wait_dscnt 0x0
	v_cmp_ne_u32_e32 vcc_lo, 0, v3
	s_mov_b32 s1, 0
	s_cbranch_vccnz .LBB118_228
; %bb.13:
	v_lshl_add_u32 v3, v0, 3, 0
	v_add_nc_u32_e32 v1, 0x1c0, v2
	scratch_load_b64 v[114:115], v3, off
	s_wait_loadcnt 0x0
	v_div_scale_f64 v[116:117], null, v[114:115], v[114:115], 1.0
	v_div_scale_f64 v[122:123], vcc_lo, 1.0, v[114:115], 1.0
	s_delay_alu instid0(VALU_DEP_2) | instskip(SKIP_1) | instid1(TRANS32_DEP_1)
	v_rcp_f64_e32 v[118:119], v[116:117]
	v_nop
	v_fma_f64 v[120:121], -v[116:117], v[118:119], 1.0
	s_delay_alu instid0(VALU_DEP_1) | instskip(NEXT) | instid1(VALU_DEP_1)
	v_fmac_f64_e32 v[118:119], v[118:119], v[120:121]
	v_fma_f64 v[120:121], -v[116:117], v[118:119], 1.0
	s_delay_alu instid0(VALU_DEP_1) | instskip(NEXT) | instid1(VALU_DEP_1)
	v_fmac_f64_e32 v[118:119], v[118:119], v[120:121]
	v_mul_f64_e32 v[120:121], v[122:123], v[118:119]
	s_delay_alu instid0(VALU_DEP_1) | instskip(NEXT) | instid1(VALU_DEP_1)
	v_fma_f64 v[116:117], -v[116:117], v[120:121], v[122:123]
	v_div_fmas_f64 v[116:117], v[116:117], v[118:119], v[120:121]
	s_delay_alu instid0(VALU_DEP_1)
	v_div_fixup_f64 v[114:115], v[116:117], v[114:115], 1.0
	scratch_store_b64 v3, v[114:115], off
	scratch_load_b64 v[116:117], off, off offset:8
	s_wait_xcnt 0x1
	v_xor_b32_e32 v115, 0x80000000, v115
	s_wait_loadcnt 0x0
	ds_store_2addr_b64 v2, v[114:115], v[116:117] offset1:56
	s_wait_storecnt_dscnt 0x0
	s_barrier_signal -1
	s_barrier_wait -1
	s_wait_xcnt 0x0
	s_and_saveexec_b32 s1, s0
	s_cbranch_execz .LBB118_15
; %bb.14:
	scratch_load_b64 v[114:115], v3, off
	ds_load_b64 v[116:117], v1
	s_wait_loadcnt_dscnt 0x0
	v_fma_f64 v[114:115], v[114:115], v[116:117], 0
	v_mov_b32_e32 v9, 0
	ds_load_b64 v[118:119], v9 offset:8
	s_wait_dscnt 0x0
	v_mul_f64_e32 v[114:115], v[114:115], v[118:119]
	scratch_store_b64 off, v[114:115], off offset:8
.LBB118_15:
	s_wait_xcnt 0x0
	s_or_b32 exec_lo, exec_lo, s1
	s_wait_storecnt 0x0
	s_barrier_signal -1
	s_barrier_wait -1
	scratch_load_b64 v[114:115], off, off offset:16
	s_mov_b32 s1, exec_lo
	s_wait_loadcnt 0x0
	ds_store_b64 v1, v[114:115]
	s_wait_dscnt 0x0
	s_barrier_signal -1
	s_barrier_wait -1
	v_cmpx_gt_u32_e32 2, v0
	s_cbranch_execz .LBB118_19
; %bb.16:
	scratch_load_b64 v[114:115], v3, off
	ds_load_b64 v[116:117], v1
	s_wait_loadcnt_dscnt 0x0
	v_fma_f64 v[114:115], v[114:115], v[116:117], 0
	s_and_saveexec_b32 s4, s0
	s_cbranch_execz .LBB118_18
; %bb.17:
	scratch_load_b64 v[116:117], off, off offset:8
	v_mov_b32_e32 v3, 0
	ds_load_b64 v[118:119], v3 offset:456
	s_wait_loadcnt_dscnt 0x0
	v_fmac_f64_e32 v[114:115], v[116:117], v[118:119]
.LBB118_18:
	s_or_b32 exec_lo, exec_lo, s4
	v_mov_b32_e32 v3, 0
	ds_load_b64 v[116:117], v3 offset:16
	s_wait_dscnt 0x0
	v_mul_f64_e32 v[114:115], v[114:115], v[116:117]
	scratch_store_b64 off, v[114:115], off offset:16
.LBB118_19:
	s_wait_xcnt 0x0
	s_or_b32 exec_lo, exec_lo, s1
	s_wait_storecnt 0x0
	s_barrier_signal -1
	s_barrier_wait -1
	scratch_load_b64 v[114:115], off, off offset:24
	v_add_nc_u32_e32 v3, -1, v0
	s_mov_b32 s0, exec_lo
	s_wait_loadcnt 0x0
	ds_store_b64 v1, v[114:115]
	s_wait_dscnt 0x0
	s_barrier_signal -1
	s_barrier_wait -1
	v_cmpx_gt_u32_e32 3, v0
	s_cbranch_execz .LBB118_23
; %bb.20:
	v_mov_b64_e32 v[114:115], 0
	v_dual_add_nc_u32 v9, -1, v0 :: v_dual_mov_b32 v13, v2
	v_add_nc_u32_e32 v11, 0x1c0, v2
	s_mov_b32 s1, 0
.LBB118_21:                             ; =>This Inner Loop Header: Depth=1
	scratch_load_b64 v[116:117], v13, off
	ds_load_b64 v[118:119], v11
	v_dual_add_nc_u32 v9, 1, v9 :: v_dual_add_nc_u32 v11, 8, v11
	s_wait_xcnt 0x0
	v_add_nc_u32_e32 v13, 8, v13
	s_delay_alu instid0(VALU_DEP_2)
	v_cmp_lt_u32_e32 vcc_lo, 1, v9
	s_or_b32 s1, vcc_lo, s1
	s_wait_loadcnt_dscnt 0x0
	v_fmac_f64_e32 v[114:115], v[116:117], v[118:119]
	s_and_not1_b32 exec_lo, exec_lo, s1
	s_cbranch_execnz .LBB118_21
; %bb.22:
	s_or_b32 exec_lo, exec_lo, s1
	v_mov_b32_e32 v9, 0
	ds_load_b64 v[116:117], v9 offset:24
	s_wait_dscnt 0x0
	v_mul_f64_e32 v[114:115], v[114:115], v[116:117]
	scratch_store_b64 off, v[114:115], off offset:24
.LBB118_23:
	s_wait_xcnt 0x0
	s_or_b32 exec_lo, exec_lo, s0
	s_wait_storecnt 0x0
	s_barrier_signal -1
	s_barrier_wait -1
	scratch_load_b64 v[114:115], off, off offset:32
	s_mov_b32 s0, exec_lo
	s_wait_loadcnt 0x0
	ds_store_b64 v1, v[114:115]
	s_wait_dscnt 0x0
	s_barrier_signal -1
	s_barrier_wait -1
	v_cmpx_gt_u32_e32 4, v0
	s_cbranch_execz .LBB118_27
; %bb.24:
	v_mov_b64_e32 v[114:115], 0
	v_dual_add_nc_u32 v9, -1, v0 :: v_dual_mov_b32 v13, v2
	v_add_nc_u32_e32 v11, 0x1c0, v2
	s_mov_b32 s1, 0
.LBB118_25:                             ; =>This Inner Loop Header: Depth=1
	scratch_load_b64 v[116:117], v13, off
	ds_load_b64 v[118:119], v11
	v_dual_add_nc_u32 v9, 1, v9 :: v_dual_add_nc_u32 v11, 8, v11
	s_wait_xcnt 0x0
	v_add_nc_u32_e32 v13, 8, v13
	s_delay_alu instid0(VALU_DEP_2)
	v_cmp_lt_u32_e32 vcc_lo, 2, v9
	s_or_b32 s1, vcc_lo, s1
	s_wait_loadcnt_dscnt 0x0
	v_fmac_f64_e32 v[114:115], v[116:117], v[118:119]
	s_and_not1_b32 exec_lo, exec_lo, s1
	s_cbranch_execnz .LBB118_25
; %bb.26:
	s_or_b32 exec_lo, exec_lo, s1
	v_mov_b32_e32 v9, 0
	ds_load_b64 v[116:117], v9 offset:32
	s_wait_dscnt 0x0
	v_mul_f64_e32 v[114:115], v[114:115], v[116:117]
	scratch_store_b64 off, v[114:115], off offset:32
.LBB118_27:
	s_wait_xcnt 0x0
	s_or_b32 exec_lo, exec_lo, s0
	s_wait_storecnt 0x0
	s_barrier_signal -1
	s_barrier_wait -1
	scratch_load_b64 v[114:115], off, off offset:40
	;; [unrolled: 40-line block ×20, first 2 shown]
	s_mov_b32 s0, exec_lo
	s_wait_loadcnt 0x0
	ds_store_b64 v1, v[114:115]
	s_wait_dscnt 0x0
	s_barrier_signal -1
	s_barrier_wait -1
	v_cmpx_gt_u32_e32 23, v0
	s_cbranch_execz .LBB118_103
; %bb.100:
	v_mov_b64_e32 v[114:115], 0
	v_dual_add_nc_u32 v9, -1, v0 :: v_dual_mov_b32 v13, v2
	v_add_nc_u32_e32 v11, 0x1c0, v2
	s_mov_b32 s1, 0
.LBB118_101:                            ; =>This Inner Loop Header: Depth=1
	scratch_load_b64 v[116:117], v13, off
	ds_load_b64 v[118:119], v11
	v_dual_add_nc_u32 v9, 1, v9 :: v_dual_add_nc_u32 v11, 8, v11
	s_wait_xcnt 0x0
	v_add_nc_u32_e32 v13, 8, v13
	s_delay_alu instid0(VALU_DEP_2)
	v_cmp_lt_u32_e32 vcc_lo, 21, v9
	s_or_b32 s1, vcc_lo, s1
	s_wait_loadcnt_dscnt 0x0
	v_fmac_f64_e32 v[114:115], v[116:117], v[118:119]
	s_and_not1_b32 exec_lo, exec_lo, s1
	s_cbranch_execnz .LBB118_101
; %bb.102:
	s_or_b32 exec_lo, exec_lo, s1
	v_mov_b32_e32 v9, 0
	ds_load_b64 v[116:117], v9 offset:184
	s_wait_dscnt 0x0
	v_mul_f64_e32 v[114:115], v[114:115], v[116:117]
	scratch_store_b64 off, v[114:115], off offset:184
.LBB118_103:
	s_wait_xcnt 0x0
	s_or_b32 exec_lo, exec_lo, s0
	s_wait_storecnt 0x0
	s_barrier_signal -1
	s_barrier_wait -1
	scratch_load_b64 v[114:115], off, off offset:192
	s_mov_b32 s0, exec_lo
	s_wait_loadcnt 0x0
	ds_store_b64 v1, v[114:115]
	s_wait_dscnt 0x0
	s_barrier_signal -1
	s_barrier_wait -1
	v_cmpx_gt_u32_e32 24, v0
	s_cbranch_execz .LBB118_107
; %bb.104:
	v_mov_b64_e32 v[114:115], 0
	v_dual_add_nc_u32 v9, -1, v0 :: v_dual_mov_b32 v13, v2
	v_add_nc_u32_e32 v11, 0x1c0, v2
	s_mov_b32 s1, 0
.LBB118_105:                            ; =>This Inner Loop Header: Depth=1
	scratch_load_b64 v[116:117], v13, off
	ds_load_b64 v[118:119], v11
	v_dual_add_nc_u32 v9, 1, v9 :: v_dual_add_nc_u32 v11, 8, v11
	s_wait_xcnt 0x0
	v_add_nc_u32_e32 v13, 8, v13
	s_delay_alu instid0(VALU_DEP_2)
	v_cmp_lt_u32_e32 vcc_lo, 22, v9
	s_or_b32 s1, vcc_lo, s1
	s_wait_loadcnt_dscnt 0x0
	v_fmac_f64_e32 v[114:115], v[116:117], v[118:119]
	s_and_not1_b32 exec_lo, exec_lo, s1
	s_cbranch_execnz .LBB118_105
; %bb.106:
	s_or_b32 exec_lo, exec_lo, s1
	v_mov_b32_e32 v9, 0
	ds_load_b64 v[116:117], v9 offset:192
	s_wait_dscnt 0x0
	v_mul_f64_e32 v[114:115], v[114:115], v[116:117]
	scratch_store_b64 off, v[114:115], off offset:192
.LBB118_107:
	s_wait_xcnt 0x0
	s_or_b32 exec_lo, exec_lo, s0
	s_wait_storecnt 0x0
	s_barrier_signal -1
	s_barrier_wait -1
	scratch_load_b64 v[114:115], off, off offset:200
	;; [unrolled: 40-line block ×31, first 2 shown]
	s_mov_b32 s0, exec_lo
	s_wait_loadcnt 0x0
	ds_store_b64 v1, v[114:115]
	s_wait_dscnt 0x0
	s_barrier_signal -1
	s_barrier_wait -1
	v_cmpx_ne_u32_e32 54, v0
	s_cbranch_execz .LBB118_227
; %bb.224:
	v_mov_b64_e32 v[114:115], 0
	s_mov_b32 s1, 0
.LBB118_225:                            ; =>This Inner Loop Header: Depth=1
	scratch_load_b64 v[116:117], v2, off
	ds_load_b64 v[118:119], v1
	v_dual_add_nc_u32 v3, 1, v3 :: v_dual_add_nc_u32 v1, 8, v1
	s_wait_xcnt 0x0
	v_add_nc_u32_e32 v2, 8, v2
	s_delay_alu instid0(VALU_DEP_2)
	v_cmp_lt_u32_e32 vcc_lo, 52, v3
	s_or_b32 s1, vcc_lo, s1
	s_wait_loadcnt_dscnt 0x0
	v_fmac_f64_e32 v[114:115], v[116:117], v[118:119]
	s_and_not1_b32 exec_lo, exec_lo, s1
	s_cbranch_execnz .LBB118_225
; %bb.226:
	s_or_b32 exec_lo, exec_lo, s1
	v_mov_b32_e32 v1, 0
	ds_load_b64 v[2:3], v1 offset:432
	s_wait_dscnt 0x0
	v_mul_f64_e32 v[2:3], v[114:115], v[2:3]
	scratch_store_b64 off, v[2:3], off offset:432
.LBB118_227:
	s_wait_xcnt 0x0
	s_or_b32 exec_lo, exec_lo, s0
	s_mov_b32 s1, -1
	s_wait_storecnt 0x0
	s_barrier_signal -1
	s_barrier_wait -1
.LBB118_228:
	s_and_b32 vcc_lo, exec_lo, s1
	s_cbranch_vccz .LBB118_230
; %bb.229:
	v_mov_b32_e32 v1, 0
	s_lshl_b64 s[0:1], s[10:11], 2
	s_delay_alu instid0(SALU_CYCLE_1)
	s_add_nc_u64 s[0:1], s[6:7], s[0:1]
	global_load_b32 v1, v1, s[0:1]
	s_wait_loadcnt 0x0
	v_cmp_ne_u32_e32 vcc_lo, 0, v1
	s_cbranch_vccz .LBB118_231
.LBB118_230:
	s_sendmsg sendmsg(MSG_DEALLOC_VGPRS)
	s_endpgm
.LBB118_231:
	s_wait_xcnt 0x0
	v_lshl_add_u32 v1, v0, 3, 0x1c0
	s_mov_b32 s0, exec_lo
	v_cmpx_eq_u32_e32 54, v0
	s_cbranch_execz .LBB118_233
; %bb.232:
	scratch_load_b64 v[2:3], off, off offset:424
	v_mov_b64_e32 v[114:115], 0
	scratch_store_b64 off, v[114:115], off offset:424
	s_wait_loadcnt 0x0
	ds_store_b64 v1, v[2:3]
.LBB118_233:
	s_wait_xcnt 0x0
	s_or_b32 exec_lo, exec_lo, s0
	s_wait_storecnt_dscnt 0x0
	s_barrier_signal -1
	s_barrier_wait -1
	scratch_load_b128 v[114:117], off, off offset:424
	v_mov_b32_e32 v2, 0
	s_mov_b32 s0, exec_lo
	ds_load_b64 v[118:119], v2 offset:880
	s_wait_loadcnt_dscnt 0x0
	v_fma_f64 v[116:117], v[116:117], v[118:119], 0
	s_delay_alu instid0(VALU_DEP_1)
	v_add_f64_e64 v[114:115], v[114:115], -v[116:117]
	scratch_store_b64 off, v[114:115], off offset:424
	s_wait_xcnt 0x0
	v_cmpx_lt_u32_e32 52, v0
	s_cbranch_execz .LBB118_235
; %bb.234:
	scratch_load_b64 v[114:115], off, off offset:416
	v_mov_b64_e32 v[116:117], 0
	scratch_store_b64 off, v[116:117], off offset:416
	s_wait_loadcnt 0x0
	ds_store_b64 v1, v[114:115]
.LBB118_235:
	s_wait_xcnt 0x0
	s_or_b32 exec_lo, exec_lo, s0
	s_wait_storecnt_dscnt 0x0
	s_barrier_signal -1
	s_barrier_wait -1
	s_clause 0x1
	scratch_load_b128 v[114:117], off, off offset:416
	scratch_load_b64 v[122:123], off, off offset:432
	ds_load_2addr_b64 v[118:121], v2 offset0:109 offset1:110
	s_mov_b32 s0, exec_lo
	s_wait_loadcnt_dscnt 0x100
	v_fma_f64 v[2:3], v[116:117], v[118:119], 0
	s_wait_loadcnt 0x0
	s_delay_alu instid0(VALU_DEP_1) | instskip(NEXT) | instid1(VALU_DEP_1)
	v_fmac_f64_e32 v[2:3], v[122:123], v[120:121]
	v_add_f64_e64 v[2:3], v[114:115], -v[2:3]
	scratch_store_b64 off, v[2:3], off offset:416
	s_wait_xcnt 0x0
	v_cmpx_lt_u32_e32 51, v0
	s_cbranch_execz .LBB118_237
; %bb.236:
	scratch_load_b64 v[2:3], off, off offset:408
	v_mov_b64_e32 v[114:115], 0
	scratch_store_b64 off, v[114:115], off offset:408
	s_wait_loadcnt 0x0
	ds_store_b64 v1, v[2:3]
.LBB118_237:
	s_wait_xcnt 0x0
	s_or_b32 exec_lo, exec_lo, s0
	s_wait_storecnt_dscnt 0x0
	s_barrier_signal -1
	s_barrier_wait -1
	s_clause 0x1
	scratch_load_b128 v[114:117], off, off offset:408
	scratch_load_b128 v[118:121], off, off offset:424
	v_mov_b32_e32 v2, 0
	ds_load_b128 v[122:125], v2 offset:864
	ds_load_b64 v[126:127], v2 offset:880
	s_mov_b32 s0, exec_lo
	s_wait_loadcnt_dscnt 0x101
	v_fma_f64 v[116:117], v[116:117], v[122:123], 0
	s_wait_loadcnt 0x0
	s_delay_alu instid0(VALU_DEP_1) | instskip(SKIP_1) | instid1(VALU_DEP_1)
	v_fmac_f64_e32 v[116:117], v[118:119], v[124:125]
	s_wait_dscnt 0x0
	v_fmac_f64_e32 v[116:117], v[120:121], v[126:127]
	s_delay_alu instid0(VALU_DEP_1)
	v_add_f64_e64 v[114:115], v[114:115], -v[116:117]
	scratch_store_b64 off, v[114:115], off offset:408
	s_wait_xcnt 0x0
	v_cmpx_lt_u32_e32 50, v0
	s_cbranch_execz .LBB118_239
; %bb.238:
	scratch_load_b64 v[114:115], off, off offset:400
	v_mov_b64_e32 v[116:117], 0
	scratch_store_b64 off, v[116:117], off offset:400
	s_wait_loadcnt 0x0
	ds_store_b64 v1, v[114:115]
.LBB118_239:
	s_wait_xcnt 0x0
	s_or_b32 exec_lo, exec_lo, s0
	s_wait_storecnt_dscnt 0x0
	s_barrier_signal -1
	s_barrier_wait -1
	s_clause 0x2
	scratch_load_b128 v[114:117], off, off offset:400
	scratch_load_b128 v[118:121], off, off offset:416
	scratch_load_b64 v[130:131], off, off offset:432
	ds_load_2addr_b64 v[122:125], v2 offset0:107 offset1:108
	ds_load_2addr_b64 v[126:129], v2 offset0:109 offset1:110
	s_mov_b32 s0, exec_lo
	s_wait_loadcnt_dscnt 0x201
	v_fma_f64 v[2:3], v[116:117], v[122:123], 0
	s_wait_loadcnt 0x1
	s_delay_alu instid0(VALU_DEP_1) | instskip(SKIP_1) | instid1(VALU_DEP_1)
	v_fmac_f64_e32 v[2:3], v[118:119], v[124:125]
	s_wait_dscnt 0x0
	v_fmac_f64_e32 v[2:3], v[120:121], v[126:127]
	s_wait_loadcnt 0x0
	s_delay_alu instid0(VALU_DEP_1) | instskip(NEXT) | instid1(VALU_DEP_1)
	v_fmac_f64_e32 v[2:3], v[130:131], v[128:129]
	v_add_f64_e64 v[2:3], v[114:115], -v[2:3]
	scratch_store_b64 off, v[2:3], off offset:400
	s_wait_xcnt 0x0
	v_cmpx_lt_u32_e32 49, v0
	s_cbranch_execz .LBB118_241
; %bb.240:
	scratch_load_b64 v[2:3], off, off offset:392
	v_mov_b64_e32 v[114:115], 0
	scratch_store_b64 off, v[114:115], off offset:392
	s_wait_loadcnt 0x0
	ds_store_b64 v1, v[2:3]
.LBB118_241:
	s_wait_xcnt 0x0
	s_or_b32 exec_lo, exec_lo, s0
	s_wait_storecnt_dscnt 0x0
	s_barrier_signal -1
	s_barrier_wait -1
	s_clause 0x2
	scratch_load_b128 v[114:117], off, off offset:392
	scratch_load_b128 v[118:121], off, off offset:408
	;; [unrolled: 1-line block ×3, first 2 shown]
	v_mov_b32_e32 v2, 0
	ds_load_b128 v[126:129], v2 offset:848
	ds_load_b128 v[130:133], v2 offset:864
	s_mov_b32 s0, exec_lo
	s_wait_loadcnt_dscnt 0x201
	v_fma_f64 v[116:117], v[116:117], v[126:127], 0
	s_wait_loadcnt 0x1
	s_delay_alu instid0(VALU_DEP_1) | instskip(SKIP_4) | instid1(VALU_DEP_1)
	v_fmac_f64_e32 v[116:117], v[118:119], v[128:129]
	ds_load_b64 v[118:119], v2 offset:880
	s_wait_dscnt 0x1
	v_fmac_f64_e32 v[116:117], v[120:121], v[130:131]
	s_wait_loadcnt 0x0
	v_fmac_f64_e32 v[116:117], v[122:123], v[132:133]
	s_wait_dscnt 0x0
	s_delay_alu instid0(VALU_DEP_1) | instskip(NEXT) | instid1(VALU_DEP_1)
	v_fmac_f64_e32 v[116:117], v[124:125], v[118:119]
	v_add_f64_e64 v[114:115], v[114:115], -v[116:117]
	scratch_store_b64 off, v[114:115], off offset:392
	s_wait_xcnt 0x0
	v_cmpx_lt_u32_e32 48, v0
	s_cbranch_execz .LBB118_243
; %bb.242:
	scratch_load_b64 v[114:115], off, off offset:384
	v_mov_b64_e32 v[116:117], 0
	scratch_store_b64 off, v[116:117], off offset:384
	s_wait_loadcnt 0x0
	ds_store_b64 v1, v[114:115]
.LBB118_243:
	s_wait_xcnt 0x0
	s_or_b32 exec_lo, exec_lo, s0
	s_wait_storecnt_dscnt 0x0
	s_barrier_signal -1
	s_barrier_wait -1
	s_clause 0x3
	scratch_load_b128 v[114:117], off, off offset:384
	scratch_load_b128 v[118:121], off, off offset:400
	;; [unrolled: 1-line block ×3, first 2 shown]
	scratch_load_b64 v[134:135], off, off offset:432
	ds_load_2addr_b64 v[126:129], v2 offset0:105 offset1:106
	ds_load_2addr_b64 v[130:133], v2 offset0:107 offset1:108
	s_mov_b32 s0, exec_lo
	s_wait_loadcnt_dscnt 0x301
	v_fma_f64 v[126:127], v[116:117], v[126:127], 0
	s_wait_loadcnt 0x2
	s_delay_alu instid0(VALU_DEP_1) | instskip(SKIP_4) | instid1(VALU_DEP_1)
	v_fmac_f64_e32 v[126:127], v[118:119], v[128:129]
	ds_load_2addr_b64 v[116:119], v2 offset0:109 offset1:110
	s_wait_dscnt 0x1
	v_fmac_f64_e32 v[126:127], v[120:121], v[130:131]
	s_wait_loadcnt 0x1
	v_fmac_f64_e32 v[126:127], v[122:123], v[132:133]
	s_wait_dscnt 0x0
	s_delay_alu instid0(VALU_DEP_1) | instskip(SKIP_1) | instid1(VALU_DEP_1)
	v_fmac_f64_e32 v[126:127], v[124:125], v[116:117]
	s_wait_loadcnt 0x0
	v_fmac_f64_e32 v[126:127], v[134:135], v[118:119]
	s_delay_alu instid0(VALU_DEP_1)
	v_add_f64_e64 v[2:3], v[114:115], -v[126:127]
	scratch_store_b64 off, v[2:3], off offset:384
	s_wait_xcnt 0x0
	v_cmpx_lt_u32_e32 47, v0
	s_cbranch_execz .LBB118_245
; %bb.244:
	scratch_load_b64 v[2:3], off, off offset:376
	v_mov_b64_e32 v[114:115], 0
	scratch_store_b64 off, v[114:115], off offset:376
	s_wait_loadcnt 0x0
	ds_store_b64 v1, v[2:3]
.LBB118_245:
	s_wait_xcnt 0x0
	s_or_b32 exec_lo, exec_lo, s0
	s_wait_storecnt_dscnt 0x0
	s_barrier_signal -1
	s_barrier_wait -1
	s_clause 0x3
	scratch_load_b128 v[114:117], off, off offset:376
	scratch_load_b128 v[118:121], off, off offset:392
	;; [unrolled: 1-line block ×4, first 2 shown]
	v_mov_b32_e32 v2, 0
	ds_load_b128 v[130:133], v2 offset:832
	ds_load_b128 v[134:137], v2 offset:848
	s_mov_b32 s0, exec_lo
	s_wait_loadcnt_dscnt 0x301
	v_fma_f64 v[130:131], v[116:117], v[130:131], 0
	s_wait_loadcnt 0x2
	s_delay_alu instid0(VALU_DEP_1) | instskip(SKIP_1) | instid1(VALU_DEP_1)
	v_fmac_f64_e32 v[130:131], v[118:119], v[132:133]
	s_wait_dscnt 0x0
	v_fmac_f64_e32 v[130:131], v[120:121], v[134:135]
	ds_load_b128 v[116:119], v2 offset:864
	ds_load_b64 v[120:121], v2 offset:880
	s_wait_loadcnt 0x1
	v_fmac_f64_e32 v[130:131], v[122:123], v[136:137]
	s_wait_dscnt 0x1
	s_delay_alu instid0(VALU_DEP_1) | instskip(SKIP_1) | instid1(VALU_DEP_1)
	v_fmac_f64_e32 v[130:131], v[124:125], v[116:117]
	s_wait_loadcnt 0x0
	v_fmac_f64_e32 v[130:131], v[126:127], v[118:119]
	s_wait_dscnt 0x0
	s_delay_alu instid0(VALU_DEP_1) | instskip(NEXT) | instid1(VALU_DEP_1)
	v_fmac_f64_e32 v[130:131], v[128:129], v[120:121]
	v_add_f64_e64 v[114:115], v[114:115], -v[130:131]
	scratch_store_b64 off, v[114:115], off offset:376
	s_wait_xcnt 0x0
	v_cmpx_lt_u32_e32 46, v0
	s_cbranch_execz .LBB118_247
; %bb.246:
	scratch_load_b64 v[114:115], off, off offset:368
	v_mov_b64_e32 v[116:117], 0
	scratch_store_b64 off, v[116:117], off offset:368
	s_wait_loadcnt 0x0
	ds_store_b64 v1, v[114:115]
.LBB118_247:
	s_wait_xcnt 0x0
	s_or_b32 exec_lo, exec_lo, s0
	s_wait_storecnt_dscnt 0x0
	s_barrier_signal -1
	s_barrier_wait -1
	s_clause 0x4
	scratch_load_b128 v[114:117], off, off offset:368
	scratch_load_b128 v[118:121], off, off offset:384
	;; [unrolled: 1-line block ×4, first 2 shown]
	scratch_load_b64 v[138:139], off, off offset:432
	ds_load_2addr_b64 v[130:133], v2 offset0:103 offset1:104
	ds_load_2addr_b64 v[134:137], v2 offset0:105 offset1:106
	s_mov_b32 s0, exec_lo
	s_wait_loadcnt_dscnt 0x401
	v_fma_f64 v[130:131], v[116:117], v[130:131], 0
	s_wait_loadcnt 0x3
	s_delay_alu instid0(VALU_DEP_1) | instskip(SKIP_1) | instid1(VALU_DEP_1)
	v_fmac_f64_e32 v[130:131], v[118:119], v[132:133]
	s_wait_dscnt 0x0
	v_fmac_f64_e32 v[130:131], v[120:121], v[134:135]
	s_wait_loadcnt 0x2
	s_delay_alu instid0(VALU_DEP_1)
	v_fmac_f64_e32 v[130:131], v[122:123], v[136:137]
	ds_load_2addr_b64 v[116:119], v2 offset0:107 offset1:108
	ds_load_2addr_b64 v[120:123], v2 offset0:109 offset1:110
	s_wait_dscnt 0x1
	v_fmac_f64_e32 v[130:131], v[124:125], v[116:117]
	s_wait_loadcnt 0x1
	s_delay_alu instid0(VALU_DEP_1) | instskip(SKIP_1) | instid1(VALU_DEP_1)
	v_fmac_f64_e32 v[130:131], v[126:127], v[118:119]
	s_wait_dscnt 0x0
	v_fmac_f64_e32 v[130:131], v[128:129], v[120:121]
	s_wait_loadcnt 0x0
	s_delay_alu instid0(VALU_DEP_1) | instskip(NEXT) | instid1(VALU_DEP_1)
	v_fmac_f64_e32 v[130:131], v[138:139], v[122:123]
	v_add_f64_e64 v[2:3], v[114:115], -v[130:131]
	scratch_store_b64 off, v[2:3], off offset:368
	s_wait_xcnt 0x0
	v_cmpx_lt_u32_e32 45, v0
	s_cbranch_execz .LBB118_249
; %bb.248:
	scratch_load_b64 v[2:3], off, off offset:360
	v_mov_b64_e32 v[114:115], 0
	scratch_store_b64 off, v[114:115], off offset:360
	s_wait_loadcnt 0x0
	ds_store_b64 v1, v[2:3]
.LBB118_249:
	s_wait_xcnt 0x0
	s_or_b32 exec_lo, exec_lo, s0
	s_wait_storecnt_dscnt 0x0
	s_barrier_signal -1
	s_barrier_wait -1
	s_clause 0x4
	scratch_load_b128 v[114:117], off, off offset:360
	scratch_load_b128 v[118:121], off, off offset:376
	;; [unrolled: 1-line block ×5, first 2 shown]
	v_mov_b32_e32 v2, 0
	ds_load_b128 v[134:137], v2 offset:816
	ds_load_b128 v[138:141], v2 offset:832
	s_mov_b32 s0, exec_lo
	s_wait_loadcnt_dscnt 0x401
	v_fma_f64 v[134:135], v[116:117], v[134:135], 0
	s_wait_loadcnt 0x3
	s_delay_alu instid0(VALU_DEP_1) | instskip(SKIP_1) | instid1(VALU_DEP_1)
	v_fmac_f64_e32 v[134:135], v[118:119], v[136:137]
	s_wait_dscnt 0x0
	v_fmac_f64_e32 v[134:135], v[120:121], v[138:139]
	s_wait_loadcnt 0x2
	s_delay_alu instid0(VALU_DEP_1)
	v_fmac_f64_e32 v[134:135], v[122:123], v[140:141]
	ds_load_b128 v[116:119], v2 offset:848
	ds_load_b128 v[120:123], v2 offset:864
	s_wait_dscnt 0x1
	v_fmac_f64_e32 v[134:135], v[124:125], v[116:117]
	ds_load_b64 v[116:117], v2 offset:880
	s_wait_loadcnt 0x1
	v_fmac_f64_e32 v[134:135], v[126:127], v[118:119]
	s_wait_dscnt 0x1
	s_delay_alu instid0(VALU_DEP_1) | instskip(SKIP_1) | instid1(VALU_DEP_1)
	v_fmac_f64_e32 v[134:135], v[128:129], v[120:121]
	s_wait_loadcnt 0x0
	v_fmac_f64_e32 v[134:135], v[130:131], v[122:123]
	s_wait_dscnt 0x0
	s_delay_alu instid0(VALU_DEP_1) | instskip(NEXT) | instid1(VALU_DEP_1)
	v_fmac_f64_e32 v[134:135], v[132:133], v[116:117]
	v_add_f64_e64 v[114:115], v[114:115], -v[134:135]
	scratch_store_b64 off, v[114:115], off offset:360
	s_wait_xcnt 0x0
	v_cmpx_lt_u32_e32 44, v0
	s_cbranch_execz .LBB118_251
; %bb.250:
	scratch_load_b64 v[114:115], off, off offset:352
	v_mov_b64_e32 v[116:117], 0
	scratch_store_b64 off, v[116:117], off offset:352
	s_wait_loadcnt 0x0
	ds_store_b64 v1, v[114:115]
.LBB118_251:
	s_wait_xcnt 0x0
	s_or_b32 exec_lo, exec_lo, s0
	s_wait_storecnt_dscnt 0x0
	s_barrier_signal -1
	s_barrier_wait -1
	s_clause 0x5
	scratch_load_b128 v[114:117], off, off offset:352
	scratch_load_b128 v[118:121], off, off offset:368
	;; [unrolled: 1-line block ×5, first 2 shown]
	scratch_load_b64 v[142:143], off, off offset:432
	ds_load_2addr_b64 v[134:137], v2 offset0:101 offset1:102
	ds_load_2addr_b64 v[138:141], v2 offset0:103 offset1:104
	s_mov_b32 s0, exec_lo
	s_wait_loadcnt_dscnt 0x501
	v_fma_f64 v[134:135], v[116:117], v[134:135], 0
	s_wait_loadcnt 0x4
	s_delay_alu instid0(VALU_DEP_1) | instskip(SKIP_1) | instid1(VALU_DEP_1)
	v_fmac_f64_e32 v[134:135], v[118:119], v[136:137]
	s_wait_dscnt 0x0
	v_fmac_f64_e32 v[134:135], v[120:121], v[138:139]
	s_wait_loadcnt 0x3
	s_delay_alu instid0(VALU_DEP_1)
	v_fmac_f64_e32 v[134:135], v[122:123], v[140:141]
	ds_load_2addr_b64 v[116:119], v2 offset0:105 offset1:106
	ds_load_2addr_b64 v[120:123], v2 offset0:107 offset1:108
	s_wait_dscnt 0x1
	v_fmac_f64_e32 v[134:135], v[124:125], v[116:117]
	s_wait_loadcnt 0x2
	s_delay_alu instid0(VALU_DEP_1) | instskip(SKIP_4) | instid1(VALU_DEP_1)
	v_fmac_f64_e32 v[134:135], v[126:127], v[118:119]
	ds_load_2addr_b64 v[116:119], v2 offset0:109 offset1:110
	s_wait_dscnt 0x1
	v_fmac_f64_e32 v[134:135], v[128:129], v[120:121]
	s_wait_loadcnt 0x1
	v_fmac_f64_e32 v[134:135], v[130:131], v[122:123]
	s_wait_dscnt 0x0
	s_delay_alu instid0(VALU_DEP_1) | instskip(SKIP_1) | instid1(VALU_DEP_1)
	v_fmac_f64_e32 v[134:135], v[132:133], v[116:117]
	s_wait_loadcnt 0x0
	v_fmac_f64_e32 v[134:135], v[142:143], v[118:119]
	s_delay_alu instid0(VALU_DEP_1)
	v_add_f64_e64 v[2:3], v[114:115], -v[134:135]
	scratch_store_b64 off, v[2:3], off offset:352
	s_wait_xcnt 0x0
	v_cmpx_lt_u32_e32 43, v0
	s_cbranch_execz .LBB118_253
; %bb.252:
	scratch_load_b64 v[2:3], off, off offset:344
	v_mov_b64_e32 v[114:115], 0
	scratch_store_b64 off, v[114:115], off offset:344
	s_wait_loadcnt 0x0
	ds_store_b64 v1, v[2:3]
.LBB118_253:
	s_wait_xcnt 0x0
	s_or_b32 exec_lo, exec_lo, s0
	s_wait_storecnt_dscnt 0x0
	s_barrier_signal -1
	s_barrier_wait -1
	s_clause 0x5
	scratch_load_b128 v[114:117], off, off offset:344
	scratch_load_b128 v[118:121], off, off offset:360
	;; [unrolled: 1-line block ×6, first 2 shown]
	v_mov_b32_e32 v2, 0
	ds_load_b128 v[138:141], v2 offset:800
	ds_load_b128 v[142:145], v2 offset:816
	s_mov_b32 s0, exec_lo
	s_wait_loadcnt_dscnt 0x501
	v_fma_f64 v[138:139], v[116:117], v[138:139], 0
	s_wait_loadcnt 0x4
	s_delay_alu instid0(VALU_DEP_1) | instskip(SKIP_1) | instid1(VALU_DEP_1)
	v_fmac_f64_e32 v[138:139], v[118:119], v[140:141]
	s_wait_dscnt 0x0
	v_fmac_f64_e32 v[138:139], v[120:121], v[142:143]
	s_wait_loadcnt 0x3
	s_delay_alu instid0(VALU_DEP_1)
	v_fmac_f64_e32 v[138:139], v[122:123], v[144:145]
	ds_load_b128 v[116:119], v2 offset:832
	ds_load_b128 v[120:123], v2 offset:848
	s_wait_dscnt 0x1
	v_fmac_f64_e32 v[138:139], v[124:125], v[116:117]
	s_wait_loadcnt 0x2
	s_delay_alu instid0(VALU_DEP_1) | instskip(SKIP_1) | instid1(VALU_DEP_1)
	v_fmac_f64_e32 v[138:139], v[126:127], v[118:119]
	s_wait_dscnt 0x0
	v_fmac_f64_e32 v[138:139], v[128:129], v[120:121]
	ds_load_b128 v[116:119], v2 offset:864
	ds_load_b64 v[120:121], v2 offset:880
	s_wait_loadcnt 0x1
	v_fmac_f64_e32 v[138:139], v[130:131], v[122:123]
	s_wait_dscnt 0x1
	s_delay_alu instid0(VALU_DEP_1) | instskip(SKIP_1) | instid1(VALU_DEP_1)
	v_fmac_f64_e32 v[138:139], v[132:133], v[116:117]
	s_wait_loadcnt 0x0
	v_fmac_f64_e32 v[138:139], v[134:135], v[118:119]
	s_wait_dscnt 0x0
	s_delay_alu instid0(VALU_DEP_1) | instskip(NEXT) | instid1(VALU_DEP_1)
	v_fmac_f64_e32 v[138:139], v[136:137], v[120:121]
	v_add_f64_e64 v[114:115], v[114:115], -v[138:139]
	scratch_store_b64 off, v[114:115], off offset:344
	s_wait_xcnt 0x0
	v_cmpx_lt_u32_e32 42, v0
	s_cbranch_execz .LBB118_255
; %bb.254:
	scratch_load_b64 v[114:115], off, off offset:336
	v_mov_b64_e32 v[116:117], 0
	scratch_store_b64 off, v[116:117], off offset:336
	s_wait_loadcnt 0x0
	ds_store_b64 v1, v[114:115]
.LBB118_255:
	s_wait_xcnt 0x0
	s_or_b32 exec_lo, exec_lo, s0
	s_wait_storecnt_dscnt 0x0
	s_barrier_signal -1
	s_barrier_wait -1
	s_clause 0x5
	scratch_load_b128 v[114:117], off, off offset:336
	scratch_load_b128 v[118:121], off, off offset:352
	;; [unrolled: 1-line block ×6, first 2 shown]
	ds_load_2addr_b64 v[138:141], v2 offset0:99 offset1:100
	ds_load_2addr_b64 v[142:145], v2 offset0:101 offset1:102
	s_mov_b32 s0, exec_lo
	s_wait_loadcnt_dscnt 0x501
	v_fma_f64 v[138:139], v[116:117], v[138:139], 0
	s_wait_loadcnt 0x4
	s_delay_alu instid0(VALU_DEP_1) | instskip(SKIP_4) | instid1(VALU_DEP_1)
	v_fmac_f64_e32 v[138:139], v[118:119], v[140:141]
	scratch_load_b64 v[140:141], off, off offset:432
	s_wait_dscnt 0x0
	v_fmac_f64_e32 v[138:139], v[120:121], v[142:143]
	s_wait_loadcnt 0x4
	v_fmac_f64_e32 v[138:139], v[122:123], v[144:145]
	ds_load_2addr_b64 v[116:119], v2 offset0:103 offset1:104
	ds_load_2addr_b64 v[120:123], v2 offset0:105 offset1:106
	s_wait_dscnt 0x1
	v_fmac_f64_e32 v[138:139], v[124:125], v[116:117]
	s_wait_loadcnt 0x3
	s_delay_alu instid0(VALU_DEP_1) | instskip(SKIP_1) | instid1(VALU_DEP_1)
	v_fmac_f64_e32 v[138:139], v[126:127], v[118:119]
	s_wait_dscnt 0x0
	v_fmac_f64_e32 v[138:139], v[128:129], v[120:121]
	s_wait_loadcnt 0x2
	s_delay_alu instid0(VALU_DEP_1)
	v_fmac_f64_e32 v[138:139], v[130:131], v[122:123]
	ds_load_2addr_b64 v[116:119], v2 offset0:107 offset1:108
	ds_load_2addr_b64 v[120:123], v2 offset0:109 offset1:110
	s_wait_dscnt 0x1
	v_fmac_f64_e32 v[138:139], v[132:133], v[116:117]
	s_wait_loadcnt 0x1
	s_delay_alu instid0(VALU_DEP_1) | instskip(SKIP_1) | instid1(VALU_DEP_1)
	v_fmac_f64_e32 v[138:139], v[134:135], v[118:119]
	s_wait_dscnt 0x0
	v_fmac_f64_e32 v[138:139], v[136:137], v[120:121]
	s_wait_loadcnt 0x0
	s_delay_alu instid0(VALU_DEP_1) | instskip(NEXT) | instid1(VALU_DEP_1)
	v_fmac_f64_e32 v[138:139], v[140:141], v[122:123]
	v_add_f64_e64 v[2:3], v[114:115], -v[138:139]
	scratch_store_b64 off, v[2:3], off offset:336
	s_wait_xcnt 0x0
	v_cmpx_lt_u32_e32 41, v0
	s_cbranch_execz .LBB118_257
; %bb.256:
	scratch_load_b64 v[2:3], off, off offset:328
	v_mov_b64_e32 v[114:115], 0
	scratch_store_b64 off, v[114:115], off offset:328
	s_wait_loadcnt 0x0
	ds_store_b64 v1, v[2:3]
.LBB118_257:
	s_wait_xcnt 0x0
	s_or_b32 exec_lo, exec_lo, s0
	s_wait_storecnt_dscnt 0x0
	s_barrier_signal -1
	s_barrier_wait -1
	s_clause 0x5
	scratch_load_b128 v[114:117], off, off offset:328
	scratch_load_b128 v[118:121], off, off offset:344
	;; [unrolled: 1-line block ×6, first 2 shown]
	v_mov_b32_e32 v2, 0
	ds_load_b128 v[138:141], v2 offset:784
	ds_load_b128 v[142:145], v2 offset:800
	s_mov_b32 s0, exec_lo
	s_wait_loadcnt_dscnt 0x501
	v_fma_f64 v[146:147], v[116:117], v[138:139], 0
	s_wait_loadcnt 0x4
	s_delay_alu instid0(VALU_DEP_1) | instskip(SKIP_4) | instid1(VALU_DEP_1)
	v_fmac_f64_e32 v[146:147], v[118:119], v[140:141]
	scratch_load_b128 v[116:119], off, off offset:424
	s_wait_dscnt 0x0
	v_fmac_f64_e32 v[146:147], v[120:121], v[142:143]
	s_wait_loadcnt 0x4
	v_fmac_f64_e32 v[146:147], v[122:123], v[144:145]
	ds_load_b128 v[120:123], v2 offset:816
	ds_load_b128 v[138:141], v2 offset:832
	s_wait_dscnt 0x1
	v_fmac_f64_e32 v[146:147], v[124:125], v[120:121]
	s_wait_loadcnt 0x3
	s_delay_alu instid0(VALU_DEP_1)
	v_fmac_f64_e32 v[146:147], v[126:127], v[122:123]
	ds_load_b128 v[120:123], v2 offset:848
	ds_load_b128 v[124:127], v2 offset:864
	s_wait_dscnt 0x2
	v_fmac_f64_e32 v[146:147], v[128:129], v[138:139]
	s_wait_loadcnt 0x2
	s_delay_alu instid0(VALU_DEP_1) | instskip(SKIP_1) | instid1(VALU_DEP_1)
	v_fmac_f64_e32 v[146:147], v[130:131], v[140:141]
	s_wait_dscnt 0x1
	v_fmac_f64_e32 v[146:147], v[132:133], v[120:121]
	s_wait_loadcnt 0x1
	s_delay_alu instid0(VALU_DEP_1) | instskip(SKIP_1) | instid1(VALU_DEP_1)
	v_fmac_f64_e32 v[146:147], v[134:135], v[122:123]
	s_wait_dscnt 0x0
	v_fmac_f64_e32 v[146:147], v[136:137], v[124:125]
	s_wait_loadcnt 0x0
	s_delay_alu instid0(VALU_DEP_1) | instskip(SKIP_3) | instid1(VALU_DEP_1)
	v_fmac_f64_e32 v[146:147], v[116:117], v[126:127]
	ds_load_b64 v[116:117], v2 offset:880
	s_wait_dscnt 0x0
	v_fmac_f64_e32 v[146:147], v[118:119], v[116:117]
	v_add_f64_e64 v[114:115], v[114:115], -v[146:147]
	scratch_store_b64 off, v[114:115], off offset:328
	s_wait_xcnt 0x0
	v_cmpx_lt_u32_e32 40, v0
	s_cbranch_execz .LBB118_259
; %bb.258:
	scratch_load_b64 v[114:115], off, off offset:320
	v_mov_b64_e32 v[116:117], 0
	scratch_store_b64 off, v[116:117], off offset:320
	s_wait_loadcnt 0x0
	ds_store_b64 v1, v[114:115]
.LBB118_259:
	s_wait_xcnt 0x0
	s_or_b32 exec_lo, exec_lo, s0
	s_wait_storecnt_dscnt 0x0
	s_barrier_signal -1
	s_barrier_wait -1
	s_clause 0x5
	scratch_load_b128 v[114:117], off, off offset:320
	scratch_load_b128 v[118:121], off, off offset:336
	;; [unrolled: 1-line block ×6, first 2 shown]
	ds_load_2addr_b64 v[138:141], v2 offset0:97 offset1:98
	ds_load_2addr_b64 v[142:145], v2 offset0:99 offset1:100
	s_mov_b32 s0, exec_lo
	s_wait_loadcnt_dscnt 0x501
	v_fma_f64 v[146:147], v[116:117], v[138:139], 0
	s_wait_loadcnt 0x4
	s_delay_alu instid0(VALU_DEP_1)
	v_fmac_f64_e32 v[146:147], v[118:119], v[140:141]
	scratch_load_b128 v[116:119], off, off offset:416
	s_wait_dscnt 0x0
	v_fmac_f64_e32 v[146:147], v[120:121], v[142:143]
	scratch_load_b64 v[142:143], off, off offset:432
	s_wait_loadcnt 0x5
	v_fmac_f64_e32 v[146:147], v[122:123], v[144:145]
	ds_load_2addr_b64 v[120:123], v2 offset0:101 offset1:102
	ds_load_2addr_b64 v[138:141], v2 offset0:103 offset1:104
	s_wait_dscnt 0x1
	v_fmac_f64_e32 v[146:147], v[124:125], v[120:121]
	s_wait_loadcnt 0x4
	s_delay_alu instid0(VALU_DEP_1)
	v_fmac_f64_e32 v[146:147], v[126:127], v[122:123]
	ds_load_2addr_b64 v[120:123], v2 offset0:105 offset1:106
	ds_load_2addr_b64 v[124:127], v2 offset0:107 offset1:108
	s_wait_dscnt 0x2
	v_fmac_f64_e32 v[146:147], v[128:129], v[138:139]
	s_wait_loadcnt 0x3
	s_delay_alu instid0(VALU_DEP_1) | instskip(SKIP_1) | instid1(VALU_DEP_1)
	v_fmac_f64_e32 v[146:147], v[130:131], v[140:141]
	s_wait_dscnt 0x1
	v_fmac_f64_e32 v[146:147], v[132:133], v[120:121]
	s_wait_loadcnt 0x2
	s_delay_alu instid0(VALU_DEP_1) | instskip(SKIP_4) | instid1(VALU_DEP_1)
	v_fmac_f64_e32 v[146:147], v[134:135], v[122:123]
	ds_load_2addr_b64 v[120:123], v2 offset0:109 offset1:110
	s_wait_dscnt 0x1
	v_fmac_f64_e32 v[146:147], v[136:137], v[124:125]
	s_wait_loadcnt 0x1
	v_fmac_f64_e32 v[146:147], v[116:117], v[126:127]
	s_wait_dscnt 0x0
	s_delay_alu instid0(VALU_DEP_1) | instskip(SKIP_1) | instid1(VALU_DEP_1)
	v_fmac_f64_e32 v[146:147], v[118:119], v[120:121]
	s_wait_loadcnt 0x0
	v_fmac_f64_e32 v[146:147], v[142:143], v[122:123]
	s_delay_alu instid0(VALU_DEP_1)
	v_add_f64_e64 v[2:3], v[114:115], -v[146:147]
	scratch_store_b64 off, v[2:3], off offset:320
	s_wait_xcnt 0x0
	v_cmpx_lt_u32_e32 39, v0
	s_cbranch_execz .LBB118_261
; %bb.260:
	scratch_load_b64 v[2:3], off, off offset:312
	v_mov_b64_e32 v[114:115], 0
	scratch_store_b64 off, v[114:115], off offset:312
	s_wait_loadcnt 0x0
	ds_store_b64 v1, v[2:3]
.LBB118_261:
	s_wait_xcnt 0x0
	s_or_b32 exec_lo, exec_lo, s0
	s_wait_storecnt_dscnt 0x0
	s_barrier_signal -1
	s_barrier_wait -1
	s_clause 0x5
	scratch_load_b128 v[114:117], off, off offset:312
	scratch_load_b128 v[118:121], off, off offset:328
	;; [unrolled: 1-line block ×6, first 2 shown]
	v_mov_b32_e32 v2, 0
	ds_load_b128 v[138:141], v2 offset:768
	ds_load_b128 v[142:145], v2 offset:784
	s_mov_b32 s0, exec_lo
	s_wait_loadcnt_dscnt 0x501
	v_fma_f64 v[146:147], v[116:117], v[138:139], 0
	s_wait_loadcnt 0x4
	s_delay_alu instid0(VALU_DEP_1) | instskip(SKIP_4) | instid1(VALU_DEP_1)
	v_fmac_f64_e32 v[146:147], v[118:119], v[140:141]
	scratch_load_b128 v[116:119], off, off offset:408
	s_wait_dscnt 0x0
	v_fmac_f64_e32 v[146:147], v[120:121], v[142:143]
	s_wait_loadcnt 0x4
	v_fmac_f64_e32 v[146:147], v[122:123], v[144:145]
	scratch_load_b128 v[120:123], off, off offset:424
	ds_load_b128 v[138:141], v2 offset:800
	ds_load_b128 v[142:145], v2 offset:816
	s_wait_dscnt 0x1
	v_fmac_f64_e32 v[146:147], v[124:125], v[138:139]
	s_wait_loadcnt 0x4
	s_delay_alu instid0(VALU_DEP_1) | instskip(SKIP_1) | instid1(VALU_DEP_1)
	v_fmac_f64_e32 v[146:147], v[126:127], v[140:141]
	s_wait_dscnt 0x0
	v_fmac_f64_e32 v[146:147], v[128:129], v[142:143]
	s_wait_loadcnt 0x3
	s_delay_alu instid0(VALU_DEP_1)
	v_fmac_f64_e32 v[146:147], v[130:131], v[144:145]
	ds_load_b128 v[124:127], v2 offset:832
	ds_load_b128 v[128:131], v2 offset:848
	s_wait_dscnt 0x1
	v_fmac_f64_e32 v[146:147], v[132:133], v[124:125]
	s_wait_loadcnt 0x2
	s_delay_alu instid0(VALU_DEP_1) | instskip(SKIP_1) | instid1(VALU_DEP_1)
	v_fmac_f64_e32 v[146:147], v[134:135], v[126:127]
	s_wait_dscnt 0x0
	v_fmac_f64_e32 v[146:147], v[136:137], v[128:129]
	s_wait_loadcnt 0x1
	s_delay_alu instid0(VALU_DEP_1)
	v_fmac_f64_e32 v[146:147], v[116:117], v[130:131]
	ds_load_b128 v[124:127], v2 offset:864
	ds_load_b64 v[116:117], v2 offset:880
	s_wait_dscnt 0x1
	v_fmac_f64_e32 v[146:147], v[118:119], v[124:125]
	s_wait_loadcnt 0x0
	s_delay_alu instid0(VALU_DEP_1) | instskip(SKIP_1) | instid1(VALU_DEP_1)
	v_fmac_f64_e32 v[146:147], v[120:121], v[126:127]
	s_wait_dscnt 0x0
	v_fmac_f64_e32 v[146:147], v[122:123], v[116:117]
	s_delay_alu instid0(VALU_DEP_1)
	v_add_f64_e64 v[114:115], v[114:115], -v[146:147]
	scratch_store_b64 off, v[114:115], off offset:312
	s_wait_xcnt 0x0
	v_cmpx_lt_u32_e32 38, v0
	s_cbranch_execz .LBB118_263
; %bb.262:
	scratch_load_b64 v[114:115], off, off offset:304
	v_mov_b64_e32 v[116:117], 0
	scratch_store_b64 off, v[116:117], off offset:304
	s_wait_loadcnt 0x0
	ds_store_b64 v1, v[114:115]
.LBB118_263:
	s_wait_xcnt 0x0
	s_or_b32 exec_lo, exec_lo, s0
	s_wait_storecnt_dscnt 0x0
	s_barrier_signal -1
	s_barrier_wait -1
	s_clause 0x5
	scratch_load_b128 v[114:117], off, off offset:304
	scratch_load_b128 v[118:121], off, off offset:320
	;; [unrolled: 1-line block ×6, first 2 shown]
	ds_load_2addr_b64 v[138:141], v2 offset0:95 offset1:96
	ds_load_2addr_b64 v[142:145], v2 offset0:97 offset1:98
	s_mov_b32 s0, exec_lo
	s_wait_loadcnt_dscnt 0x501
	v_fma_f64 v[146:147], v[116:117], v[138:139], 0
	s_wait_loadcnt 0x4
	s_delay_alu instid0(VALU_DEP_1) | instskip(SKIP_4) | instid1(VALU_DEP_1)
	v_fmac_f64_e32 v[146:147], v[118:119], v[140:141]
	scratch_load_b128 v[116:119], off, off offset:400
	s_wait_dscnt 0x0
	v_fmac_f64_e32 v[146:147], v[120:121], v[142:143]
	s_wait_loadcnt 0x4
	v_fmac_f64_e32 v[146:147], v[122:123], v[144:145]
	scratch_load_b128 v[120:123], off, off offset:416
	ds_load_2addr_b64 v[138:141], v2 offset0:99 offset1:100
	ds_load_2addr_b64 v[142:145], v2 offset0:101 offset1:102
	s_wait_dscnt 0x1
	v_fmac_f64_e32 v[146:147], v[124:125], v[138:139]
	scratch_load_b64 v[138:139], off, off offset:432
	s_wait_loadcnt 0x5
	v_fmac_f64_e32 v[146:147], v[126:127], v[140:141]
	s_wait_dscnt 0x0
	s_delay_alu instid0(VALU_DEP_1) | instskip(SKIP_1) | instid1(VALU_DEP_1)
	v_fmac_f64_e32 v[146:147], v[128:129], v[142:143]
	s_wait_loadcnt 0x4
	v_fmac_f64_e32 v[146:147], v[130:131], v[144:145]
	ds_load_2addr_b64 v[124:127], v2 offset0:103 offset1:104
	ds_load_2addr_b64 v[128:131], v2 offset0:105 offset1:106
	s_wait_dscnt 0x1
	v_fmac_f64_e32 v[146:147], v[132:133], v[124:125]
	s_wait_loadcnt 0x3
	s_delay_alu instid0(VALU_DEP_1) | instskip(SKIP_1) | instid1(VALU_DEP_1)
	v_fmac_f64_e32 v[146:147], v[134:135], v[126:127]
	s_wait_dscnt 0x0
	v_fmac_f64_e32 v[146:147], v[136:137], v[128:129]
	s_wait_loadcnt 0x2
	s_delay_alu instid0(VALU_DEP_1)
	v_fmac_f64_e32 v[146:147], v[116:117], v[130:131]
	ds_load_2addr_b64 v[124:127], v2 offset0:107 offset1:108
	ds_load_2addr_b64 v[128:131], v2 offset0:109 offset1:110
	s_wait_dscnt 0x1
	v_fmac_f64_e32 v[146:147], v[118:119], v[124:125]
	s_wait_loadcnt 0x1
	s_delay_alu instid0(VALU_DEP_1) | instskip(SKIP_1) | instid1(VALU_DEP_1)
	v_fmac_f64_e32 v[146:147], v[120:121], v[126:127]
	s_wait_dscnt 0x0
	v_fmac_f64_e32 v[146:147], v[122:123], v[128:129]
	s_wait_loadcnt 0x0
	s_delay_alu instid0(VALU_DEP_1) | instskip(NEXT) | instid1(VALU_DEP_1)
	v_fmac_f64_e32 v[146:147], v[138:139], v[130:131]
	v_add_f64_e64 v[2:3], v[114:115], -v[146:147]
	scratch_store_b64 off, v[2:3], off offset:304
	s_wait_xcnt 0x0
	v_cmpx_lt_u32_e32 37, v0
	s_cbranch_execz .LBB118_265
; %bb.264:
	scratch_load_b64 v[2:3], off, off offset:296
	v_mov_b64_e32 v[114:115], 0
	scratch_store_b64 off, v[114:115], off offset:296
	s_wait_loadcnt 0x0
	ds_store_b64 v1, v[2:3]
.LBB118_265:
	s_wait_xcnt 0x0
	s_or_b32 exec_lo, exec_lo, s0
	s_wait_storecnt_dscnt 0x0
	s_barrier_signal -1
	s_barrier_wait -1
	s_clause 0x5
	scratch_load_b128 v[114:117], off, off offset:296
	scratch_load_b128 v[118:121], off, off offset:312
	;; [unrolled: 1-line block ×6, first 2 shown]
	v_mov_b32_e32 v2, 0
	ds_load_b128 v[138:141], v2 offset:752
	ds_load_b128 v[142:145], v2 offset:768
	s_mov_b32 s0, exec_lo
	s_wait_loadcnt_dscnt 0x501
	v_fma_f64 v[146:147], v[116:117], v[138:139], 0
	s_wait_loadcnt 0x4
	s_delay_alu instid0(VALU_DEP_1) | instskip(SKIP_4) | instid1(VALU_DEP_1)
	v_fmac_f64_e32 v[146:147], v[118:119], v[140:141]
	scratch_load_b128 v[116:119], off, off offset:392
	s_wait_dscnt 0x0
	v_fmac_f64_e32 v[146:147], v[120:121], v[142:143]
	s_wait_loadcnt 0x4
	v_fmac_f64_e32 v[146:147], v[122:123], v[144:145]
	scratch_load_b128 v[120:123], off, off offset:408
	ds_load_b128 v[138:141], v2 offset:784
	ds_load_b128 v[142:145], v2 offset:800
	s_wait_dscnt 0x1
	v_fmac_f64_e32 v[146:147], v[124:125], v[138:139]
	s_wait_loadcnt 0x4
	s_delay_alu instid0(VALU_DEP_1) | instskip(SKIP_4) | instid1(VALU_DEP_1)
	v_fmac_f64_e32 v[146:147], v[126:127], v[140:141]
	scratch_load_b128 v[124:127], off, off offset:424
	s_wait_dscnt 0x0
	v_fmac_f64_e32 v[146:147], v[128:129], v[142:143]
	s_wait_loadcnt 0x4
	v_fmac_f64_e32 v[146:147], v[130:131], v[144:145]
	ds_load_b128 v[128:131], v2 offset:816
	ds_load_b128 v[138:141], v2 offset:832
	s_wait_dscnt 0x1
	v_fmac_f64_e32 v[146:147], v[132:133], v[128:129]
	s_wait_loadcnt 0x3
	s_delay_alu instid0(VALU_DEP_1)
	v_fmac_f64_e32 v[146:147], v[134:135], v[130:131]
	ds_load_b128 v[128:131], v2 offset:848
	ds_load_b128 v[132:135], v2 offset:864
	s_wait_dscnt 0x2
	v_fmac_f64_e32 v[146:147], v[136:137], v[138:139]
	s_wait_loadcnt 0x2
	s_delay_alu instid0(VALU_DEP_1) | instskip(SKIP_4) | instid1(VALU_DEP_1)
	v_fmac_f64_e32 v[146:147], v[116:117], v[140:141]
	ds_load_b64 v[116:117], v2 offset:880
	s_wait_dscnt 0x2
	v_fmac_f64_e32 v[146:147], v[118:119], v[128:129]
	s_wait_loadcnt 0x1
	v_fmac_f64_e32 v[146:147], v[120:121], v[130:131]
	s_wait_dscnt 0x1
	s_delay_alu instid0(VALU_DEP_1) | instskip(SKIP_1) | instid1(VALU_DEP_1)
	v_fmac_f64_e32 v[146:147], v[122:123], v[132:133]
	s_wait_loadcnt 0x0
	v_fmac_f64_e32 v[146:147], v[124:125], v[134:135]
	s_wait_dscnt 0x0
	s_delay_alu instid0(VALU_DEP_1) | instskip(NEXT) | instid1(VALU_DEP_1)
	v_fmac_f64_e32 v[146:147], v[126:127], v[116:117]
	v_add_f64_e64 v[114:115], v[114:115], -v[146:147]
	scratch_store_b64 off, v[114:115], off offset:296
	s_wait_xcnt 0x0
	v_cmpx_lt_u32_e32 36, v0
	s_cbranch_execz .LBB118_267
; %bb.266:
	scratch_load_b64 v[114:115], off, off offset:288
	v_mov_b64_e32 v[116:117], 0
	scratch_store_b64 off, v[116:117], off offset:288
	s_wait_loadcnt 0x0
	ds_store_b64 v1, v[114:115]
.LBB118_267:
	s_wait_xcnt 0x0
	s_or_b32 exec_lo, exec_lo, s0
	s_wait_storecnt_dscnt 0x0
	s_barrier_signal -1
	s_barrier_wait -1
	s_clause 0x5
	scratch_load_b128 v[114:117], off, off offset:288
	scratch_load_b128 v[118:121], off, off offset:304
	;; [unrolled: 1-line block ×6, first 2 shown]
	ds_load_2addr_b64 v[138:141], v2 offset0:93 offset1:94
	ds_load_2addr_b64 v[142:145], v2 offset0:95 offset1:96
	s_mov_b32 s0, exec_lo
	s_wait_loadcnt_dscnt 0x501
	v_fma_f64 v[146:147], v[116:117], v[138:139], 0
	s_wait_loadcnt 0x4
	s_delay_alu instid0(VALU_DEP_1) | instskip(SKIP_4) | instid1(VALU_DEP_1)
	v_fmac_f64_e32 v[146:147], v[118:119], v[140:141]
	scratch_load_b128 v[116:119], off, off offset:384
	s_wait_dscnt 0x0
	v_fmac_f64_e32 v[146:147], v[120:121], v[142:143]
	s_wait_loadcnt 0x4
	v_fmac_f64_e32 v[146:147], v[122:123], v[144:145]
	scratch_load_b128 v[120:123], off, off offset:400
	ds_load_2addr_b64 v[138:141], v2 offset0:97 offset1:98
	ds_load_2addr_b64 v[142:145], v2 offset0:99 offset1:100
	s_wait_dscnt 0x1
	v_fmac_f64_e32 v[146:147], v[124:125], v[138:139]
	s_wait_loadcnt 0x4
	s_delay_alu instid0(VALU_DEP_1)
	v_fmac_f64_e32 v[146:147], v[126:127], v[140:141]
	scratch_load_b128 v[124:127], off, off offset:416
	s_wait_dscnt 0x0
	v_fmac_f64_e32 v[146:147], v[128:129], v[142:143]
	scratch_load_b64 v[142:143], off, off offset:432
	s_wait_loadcnt 0x5
	v_fmac_f64_e32 v[146:147], v[130:131], v[144:145]
	ds_load_2addr_b64 v[128:131], v2 offset0:101 offset1:102
	ds_load_2addr_b64 v[138:141], v2 offset0:103 offset1:104
	s_wait_dscnt 0x1
	v_fmac_f64_e32 v[146:147], v[132:133], v[128:129]
	s_wait_loadcnt 0x4
	s_delay_alu instid0(VALU_DEP_1)
	v_fmac_f64_e32 v[146:147], v[134:135], v[130:131]
	ds_load_2addr_b64 v[128:131], v2 offset0:105 offset1:106
	ds_load_2addr_b64 v[132:135], v2 offset0:107 offset1:108
	s_wait_dscnt 0x2
	v_fmac_f64_e32 v[146:147], v[136:137], v[138:139]
	s_wait_loadcnt 0x3
	s_delay_alu instid0(VALU_DEP_1) | instskip(SKIP_1) | instid1(VALU_DEP_1)
	v_fmac_f64_e32 v[146:147], v[116:117], v[140:141]
	s_wait_dscnt 0x1
	v_fmac_f64_e32 v[146:147], v[118:119], v[128:129]
	ds_load_2addr_b64 v[116:119], v2 offset0:109 offset1:110
	s_wait_loadcnt 0x2
	v_fmac_f64_e32 v[146:147], v[120:121], v[130:131]
	s_wait_dscnt 0x1
	s_delay_alu instid0(VALU_DEP_1) | instskip(SKIP_1) | instid1(VALU_DEP_1)
	v_fmac_f64_e32 v[146:147], v[122:123], v[132:133]
	s_wait_loadcnt 0x1
	v_fmac_f64_e32 v[146:147], v[124:125], v[134:135]
	s_wait_dscnt 0x0
	s_delay_alu instid0(VALU_DEP_1) | instskip(SKIP_1) | instid1(VALU_DEP_1)
	v_fmac_f64_e32 v[146:147], v[126:127], v[116:117]
	s_wait_loadcnt 0x0
	v_fmac_f64_e32 v[146:147], v[142:143], v[118:119]
	s_delay_alu instid0(VALU_DEP_1)
	v_add_f64_e64 v[2:3], v[114:115], -v[146:147]
	scratch_store_b64 off, v[2:3], off offset:288
	s_wait_xcnt 0x0
	v_cmpx_lt_u32_e32 35, v0
	s_cbranch_execz .LBB118_269
; %bb.268:
	scratch_load_b64 v[2:3], off, off offset:280
	v_mov_b64_e32 v[114:115], 0
	scratch_store_b64 off, v[114:115], off offset:280
	s_wait_loadcnt 0x0
	ds_store_b64 v1, v[2:3]
.LBB118_269:
	s_wait_xcnt 0x0
	s_or_b32 exec_lo, exec_lo, s0
	s_wait_storecnt_dscnt 0x0
	s_barrier_signal -1
	s_barrier_wait -1
	s_clause 0x5
	scratch_load_b128 v[114:117], off, off offset:280
	scratch_load_b128 v[118:121], off, off offset:296
	;; [unrolled: 1-line block ×6, first 2 shown]
	v_mov_b32_e32 v2, 0
	ds_load_b128 v[138:141], v2 offset:736
	ds_load_b128 v[142:145], v2 offset:752
	s_mov_b32 s0, exec_lo
	s_wait_loadcnt_dscnt 0x501
	v_fma_f64 v[146:147], v[116:117], v[138:139], 0
	s_wait_loadcnt 0x4
	s_delay_alu instid0(VALU_DEP_1) | instskip(SKIP_4) | instid1(VALU_DEP_1)
	v_fmac_f64_e32 v[146:147], v[118:119], v[140:141]
	scratch_load_b128 v[116:119], off, off offset:376
	s_wait_dscnt 0x0
	v_fmac_f64_e32 v[146:147], v[120:121], v[142:143]
	s_wait_loadcnt 0x4
	v_fmac_f64_e32 v[146:147], v[122:123], v[144:145]
	scratch_load_b128 v[120:123], off, off offset:392
	ds_load_b128 v[138:141], v2 offset:768
	ds_load_b128 v[142:145], v2 offset:784
	s_wait_dscnt 0x1
	v_fmac_f64_e32 v[146:147], v[124:125], v[138:139]
	s_wait_loadcnt 0x4
	s_delay_alu instid0(VALU_DEP_1) | instskip(SKIP_4) | instid1(VALU_DEP_1)
	v_fmac_f64_e32 v[146:147], v[126:127], v[140:141]
	scratch_load_b128 v[124:127], off, off offset:408
	s_wait_dscnt 0x0
	v_fmac_f64_e32 v[146:147], v[128:129], v[142:143]
	s_wait_loadcnt 0x4
	v_fmac_f64_e32 v[146:147], v[130:131], v[144:145]
	scratch_load_b128 v[128:131], off, off offset:424
	ds_load_b128 v[138:141], v2 offset:800
	ds_load_b128 v[142:145], v2 offset:816
	s_wait_dscnt 0x1
	v_fmac_f64_e32 v[146:147], v[132:133], v[138:139]
	s_wait_loadcnt 0x4
	s_delay_alu instid0(VALU_DEP_1) | instskip(SKIP_1) | instid1(VALU_DEP_1)
	v_fmac_f64_e32 v[146:147], v[134:135], v[140:141]
	s_wait_dscnt 0x0
	v_fmac_f64_e32 v[146:147], v[136:137], v[142:143]
	ds_load_b128 v[132:135], v2 offset:832
	ds_load_b128 v[136:139], v2 offset:848
	s_wait_loadcnt 0x3
	v_fmac_f64_e32 v[146:147], v[116:117], v[144:145]
	s_wait_dscnt 0x1
	s_delay_alu instid0(VALU_DEP_1) | instskip(SKIP_1) | instid1(VALU_DEP_1)
	v_fmac_f64_e32 v[146:147], v[118:119], v[132:133]
	s_wait_loadcnt 0x2
	v_fmac_f64_e32 v[146:147], v[120:121], v[134:135]
	ds_load_b128 v[116:119], v2 offset:864
	ds_load_b64 v[120:121], v2 offset:880
	s_wait_dscnt 0x2
	v_fmac_f64_e32 v[146:147], v[122:123], v[136:137]
	s_wait_loadcnt 0x1
	s_delay_alu instid0(VALU_DEP_1) | instskip(SKIP_1) | instid1(VALU_DEP_1)
	v_fmac_f64_e32 v[146:147], v[124:125], v[138:139]
	s_wait_dscnt 0x1
	v_fmac_f64_e32 v[146:147], v[126:127], v[116:117]
	s_wait_loadcnt 0x0
	s_delay_alu instid0(VALU_DEP_1) | instskip(SKIP_1) | instid1(VALU_DEP_1)
	v_fmac_f64_e32 v[146:147], v[128:129], v[118:119]
	s_wait_dscnt 0x0
	v_fmac_f64_e32 v[146:147], v[130:131], v[120:121]
	s_delay_alu instid0(VALU_DEP_1)
	v_add_f64_e64 v[114:115], v[114:115], -v[146:147]
	scratch_store_b64 off, v[114:115], off offset:280
	s_wait_xcnt 0x0
	v_cmpx_lt_u32_e32 34, v0
	s_cbranch_execz .LBB118_271
; %bb.270:
	scratch_load_b64 v[114:115], off, off offset:272
	v_mov_b64_e32 v[116:117], 0
	scratch_store_b64 off, v[116:117], off offset:272
	s_wait_loadcnt 0x0
	ds_store_b64 v1, v[114:115]
.LBB118_271:
	s_wait_xcnt 0x0
	s_or_b32 exec_lo, exec_lo, s0
	s_wait_storecnt_dscnt 0x0
	s_barrier_signal -1
	s_barrier_wait -1
	s_clause 0x5
	scratch_load_b128 v[114:117], off, off offset:272
	scratch_load_b128 v[118:121], off, off offset:288
	;; [unrolled: 1-line block ×6, first 2 shown]
	ds_load_2addr_b64 v[138:141], v2 offset0:91 offset1:92
	ds_load_2addr_b64 v[142:145], v2 offset0:93 offset1:94
	s_mov_b32 s0, exec_lo
	s_wait_loadcnt_dscnt 0x501
	v_fma_f64 v[146:147], v[116:117], v[138:139], 0
	s_wait_loadcnt 0x4
	s_delay_alu instid0(VALU_DEP_1) | instskip(SKIP_4) | instid1(VALU_DEP_1)
	v_fmac_f64_e32 v[146:147], v[118:119], v[140:141]
	scratch_load_b128 v[116:119], off, off offset:368
	s_wait_dscnt 0x0
	v_fmac_f64_e32 v[146:147], v[120:121], v[142:143]
	s_wait_loadcnt 0x4
	v_fmac_f64_e32 v[146:147], v[122:123], v[144:145]
	scratch_load_b128 v[120:123], off, off offset:384
	ds_load_2addr_b64 v[138:141], v2 offset0:95 offset1:96
	ds_load_2addr_b64 v[142:145], v2 offset0:97 offset1:98
	s_wait_dscnt 0x1
	v_fmac_f64_e32 v[146:147], v[124:125], v[138:139]
	s_wait_loadcnt 0x4
	s_delay_alu instid0(VALU_DEP_1) | instskip(SKIP_4) | instid1(VALU_DEP_1)
	v_fmac_f64_e32 v[146:147], v[126:127], v[140:141]
	scratch_load_b128 v[124:127], off, off offset:400
	s_wait_dscnt 0x0
	v_fmac_f64_e32 v[146:147], v[128:129], v[142:143]
	s_wait_loadcnt 0x4
	v_fmac_f64_e32 v[146:147], v[130:131], v[144:145]
	scratch_load_b128 v[128:131], off, off offset:416
	ds_load_2addr_b64 v[138:141], v2 offset0:99 offset1:100
	ds_load_2addr_b64 v[142:145], v2 offset0:101 offset1:102
	s_wait_dscnt 0x1
	v_fmac_f64_e32 v[146:147], v[132:133], v[138:139]
	s_wait_loadcnt 0x4
	s_delay_alu instid0(VALU_DEP_1)
	v_fmac_f64_e32 v[146:147], v[134:135], v[140:141]
	scratch_load_b64 v[140:141], off, off offset:432
	s_wait_dscnt 0x0
	v_fmac_f64_e32 v[146:147], v[136:137], v[142:143]
	ds_load_2addr_b64 v[132:135], v2 offset0:103 offset1:104
	ds_load_2addr_b64 v[136:139], v2 offset0:105 offset1:106
	s_wait_loadcnt 0x4
	v_fmac_f64_e32 v[146:147], v[116:117], v[144:145]
	s_wait_dscnt 0x1
	s_delay_alu instid0(VALU_DEP_1) | instskip(SKIP_1) | instid1(VALU_DEP_1)
	v_fmac_f64_e32 v[146:147], v[118:119], v[132:133]
	s_wait_loadcnt 0x3
	v_fmac_f64_e32 v[146:147], v[120:121], v[134:135]
	s_wait_dscnt 0x0
	s_delay_alu instid0(VALU_DEP_1)
	v_fmac_f64_e32 v[146:147], v[122:123], v[136:137]
	ds_load_2addr_b64 v[116:119], v2 offset0:107 offset1:108
	ds_load_2addr_b64 v[120:123], v2 offset0:109 offset1:110
	s_wait_loadcnt 0x2
	v_fmac_f64_e32 v[146:147], v[124:125], v[138:139]
	s_wait_dscnt 0x1
	s_delay_alu instid0(VALU_DEP_1) | instskip(SKIP_1) | instid1(VALU_DEP_1)
	v_fmac_f64_e32 v[146:147], v[126:127], v[116:117]
	s_wait_loadcnt 0x1
	v_fmac_f64_e32 v[146:147], v[128:129], v[118:119]
	s_wait_dscnt 0x0
	s_delay_alu instid0(VALU_DEP_1) | instskip(SKIP_1) | instid1(VALU_DEP_1)
	v_fmac_f64_e32 v[146:147], v[130:131], v[120:121]
	s_wait_loadcnt 0x0
	v_fmac_f64_e32 v[146:147], v[140:141], v[122:123]
	s_delay_alu instid0(VALU_DEP_1)
	v_add_f64_e64 v[2:3], v[114:115], -v[146:147]
	scratch_store_b64 off, v[2:3], off offset:272
	s_wait_xcnt 0x0
	v_cmpx_lt_u32_e32 33, v0
	s_cbranch_execz .LBB118_273
; %bb.272:
	scratch_load_b64 v[2:3], off, off offset:264
	v_mov_b64_e32 v[114:115], 0
	scratch_store_b64 off, v[114:115], off offset:264
	s_wait_loadcnt 0x0
	ds_store_b64 v1, v[2:3]
.LBB118_273:
	s_wait_xcnt 0x0
	s_or_b32 exec_lo, exec_lo, s0
	s_wait_storecnt_dscnt 0x0
	s_barrier_signal -1
	s_barrier_wait -1
	s_clause 0x5
	scratch_load_b128 v[114:117], off, off offset:264
	scratch_load_b128 v[118:121], off, off offset:280
	;; [unrolled: 1-line block ×6, first 2 shown]
	v_mov_b32_e32 v2, 0
	ds_load_b128 v[138:141], v2 offset:720
	ds_load_b128 v[142:145], v2 offset:736
	s_mov_b32 s0, exec_lo
	s_wait_loadcnt_dscnt 0x501
	v_fma_f64 v[146:147], v[116:117], v[138:139], 0
	s_wait_loadcnt 0x4
	s_delay_alu instid0(VALU_DEP_1) | instskip(SKIP_4) | instid1(VALU_DEP_1)
	v_fmac_f64_e32 v[146:147], v[118:119], v[140:141]
	scratch_load_b128 v[116:119], off, off offset:360
	s_wait_dscnt 0x0
	v_fmac_f64_e32 v[146:147], v[120:121], v[142:143]
	s_wait_loadcnt 0x4
	v_fmac_f64_e32 v[146:147], v[122:123], v[144:145]
	scratch_load_b128 v[120:123], off, off offset:376
	ds_load_b128 v[138:141], v2 offset:752
	ds_load_b128 v[142:145], v2 offset:768
	s_wait_dscnt 0x1
	v_fmac_f64_e32 v[146:147], v[124:125], v[138:139]
	s_wait_loadcnt 0x4
	s_delay_alu instid0(VALU_DEP_1) | instskip(SKIP_4) | instid1(VALU_DEP_1)
	v_fmac_f64_e32 v[146:147], v[126:127], v[140:141]
	scratch_load_b128 v[124:127], off, off offset:392
	s_wait_dscnt 0x0
	v_fmac_f64_e32 v[146:147], v[128:129], v[142:143]
	s_wait_loadcnt 0x4
	v_fmac_f64_e32 v[146:147], v[130:131], v[144:145]
	scratch_load_b128 v[128:131], off, off offset:408
	ds_load_b128 v[138:141], v2 offset:784
	ds_load_b128 v[142:145], v2 offset:800
	s_wait_dscnt 0x1
	v_fmac_f64_e32 v[146:147], v[132:133], v[138:139]
	s_wait_loadcnt 0x4
	s_delay_alu instid0(VALU_DEP_1)
	v_fmac_f64_e32 v[146:147], v[134:135], v[140:141]
	scratch_load_b128 v[132:135], off, off offset:424
	s_wait_dscnt 0x0
	v_fmac_f64_e32 v[146:147], v[136:137], v[142:143]
	ds_load_b128 v[136:139], v2 offset:816
	ds_load_b128 v[140:143], v2 offset:832
	s_wait_loadcnt 0x4
	v_fmac_f64_e32 v[146:147], v[116:117], v[144:145]
	s_wait_dscnt 0x1
	s_delay_alu instid0(VALU_DEP_1) | instskip(SKIP_1) | instid1(VALU_DEP_1)
	v_fmac_f64_e32 v[146:147], v[118:119], v[136:137]
	s_wait_loadcnt 0x3
	v_fmac_f64_e32 v[146:147], v[120:121], v[138:139]
	s_wait_dscnt 0x0
	s_delay_alu instid0(VALU_DEP_1)
	v_fmac_f64_e32 v[146:147], v[122:123], v[140:141]
	ds_load_b128 v[116:119], v2 offset:848
	ds_load_b128 v[120:123], v2 offset:864
	s_wait_loadcnt 0x2
	v_fmac_f64_e32 v[146:147], v[124:125], v[142:143]
	s_wait_dscnt 0x1
	s_delay_alu instid0(VALU_DEP_1) | instskip(SKIP_4) | instid1(VALU_DEP_1)
	v_fmac_f64_e32 v[146:147], v[126:127], v[116:117]
	ds_load_b64 v[116:117], v2 offset:880
	s_wait_loadcnt 0x1
	v_fmac_f64_e32 v[146:147], v[128:129], v[118:119]
	s_wait_dscnt 0x1
	v_fmac_f64_e32 v[146:147], v[130:131], v[120:121]
	s_wait_loadcnt 0x0
	s_delay_alu instid0(VALU_DEP_1) | instskip(SKIP_1) | instid1(VALU_DEP_1)
	v_fmac_f64_e32 v[146:147], v[132:133], v[122:123]
	s_wait_dscnt 0x0
	v_fmac_f64_e32 v[146:147], v[134:135], v[116:117]
	s_delay_alu instid0(VALU_DEP_1)
	v_add_f64_e64 v[114:115], v[114:115], -v[146:147]
	scratch_store_b64 off, v[114:115], off offset:264
	s_wait_xcnt 0x0
	v_cmpx_lt_u32_e32 32, v0
	s_cbranch_execz .LBB118_275
; %bb.274:
	scratch_load_b64 v[114:115], off, off offset:256
	v_mov_b64_e32 v[116:117], 0
	scratch_store_b64 off, v[116:117], off offset:256
	s_wait_loadcnt 0x0
	ds_store_b64 v1, v[114:115]
.LBB118_275:
	s_wait_xcnt 0x0
	s_or_b32 exec_lo, exec_lo, s0
	s_wait_storecnt_dscnt 0x0
	s_barrier_signal -1
	s_barrier_wait -1
	s_clause 0x5
	scratch_load_b128 v[114:117], off, off offset:256
	scratch_load_b128 v[118:121], off, off offset:272
	;; [unrolled: 1-line block ×6, first 2 shown]
	ds_load_2addr_b64 v[138:141], v2 offset0:89 offset1:90
	ds_load_2addr_b64 v[142:145], v2 offset0:91 offset1:92
	scratch_load_b128 v[146:149], off, off offset:352
	s_mov_b32 s0, exec_lo
	s_wait_loadcnt_dscnt 0x601
	v_fma_f64 v[150:151], v[116:117], v[138:139], 0
	s_wait_loadcnt 0x5
	s_delay_alu instid0(VALU_DEP_1) | instskip(SKIP_4) | instid1(VALU_DEP_1)
	v_fmac_f64_e32 v[150:151], v[118:119], v[140:141]
	scratch_load_b128 v[116:119], off, off offset:368
	s_wait_dscnt 0x0
	v_fmac_f64_e32 v[150:151], v[120:121], v[142:143]
	s_wait_loadcnt 0x5
	v_fmac_f64_e32 v[150:151], v[122:123], v[144:145]
	ds_load_2addr_b64 v[120:123], v2 offset0:93 offset1:94
	ds_load_2addr_b64 v[138:141], v2 offset0:95 offset1:96
	s_wait_dscnt 0x1
	v_fmac_f64_e32 v[150:151], v[124:125], v[120:121]
	s_wait_loadcnt 0x4
	s_delay_alu instid0(VALU_DEP_1)
	v_fmac_f64_e32 v[150:151], v[126:127], v[122:123]
	s_clause 0x1
	scratch_load_b128 v[120:123], off, off offset:384
	scratch_load_b128 v[124:127], off, off offset:400
	s_wait_dscnt 0x0
	v_fmac_f64_e32 v[150:151], v[128:129], v[138:139]
	s_wait_loadcnt 0x5
	s_delay_alu instid0(VALU_DEP_1)
	v_fmac_f64_e32 v[150:151], v[130:131], v[140:141]
	ds_load_2addr_b64 v[128:131], v2 offset0:97 offset1:98
	ds_load_2addr_b64 v[138:141], v2 offset0:99 offset1:100
	s_wait_dscnt 0x1
	v_fmac_f64_e32 v[150:151], v[132:133], v[128:129]
	s_wait_loadcnt 0x4
	s_delay_alu instid0(VALU_DEP_1) | instskip(SKIP_4) | instid1(VALU_DEP_1)
	v_fmac_f64_e32 v[150:151], v[134:135], v[130:131]
	scratch_load_b128 v[128:131], off, off offset:416
	s_wait_dscnt 0x0
	v_fmac_f64_e32 v[150:151], v[136:137], v[138:139]
	s_wait_loadcnt 0x4
	v_fmac_f64_e32 v[150:151], v[146:147], v[140:141]
	scratch_load_b64 v[140:141], off, off offset:432
	ds_load_2addr_b64 v[132:135], v2 offset0:101 offset1:102
	ds_load_2addr_b64 v[136:139], v2 offset0:103 offset1:104
	s_wait_dscnt 0x1
	v_fmac_f64_e32 v[150:151], v[148:149], v[132:133]
	s_wait_loadcnt 0x4
	s_delay_alu instid0(VALU_DEP_1) | instskip(SKIP_1) | instid1(VALU_DEP_1)
	v_fmac_f64_e32 v[150:151], v[116:117], v[134:135]
	s_wait_dscnt 0x0
	v_fmac_f64_e32 v[150:151], v[118:119], v[136:137]
	ds_load_2addr_b64 v[116:119], v2 offset0:105 offset1:106
	ds_load_2addr_b64 v[132:135], v2 offset0:107 offset1:108
	s_wait_loadcnt 0x3
	v_fmac_f64_e32 v[150:151], v[120:121], v[138:139]
	s_wait_dscnt 0x1
	s_delay_alu instid0(VALU_DEP_1) | instskip(SKIP_1) | instid1(VALU_DEP_1)
	v_fmac_f64_e32 v[150:151], v[122:123], v[116:117]
	s_wait_loadcnt 0x2
	v_fmac_f64_e32 v[150:151], v[124:125], v[118:119]
	ds_load_2addr_b64 v[116:119], v2 offset0:109 offset1:110
	s_wait_dscnt 0x1
	v_fmac_f64_e32 v[150:151], v[126:127], v[132:133]
	s_wait_loadcnt 0x1
	s_delay_alu instid0(VALU_DEP_1) | instskip(SKIP_1) | instid1(VALU_DEP_1)
	v_fmac_f64_e32 v[150:151], v[128:129], v[134:135]
	s_wait_dscnt 0x0
	v_fmac_f64_e32 v[150:151], v[130:131], v[116:117]
	s_wait_loadcnt 0x0
	s_delay_alu instid0(VALU_DEP_1) | instskip(NEXT) | instid1(VALU_DEP_1)
	v_fmac_f64_e32 v[150:151], v[140:141], v[118:119]
	v_add_f64_e64 v[2:3], v[114:115], -v[150:151]
	scratch_store_b64 off, v[2:3], off offset:256
	s_wait_xcnt 0x0
	v_cmpx_lt_u32_e32 31, v0
	s_cbranch_execz .LBB118_277
; %bb.276:
	scratch_load_b64 v[2:3], off, off offset:248
	v_mov_b64_e32 v[114:115], 0
	scratch_store_b64 off, v[114:115], off offset:248
	s_wait_loadcnt 0x0
	ds_store_b64 v1, v[2:3]
.LBB118_277:
	s_wait_xcnt 0x0
	s_or_b32 exec_lo, exec_lo, s0
	s_wait_storecnt_dscnt 0x0
	s_barrier_signal -1
	s_barrier_wait -1
	s_clause 0x5
	scratch_load_b128 v[114:117], off, off offset:248
	scratch_load_b128 v[118:121], off, off offset:264
	;; [unrolled: 1-line block ×6, first 2 shown]
	v_mov_b32_e32 v2, 0
	ds_load_b128 v[138:141], v2 offset:704
	ds_load_b128 v[142:145], v2 offset:720
	scratch_load_b128 v[146:149], off, off offset:344
	s_mov_b32 s0, exec_lo
	s_wait_loadcnt_dscnt 0x601
	v_fma_f64 v[150:151], v[116:117], v[138:139], 0
	s_wait_loadcnt 0x5
	s_delay_alu instid0(VALU_DEP_1) | instskip(SKIP_4) | instid1(VALU_DEP_1)
	v_fmac_f64_e32 v[150:151], v[118:119], v[140:141]
	scratch_load_b128 v[116:119], off, off offset:360
	s_wait_dscnt 0x0
	v_fmac_f64_e32 v[150:151], v[120:121], v[142:143]
	s_wait_loadcnt 0x5
	v_fmac_f64_e32 v[150:151], v[122:123], v[144:145]
	ds_load_b128 v[120:123], v2 offset:736
	ds_load_b128 v[138:141], v2 offset:752
	s_wait_dscnt 0x1
	v_fmac_f64_e32 v[150:151], v[124:125], v[120:121]
	s_wait_loadcnt 0x4
	s_delay_alu instid0(VALU_DEP_1)
	v_fmac_f64_e32 v[150:151], v[126:127], v[122:123]
	s_clause 0x1
	scratch_load_b128 v[120:123], off, off offset:376
	scratch_load_b128 v[124:127], off, off offset:392
	s_wait_dscnt 0x0
	v_fmac_f64_e32 v[150:151], v[128:129], v[138:139]
	s_wait_loadcnt 0x5
	s_delay_alu instid0(VALU_DEP_1)
	v_fmac_f64_e32 v[150:151], v[130:131], v[140:141]
	ds_load_b128 v[128:131], v2 offset:768
	ds_load_b128 v[138:141], v2 offset:784
	s_wait_dscnt 0x1
	v_fmac_f64_e32 v[150:151], v[132:133], v[128:129]
	s_wait_loadcnt 0x4
	s_delay_alu instid0(VALU_DEP_1)
	v_fmac_f64_e32 v[150:151], v[134:135], v[130:131]
	s_clause 0x1
	scratch_load_b128 v[128:131], off, off offset:408
	scratch_load_b128 v[132:135], off, off offset:424
	s_wait_dscnt 0x0
	v_fmac_f64_e32 v[150:151], v[136:137], v[138:139]
	s_wait_loadcnt 0x5
	s_delay_alu instid0(VALU_DEP_1)
	v_fmac_f64_e32 v[150:151], v[146:147], v[140:141]
	ds_load_b128 v[136:139], v2 offset:800
	ds_load_b128 v[140:143], v2 offset:816
	s_wait_dscnt 0x1
	v_fmac_f64_e32 v[150:151], v[148:149], v[136:137]
	s_wait_loadcnt 0x4
	s_delay_alu instid0(VALU_DEP_1) | instskip(SKIP_1) | instid1(VALU_DEP_1)
	v_fmac_f64_e32 v[150:151], v[116:117], v[138:139]
	s_wait_dscnt 0x0
	v_fmac_f64_e32 v[150:151], v[118:119], v[140:141]
	ds_load_b128 v[116:119], v2 offset:832
	ds_load_b128 v[136:139], v2 offset:848
	s_wait_loadcnt 0x3
	v_fmac_f64_e32 v[150:151], v[120:121], v[142:143]
	s_wait_dscnt 0x1
	s_delay_alu instid0(VALU_DEP_1) | instskip(SKIP_1) | instid1(VALU_DEP_1)
	v_fmac_f64_e32 v[150:151], v[122:123], v[116:117]
	s_wait_loadcnt 0x2
	v_fmac_f64_e32 v[150:151], v[124:125], v[118:119]
	ds_load_b128 v[116:119], v2 offset:864
	ds_load_b64 v[120:121], v2 offset:880
	s_wait_dscnt 0x2
	v_fmac_f64_e32 v[150:151], v[126:127], v[136:137]
	s_wait_loadcnt 0x1
	s_delay_alu instid0(VALU_DEP_1) | instskip(SKIP_1) | instid1(VALU_DEP_1)
	v_fmac_f64_e32 v[150:151], v[128:129], v[138:139]
	s_wait_dscnt 0x1
	v_fmac_f64_e32 v[150:151], v[130:131], v[116:117]
	s_wait_loadcnt 0x0
	s_delay_alu instid0(VALU_DEP_1) | instskip(SKIP_1) | instid1(VALU_DEP_1)
	v_fmac_f64_e32 v[150:151], v[132:133], v[118:119]
	s_wait_dscnt 0x0
	v_fmac_f64_e32 v[150:151], v[134:135], v[120:121]
	s_delay_alu instid0(VALU_DEP_1)
	v_add_f64_e64 v[114:115], v[114:115], -v[150:151]
	scratch_store_b64 off, v[114:115], off offset:248
	s_wait_xcnt 0x0
	v_cmpx_lt_u32_e32 30, v0
	s_cbranch_execz .LBB118_279
; %bb.278:
	scratch_load_b64 v[114:115], off, off offset:240
	v_mov_b64_e32 v[116:117], 0
	scratch_store_b64 off, v[116:117], off offset:240
	s_wait_loadcnt 0x0
	ds_store_b64 v1, v[114:115]
.LBB118_279:
	s_wait_xcnt 0x0
	s_or_b32 exec_lo, exec_lo, s0
	s_wait_storecnt_dscnt 0x0
	s_barrier_signal -1
	s_barrier_wait -1
	s_clause 0x5
	scratch_load_b128 v[114:117], off, off offset:240
	scratch_load_b128 v[118:121], off, off offset:256
	;; [unrolled: 1-line block ×6, first 2 shown]
	ds_load_2addr_b64 v[138:141], v2 offset0:87 offset1:88
	ds_load_2addr_b64 v[142:145], v2 offset0:89 offset1:90
	scratch_load_b128 v[146:149], off, off offset:336
	s_mov_b32 s0, exec_lo
	s_wait_loadcnt_dscnt 0x601
	v_fma_f64 v[150:151], v[116:117], v[138:139], 0
	s_wait_loadcnt 0x5
	s_delay_alu instid0(VALU_DEP_1) | instskip(SKIP_4) | instid1(VALU_DEP_1)
	v_fmac_f64_e32 v[150:151], v[118:119], v[140:141]
	scratch_load_b128 v[116:119], off, off offset:352
	s_wait_dscnt 0x0
	v_fmac_f64_e32 v[150:151], v[120:121], v[142:143]
	s_wait_loadcnt 0x5
	v_fmac_f64_e32 v[150:151], v[122:123], v[144:145]
	ds_load_2addr_b64 v[120:123], v2 offset0:91 offset1:92
	ds_load_2addr_b64 v[138:141], v2 offset0:93 offset1:94
	s_wait_dscnt 0x1
	v_fmac_f64_e32 v[150:151], v[124:125], v[120:121]
	s_wait_loadcnt 0x4
	s_delay_alu instid0(VALU_DEP_1)
	v_fmac_f64_e32 v[150:151], v[126:127], v[122:123]
	s_clause 0x1
	scratch_load_b128 v[120:123], off, off offset:368
	scratch_load_b128 v[124:127], off, off offset:384
	s_wait_dscnt 0x0
	v_fmac_f64_e32 v[150:151], v[128:129], v[138:139]
	s_wait_loadcnt 0x5
	s_delay_alu instid0(VALU_DEP_1)
	v_fmac_f64_e32 v[150:151], v[130:131], v[140:141]
	ds_load_2addr_b64 v[128:131], v2 offset0:95 offset1:96
	ds_load_2addr_b64 v[138:141], v2 offset0:97 offset1:98
	s_wait_dscnt 0x1
	v_fmac_f64_e32 v[150:151], v[132:133], v[128:129]
	s_wait_loadcnt 0x4
	s_delay_alu instid0(VALU_DEP_1)
	v_fmac_f64_e32 v[150:151], v[134:135], v[130:131]
	s_clause 0x1
	scratch_load_b128 v[128:131], off, off offset:400
	scratch_load_b128 v[132:135], off, off offset:416
	s_wait_dscnt 0x0
	v_fmac_f64_e32 v[150:151], v[136:137], v[138:139]
	s_wait_loadcnt 0x5
	s_delay_alu instid0(VALU_DEP_1)
	v_fmac_f64_e32 v[150:151], v[146:147], v[140:141]
	ds_load_2addr_b64 v[136:139], v2 offset0:99 offset1:100
	ds_load_2addr_b64 v[140:143], v2 offset0:101 offset1:102
	scratch_load_b64 v[144:145], off, off offset:432
	s_wait_dscnt 0x1
	v_fmac_f64_e32 v[150:151], v[148:149], v[136:137]
	s_wait_loadcnt 0x5
	s_delay_alu instid0(VALU_DEP_1) | instskip(SKIP_1) | instid1(VALU_DEP_1)
	v_fmac_f64_e32 v[150:151], v[116:117], v[138:139]
	s_wait_dscnt 0x0
	v_fmac_f64_e32 v[150:151], v[118:119], v[140:141]
	ds_load_2addr_b64 v[116:119], v2 offset0:103 offset1:104
	ds_load_2addr_b64 v[136:139], v2 offset0:105 offset1:106
	s_wait_loadcnt 0x4
	v_fmac_f64_e32 v[150:151], v[120:121], v[142:143]
	s_wait_dscnt 0x1
	s_delay_alu instid0(VALU_DEP_1) | instskip(SKIP_1) | instid1(VALU_DEP_1)
	v_fmac_f64_e32 v[150:151], v[122:123], v[116:117]
	s_wait_loadcnt 0x3
	v_fmac_f64_e32 v[150:151], v[124:125], v[118:119]
	ds_load_2addr_b64 v[116:119], v2 offset0:107 offset1:108
	ds_load_2addr_b64 v[120:123], v2 offset0:109 offset1:110
	s_wait_dscnt 0x2
	v_fmac_f64_e32 v[150:151], v[126:127], v[136:137]
	s_wait_loadcnt 0x2
	s_delay_alu instid0(VALU_DEP_1) | instskip(SKIP_1) | instid1(VALU_DEP_1)
	v_fmac_f64_e32 v[150:151], v[128:129], v[138:139]
	s_wait_dscnt 0x1
	v_fmac_f64_e32 v[150:151], v[130:131], v[116:117]
	s_wait_loadcnt 0x1
	s_delay_alu instid0(VALU_DEP_1) | instskip(SKIP_1) | instid1(VALU_DEP_1)
	v_fmac_f64_e32 v[150:151], v[132:133], v[118:119]
	s_wait_dscnt 0x0
	v_fmac_f64_e32 v[150:151], v[134:135], v[120:121]
	s_wait_loadcnt 0x0
	s_delay_alu instid0(VALU_DEP_1) | instskip(NEXT) | instid1(VALU_DEP_1)
	v_fmac_f64_e32 v[150:151], v[144:145], v[122:123]
	v_add_f64_e64 v[2:3], v[114:115], -v[150:151]
	scratch_store_b64 off, v[2:3], off offset:240
	s_wait_xcnt 0x0
	v_cmpx_lt_u32_e32 29, v0
	s_cbranch_execz .LBB118_281
; %bb.280:
	scratch_load_b64 v[2:3], off, off offset:232
	v_mov_b64_e32 v[114:115], 0
	scratch_store_b64 off, v[114:115], off offset:232
	s_wait_loadcnt 0x0
	ds_store_b64 v1, v[2:3]
.LBB118_281:
	s_wait_xcnt 0x0
	s_or_b32 exec_lo, exec_lo, s0
	s_wait_storecnt_dscnt 0x0
	s_barrier_signal -1
	s_barrier_wait -1
	s_clause 0x5
	scratch_load_b128 v[114:117], off, off offset:232
	scratch_load_b128 v[118:121], off, off offset:248
	;; [unrolled: 1-line block ×6, first 2 shown]
	v_mov_b32_e32 v2, 0
	ds_load_b128 v[138:141], v2 offset:688
	ds_load_b128 v[142:145], v2 offset:704
	scratch_load_b128 v[146:149], off, off offset:328
	s_mov_b32 s0, exec_lo
	s_wait_loadcnt_dscnt 0x601
	v_fma_f64 v[150:151], v[116:117], v[138:139], 0
	s_wait_loadcnt 0x5
	s_delay_alu instid0(VALU_DEP_1) | instskip(SKIP_4) | instid1(VALU_DEP_1)
	v_fmac_f64_e32 v[150:151], v[118:119], v[140:141]
	scratch_load_b128 v[116:119], off, off offset:344
	s_wait_dscnt 0x0
	v_fmac_f64_e32 v[150:151], v[120:121], v[142:143]
	s_wait_loadcnt 0x5
	v_fmac_f64_e32 v[150:151], v[122:123], v[144:145]
	ds_load_b128 v[120:123], v2 offset:720
	ds_load_b128 v[138:141], v2 offset:736
	s_wait_dscnt 0x1
	v_fmac_f64_e32 v[150:151], v[124:125], v[120:121]
	s_wait_loadcnt 0x4
	s_delay_alu instid0(VALU_DEP_1)
	v_fmac_f64_e32 v[150:151], v[126:127], v[122:123]
	s_clause 0x1
	scratch_load_b128 v[120:123], off, off offset:360
	scratch_load_b128 v[124:127], off, off offset:376
	s_wait_dscnt 0x0
	v_fmac_f64_e32 v[150:151], v[128:129], v[138:139]
	s_wait_loadcnt 0x5
	s_delay_alu instid0(VALU_DEP_1)
	v_fmac_f64_e32 v[150:151], v[130:131], v[140:141]
	ds_load_b128 v[128:131], v2 offset:752
	ds_load_b128 v[138:141], v2 offset:768
	s_wait_dscnt 0x1
	v_fmac_f64_e32 v[150:151], v[132:133], v[128:129]
	s_wait_loadcnt 0x4
	s_delay_alu instid0(VALU_DEP_1)
	v_fmac_f64_e32 v[150:151], v[134:135], v[130:131]
	s_clause 0x1
	scratch_load_b128 v[128:131], off, off offset:392
	scratch_load_b128 v[132:135], off, off offset:408
	s_wait_dscnt 0x0
	v_fmac_f64_e32 v[150:151], v[136:137], v[138:139]
	s_wait_loadcnt 0x5
	s_delay_alu instid0(VALU_DEP_1)
	v_fmac_f64_e32 v[150:151], v[146:147], v[140:141]
	ds_load_b128 v[136:139], v2 offset:784
	ds_load_b128 v[140:143], v2 offset:800
	s_wait_dscnt 0x1
	v_fmac_f64_e32 v[150:151], v[148:149], v[136:137]
	s_wait_loadcnt 0x4
	s_delay_alu instid0(VALU_DEP_1) | instskip(SKIP_4) | instid1(VALU_DEP_1)
	v_fmac_f64_e32 v[150:151], v[116:117], v[138:139]
	scratch_load_b128 v[136:139], off, off offset:424
	s_wait_dscnt 0x0
	v_fmac_f64_e32 v[150:151], v[118:119], v[140:141]
	s_wait_loadcnt 0x4
	v_fmac_f64_e32 v[150:151], v[120:121], v[142:143]
	ds_load_b128 v[116:119], v2 offset:816
	ds_load_b128 v[140:143], v2 offset:832
	s_wait_dscnt 0x1
	v_fmac_f64_e32 v[150:151], v[122:123], v[116:117]
	s_wait_loadcnt 0x3
	s_delay_alu instid0(VALU_DEP_1)
	v_fmac_f64_e32 v[150:151], v[124:125], v[118:119]
	ds_load_b128 v[116:119], v2 offset:848
	ds_load_b128 v[120:123], v2 offset:864
	s_wait_dscnt 0x2
	v_fmac_f64_e32 v[150:151], v[126:127], v[140:141]
	s_wait_loadcnt 0x2
	s_delay_alu instid0(VALU_DEP_1) | instskip(SKIP_1) | instid1(VALU_DEP_1)
	v_fmac_f64_e32 v[150:151], v[128:129], v[142:143]
	s_wait_dscnt 0x1
	v_fmac_f64_e32 v[150:151], v[130:131], v[116:117]
	ds_load_b64 v[116:117], v2 offset:880
	s_wait_loadcnt 0x1
	v_fmac_f64_e32 v[150:151], v[132:133], v[118:119]
	s_wait_dscnt 0x1
	s_delay_alu instid0(VALU_DEP_1) | instskip(SKIP_1) | instid1(VALU_DEP_1)
	v_fmac_f64_e32 v[150:151], v[134:135], v[120:121]
	s_wait_loadcnt 0x0
	v_fmac_f64_e32 v[150:151], v[136:137], v[122:123]
	s_wait_dscnt 0x0
	s_delay_alu instid0(VALU_DEP_1) | instskip(NEXT) | instid1(VALU_DEP_1)
	v_fmac_f64_e32 v[150:151], v[138:139], v[116:117]
	v_add_f64_e64 v[114:115], v[114:115], -v[150:151]
	scratch_store_b64 off, v[114:115], off offset:232
	s_wait_xcnt 0x0
	v_cmpx_lt_u32_e32 28, v0
	s_cbranch_execz .LBB118_283
; %bb.282:
	scratch_load_b64 v[114:115], off, off offset:224
	v_mov_b64_e32 v[116:117], 0
	scratch_store_b64 off, v[116:117], off offset:224
	s_wait_loadcnt 0x0
	ds_store_b64 v1, v[114:115]
.LBB118_283:
	s_wait_xcnt 0x0
	s_or_b32 exec_lo, exec_lo, s0
	s_wait_storecnt_dscnt 0x0
	s_barrier_signal -1
	s_barrier_wait -1
	s_clause 0x5
	scratch_load_b128 v[114:117], off, off offset:224
	scratch_load_b128 v[118:121], off, off offset:240
	;; [unrolled: 1-line block ×6, first 2 shown]
	ds_load_2addr_b64 v[138:141], v2 offset0:85 offset1:86
	ds_load_2addr_b64 v[142:145], v2 offset0:87 offset1:88
	scratch_load_b128 v[146:149], off, off offset:320
	s_mov_b32 s0, exec_lo
	s_wait_loadcnt_dscnt 0x601
	v_fma_f64 v[150:151], v[116:117], v[138:139], 0
	s_wait_loadcnt 0x5
	s_delay_alu instid0(VALU_DEP_1) | instskip(SKIP_4) | instid1(VALU_DEP_1)
	v_fmac_f64_e32 v[150:151], v[118:119], v[140:141]
	scratch_load_b128 v[116:119], off, off offset:336
	s_wait_dscnt 0x0
	v_fmac_f64_e32 v[150:151], v[120:121], v[142:143]
	s_wait_loadcnt 0x5
	v_fmac_f64_e32 v[150:151], v[122:123], v[144:145]
	ds_load_2addr_b64 v[120:123], v2 offset0:89 offset1:90
	ds_load_2addr_b64 v[138:141], v2 offset0:91 offset1:92
	scratch_load_b128 v[142:145], off, off offset:352
	s_wait_dscnt 0x1
	v_fmac_f64_e32 v[150:151], v[124:125], v[120:121]
	s_wait_loadcnt 0x5
	s_delay_alu instid0(VALU_DEP_1) | instskip(SKIP_4) | instid1(VALU_DEP_1)
	v_fmac_f64_e32 v[150:151], v[126:127], v[122:123]
	scratch_load_b128 v[120:123], off, off offset:368
	s_wait_dscnt 0x0
	v_fmac_f64_e32 v[150:151], v[128:129], v[138:139]
	s_wait_loadcnt 0x5
	v_fmac_f64_e32 v[150:151], v[130:131], v[140:141]
	ds_load_2addr_b64 v[124:127], v2 offset0:93 offset1:94
	ds_load_2addr_b64 v[128:131], v2 offset0:95 offset1:96
	s_wait_dscnt 0x1
	v_fmac_f64_e32 v[150:151], v[132:133], v[124:125]
	s_wait_loadcnt 0x4
	s_delay_alu instid0(VALU_DEP_1) | instskip(SKIP_4) | instid1(VALU_DEP_1)
	v_fmac_f64_e32 v[150:151], v[134:135], v[126:127]
	scratch_load_b128 v[124:127], off, off offset:384
	s_wait_dscnt 0x0
	v_fmac_f64_e32 v[150:151], v[136:137], v[128:129]
	s_wait_loadcnt 0x4
	v_fmac_f64_e32 v[150:151], v[146:147], v[130:131]
	scratch_load_b128 v[128:131], off, off offset:400
	ds_load_2addr_b64 v[132:135], v2 offset0:97 offset1:98
	ds_load_2addr_b64 v[136:139], v2 offset0:99 offset1:100
	scratch_load_b64 v[140:141], off, off offset:432
	s_wait_dscnt 0x1
	v_fmac_f64_e32 v[150:151], v[148:149], v[132:133]
	s_wait_loadcnt 0x5
	s_delay_alu instid0(VALU_DEP_1) | instskip(SKIP_4) | instid1(VALU_DEP_1)
	v_fmac_f64_e32 v[150:151], v[116:117], v[134:135]
	scratch_load_b128 v[132:135], off, off offset:416
	s_wait_dscnt 0x0
	v_fmac_f64_e32 v[150:151], v[118:119], v[136:137]
	s_wait_loadcnt 0x5
	v_fmac_f64_e32 v[150:151], v[142:143], v[138:139]
	ds_load_2addr_b64 v[116:119], v2 offset0:101 offset1:102
	ds_load_2addr_b64 v[136:139], v2 offset0:103 offset1:104
	s_wait_dscnt 0x1
	v_fmac_f64_e32 v[150:151], v[144:145], v[116:117]
	s_wait_loadcnt 0x4
	s_delay_alu instid0(VALU_DEP_1) | instskip(SKIP_1) | instid1(VALU_DEP_1)
	v_fmac_f64_e32 v[150:151], v[120:121], v[118:119]
	s_wait_dscnt 0x0
	v_fmac_f64_e32 v[150:151], v[122:123], v[136:137]
	ds_load_2addr_b64 v[116:119], v2 offset0:105 offset1:106
	ds_load_2addr_b64 v[120:123], v2 offset0:107 offset1:108
	s_wait_loadcnt 0x3
	v_fmac_f64_e32 v[150:151], v[124:125], v[138:139]
	s_wait_dscnt 0x1
	s_delay_alu instid0(VALU_DEP_1) | instskip(SKIP_1) | instid1(VALU_DEP_1)
	v_fmac_f64_e32 v[150:151], v[126:127], v[116:117]
	s_wait_loadcnt 0x2
	v_fmac_f64_e32 v[150:151], v[128:129], v[118:119]
	ds_load_2addr_b64 v[116:119], v2 offset0:109 offset1:110
	s_wait_dscnt 0x1
	v_fmac_f64_e32 v[150:151], v[130:131], v[120:121]
	s_wait_loadcnt 0x0
	s_delay_alu instid0(VALU_DEP_1) | instskip(SKIP_1) | instid1(VALU_DEP_1)
	v_fmac_f64_e32 v[150:151], v[132:133], v[122:123]
	s_wait_dscnt 0x0
	v_fmac_f64_e32 v[150:151], v[134:135], v[116:117]
	s_delay_alu instid0(VALU_DEP_1) | instskip(NEXT) | instid1(VALU_DEP_1)
	v_fmac_f64_e32 v[150:151], v[140:141], v[118:119]
	v_add_f64_e64 v[2:3], v[114:115], -v[150:151]
	scratch_store_b64 off, v[2:3], off offset:224
	s_wait_xcnt 0x0
	v_cmpx_lt_u32_e32 27, v0
	s_cbranch_execz .LBB118_285
; %bb.284:
	scratch_load_b64 v[2:3], off, off offset:216
	v_mov_b64_e32 v[114:115], 0
	scratch_store_b64 off, v[114:115], off offset:216
	s_wait_loadcnt 0x0
	ds_store_b64 v1, v[2:3]
.LBB118_285:
	s_wait_xcnt 0x0
	s_or_b32 exec_lo, exec_lo, s0
	s_wait_storecnt_dscnt 0x0
	s_barrier_signal -1
	s_barrier_wait -1
	s_clause 0x5
	scratch_load_b128 v[114:117], off, off offset:216
	scratch_load_b128 v[118:121], off, off offset:232
	;; [unrolled: 1-line block ×6, first 2 shown]
	v_mov_b32_e32 v2, 0
	ds_load_b128 v[138:141], v2 offset:672
	ds_load_b128 v[142:145], v2 offset:688
	scratch_load_b128 v[146:149], off, off offset:312
	s_mov_b32 s0, exec_lo
	s_wait_loadcnt_dscnt 0x601
	v_fma_f64 v[150:151], v[116:117], v[138:139], 0
	s_wait_loadcnt 0x5
	s_delay_alu instid0(VALU_DEP_1) | instskip(SKIP_4) | instid1(VALU_DEP_1)
	v_fmac_f64_e32 v[150:151], v[118:119], v[140:141]
	scratch_load_b128 v[116:119], off, off offset:328
	s_wait_dscnt 0x0
	v_fmac_f64_e32 v[150:151], v[120:121], v[142:143]
	s_wait_loadcnt 0x5
	v_fmac_f64_e32 v[150:151], v[122:123], v[144:145]
	ds_load_b128 v[120:123], v2 offset:704
	ds_load_b128 v[138:141], v2 offset:720
	scratch_load_b128 v[142:145], off, off offset:344
	s_wait_dscnt 0x1
	v_fmac_f64_e32 v[150:151], v[124:125], v[120:121]
	s_wait_loadcnt 0x5
	s_delay_alu instid0(VALU_DEP_1) | instskip(SKIP_4) | instid1(VALU_DEP_1)
	v_fmac_f64_e32 v[150:151], v[126:127], v[122:123]
	scratch_load_b128 v[120:123], off, off offset:360
	s_wait_dscnt 0x0
	v_fmac_f64_e32 v[150:151], v[128:129], v[138:139]
	s_wait_loadcnt 0x5
	v_fmac_f64_e32 v[150:151], v[130:131], v[140:141]
	ds_load_b128 v[124:127], v2 offset:736
	ds_load_b128 v[128:131], v2 offset:752
	s_wait_dscnt 0x1
	v_fmac_f64_e32 v[150:151], v[132:133], v[124:125]
	s_wait_loadcnt 0x4
	s_delay_alu instid0(VALU_DEP_1) | instskip(SKIP_4) | instid1(VALU_DEP_1)
	v_fmac_f64_e32 v[150:151], v[134:135], v[126:127]
	scratch_load_b128 v[124:127], off, off offset:376
	s_wait_dscnt 0x0
	v_fmac_f64_e32 v[150:151], v[136:137], v[128:129]
	s_wait_loadcnt 0x4
	v_fmac_f64_e32 v[150:151], v[146:147], v[130:131]
	scratch_load_b128 v[128:131], off, off offset:392
	ds_load_b128 v[132:135], v2 offset:768
	ds_load_b128 v[136:139], v2 offset:784
	s_wait_dscnt 0x1
	v_fmac_f64_e32 v[150:151], v[148:149], v[132:133]
	s_wait_loadcnt 0x4
	s_delay_alu instid0(VALU_DEP_1)
	v_fmac_f64_e32 v[150:151], v[116:117], v[134:135]
	scratch_load_b128 v[132:135], off, off offset:408
	s_wait_dscnt 0x0
	v_fmac_f64_e32 v[150:151], v[118:119], v[136:137]
	scratch_load_b128 v[116:119], off, off offset:424
	s_wait_loadcnt 0x5
	v_fmac_f64_e32 v[150:151], v[142:143], v[138:139]
	ds_load_b128 v[136:139], v2 offset:800
	ds_load_b128 v[140:143], v2 offset:816
	s_wait_dscnt 0x1
	v_fmac_f64_e32 v[150:151], v[144:145], v[136:137]
	s_wait_loadcnt 0x4
	s_delay_alu instid0(VALU_DEP_1) | instskip(SKIP_1) | instid1(VALU_DEP_1)
	v_fmac_f64_e32 v[150:151], v[120:121], v[138:139]
	s_wait_dscnt 0x0
	v_fmac_f64_e32 v[150:151], v[122:123], v[140:141]
	ds_load_b128 v[120:123], v2 offset:832
	ds_load_b128 v[136:139], v2 offset:848
	s_wait_loadcnt 0x3
	v_fmac_f64_e32 v[150:151], v[124:125], v[142:143]
	s_wait_dscnt 0x1
	s_delay_alu instid0(VALU_DEP_1) | instskip(SKIP_1) | instid1(VALU_DEP_1)
	v_fmac_f64_e32 v[150:151], v[126:127], v[120:121]
	s_wait_loadcnt 0x2
	v_fmac_f64_e32 v[150:151], v[128:129], v[122:123]
	ds_load_b128 v[120:123], v2 offset:864
	ds_load_b64 v[124:125], v2 offset:880
	s_wait_dscnt 0x2
	v_fmac_f64_e32 v[150:151], v[130:131], v[136:137]
	s_wait_loadcnt 0x1
	s_delay_alu instid0(VALU_DEP_1) | instskip(SKIP_1) | instid1(VALU_DEP_1)
	v_fmac_f64_e32 v[150:151], v[132:133], v[138:139]
	s_wait_dscnt 0x1
	v_fmac_f64_e32 v[150:151], v[134:135], v[120:121]
	s_wait_loadcnt 0x0
	s_delay_alu instid0(VALU_DEP_1) | instskip(SKIP_1) | instid1(VALU_DEP_1)
	v_fmac_f64_e32 v[150:151], v[116:117], v[122:123]
	s_wait_dscnt 0x0
	v_fmac_f64_e32 v[150:151], v[118:119], v[124:125]
	s_delay_alu instid0(VALU_DEP_1)
	v_add_f64_e64 v[114:115], v[114:115], -v[150:151]
	scratch_store_b64 off, v[114:115], off offset:216
	s_wait_xcnt 0x0
	v_cmpx_lt_u32_e32 26, v0
	s_cbranch_execz .LBB118_287
; %bb.286:
	scratch_load_b64 v[114:115], off, off offset:208
	v_mov_b64_e32 v[116:117], 0
	scratch_store_b64 off, v[116:117], off offset:208
	s_wait_loadcnt 0x0
	ds_store_b64 v1, v[114:115]
.LBB118_287:
	s_wait_xcnt 0x0
	s_or_b32 exec_lo, exec_lo, s0
	s_wait_storecnt_dscnt 0x0
	s_barrier_signal -1
	s_barrier_wait -1
	s_clause 0x5
	scratch_load_b128 v[114:117], off, off offset:208
	scratch_load_b128 v[118:121], off, off offset:224
	scratch_load_b128 v[122:125], off, off offset:240
	scratch_load_b128 v[126:129], off, off offset:256
	scratch_load_b128 v[130:133], off, off offset:272
	scratch_load_b128 v[134:137], off, off offset:288
	ds_load_2addr_b64 v[138:141], v2 offset0:83 offset1:84
	ds_load_2addr_b64 v[142:145], v2 offset0:85 offset1:86
	scratch_load_b128 v[146:149], off, off offset:304
	s_mov_b32 s0, exec_lo
	s_wait_loadcnt_dscnt 0x601
	v_fma_f64 v[150:151], v[116:117], v[138:139], 0
	s_wait_loadcnt 0x5
	s_delay_alu instid0(VALU_DEP_1) | instskip(SKIP_4) | instid1(VALU_DEP_1)
	v_fmac_f64_e32 v[150:151], v[118:119], v[140:141]
	scratch_load_b128 v[116:119], off, off offset:320
	s_wait_dscnt 0x0
	v_fmac_f64_e32 v[150:151], v[120:121], v[142:143]
	s_wait_loadcnt 0x5
	v_fmac_f64_e32 v[150:151], v[122:123], v[144:145]
	ds_load_2addr_b64 v[120:123], v2 offset0:87 offset1:88
	ds_load_2addr_b64 v[138:141], v2 offset0:89 offset1:90
	scratch_load_b128 v[142:145], off, off offset:336
	s_wait_dscnt 0x1
	v_fmac_f64_e32 v[150:151], v[124:125], v[120:121]
	s_wait_loadcnt 0x5
	s_delay_alu instid0(VALU_DEP_1) | instskip(SKIP_4) | instid1(VALU_DEP_1)
	v_fmac_f64_e32 v[150:151], v[126:127], v[122:123]
	scratch_load_b128 v[120:123], off, off offset:352
	s_wait_dscnt 0x0
	v_fmac_f64_e32 v[150:151], v[128:129], v[138:139]
	s_wait_loadcnt 0x5
	v_fmac_f64_e32 v[150:151], v[130:131], v[140:141]
	ds_load_2addr_b64 v[124:127], v2 offset0:91 offset1:92
	ds_load_2addr_b64 v[128:131], v2 offset0:93 offset1:94
	s_wait_dscnt 0x1
	v_fmac_f64_e32 v[150:151], v[132:133], v[124:125]
	s_wait_loadcnt 0x4
	s_delay_alu instid0(VALU_DEP_1) | instskip(SKIP_4) | instid1(VALU_DEP_1)
	v_fmac_f64_e32 v[150:151], v[134:135], v[126:127]
	scratch_load_b128 v[124:127], off, off offset:368
	s_wait_dscnt 0x0
	v_fmac_f64_e32 v[150:151], v[136:137], v[128:129]
	s_wait_loadcnt 0x4
	v_fmac_f64_e32 v[150:151], v[146:147], v[130:131]
	scratch_load_b128 v[128:131], off, off offset:384
	ds_load_2addr_b64 v[132:135], v2 offset0:95 offset1:96
	ds_load_2addr_b64 v[136:139], v2 offset0:97 offset1:98
	s_wait_dscnt 0x1
	v_fmac_f64_e32 v[150:151], v[148:149], v[132:133]
	s_wait_loadcnt 0x4
	s_delay_alu instid0(VALU_DEP_1)
	v_fmac_f64_e32 v[150:151], v[116:117], v[134:135]
	scratch_load_b128 v[132:135], off, off offset:400
	s_wait_dscnt 0x0
	v_fmac_f64_e32 v[150:151], v[118:119], v[136:137]
	scratch_load_b128 v[116:119], off, off offset:416
	s_wait_loadcnt 0x5
	v_fmac_f64_e32 v[150:151], v[142:143], v[138:139]
	ds_load_2addr_b64 v[136:139], v2 offset0:99 offset1:100
	ds_load_2addr_b64 v[140:143], v2 offset0:101 offset1:102
	s_wait_dscnt 0x1
	v_fmac_f64_e32 v[150:151], v[144:145], v[136:137]
	scratch_load_b64 v[144:145], off, off offset:432
	s_wait_loadcnt 0x5
	v_fmac_f64_e32 v[150:151], v[120:121], v[138:139]
	s_wait_dscnt 0x0
	s_delay_alu instid0(VALU_DEP_1)
	v_fmac_f64_e32 v[150:151], v[122:123], v[140:141]
	ds_load_2addr_b64 v[120:123], v2 offset0:103 offset1:104
	ds_load_2addr_b64 v[136:139], v2 offset0:105 offset1:106
	s_wait_loadcnt 0x4
	v_fmac_f64_e32 v[150:151], v[124:125], v[142:143]
	s_wait_dscnt 0x1
	s_delay_alu instid0(VALU_DEP_1) | instskip(SKIP_1) | instid1(VALU_DEP_1)
	v_fmac_f64_e32 v[150:151], v[126:127], v[120:121]
	s_wait_loadcnt 0x3
	v_fmac_f64_e32 v[150:151], v[128:129], v[122:123]
	ds_load_2addr_b64 v[120:123], v2 offset0:107 offset1:108
	ds_load_2addr_b64 v[124:127], v2 offset0:109 offset1:110
	s_wait_dscnt 0x2
	v_fmac_f64_e32 v[150:151], v[130:131], v[136:137]
	s_wait_loadcnt 0x2
	s_delay_alu instid0(VALU_DEP_1) | instskip(SKIP_1) | instid1(VALU_DEP_1)
	v_fmac_f64_e32 v[150:151], v[132:133], v[138:139]
	s_wait_dscnt 0x1
	v_fmac_f64_e32 v[150:151], v[134:135], v[120:121]
	s_wait_loadcnt 0x1
	s_delay_alu instid0(VALU_DEP_1) | instskip(SKIP_1) | instid1(VALU_DEP_1)
	v_fmac_f64_e32 v[150:151], v[116:117], v[122:123]
	s_wait_dscnt 0x0
	v_fmac_f64_e32 v[150:151], v[118:119], v[124:125]
	s_wait_loadcnt 0x0
	s_delay_alu instid0(VALU_DEP_1) | instskip(NEXT) | instid1(VALU_DEP_1)
	v_fmac_f64_e32 v[150:151], v[144:145], v[126:127]
	v_add_f64_e64 v[2:3], v[114:115], -v[150:151]
	scratch_store_b64 off, v[2:3], off offset:208
	s_wait_xcnt 0x0
	v_cmpx_lt_u32_e32 25, v0
	s_cbranch_execz .LBB118_289
; %bb.288:
	scratch_load_b64 v[2:3], off, off offset:200
	v_mov_b64_e32 v[114:115], 0
	scratch_store_b64 off, v[114:115], off offset:200
	s_wait_loadcnt 0x0
	ds_store_b64 v1, v[2:3]
.LBB118_289:
	s_wait_xcnt 0x0
	s_or_b32 exec_lo, exec_lo, s0
	s_wait_storecnt_dscnt 0x0
	s_barrier_signal -1
	s_barrier_wait -1
	s_clause 0x5
	scratch_load_b128 v[114:117], off, off offset:200
	scratch_load_b128 v[118:121], off, off offset:216
	;; [unrolled: 1-line block ×6, first 2 shown]
	v_mov_b32_e32 v2, 0
	ds_load_b128 v[138:141], v2 offset:656
	ds_load_b128 v[142:145], v2 offset:672
	scratch_load_b128 v[146:149], off, off offset:296
	s_mov_b32 s0, exec_lo
	s_wait_loadcnt_dscnt 0x601
	v_fma_f64 v[150:151], v[116:117], v[138:139], 0
	s_wait_loadcnt 0x5
	s_delay_alu instid0(VALU_DEP_1) | instskip(SKIP_4) | instid1(VALU_DEP_1)
	v_fmac_f64_e32 v[150:151], v[118:119], v[140:141]
	scratch_load_b128 v[116:119], off, off offset:312
	s_wait_dscnt 0x0
	v_fmac_f64_e32 v[150:151], v[120:121], v[142:143]
	s_wait_loadcnt 0x5
	v_fmac_f64_e32 v[150:151], v[122:123], v[144:145]
	ds_load_b128 v[120:123], v2 offset:688
	ds_load_b128 v[138:141], v2 offset:704
	scratch_load_b128 v[142:145], off, off offset:328
	s_wait_dscnt 0x1
	v_fmac_f64_e32 v[150:151], v[124:125], v[120:121]
	s_wait_loadcnt 0x5
	s_delay_alu instid0(VALU_DEP_1) | instskip(SKIP_4) | instid1(VALU_DEP_1)
	v_fmac_f64_e32 v[150:151], v[126:127], v[122:123]
	scratch_load_b128 v[120:123], off, off offset:344
	s_wait_dscnt 0x0
	v_fmac_f64_e32 v[150:151], v[128:129], v[138:139]
	s_wait_loadcnt 0x5
	v_fmac_f64_e32 v[150:151], v[130:131], v[140:141]
	ds_load_b128 v[124:127], v2 offset:720
	ds_load_b128 v[128:131], v2 offset:736
	s_wait_dscnt 0x1
	v_fmac_f64_e32 v[150:151], v[132:133], v[124:125]
	s_wait_loadcnt 0x4
	s_delay_alu instid0(VALU_DEP_1) | instskip(SKIP_4) | instid1(VALU_DEP_1)
	v_fmac_f64_e32 v[150:151], v[134:135], v[126:127]
	scratch_load_b128 v[124:127], off, off offset:360
	s_wait_dscnt 0x0
	v_fmac_f64_e32 v[150:151], v[136:137], v[128:129]
	s_wait_loadcnt 0x4
	v_fmac_f64_e32 v[150:151], v[146:147], v[130:131]
	scratch_load_b128 v[128:131], off, off offset:376
	ds_load_b128 v[132:135], v2 offset:752
	ds_load_b128 v[136:139], v2 offset:768
	s_wait_dscnt 0x1
	v_fmac_f64_e32 v[150:151], v[148:149], v[132:133]
	s_wait_loadcnt 0x4
	s_delay_alu instid0(VALU_DEP_1)
	v_fmac_f64_e32 v[150:151], v[116:117], v[134:135]
	scratch_load_b128 v[132:135], off, off offset:392
	s_wait_dscnt 0x0
	v_fmac_f64_e32 v[150:151], v[118:119], v[136:137]
	scratch_load_b128 v[116:119], off, off offset:408
	s_wait_loadcnt 0x5
	v_fmac_f64_e32 v[150:151], v[142:143], v[138:139]
	ds_load_b128 v[136:139], v2 offset:784
	ds_load_b128 v[140:143], v2 offset:800
	s_wait_dscnt 0x1
	v_fmac_f64_e32 v[150:151], v[144:145], v[136:137]
	s_wait_loadcnt 0x4
	s_delay_alu instid0(VALU_DEP_1) | instskip(SKIP_4) | instid1(VALU_DEP_1)
	v_fmac_f64_e32 v[150:151], v[120:121], v[138:139]
	scratch_load_b128 v[136:139], off, off offset:424
	s_wait_dscnt 0x0
	v_fmac_f64_e32 v[150:151], v[122:123], v[140:141]
	s_wait_loadcnt 0x4
	v_fmac_f64_e32 v[150:151], v[124:125], v[142:143]
	ds_load_b128 v[120:123], v2 offset:816
	ds_load_b128 v[140:143], v2 offset:832
	s_wait_dscnt 0x1
	v_fmac_f64_e32 v[150:151], v[126:127], v[120:121]
	s_wait_loadcnt 0x3
	s_delay_alu instid0(VALU_DEP_1)
	v_fmac_f64_e32 v[150:151], v[128:129], v[122:123]
	ds_load_b128 v[120:123], v2 offset:848
	ds_load_b128 v[124:127], v2 offset:864
	s_wait_dscnt 0x2
	v_fmac_f64_e32 v[150:151], v[130:131], v[140:141]
	s_wait_loadcnt 0x2
	s_delay_alu instid0(VALU_DEP_1) | instskip(SKIP_1) | instid1(VALU_DEP_1)
	v_fmac_f64_e32 v[150:151], v[132:133], v[142:143]
	s_wait_dscnt 0x1
	v_fmac_f64_e32 v[150:151], v[134:135], v[120:121]
	s_wait_loadcnt 0x1
	s_delay_alu instid0(VALU_DEP_1) | instskip(SKIP_4) | instid1(VALU_DEP_1)
	v_fmac_f64_e32 v[150:151], v[116:117], v[122:123]
	ds_load_b64 v[116:117], v2 offset:880
	s_wait_dscnt 0x1
	v_fmac_f64_e32 v[150:151], v[118:119], v[124:125]
	s_wait_loadcnt 0x0
	v_fmac_f64_e32 v[150:151], v[136:137], v[126:127]
	s_wait_dscnt 0x0
	s_delay_alu instid0(VALU_DEP_1) | instskip(NEXT) | instid1(VALU_DEP_1)
	v_fmac_f64_e32 v[150:151], v[138:139], v[116:117]
	v_add_f64_e64 v[114:115], v[114:115], -v[150:151]
	scratch_store_b64 off, v[114:115], off offset:200
	s_wait_xcnt 0x0
	v_cmpx_lt_u32_e32 24, v0
	s_cbranch_execz .LBB118_291
; %bb.290:
	scratch_load_b64 v[114:115], off, off offset:192
	v_mov_b64_e32 v[116:117], 0
	scratch_store_b64 off, v[116:117], off offset:192
	s_wait_loadcnt 0x0
	ds_store_b64 v1, v[114:115]
.LBB118_291:
	s_wait_xcnt 0x0
	s_or_b32 exec_lo, exec_lo, s0
	s_wait_storecnt_dscnt 0x0
	s_barrier_signal -1
	s_barrier_wait -1
	s_clause 0x5
	scratch_load_b128 v[114:117], off, off offset:192
	scratch_load_b128 v[118:121], off, off offset:208
	;; [unrolled: 1-line block ×6, first 2 shown]
	ds_load_2addr_b64 v[138:141], v2 offset0:81 offset1:82
	ds_load_2addr_b64 v[142:145], v2 offset0:83 offset1:84
	scratch_load_b128 v[146:149], off, off offset:288
	s_mov_b32 s0, exec_lo
	s_wait_loadcnt_dscnt 0x601
	v_fma_f64 v[150:151], v[116:117], v[138:139], 0
	s_wait_loadcnt 0x5
	s_delay_alu instid0(VALU_DEP_1) | instskip(SKIP_4) | instid1(VALU_DEP_1)
	v_fmac_f64_e32 v[150:151], v[118:119], v[140:141]
	scratch_load_b128 v[116:119], off, off offset:304
	s_wait_dscnt 0x0
	v_fmac_f64_e32 v[150:151], v[120:121], v[142:143]
	s_wait_loadcnt 0x5
	v_fmac_f64_e32 v[150:151], v[122:123], v[144:145]
	ds_load_2addr_b64 v[120:123], v2 offset0:85 offset1:86
	ds_load_2addr_b64 v[138:141], v2 offset0:87 offset1:88
	scratch_load_b128 v[142:145], off, off offset:320
	s_wait_dscnt 0x1
	v_fmac_f64_e32 v[150:151], v[124:125], v[120:121]
	s_wait_loadcnt 0x5
	s_delay_alu instid0(VALU_DEP_1) | instskip(SKIP_4) | instid1(VALU_DEP_1)
	v_fmac_f64_e32 v[150:151], v[126:127], v[122:123]
	scratch_load_b128 v[120:123], off, off offset:336
	s_wait_dscnt 0x0
	v_fmac_f64_e32 v[150:151], v[128:129], v[138:139]
	s_wait_loadcnt 0x5
	v_fmac_f64_e32 v[150:151], v[130:131], v[140:141]
	ds_load_2addr_b64 v[124:127], v2 offset0:89 offset1:90
	ds_load_2addr_b64 v[128:131], v2 offset0:91 offset1:92
	scratch_load_b128 v[138:141], off, off offset:352
	s_wait_dscnt 0x1
	v_fmac_f64_e32 v[150:151], v[132:133], v[124:125]
	s_wait_loadcnt 0x5
	s_delay_alu instid0(VALU_DEP_1) | instskip(SKIP_4) | instid1(VALU_DEP_1)
	v_fmac_f64_e32 v[150:151], v[134:135], v[126:127]
	scratch_load_b128 v[124:127], off, off offset:368
	s_wait_dscnt 0x0
	v_fmac_f64_e32 v[150:151], v[136:137], v[128:129]
	s_wait_loadcnt 0x5
	v_fmac_f64_e32 v[150:151], v[146:147], v[130:131]
	ds_load_2addr_b64 v[128:131], v2 offset0:93 offset1:94
	ds_load_2addr_b64 v[132:135], v2 offset0:95 offset1:96
	s_wait_dscnt 0x1
	v_fmac_f64_e32 v[150:151], v[148:149], v[128:129]
	s_wait_loadcnt 0x4
	s_delay_alu instid0(VALU_DEP_1)
	v_fmac_f64_e32 v[150:151], v[116:117], v[130:131]
	scratch_load_b128 v[128:131], off, off offset:384
	s_wait_dscnt 0x0
	v_fmac_f64_e32 v[150:151], v[118:119], v[132:133]
	scratch_load_b128 v[116:119], off, off offset:400
	s_wait_loadcnt 0x5
	v_fmac_f64_e32 v[150:151], v[142:143], v[134:135]
	ds_load_2addr_b64 v[132:135], v2 offset0:97 offset1:98
	ds_load_2addr_b64 v[146:149], v2 offset0:99 offset1:100
	scratch_load_b64 v[142:143], off, off offset:432
	s_wait_dscnt 0x1
	v_fmac_f64_e32 v[150:151], v[144:145], v[132:133]
	s_wait_loadcnt 0x5
	s_delay_alu instid0(VALU_DEP_1) | instskip(SKIP_4) | instid1(VALU_DEP_1)
	v_fmac_f64_e32 v[150:151], v[120:121], v[134:135]
	scratch_load_b128 v[132:135], off, off offset:416
	s_wait_dscnt 0x0
	v_fmac_f64_e32 v[150:151], v[122:123], v[146:147]
	s_wait_loadcnt 0x5
	v_fmac_f64_e32 v[150:151], v[138:139], v[148:149]
	ds_load_2addr_b64 v[120:123], v2 offset0:101 offset1:102
	ds_load_2addr_b64 v[136:139], v2 offset0:103 offset1:104
	s_wait_dscnt 0x1
	v_fmac_f64_e32 v[150:151], v[140:141], v[120:121]
	s_wait_loadcnt 0x4
	s_delay_alu instid0(VALU_DEP_1) | instskip(SKIP_1) | instid1(VALU_DEP_1)
	v_fmac_f64_e32 v[150:151], v[124:125], v[122:123]
	s_wait_dscnt 0x0
	v_fmac_f64_e32 v[150:151], v[126:127], v[136:137]
	ds_load_2addr_b64 v[120:123], v2 offset0:105 offset1:106
	ds_load_2addr_b64 v[124:127], v2 offset0:107 offset1:108
	s_wait_loadcnt 0x3
	v_fmac_f64_e32 v[150:151], v[128:129], v[138:139]
	s_wait_dscnt 0x1
	s_delay_alu instid0(VALU_DEP_1) | instskip(SKIP_1) | instid1(VALU_DEP_1)
	v_fmac_f64_e32 v[150:151], v[130:131], v[120:121]
	s_wait_loadcnt 0x2
	v_fmac_f64_e32 v[150:151], v[116:117], v[122:123]
	s_wait_dscnt 0x0
	s_delay_alu instid0(VALU_DEP_1) | instskip(SKIP_4) | instid1(VALU_DEP_1)
	v_fmac_f64_e32 v[150:151], v[118:119], v[124:125]
	ds_load_2addr_b64 v[116:119], v2 offset0:109 offset1:110
	s_wait_loadcnt 0x0
	v_fmac_f64_e32 v[150:151], v[132:133], v[126:127]
	s_wait_dscnt 0x0
	v_fmac_f64_e32 v[150:151], v[134:135], v[116:117]
	s_delay_alu instid0(VALU_DEP_1) | instskip(NEXT) | instid1(VALU_DEP_1)
	v_fmac_f64_e32 v[150:151], v[142:143], v[118:119]
	v_add_f64_e64 v[2:3], v[114:115], -v[150:151]
	scratch_store_b64 off, v[2:3], off offset:192
	s_wait_xcnt 0x0
	v_cmpx_lt_u32_e32 23, v0
	s_cbranch_execz .LBB118_293
; %bb.292:
	scratch_load_b64 v[2:3], off, off offset:184
	v_mov_b64_e32 v[114:115], 0
	scratch_store_b64 off, v[114:115], off offset:184
	s_wait_loadcnt 0x0
	ds_store_b64 v1, v[2:3]
.LBB118_293:
	s_wait_xcnt 0x0
	s_or_b32 exec_lo, exec_lo, s0
	s_wait_storecnt_dscnt 0x0
	s_barrier_signal -1
	s_barrier_wait -1
	s_clause 0x5
	scratch_load_b128 v[114:117], off, off offset:184
	scratch_load_b128 v[118:121], off, off offset:200
	;; [unrolled: 1-line block ×6, first 2 shown]
	v_mov_b32_e32 v2, 0
	ds_load_b128 v[138:141], v2 offset:640
	ds_load_b128 v[142:145], v2 offset:656
	scratch_load_b128 v[146:149], off, off offset:280
	s_mov_b32 s0, exec_lo
	s_wait_loadcnt_dscnt 0x601
	v_fma_f64 v[150:151], v[116:117], v[138:139], 0
	s_wait_loadcnt 0x5
	s_delay_alu instid0(VALU_DEP_1) | instskip(SKIP_4) | instid1(VALU_DEP_1)
	v_fmac_f64_e32 v[150:151], v[118:119], v[140:141]
	scratch_load_b128 v[116:119], off, off offset:296
	s_wait_dscnt 0x0
	v_fmac_f64_e32 v[150:151], v[120:121], v[142:143]
	s_wait_loadcnt 0x5
	v_fmac_f64_e32 v[150:151], v[122:123], v[144:145]
	ds_load_b128 v[120:123], v2 offset:672
	ds_load_b128 v[138:141], v2 offset:688
	scratch_load_b128 v[142:145], off, off offset:312
	s_wait_dscnt 0x1
	v_fmac_f64_e32 v[150:151], v[124:125], v[120:121]
	s_wait_loadcnt 0x5
	s_delay_alu instid0(VALU_DEP_1) | instskip(SKIP_4) | instid1(VALU_DEP_1)
	v_fmac_f64_e32 v[150:151], v[126:127], v[122:123]
	scratch_load_b128 v[120:123], off, off offset:328
	s_wait_dscnt 0x0
	v_fmac_f64_e32 v[150:151], v[128:129], v[138:139]
	s_wait_loadcnt 0x5
	v_fmac_f64_e32 v[150:151], v[130:131], v[140:141]
	ds_load_b128 v[124:127], v2 offset:704
	ds_load_b128 v[128:131], v2 offset:720
	scratch_load_b128 v[138:141], off, off offset:344
	s_wait_dscnt 0x1
	v_fmac_f64_e32 v[150:151], v[132:133], v[124:125]
	s_wait_loadcnt 0x5
	s_delay_alu instid0(VALU_DEP_1) | instskip(SKIP_4) | instid1(VALU_DEP_1)
	v_fmac_f64_e32 v[150:151], v[134:135], v[126:127]
	scratch_load_b128 v[124:127], off, off offset:360
	s_wait_dscnt 0x0
	v_fmac_f64_e32 v[150:151], v[136:137], v[128:129]
	s_wait_loadcnt 0x5
	v_fmac_f64_e32 v[150:151], v[146:147], v[130:131]
	ds_load_b128 v[128:131], v2 offset:736
	ds_load_b128 v[132:135], v2 offset:752
	s_wait_dscnt 0x1
	v_fmac_f64_e32 v[150:151], v[148:149], v[128:129]
	s_wait_loadcnt 0x4
	s_delay_alu instid0(VALU_DEP_1)
	v_fmac_f64_e32 v[150:151], v[116:117], v[130:131]
	scratch_load_b128 v[128:131], off, off offset:376
	s_wait_dscnt 0x0
	v_fmac_f64_e32 v[150:151], v[118:119], v[132:133]
	scratch_load_b128 v[116:119], off, off offset:392
	s_wait_loadcnt 0x5
	v_fmac_f64_e32 v[150:151], v[142:143], v[134:135]
	ds_load_b128 v[132:135], v2 offset:768
	ds_load_b128 v[146:149], v2 offset:784
	s_wait_dscnt 0x1
	v_fmac_f64_e32 v[150:151], v[144:145], v[132:133]
	s_wait_loadcnt 0x4
	s_delay_alu instid0(VALU_DEP_1)
	v_fmac_f64_e32 v[150:151], v[120:121], v[134:135]
	scratch_load_b128 v[132:135], off, off offset:408
	s_wait_dscnt 0x0
	v_fmac_f64_e32 v[150:151], v[122:123], v[146:147]
	scratch_load_b128 v[120:123], off, off offset:424
	s_wait_loadcnt 0x5
	v_fmac_f64_e32 v[150:151], v[138:139], v[148:149]
	ds_load_b128 v[136:139], v2 offset:800
	ds_load_b128 v[142:145], v2 offset:816
	s_wait_dscnt 0x1
	v_fmac_f64_e32 v[150:151], v[140:141], v[136:137]
	s_wait_loadcnt 0x4
	s_delay_alu instid0(VALU_DEP_1) | instskip(SKIP_1) | instid1(VALU_DEP_1)
	v_fmac_f64_e32 v[150:151], v[124:125], v[138:139]
	s_wait_dscnt 0x0
	v_fmac_f64_e32 v[150:151], v[126:127], v[142:143]
	ds_load_b128 v[124:127], v2 offset:832
	ds_load_b128 v[136:139], v2 offset:848
	s_wait_loadcnt 0x3
	v_fmac_f64_e32 v[150:151], v[128:129], v[144:145]
	s_wait_dscnt 0x1
	s_delay_alu instid0(VALU_DEP_1) | instskip(SKIP_1) | instid1(VALU_DEP_1)
	v_fmac_f64_e32 v[150:151], v[130:131], v[124:125]
	s_wait_loadcnt 0x2
	v_fmac_f64_e32 v[150:151], v[116:117], v[126:127]
	s_wait_dscnt 0x0
	s_delay_alu instid0(VALU_DEP_1)
	v_fmac_f64_e32 v[150:151], v[118:119], v[136:137]
	ds_load_b128 v[116:119], v2 offset:864
	ds_load_b64 v[124:125], v2 offset:880
	s_wait_loadcnt 0x1
	v_fmac_f64_e32 v[150:151], v[132:133], v[138:139]
	s_wait_dscnt 0x1
	s_delay_alu instid0(VALU_DEP_1) | instskip(SKIP_1) | instid1(VALU_DEP_1)
	v_fmac_f64_e32 v[150:151], v[134:135], v[116:117]
	s_wait_loadcnt 0x0
	v_fmac_f64_e32 v[150:151], v[120:121], v[118:119]
	s_wait_dscnt 0x0
	s_delay_alu instid0(VALU_DEP_1) | instskip(NEXT) | instid1(VALU_DEP_1)
	v_fmac_f64_e32 v[150:151], v[122:123], v[124:125]
	v_add_f64_e64 v[114:115], v[114:115], -v[150:151]
	scratch_store_b64 off, v[114:115], off offset:184
	s_wait_xcnt 0x0
	v_cmpx_lt_u32_e32 22, v0
	s_cbranch_execz .LBB118_295
; %bb.294:
	scratch_load_b64 v[114:115], off, off offset:176
	v_mov_b64_e32 v[116:117], 0
	scratch_store_b64 off, v[116:117], off offset:176
	s_wait_loadcnt 0x0
	ds_store_b64 v1, v[114:115]
.LBB118_295:
	s_wait_xcnt 0x0
	s_or_b32 exec_lo, exec_lo, s0
	s_wait_storecnt_dscnt 0x0
	s_barrier_signal -1
	s_barrier_wait -1
	s_clause 0x5
	scratch_load_b128 v[114:117], off, off offset:176
	scratch_load_b128 v[118:121], off, off offset:192
	;; [unrolled: 1-line block ×6, first 2 shown]
	ds_load_2addr_b64 v[138:141], v2 offset0:79 offset1:80
	ds_load_2addr_b64 v[142:145], v2 offset0:81 offset1:82
	scratch_load_b128 v[146:149], off, off offset:272
	s_mov_b32 s0, exec_lo
	s_wait_loadcnt_dscnt 0x601
	v_fma_f64 v[150:151], v[116:117], v[138:139], 0
	s_wait_loadcnt 0x5
	s_delay_alu instid0(VALU_DEP_1) | instskip(SKIP_4) | instid1(VALU_DEP_1)
	v_fmac_f64_e32 v[150:151], v[118:119], v[140:141]
	scratch_load_b128 v[116:119], off, off offset:288
	s_wait_dscnt 0x0
	v_fmac_f64_e32 v[150:151], v[120:121], v[142:143]
	s_wait_loadcnt 0x5
	v_fmac_f64_e32 v[150:151], v[122:123], v[144:145]
	ds_load_2addr_b64 v[120:123], v2 offset0:83 offset1:84
	ds_load_2addr_b64 v[138:141], v2 offset0:85 offset1:86
	scratch_load_b128 v[142:145], off, off offset:304
	s_wait_dscnt 0x1
	v_fmac_f64_e32 v[150:151], v[124:125], v[120:121]
	s_wait_loadcnt 0x5
	s_delay_alu instid0(VALU_DEP_1) | instskip(SKIP_4) | instid1(VALU_DEP_1)
	v_fmac_f64_e32 v[150:151], v[126:127], v[122:123]
	scratch_load_b128 v[120:123], off, off offset:320
	s_wait_dscnt 0x0
	v_fmac_f64_e32 v[150:151], v[128:129], v[138:139]
	s_wait_loadcnt 0x5
	v_fmac_f64_e32 v[150:151], v[130:131], v[140:141]
	ds_load_2addr_b64 v[124:127], v2 offset0:87 offset1:88
	ds_load_2addr_b64 v[128:131], v2 offset0:89 offset1:90
	scratch_load_b128 v[138:141], off, off offset:336
	s_wait_dscnt 0x1
	v_fmac_f64_e32 v[150:151], v[132:133], v[124:125]
	s_wait_loadcnt 0x5
	s_delay_alu instid0(VALU_DEP_1) | instskip(SKIP_4) | instid1(VALU_DEP_1)
	v_fmac_f64_e32 v[150:151], v[134:135], v[126:127]
	scratch_load_b128 v[124:127], off, off offset:352
	s_wait_dscnt 0x0
	v_fmac_f64_e32 v[150:151], v[136:137], v[128:129]
	s_wait_loadcnt 0x5
	v_fmac_f64_e32 v[150:151], v[146:147], v[130:131]
	ds_load_2addr_b64 v[128:131], v2 offset0:91 offset1:92
	ds_load_2addr_b64 v[132:135], v2 offset0:93 offset1:94
	s_wait_dscnt 0x1
	v_fmac_f64_e32 v[150:151], v[148:149], v[128:129]
	s_wait_loadcnt 0x4
	s_delay_alu instid0(VALU_DEP_1)
	v_fmac_f64_e32 v[150:151], v[116:117], v[130:131]
	scratch_load_b128 v[128:131], off, off offset:368
	s_wait_dscnt 0x0
	v_fmac_f64_e32 v[150:151], v[118:119], v[132:133]
	scratch_load_b128 v[116:119], off, off offset:384
	s_wait_loadcnt 0x5
	v_fmac_f64_e32 v[150:151], v[142:143], v[134:135]
	ds_load_2addr_b64 v[132:135], v2 offset0:95 offset1:96
	ds_load_2addr_b64 v[146:149], v2 offset0:97 offset1:98
	s_wait_dscnt 0x1
	v_fmac_f64_e32 v[150:151], v[144:145], v[132:133]
	s_wait_loadcnt 0x4
	s_delay_alu instid0(VALU_DEP_1)
	v_fmac_f64_e32 v[150:151], v[120:121], v[134:135]
	scratch_load_b128 v[132:135], off, off offset:400
	s_wait_dscnt 0x0
	v_fmac_f64_e32 v[150:151], v[122:123], v[146:147]
	scratch_load_b128 v[120:123], off, off offset:416
	s_wait_loadcnt 0x5
	v_fmac_f64_e32 v[150:151], v[138:139], v[148:149]
	ds_load_2addr_b64 v[136:139], v2 offset0:99 offset1:100
	ds_load_2addr_b64 v[142:145], v2 offset0:101 offset1:102
	s_wait_dscnt 0x1
	v_fmac_f64_e32 v[150:151], v[140:141], v[136:137]
	scratch_load_b64 v[140:141], off, off offset:432
	s_wait_loadcnt 0x5
	v_fmac_f64_e32 v[150:151], v[124:125], v[138:139]
	s_wait_dscnt 0x0
	s_delay_alu instid0(VALU_DEP_1)
	v_fmac_f64_e32 v[150:151], v[126:127], v[142:143]
	ds_load_2addr_b64 v[124:127], v2 offset0:103 offset1:104
	ds_load_2addr_b64 v[136:139], v2 offset0:105 offset1:106
	s_wait_loadcnt 0x4
	v_fmac_f64_e32 v[150:151], v[128:129], v[144:145]
	s_wait_dscnt 0x1
	s_delay_alu instid0(VALU_DEP_1) | instskip(SKIP_1) | instid1(VALU_DEP_1)
	v_fmac_f64_e32 v[150:151], v[130:131], v[124:125]
	s_wait_loadcnt 0x3
	v_fmac_f64_e32 v[150:151], v[116:117], v[126:127]
	s_wait_dscnt 0x0
	s_delay_alu instid0(VALU_DEP_1)
	v_fmac_f64_e32 v[150:151], v[118:119], v[136:137]
	ds_load_2addr_b64 v[116:119], v2 offset0:107 offset1:108
	ds_load_2addr_b64 v[124:127], v2 offset0:109 offset1:110
	s_wait_loadcnt 0x2
	v_fmac_f64_e32 v[150:151], v[132:133], v[138:139]
	s_wait_dscnt 0x1
	s_delay_alu instid0(VALU_DEP_1) | instskip(SKIP_1) | instid1(VALU_DEP_1)
	v_fmac_f64_e32 v[150:151], v[134:135], v[116:117]
	s_wait_loadcnt 0x1
	v_fmac_f64_e32 v[150:151], v[120:121], v[118:119]
	s_wait_dscnt 0x0
	s_delay_alu instid0(VALU_DEP_1) | instskip(SKIP_1) | instid1(VALU_DEP_1)
	v_fmac_f64_e32 v[150:151], v[122:123], v[124:125]
	s_wait_loadcnt 0x0
	v_fmac_f64_e32 v[150:151], v[140:141], v[126:127]
	s_delay_alu instid0(VALU_DEP_1)
	v_add_f64_e64 v[2:3], v[114:115], -v[150:151]
	scratch_store_b64 off, v[2:3], off offset:176
	s_wait_xcnt 0x0
	v_cmpx_lt_u32_e32 21, v0
	s_cbranch_execz .LBB118_297
; %bb.296:
	scratch_load_b64 v[2:3], off, off offset:168
	v_mov_b64_e32 v[114:115], 0
	scratch_store_b64 off, v[114:115], off offset:168
	s_wait_loadcnt 0x0
	ds_store_b64 v1, v[2:3]
.LBB118_297:
	s_wait_xcnt 0x0
	s_or_b32 exec_lo, exec_lo, s0
	s_wait_storecnt_dscnt 0x0
	s_barrier_signal -1
	s_barrier_wait -1
	s_clause 0x5
	scratch_load_b128 v[114:117], off, off offset:168
	scratch_load_b128 v[118:121], off, off offset:184
	;; [unrolled: 1-line block ×6, first 2 shown]
	v_mov_b32_e32 v2, 0
	ds_load_b128 v[138:141], v2 offset:624
	ds_load_b128 v[142:145], v2 offset:640
	scratch_load_b128 v[146:149], off, off offset:264
	s_mov_b32 s0, exec_lo
	s_wait_loadcnt_dscnt 0x601
	v_fma_f64 v[150:151], v[116:117], v[138:139], 0
	s_wait_loadcnt 0x5
	s_delay_alu instid0(VALU_DEP_1) | instskip(SKIP_4) | instid1(VALU_DEP_1)
	v_fmac_f64_e32 v[150:151], v[118:119], v[140:141]
	scratch_load_b128 v[116:119], off, off offset:280
	s_wait_dscnt 0x0
	v_fmac_f64_e32 v[150:151], v[120:121], v[142:143]
	s_wait_loadcnt 0x5
	v_fmac_f64_e32 v[150:151], v[122:123], v[144:145]
	ds_load_b128 v[120:123], v2 offset:656
	ds_load_b128 v[138:141], v2 offset:672
	scratch_load_b128 v[142:145], off, off offset:296
	s_wait_dscnt 0x1
	v_fmac_f64_e32 v[150:151], v[124:125], v[120:121]
	s_wait_loadcnt 0x5
	s_delay_alu instid0(VALU_DEP_1) | instskip(SKIP_4) | instid1(VALU_DEP_1)
	v_fmac_f64_e32 v[150:151], v[126:127], v[122:123]
	scratch_load_b128 v[120:123], off, off offset:312
	s_wait_dscnt 0x0
	v_fmac_f64_e32 v[150:151], v[128:129], v[138:139]
	s_wait_loadcnt 0x5
	v_fmac_f64_e32 v[150:151], v[130:131], v[140:141]
	ds_load_b128 v[124:127], v2 offset:688
	ds_load_b128 v[128:131], v2 offset:704
	scratch_load_b128 v[138:141], off, off offset:328
	s_wait_dscnt 0x1
	v_fmac_f64_e32 v[150:151], v[132:133], v[124:125]
	s_wait_loadcnt 0x5
	s_delay_alu instid0(VALU_DEP_1) | instskip(SKIP_4) | instid1(VALU_DEP_1)
	v_fmac_f64_e32 v[150:151], v[134:135], v[126:127]
	scratch_load_b128 v[124:127], off, off offset:344
	s_wait_dscnt 0x0
	v_fmac_f64_e32 v[150:151], v[136:137], v[128:129]
	s_wait_loadcnt 0x5
	v_fmac_f64_e32 v[150:151], v[146:147], v[130:131]
	ds_load_b128 v[128:131], v2 offset:720
	ds_load_b128 v[132:135], v2 offset:736
	s_wait_dscnt 0x1
	v_fmac_f64_e32 v[150:151], v[148:149], v[128:129]
	s_wait_loadcnt 0x4
	s_delay_alu instid0(VALU_DEP_1)
	v_fmac_f64_e32 v[150:151], v[116:117], v[130:131]
	scratch_load_b128 v[128:131], off, off offset:360
	s_wait_dscnt 0x0
	v_fmac_f64_e32 v[150:151], v[118:119], v[132:133]
	scratch_load_b128 v[116:119], off, off offset:376
	s_wait_loadcnt 0x5
	v_fmac_f64_e32 v[150:151], v[142:143], v[134:135]
	ds_load_b128 v[132:135], v2 offset:752
	ds_load_b128 v[146:149], v2 offset:768
	s_wait_dscnt 0x1
	v_fmac_f64_e32 v[150:151], v[144:145], v[132:133]
	s_wait_loadcnt 0x4
	s_delay_alu instid0(VALU_DEP_1)
	v_fmac_f64_e32 v[150:151], v[120:121], v[134:135]
	scratch_load_b128 v[132:135], off, off offset:392
	s_wait_dscnt 0x0
	v_fmac_f64_e32 v[150:151], v[122:123], v[146:147]
	scratch_load_b128 v[120:123], off, off offset:408
	s_wait_loadcnt 0x5
	v_fmac_f64_e32 v[150:151], v[138:139], v[148:149]
	ds_load_b128 v[136:139], v2 offset:784
	ds_load_b128 v[142:145], v2 offset:800
	s_wait_dscnt 0x1
	v_fmac_f64_e32 v[150:151], v[140:141], v[136:137]
	s_wait_loadcnt 0x4
	s_delay_alu instid0(VALU_DEP_1)
	v_fmac_f64_e32 v[150:151], v[124:125], v[138:139]
	scratch_load_b128 v[136:139], off, off offset:424
	s_wait_dscnt 0x0
	v_fmac_f64_e32 v[150:151], v[126:127], v[142:143]
	ds_load_b128 v[124:127], v2 offset:816
	ds_load_b128 v[140:143], v2 offset:832
	s_wait_loadcnt 0x4
	v_fmac_f64_e32 v[150:151], v[128:129], v[144:145]
	s_wait_dscnt 0x1
	s_delay_alu instid0(VALU_DEP_1) | instskip(SKIP_1) | instid1(VALU_DEP_1)
	v_fmac_f64_e32 v[150:151], v[130:131], v[124:125]
	s_wait_loadcnt 0x3
	v_fmac_f64_e32 v[150:151], v[116:117], v[126:127]
	s_wait_dscnt 0x0
	s_delay_alu instid0(VALU_DEP_1)
	v_fmac_f64_e32 v[150:151], v[118:119], v[140:141]
	ds_load_b128 v[116:119], v2 offset:848
	ds_load_b128 v[124:127], v2 offset:864
	s_wait_loadcnt 0x2
	v_fmac_f64_e32 v[150:151], v[132:133], v[142:143]
	s_wait_dscnt 0x1
	s_delay_alu instid0(VALU_DEP_1) | instskip(SKIP_4) | instid1(VALU_DEP_1)
	v_fmac_f64_e32 v[150:151], v[134:135], v[116:117]
	ds_load_b64 v[116:117], v2 offset:880
	s_wait_loadcnt 0x1
	v_fmac_f64_e32 v[150:151], v[120:121], v[118:119]
	s_wait_dscnt 0x1
	v_fmac_f64_e32 v[150:151], v[122:123], v[124:125]
	s_wait_loadcnt 0x0
	s_delay_alu instid0(VALU_DEP_1) | instskip(SKIP_1) | instid1(VALU_DEP_1)
	v_fmac_f64_e32 v[150:151], v[136:137], v[126:127]
	s_wait_dscnt 0x0
	v_fmac_f64_e32 v[150:151], v[138:139], v[116:117]
	s_delay_alu instid0(VALU_DEP_1)
	v_add_f64_e64 v[114:115], v[114:115], -v[150:151]
	scratch_store_b64 off, v[114:115], off offset:168
	s_wait_xcnt 0x0
	v_cmpx_lt_u32_e32 20, v0
	s_cbranch_execz .LBB118_299
; %bb.298:
	scratch_load_b64 v[114:115], off, off offset:160
	v_mov_b64_e32 v[116:117], 0
	scratch_store_b64 off, v[116:117], off offset:160
	s_wait_loadcnt 0x0
	ds_store_b64 v1, v[114:115]
.LBB118_299:
	s_wait_xcnt 0x0
	s_or_b32 exec_lo, exec_lo, s0
	s_wait_storecnt_dscnt 0x0
	s_barrier_signal -1
	s_barrier_wait -1
	s_clause 0x5
	scratch_load_b128 v[114:117], off, off offset:160
	scratch_load_b128 v[118:121], off, off offset:176
	;; [unrolled: 1-line block ×6, first 2 shown]
	ds_load_2addr_b64 v[138:141], v2 offset0:77 offset1:78
	ds_load_2addr_b64 v[142:145], v2 offset0:79 offset1:80
	scratch_load_b128 v[146:149], off, off offset:256
	s_mov_b32 s0, exec_lo
	s_wait_loadcnt_dscnt 0x601
	v_fma_f64 v[150:151], v[116:117], v[138:139], 0
	s_wait_loadcnt 0x5
	s_delay_alu instid0(VALU_DEP_1) | instskip(SKIP_4) | instid1(VALU_DEP_1)
	v_fmac_f64_e32 v[150:151], v[118:119], v[140:141]
	scratch_load_b128 v[116:119], off, off offset:272
	s_wait_dscnt 0x0
	v_fmac_f64_e32 v[150:151], v[120:121], v[142:143]
	s_wait_loadcnt 0x5
	v_fmac_f64_e32 v[150:151], v[122:123], v[144:145]
	ds_load_2addr_b64 v[120:123], v2 offset0:81 offset1:82
	ds_load_2addr_b64 v[138:141], v2 offset0:83 offset1:84
	scratch_load_b128 v[142:145], off, off offset:288
	s_wait_dscnt 0x1
	v_fmac_f64_e32 v[150:151], v[124:125], v[120:121]
	s_wait_loadcnt 0x5
	s_delay_alu instid0(VALU_DEP_1) | instskip(SKIP_4) | instid1(VALU_DEP_1)
	v_fmac_f64_e32 v[150:151], v[126:127], v[122:123]
	scratch_load_b128 v[120:123], off, off offset:304
	s_wait_dscnt 0x0
	v_fmac_f64_e32 v[150:151], v[128:129], v[138:139]
	s_wait_loadcnt 0x5
	v_fmac_f64_e32 v[150:151], v[130:131], v[140:141]
	ds_load_2addr_b64 v[124:127], v2 offset0:85 offset1:86
	ds_load_2addr_b64 v[128:131], v2 offset0:87 offset1:88
	scratch_load_b128 v[138:141], off, off offset:320
	s_wait_dscnt 0x1
	v_fmac_f64_e32 v[150:151], v[132:133], v[124:125]
	s_wait_loadcnt 0x5
	s_delay_alu instid0(VALU_DEP_1) | instskip(SKIP_4) | instid1(VALU_DEP_1)
	v_fmac_f64_e32 v[150:151], v[134:135], v[126:127]
	scratch_load_b128 v[124:127], off, off offset:336
	s_wait_dscnt 0x0
	v_fmac_f64_e32 v[150:151], v[136:137], v[128:129]
	s_wait_loadcnt 0x5
	v_fmac_f64_e32 v[150:151], v[146:147], v[130:131]
	ds_load_2addr_b64 v[128:131], v2 offset0:89 offset1:90
	ds_load_2addr_b64 v[132:135], v2 offset0:91 offset1:92
	s_wait_dscnt 0x1
	v_fmac_f64_e32 v[150:151], v[148:149], v[128:129]
	scratch_load_b128 v[146:149], off, off offset:352
	s_wait_loadcnt 0x5
	v_fmac_f64_e32 v[150:151], v[116:117], v[130:131]
	s_wait_dscnt 0x0
	s_delay_alu instid0(VALU_DEP_1)
	v_fmac_f64_e32 v[150:151], v[118:119], v[132:133]
	scratch_load_b128 v[116:119], off, off offset:368
	s_wait_loadcnt 0x5
	v_fmac_f64_e32 v[150:151], v[142:143], v[134:135]
	ds_load_2addr_b64 v[128:131], v2 offset0:93 offset1:94
	ds_load_2addr_b64 v[132:135], v2 offset0:95 offset1:96
	s_wait_dscnt 0x1
	v_fmac_f64_e32 v[150:151], v[144:145], v[128:129]
	s_wait_loadcnt 0x4
	s_delay_alu instid0(VALU_DEP_1)
	v_fmac_f64_e32 v[150:151], v[120:121], v[130:131]
	scratch_load_b128 v[128:131], off, off offset:384
	s_wait_dscnt 0x0
	v_fmac_f64_e32 v[150:151], v[122:123], v[132:133]
	scratch_load_b128 v[120:123], off, off offset:400
	s_wait_loadcnt 0x5
	v_fmac_f64_e32 v[150:151], v[138:139], v[134:135]
	ds_load_2addr_b64 v[132:135], v2 offset0:97 offset1:98
	ds_load_2addr_b64 v[136:139], v2 offset0:99 offset1:100
	s_wait_dscnt 0x1
	v_fmac_f64_e32 v[150:151], v[140:141], v[132:133]
	scratch_load_b64 v[140:141], off, off offset:432
	s_wait_loadcnt 0x5
	v_fmac_f64_e32 v[150:151], v[124:125], v[134:135]
	scratch_load_b128 v[132:135], off, off offset:416
	s_wait_dscnt 0x0
	v_fmac_f64_e32 v[150:151], v[126:127], v[136:137]
	s_wait_loadcnt 0x5
	s_delay_alu instid0(VALU_DEP_1)
	v_fmac_f64_e32 v[150:151], v[146:147], v[138:139]
	ds_load_2addr_b64 v[124:127], v2 offset0:101 offset1:102
	ds_load_2addr_b64 v[136:139], v2 offset0:103 offset1:104
	s_wait_dscnt 0x1
	v_fmac_f64_e32 v[150:151], v[148:149], v[124:125]
	s_wait_loadcnt 0x4
	s_delay_alu instid0(VALU_DEP_1) | instskip(SKIP_1) | instid1(VALU_DEP_1)
	v_fmac_f64_e32 v[150:151], v[116:117], v[126:127]
	s_wait_dscnt 0x0
	v_fmac_f64_e32 v[150:151], v[118:119], v[136:137]
	ds_load_2addr_b64 v[116:119], v2 offset0:105 offset1:106
	ds_load_2addr_b64 v[124:127], v2 offset0:107 offset1:108
	s_wait_loadcnt 0x3
	v_fmac_f64_e32 v[150:151], v[128:129], v[138:139]
	s_wait_dscnt 0x1
	s_delay_alu instid0(VALU_DEP_1) | instskip(SKIP_1) | instid1(VALU_DEP_1)
	v_fmac_f64_e32 v[150:151], v[130:131], v[116:117]
	s_wait_loadcnt 0x2
	v_fmac_f64_e32 v[150:151], v[120:121], v[118:119]
	ds_load_2addr_b64 v[116:119], v2 offset0:109 offset1:110
	s_wait_dscnt 0x1
	v_fmac_f64_e32 v[150:151], v[122:123], v[124:125]
	s_wait_loadcnt 0x0
	s_delay_alu instid0(VALU_DEP_1) | instskip(SKIP_1) | instid1(VALU_DEP_1)
	v_fmac_f64_e32 v[150:151], v[132:133], v[126:127]
	s_wait_dscnt 0x0
	v_fmac_f64_e32 v[150:151], v[134:135], v[116:117]
	s_delay_alu instid0(VALU_DEP_1) | instskip(NEXT) | instid1(VALU_DEP_1)
	v_fmac_f64_e32 v[150:151], v[140:141], v[118:119]
	v_add_f64_e64 v[2:3], v[114:115], -v[150:151]
	scratch_store_b64 off, v[2:3], off offset:160
	s_wait_xcnt 0x0
	v_cmpx_lt_u32_e32 19, v0
	s_cbranch_execz .LBB118_301
; %bb.300:
	scratch_load_b64 v[2:3], off, off offset:152
	v_mov_b64_e32 v[114:115], 0
	scratch_store_b64 off, v[114:115], off offset:152
	s_wait_loadcnt 0x0
	ds_store_b64 v1, v[2:3]
.LBB118_301:
	s_wait_xcnt 0x0
	s_or_b32 exec_lo, exec_lo, s0
	s_wait_storecnt_dscnt 0x0
	s_barrier_signal -1
	s_barrier_wait -1
	s_clause 0x5
	scratch_load_b128 v[114:117], off, off offset:152
	scratch_load_b128 v[118:121], off, off offset:168
	;; [unrolled: 1-line block ×6, first 2 shown]
	v_mov_b32_e32 v2, 0
	ds_load_b128 v[138:141], v2 offset:608
	ds_load_b128 v[142:145], v2 offset:624
	scratch_load_b128 v[146:149], off, off offset:248
	s_mov_b32 s0, exec_lo
	s_wait_loadcnt_dscnt 0x601
	v_fma_f64 v[150:151], v[116:117], v[138:139], 0
	s_wait_loadcnt 0x5
	s_delay_alu instid0(VALU_DEP_1) | instskip(SKIP_4) | instid1(VALU_DEP_1)
	v_fmac_f64_e32 v[150:151], v[118:119], v[140:141]
	scratch_load_b128 v[116:119], off, off offset:264
	s_wait_dscnt 0x0
	v_fmac_f64_e32 v[150:151], v[120:121], v[142:143]
	s_wait_loadcnt 0x5
	v_fmac_f64_e32 v[150:151], v[122:123], v[144:145]
	ds_load_b128 v[120:123], v2 offset:640
	ds_load_b128 v[138:141], v2 offset:656
	scratch_load_b128 v[142:145], off, off offset:280
	s_wait_dscnt 0x1
	v_fmac_f64_e32 v[150:151], v[124:125], v[120:121]
	s_wait_loadcnt 0x5
	s_delay_alu instid0(VALU_DEP_1) | instskip(SKIP_4) | instid1(VALU_DEP_1)
	v_fmac_f64_e32 v[150:151], v[126:127], v[122:123]
	scratch_load_b128 v[120:123], off, off offset:296
	s_wait_dscnt 0x0
	v_fmac_f64_e32 v[150:151], v[128:129], v[138:139]
	s_wait_loadcnt 0x5
	v_fmac_f64_e32 v[150:151], v[130:131], v[140:141]
	ds_load_b128 v[124:127], v2 offset:672
	ds_load_b128 v[128:131], v2 offset:688
	scratch_load_b128 v[138:141], off, off offset:312
	s_wait_dscnt 0x1
	v_fmac_f64_e32 v[150:151], v[132:133], v[124:125]
	s_wait_loadcnt 0x5
	s_delay_alu instid0(VALU_DEP_1) | instskip(SKIP_4) | instid1(VALU_DEP_1)
	v_fmac_f64_e32 v[150:151], v[134:135], v[126:127]
	scratch_load_b128 v[124:127], off, off offset:328
	s_wait_dscnt 0x0
	v_fmac_f64_e32 v[150:151], v[136:137], v[128:129]
	s_wait_loadcnt 0x5
	v_fmac_f64_e32 v[150:151], v[146:147], v[130:131]
	ds_load_b128 v[128:131], v2 offset:704
	ds_load_b128 v[132:135], v2 offset:720
	s_wait_dscnt 0x1
	v_fmac_f64_e32 v[150:151], v[148:149], v[128:129]
	scratch_load_b128 v[146:149], off, off offset:344
	s_wait_loadcnt 0x5
	v_fmac_f64_e32 v[150:151], v[116:117], v[130:131]
	s_wait_dscnt 0x0
	s_delay_alu instid0(VALU_DEP_1)
	v_fmac_f64_e32 v[150:151], v[118:119], v[132:133]
	scratch_load_b128 v[116:119], off, off offset:360
	s_wait_loadcnt 0x5
	v_fmac_f64_e32 v[150:151], v[142:143], v[134:135]
	ds_load_b128 v[128:131], v2 offset:736
	ds_load_b128 v[132:135], v2 offset:752
	s_wait_dscnt 0x1
	v_fmac_f64_e32 v[150:151], v[144:145], v[128:129]
	s_wait_loadcnt 0x4
	s_delay_alu instid0(VALU_DEP_1)
	v_fmac_f64_e32 v[150:151], v[120:121], v[130:131]
	scratch_load_b128 v[128:131], off, off offset:376
	s_wait_dscnt 0x0
	v_fmac_f64_e32 v[150:151], v[122:123], v[132:133]
	scratch_load_b128 v[120:123], off, off offset:392
	s_wait_loadcnt 0x5
	v_fmac_f64_e32 v[150:151], v[138:139], v[134:135]
	ds_load_b128 v[132:135], v2 offset:768
	ds_load_b128 v[136:139], v2 offset:784
	s_wait_dscnt 0x1
	v_fmac_f64_e32 v[150:151], v[140:141], v[132:133]
	s_wait_loadcnt 0x4
	s_delay_alu instid0(VALU_DEP_1)
	v_fmac_f64_e32 v[150:151], v[124:125], v[134:135]
	scratch_load_b128 v[132:135], off, off offset:408
	s_wait_dscnt 0x0
	v_fmac_f64_e32 v[150:151], v[126:127], v[136:137]
	scratch_load_b128 v[124:127], off, off offset:424
	s_wait_loadcnt 0x5
	v_fmac_f64_e32 v[150:151], v[146:147], v[138:139]
	ds_load_b128 v[136:139], v2 offset:800
	ds_load_b128 v[140:143], v2 offset:816
	s_wait_dscnt 0x1
	v_fmac_f64_e32 v[150:151], v[148:149], v[136:137]
	s_wait_loadcnt 0x4
	s_delay_alu instid0(VALU_DEP_1) | instskip(SKIP_1) | instid1(VALU_DEP_1)
	v_fmac_f64_e32 v[150:151], v[116:117], v[138:139]
	s_wait_dscnt 0x0
	v_fmac_f64_e32 v[150:151], v[118:119], v[140:141]
	ds_load_b128 v[116:119], v2 offset:832
	ds_load_b128 v[136:139], v2 offset:848
	s_wait_loadcnt 0x3
	v_fmac_f64_e32 v[150:151], v[128:129], v[142:143]
	s_wait_dscnt 0x1
	s_delay_alu instid0(VALU_DEP_1) | instskip(SKIP_1) | instid1(VALU_DEP_1)
	v_fmac_f64_e32 v[150:151], v[130:131], v[116:117]
	s_wait_loadcnt 0x2
	v_fmac_f64_e32 v[150:151], v[120:121], v[118:119]
	ds_load_b128 v[116:119], v2 offset:864
	ds_load_b64 v[120:121], v2 offset:880
	s_wait_dscnt 0x2
	v_fmac_f64_e32 v[150:151], v[122:123], v[136:137]
	s_wait_loadcnt 0x1
	s_delay_alu instid0(VALU_DEP_1) | instskip(SKIP_1) | instid1(VALU_DEP_1)
	v_fmac_f64_e32 v[150:151], v[132:133], v[138:139]
	s_wait_dscnt 0x1
	v_fmac_f64_e32 v[150:151], v[134:135], v[116:117]
	s_wait_loadcnt 0x0
	s_delay_alu instid0(VALU_DEP_1) | instskip(SKIP_1) | instid1(VALU_DEP_1)
	v_fmac_f64_e32 v[150:151], v[124:125], v[118:119]
	s_wait_dscnt 0x0
	v_fmac_f64_e32 v[150:151], v[126:127], v[120:121]
	s_delay_alu instid0(VALU_DEP_1)
	v_add_f64_e64 v[114:115], v[114:115], -v[150:151]
	scratch_store_b64 off, v[114:115], off offset:152
	s_wait_xcnt 0x0
	v_cmpx_lt_u32_e32 18, v0
	s_cbranch_execz .LBB118_303
; %bb.302:
	scratch_load_b64 v[114:115], off, off offset:144
	v_mov_b64_e32 v[116:117], 0
	scratch_store_b64 off, v[116:117], off offset:144
	s_wait_loadcnt 0x0
	ds_store_b64 v1, v[114:115]
.LBB118_303:
	s_wait_xcnt 0x0
	s_or_b32 exec_lo, exec_lo, s0
	s_wait_storecnt_dscnt 0x0
	s_barrier_signal -1
	s_barrier_wait -1
	s_clause 0x5
	scratch_load_b128 v[114:117], off, off offset:144
	scratch_load_b128 v[118:121], off, off offset:160
	;; [unrolled: 1-line block ×6, first 2 shown]
	ds_load_2addr_b64 v[138:141], v2 offset0:75 offset1:76
	ds_load_2addr_b64 v[142:145], v2 offset0:77 offset1:78
	scratch_load_b128 v[146:149], off, off offset:240
	s_mov_b32 s0, exec_lo
	s_wait_loadcnt_dscnt 0x601
	v_fma_f64 v[150:151], v[116:117], v[138:139], 0
	s_wait_loadcnt 0x5
	s_delay_alu instid0(VALU_DEP_1) | instskip(SKIP_4) | instid1(VALU_DEP_1)
	v_fmac_f64_e32 v[150:151], v[118:119], v[140:141]
	scratch_load_b128 v[116:119], off, off offset:256
	s_wait_dscnt 0x0
	v_fmac_f64_e32 v[150:151], v[120:121], v[142:143]
	s_wait_loadcnt 0x5
	v_fmac_f64_e32 v[150:151], v[122:123], v[144:145]
	ds_load_2addr_b64 v[120:123], v2 offset0:79 offset1:80
	ds_load_2addr_b64 v[138:141], v2 offset0:81 offset1:82
	scratch_load_b128 v[142:145], off, off offset:272
	s_wait_dscnt 0x1
	v_fmac_f64_e32 v[150:151], v[124:125], v[120:121]
	s_wait_loadcnt 0x5
	s_delay_alu instid0(VALU_DEP_1) | instskip(SKIP_4) | instid1(VALU_DEP_1)
	v_fmac_f64_e32 v[150:151], v[126:127], v[122:123]
	scratch_load_b128 v[120:123], off, off offset:288
	s_wait_dscnt 0x0
	v_fmac_f64_e32 v[150:151], v[128:129], v[138:139]
	s_wait_loadcnt 0x5
	v_fmac_f64_e32 v[150:151], v[130:131], v[140:141]
	ds_load_2addr_b64 v[124:127], v2 offset0:83 offset1:84
	ds_load_2addr_b64 v[128:131], v2 offset0:85 offset1:86
	scratch_load_b128 v[138:141], off, off offset:304
	s_wait_dscnt 0x1
	v_fmac_f64_e32 v[150:151], v[132:133], v[124:125]
	s_wait_loadcnt 0x5
	s_delay_alu instid0(VALU_DEP_1) | instskip(SKIP_4) | instid1(VALU_DEP_1)
	v_fmac_f64_e32 v[150:151], v[134:135], v[126:127]
	scratch_load_b128 v[124:127], off, off offset:320
	s_wait_dscnt 0x0
	v_fmac_f64_e32 v[150:151], v[136:137], v[128:129]
	s_wait_loadcnt 0x5
	v_fmac_f64_e32 v[150:151], v[146:147], v[130:131]
	ds_load_2addr_b64 v[128:131], v2 offset0:87 offset1:88
	ds_load_2addr_b64 v[132:135], v2 offset0:89 offset1:90
	s_wait_dscnt 0x1
	v_fmac_f64_e32 v[150:151], v[148:149], v[128:129]
	scratch_load_b128 v[146:149], off, off offset:336
	s_wait_loadcnt 0x5
	v_fmac_f64_e32 v[150:151], v[116:117], v[130:131]
	s_wait_dscnt 0x0
	s_delay_alu instid0(VALU_DEP_1)
	v_fmac_f64_e32 v[150:151], v[118:119], v[132:133]
	scratch_load_b128 v[116:119], off, off offset:352
	s_wait_loadcnt 0x5
	v_fmac_f64_e32 v[150:151], v[142:143], v[134:135]
	ds_load_2addr_b64 v[128:131], v2 offset0:91 offset1:92
	ds_load_2addr_b64 v[132:135], v2 offset0:93 offset1:94
	s_wait_dscnt 0x1
	v_fmac_f64_e32 v[150:151], v[144:145], v[128:129]
	s_wait_loadcnt 0x4
	s_delay_alu instid0(VALU_DEP_1)
	v_fmac_f64_e32 v[150:151], v[120:121], v[130:131]
	scratch_load_b128 v[128:131], off, off offset:368
	s_wait_dscnt 0x0
	v_fmac_f64_e32 v[150:151], v[122:123], v[132:133]
	scratch_load_b128 v[120:123], off, off offset:384
	s_wait_loadcnt 0x5
	v_fmac_f64_e32 v[150:151], v[138:139], v[134:135]
	ds_load_2addr_b64 v[132:135], v2 offset0:95 offset1:96
	ds_load_2addr_b64 v[136:139], v2 offset0:97 offset1:98
	s_wait_dscnt 0x1
	v_fmac_f64_e32 v[150:151], v[140:141], v[132:133]
	s_wait_loadcnt 0x4
	s_delay_alu instid0(VALU_DEP_1)
	v_fmac_f64_e32 v[150:151], v[124:125], v[134:135]
	scratch_load_b128 v[132:135], off, off offset:400
	s_wait_dscnt 0x0
	v_fmac_f64_e32 v[150:151], v[126:127], v[136:137]
	scratch_load_b128 v[124:127], off, off offset:416
	s_wait_loadcnt 0x5
	v_fmac_f64_e32 v[150:151], v[146:147], v[138:139]
	ds_load_2addr_b64 v[136:139], v2 offset0:99 offset1:100
	ds_load_2addr_b64 v[140:143], v2 offset0:101 offset1:102
	scratch_load_b64 v[144:145], off, off offset:432
	s_wait_dscnt 0x1
	v_fmac_f64_e32 v[150:151], v[148:149], v[136:137]
	s_wait_loadcnt 0x5
	s_delay_alu instid0(VALU_DEP_1) | instskip(SKIP_1) | instid1(VALU_DEP_1)
	v_fmac_f64_e32 v[150:151], v[116:117], v[138:139]
	s_wait_dscnt 0x0
	v_fmac_f64_e32 v[150:151], v[118:119], v[140:141]
	ds_load_2addr_b64 v[116:119], v2 offset0:103 offset1:104
	ds_load_2addr_b64 v[136:139], v2 offset0:105 offset1:106
	s_wait_loadcnt 0x4
	v_fmac_f64_e32 v[150:151], v[128:129], v[142:143]
	s_wait_dscnt 0x1
	s_delay_alu instid0(VALU_DEP_1) | instskip(SKIP_1) | instid1(VALU_DEP_1)
	v_fmac_f64_e32 v[150:151], v[130:131], v[116:117]
	s_wait_loadcnt 0x3
	v_fmac_f64_e32 v[150:151], v[120:121], v[118:119]
	s_wait_dscnt 0x0
	s_delay_alu instid0(VALU_DEP_1)
	v_fmac_f64_e32 v[150:151], v[122:123], v[136:137]
	ds_load_2addr_b64 v[116:119], v2 offset0:107 offset1:108
	ds_load_2addr_b64 v[120:123], v2 offset0:109 offset1:110
	s_wait_loadcnt 0x2
	v_fmac_f64_e32 v[150:151], v[132:133], v[138:139]
	s_wait_dscnt 0x1
	s_delay_alu instid0(VALU_DEP_1) | instskip(SKIP_1) | instid1(VALU_DEP_1)
	v_fmac_f64_e32 v[150:151], v[134:135], v[116:117]
	s_wait_loadcnt 0x1
	v_fmac_f64_e32 v[150:151], v[124:125], v[118:119]
	s_wait_dscnt 0x0
	s_delay_alu instid0(VALU_DEP_1) | instskip(SKIP_1) | instid1(VALU_DEP_1)
	v_fmac_f64_e32 v[150:151], v[126:127], v[120:121]
	s_wait_loadcnt 0x0
	v_fmac_f64_e32 v[150:151], v[144:145], v[122:123]
	s_delay_alu instid0(VALU_DEP_1)
	v_add_f64_e64 v[2:3], v[114:115], -v[150:151]
	scratch_store_b64 off, v[2:3], off offset:144
	s_wait_xcnt 0x0
	v_cmpx_lt_u32_e32 17, v0
	s_cbranch_execz .LBB118_305
; %bb.304:
	scratch_load_b64 v[2:3], off, off offset:136
	v_mov_b64_e32 v[114:115], 0
	scratch_store_b64 off, v[114:115], off offset:136
	s_wait_loadcnt 0x0
	ds_store_b64 v1, v[2:3]
.LBB118_305:
	s_wait_xcnt 0x0
	s_or_b32 exec_lo, exec_lo, s0
	s_wait_storecnt_dscnt 0x0
	s_barrier_signal -1
	s_barrier_wait -1
	s_clause 0x5
	scratch_load_b128 v[114:117], off, off offset:136
	scratch_load_b128 v[118:121], off, off offset:152
	;; [unrolled: 1-line block ×6, first 2 shown]
	v_mov_b32_e32 v2, 0
	ds_load_b128 v[138:141], v2 offset:592
	ds_load_b128 v[142:145], v2 offset:608
	scratch_load_b128 v[146:149], off, off offset:232
	s_mov_b32 s0, exec_lo
	s_wait_loadcnt_dscnt 0x601
	v_fma_f64 v[150:151], v[116:117], v[138:139], 0
	s_wait_loadcnt 0x5
	s_delay_alu instid0(VALU_DEP_1) | instskip(SKIP_4) | instid1(VALU_DEP_1)
	v_fmac_f64_e32 v[150:151], v[118:119], v[140:141]
	scratch_load_b128 v[116:119], off, off offset:248
	s_wait_dscnt 0x0
	v_fmac_f64_e32 v[150:151], v[120:121], v[142:143]
	s_wait_loadcnt 0x5
	v_fmac_f64_e32 v[150:151], v[122:123], v[144:145]
	ds_load_b128 v[120:123], v2 offset:624
	ds_load_b128 v[138:141], v2 offset:640
	scratch_load_b128 v[142:145], off, off offset:264
	s_wait_dscnt 0x1
	v_fmac_f64_e32 v[150:151], v[124:125], v[120:121]
	s_wait_loadcnt 0x5
	s_delay_alu instid0(VALU_DEP_1) | instskip(SKIP_4) | instid1(VALU_DEP_1)
	v_fmac_f64_e32 v[150:151], v[126:127], v[122:123]
	scratch_load_b128 v[120:123], off, off offset:280
	s_wait_dscnt 0x0
	v_fmac_f64_e32 v[150:151], v[128:129], v[138:139]
	s_wait_loadcnt 0x5
	v_fmac_f64_e32 v[150:151], v[130:131], v[140:141]
	ds_load_b128 v[124:127], v2 offset:656
	ds_load_b128 v[128:131], v2 offset:672
	scratch_load_b128 v[138:141], off, off offset:296
	s_wait_dscnt 0x1
	v_fmac_f64_e32 v[150:151], v[132:133], v[124:125]
	s_wait_loadcnt 0x5
	s_delay_alu instid0(VALU_DEP_1) | instskip(SKIP_4) | instid1(VALU_DEP_1)
	v_fmac_f64_e32 v[150:151], v[134:135], v[126:127]
	scratch_load_b128 v[124:127], off, off offset:312
	s_wait_dscnt 0x0
	v_fmac_f64_e32 v[150:151], v[136:137], v[128:129]
	s_wait_loadcnt 0x5
	v_fmac_f64_e32 v[150:151], v[146:147], v[130:131]
	ds_load_b128 v[128:131], v2 offset:688
	ds_load_b128 v[132:135], v2 offset:704
	s_wait_dscnt 0x1
	v_fmac_f64_e32 v[150:151], v[148:149], v[128:129]
	scratch_load_b128 v[146:149], off, off offset:328
	s_wait_loadcnt 0x5
	v_fmac_f64_e32 v[150:151], v[116:117], v[130:131]
	s_wait_dscnt 0x0
	s_delay_alu instid0(VALU_DEP_1)
	v_fmac_f64_e32 v[150:151], v[118:119], v[132:133]
	scratch_load_b128 v[116:119], off, off offset:344
	s_wait_loadcnt 0x5
	v_fmac_f64_e32 v[150:151], v[142:143], v[134:135]
	ds_load_b128 v[128:131], v2 offset:720
	ds_load_b128 v[132:135], v2 offset:736
	s_wait_dscnt 0x1
	v_fmac_f64_e32 v[150:151], v[144:145], v[128:129]
	s_wait_loadcnt 0x4
	s_delay_alu instid0(VALU_DEP_1)
	v_fmac_f64_e32 v[150:151], v[120:121], v[130:131]
	scratch_load_b128 v[128:131], off, off offset:360
	s_wait_dscnt 0x0
	v_fmac_f64_e32 v[150:151], v[122:123], v[132:133]
	scratch_load_b128 v[120:123], off, off offset:376
	s_wait_loadcnt 0x5
	v_fmac_f64_e32 v[150:151], v[138:139], v[134:135]
	ds_load_b128 v[132:135], v2 offset:752
	ds_load_b128 v[136:139], v2 offset:768
	s_wait_dscnt 0x1
	v_fmac_f64_e32 v[150:151], v[140:141], v[132:133]
	s_wait_loadcnt 0x4
	s_delay_alu instid0(VALU_DEP_1)
	v_fmac_f64_e32 v[150:151], v[124:125], v[134:135]
	scratch_load_b128 v[132:135], off, off offset:392
	s_wait_dscnt 0x0
	v_fmac_f64_e32 v[150:151], v[126:127], v[136:137]
	scratch_load_b128 v[124:127], off, off offset:408
	s_wait_loadcnt 0x5
	v_fmac_f64_e32 v[150:151], v[146:147], v[138:139]
	ds_load_b128 v[136:139], v2 offset:784
	ds_load_b128 v[140:143], v2 offset:800
	s_wait_dscnt 0x1
	v_fmac_f64_e32 v[150:151], v[148:149], v[136:137]
	s_wait_loadcnt 0x4
	s_delay_alu instid0(VALU_DEP_1) | instskip(SKIP_4) | instid1(VALU_DEP_1)
	v_fmac_f64_e32 v[150:151], v[116:117], v[138:139]
	scratch_load_b128 v[136:139], off, off offset:424
	s_wait_dscnt 0x0
	v_fmac_f64_e32 v[150:151], v[118:119], v[140:141]
	s_wait_loadcnt 0x4
	v_fmac_f64_e32 v[150:151], v[128:129], v[142:143]
	ds_load_b128 v[116:119], v2 offset:816
	ds_load_b128 v[140:143], v2 offset:832
	s_wait_dscnt 0x1
	v_fmac_f64_e32 v[150:151], v[130:131], v[116:117]
	s_wait_loadcnt 0x3
	s_delay_alu instid0(VALU_DEP_1) | instskip(SKIP_1) | instid1(VALU_DEP_1)
	v_fmac_f64_e32 v[150:151], v[120:121], v[118:119]
	s_wait_dscnt 0x0
	v_fmac_f64_e32 v[150:151], v[122:123], v[140:141]
	ds_load_b128 v[116:119], v2 offset:848
	ds_load_b128 v[120:123], v2 offset:864
	s_wait_loadcnt 0x2
	v_fmac_f64_e32 v[150:151], v[132:133], v[142:143]
	s_wait_dscnt 0x1
	s_delay_alu instid0(VALU_DEP_1) | instskip(SKIP_4) | instid1(VALU_DEP_1)
	v_fmac_f64_e32 v[150:151], v[134:135], v[116:117]
	ds_load_b64 v[116:117], v2 offset:880
	s_wait_loadcnt 0x1
	v_fmac_f64_e32 v[150:151], v[124:125], v[118:119]
	s_wait_dscnt 0x1
	v_fmac_f64_e32 v[150:151], v[126:127], v[120:121]
	s_wait_loadcnt 0x0
	s_delay_alu instid0(VALU_DEP_1) | instskip(SKIP_1) | instid1(VALU_DEP_1)
	v_fmac_f64_e32 v[150:151], v[136:137], v[122:123]
	s_wait_dscnt 0x0
	v_fmac_f64_e32 v[150:151], v[138:139], v[116:117]
	s_delay_alu instid0(VALU_DEP_1)
	v_add_f64_e64 v[114:115], v[114:115], -v[150:151]
	scratch_store_b64 off, v[114:115], off offset:136
	s_wait_xcnt 0x0
	v_cmpx_lt_u32_e32 16, v0
	s_cbranch_execz .LBB118_307
; %bb.306:
	scratch_load_b64 v[114:115], off, off offset:128
	v_mov_b64_e32 v[116:117], 0
	scratch_store_b64 off, v[116:117], off offset:128
	s_wait_loadcnt 0x0
	ds_store_b64 v1, v[114:115]
.LBB118_307:
	s_wait_xcnt 0x0
	s_or_b32 exec_lo, exec_lo, s0
	s_wait_storecnt_dscnt 0x0
	s_barrier_signal -1
	s_barrier_wait -1
	s_clause 0x5
	scratch_load_b128 v[114:117], off, off offset:128
	scratch_load_b128 v[118:121], off, off offset:144
	;; [unrolled: 1-line block ×6, first 2 shown]
	ds_load_2addr_b64 v[138:141], v2 offset0:73 offset1:74
	ds_load_2addr_b64 v[142:145], v2 offset0:75 offset1:76
	scratch_load_b128 v[146:149], off, off offset:224
	s_mov_b32 s0, exec_lo
	s_wait_loadcnt_dscnt 0x601
	v_fma_f64 v[150:151], v[116:117], v[138:139], 0
	s_wait_loadcnt 0x5
	s_delay_alu instid0(VALU_DEP_1) | instskip(SKIP_4) | instid1(VALU_DEP_1)
	v_fmac_f64_e32 v[150:151], v[118:119], v[140:141]
	scratch_load_b128 v[116:119], off, off offset:240
	s_wait_dscnt 0x0
	v_fmac_f64_e32 v[150:151], v[120:121], v[142:143]
	s_wait_loadcnt 0x5
	v_fmac_f64_e32 v[150:151], v[122:123], v[144:145]
	ds_load_2addr_b64 v[120:123], v2 offset0:77 offset1:78
	ds_load_2addr_b64 v[138:141], v2 offset0:79 offset1:80
	scratch_load_b128 v[142:145], off, off offset:256
	s_wait_dscnt 0x1
	v_fmac_f64_e32 v[150:151], v[124:125], v[120:121]
	s_wait_loadcnt 0x5
	s_delay_alu instid0(VALU_DEP_1) | instskip(SKIP_4) | instid1(VALU_DEP_1)
	v_fmac_f64_e32 v[150:151], v[126:127], v[122:123]
	scratch_load_b128 v[120:123], off, off offset:272
	s_wait_dscnt 0x0
	v_fmac_f64_e32 v[150:151], v[128:129], v[138:139]
	s_wait_loadcnt 0x5
	v_fmac_f64_e32 v[150:151], v[130:131], v[140:141]
	ds_load_2addr_b64 v[124:127], v2 offset0:81 offset1:82
	ds_load_2addr_b64 v[128:131], v2 offset0:83 offset1:84
	scratch_load_b128 v[138:141], off, off offset:288
	s_wait_dscnt 0x1
	v_fmac_f64_e32 v[150:151], v[132:133], v[124:125]
	s_wait_loadcnt 0x5
	s_delay_alu instid0(VALU_DEP_1) | instskip(SKIP_4) | instid1(VALU_DEP_1)
	v_fmac_f64_e32 v[150:151], v[134:135], v[126:127]
	scratch_load_b128 v[124:127], off, off offset:304
	s_wait_dscnt 0x0
	v_fmac_f64_e32 v[150:151], v[136:137], v[128:129]
	s_wait_loadcnt 0x5
	v_fmac_f64_e32 v[150:151], v[146:147], v[130:131]
	ds_load_2addr_b64 v[128:131], v2 offset0:85 offset1:86
	ds_load_2addr_b64 v[132:135], v2 offset0:87 offset1:88
	s_wait_dscnt 0x1
	v_fmac_f64_e32 v[150:151], v[148:149], v[128:129]
	scratch_load_b128 v[146:149], off, off offset:320
	s_wait_loadcnt 0x5
	v_fmac_f64_e32 v[150:151], v[116:117], v[130:131]
	s_wait_dscnt 0x0
	s_delay_alu instid0(VALU_DEP_1)
	v_fmac_f64_e32 v[150:151], v[118:119], v[132:133]
	scratch_load_b128 v[116:119], off, off offset:336
	s_wait_loadcnt 0x5
	v_fmac_f64_e32 v[150:151], v[142:143], v[134:135]
	ds_load_2addr_b64 v[128:131], v2 offset0:89 offset1:90
	ds_load_2addr_b64 v[132:135], v2 offset0:91 offset1:92
	s_wait_dscnt 0x1
	v_fmac_f64_e32 v[150:151], v[144:145], v[128:129]
	scratch_load_b128 v[142:145], off, off offset:352
	s_wait_loadcnt 0x5
	v_fmac_f64_e32 v[150:151], v[120:121], v[130:131]
	s_wait_dscnt 0x0
	s_delay_alu instid0(VALU_DEP_1)
	v_fmac_f64_e32 v[150:151], v[122:123], v[132:133]
	scratch_load_b128 v[120:123], off, off offset:368
	s_wait_loadcnt 0x5
	v_fmac_f64_e32 v[150:151], v[138:139], v[134:135]
	ds_load_2addr_b64 v[128:131], v2 offset0:93 offset1:94
	ds_load_2addr_b64 v[132:135], v2 offset0:95 offset1:96
	s_wait_dscnt 0x1
	v_fmac_f64_e32 v[150:151], v[140:141], v[128:129]
	s_wait_loadcnt 0x4
	s_delay_alu instid0(VALU_DEP_1)
	v_fmac_f64_e32 v[150:151], v[124:125], v[130:131]
	scratch_load_b128 v[128:131], off, off offset:384
	s_wait_dscnt 0x0
	v_fmac_f64_e32 v[150:151], v[126:127], v[132:133]
	scratch_load_b128 v[124:127], off, off offset:400
	s_wait_loadcnt 0x5
	v_fmac_f64_e32 v[150:151], v[146:147], v[134:135]
	ds_load_2addr_b64 v[132:135], v2 offset0:97 offset1:98
	ds_load_2addr_b64 v[136:139], v2 offset0:99 offset1:100
	scratch_load_b64 v[140:141], off, off offset:432
	s_wait_dscnt 0x1
	v_fmac_f64_e32 v[150:151], v[148:149], v[132:133]
	s_wait_loadcnt 0x5
	s_delay_alu instid0(VALU_DEP_1) | instskip(SKIP_4) | instid1(VALU_DEP_1)
	v_fmac_f64_e32 v[150:151], v[116:117], v[134:135]
	scratch_load_b128 v[132:135], off, off offset:416
	s_wait_dscnt 0x0
	v_fmac_f64_e32 v[150:151], v[118:119], v[136:137]
	s_wait_loadcnt 0x5
	v_fmac_f64_e32 v[150:151], v[142:143], v[138:139]
	ds_load_2addr_b64 v[116:119], v2 offset0:101 offset1:102
	ds_load_2addr_b64 v[136:139], v2 offset0:103 offset1:104
	s_wait_dscnt 0x1
	v_fmac_f64_e32 v[150:151], v[144:145], v[116:117]
	s_wait_loadcnt 0x4
	s_delay_alu instid0(VALU_DEP_1) | instskip(SKIP_1) | instid1(VALU_DEP_1)
	v_fmac_f64_e32 v[150:151], v[120:121], v[118:119]
	s_wait_dscnt 0x0
	v_fmac_f64_e32 v[150:151], v[122:123], v[136:137]
	ds_load_2addr_b64 v[116:119], v2 offset0:105 offset1:106
	ds_load_2addr_b64 v[120:123], v2 offset0:107 offset1:108
	s_wait_loadcnt 0x3
	v_fmac_f64_e32 v[150:151], v[128:129], v[138:139]
	s_wait_dscnt 0x1
	s_delay_alu instid0(VALU_DEP_1) | instskip(SKIP_1) | instid1(VALU_DEP_1)
	v_fmac_f64_e32 v[150:151], v[130:131], v[116:117]
	s_wait_loadcnt 0x2
	v_fmac_f64_e32 v[150:151], v[124:125], v[118:119]
	ds_load_2addr_b64 v[116:119], v2 offset0:109 offset1:110
	s_wait_dscnt 0x1
	v_fmac_f64_e32 v[150:151], v[126:127], v[120:121]
	s_wait_loadcnt 0x0
	s_delay_alu instid0(VALU_DEP_1) | instskip(SKIP_1) | instid1(VALU_DEP_1)
	v_fmac_f64_e32 v[150:151], v[132:133], v[122:123]
	s_wait_dscnt 0x0
	v_fmac_f64_e32 v[150:151], v[134:135], v[116:117]
	s_delay_alu instid0(VALU_DEP_1) | instskip(NEXT) | instid1(VALU_DEP_1)
	v_fmac_f64_e32 v[150:151], v[140:141], v[118:119]
	v_add_f64_e64 v[2:3], v[114:115], -v[150:151]
	scratch_store_b64 off, v[2:3], off offset:128
	s_wait_xcnt 0x0
	v_cmpx_lt_u32_e32 15, v0
	s_cbranch_execz .LBB118_309
; %bb.308:
	scratch_load_b64 v[2:3], off, off offset:120
	v_mov_b64_e32 v[114:115], 0
	scratch_store_b64 off, v[114:115], off offset:120
	s_wait_loadcnt 0x0
	ds_store_b64 v1, v[2:3]
.LBB118_309:
	s_wait_xcnt 0x0
	s_or_b32 exec_lo, exec_lo, s0
	s_wait_storecnt_dscnt 0x0
	s_barrier_signal -1
	s_barrier_wait -1
	s_clause 0x5
	scratch_load_b128 v[114:117], off, off offset:120
	scratch_load_b128 v[118:121], off, off offset:136
	;; [unrolled: 1-line block ×6, first 2 shown]
	v_mov_b32_e32 v2, 0
	ds_load_b128 v[138:141], v2 offset:576
	ds_load_b128 v[142:145], v2 offset:592
	scratch_load_b128 v[146:149], off, off offset:216
	s_mov_b32 s0, exec_lo
	s_wait_loadcnt_dscnt 0x601
	v_fma_f64 v[150:151], v[116:117], v[138:139], 0
	s_wait_loadcnt 0x5
	s_delay_alu instid0(VALU_DEP_1) | instskip(SKIP_4) | instid1(VALU_DEP_1)
	v_fmac_f64_e32 v[150:151], v[118:119], v[140:141]
	scratch_load_b128 v[116:119], off, off offset:232
	s_wait_dscnt 0x0
	v_fmac_f64_e32 v[150:151], v[120:121], v[142:143]
	s_wait_loadcnt 0x5
	v_fmac_f64_e32 v[150:151], v[122:123], v[144:145]
	ds_load_b128 v[120:123], v2 offset:608
	ds_load_b128 v[138:141], v2 offset:624
	scratch_load_b128 v[142:145], off, off offset:248
	s_wait_dscnt 0x1
	v_fmac_f64_e32 v[150:151], v[124:125], v[120:121]
	s_wait_loadcnt 0x5
	s_delay_alu instid0(VALU_DEP_1) | instskip(SKIP_4) | instid1(VALU_DEP_1)
	v_fmac_f64_e32 v[150:151], v[126:127], v[122:123]
	scratch_load_b128 v[120:123], off, off offset:264
	s_wait_dscnt 0x0
	v_fmac_f64_e32 v[150:151], v[128:129], v[138:139]
	s_wait_loadcnt 0x5
	v_fmac_f64_e32 v[150:151], v[130:131], v[140:141]
	ds_load_b128 v[124:127], v2 offset:640
	ds_load_b128 v[128:131], v2 offset:656
	scratch_load_b128 v[138:141], off, off offset:280
	s_wait_dscnt 0x1
	v_fmac_f64_e32 v[150:151], v[132:133], v[124:125]
	s_wait_loadcnt 0x5
	s_delay_alu instid0(VALU_DEP_1) | instskip(SKIP_4) | instid1(VALU_DEP_1)
	v_fmac_f64_e32 v[150:151], v[134:135], v[126:127]
	scratch_load_b128 v[124:127], off, off offset:296
	s_wait_dscnt 0x0
	v_fmac_f64_e32 v[150:151], v[136:137], v[128:129]
	s_wait_loadcnt 0x5
	v_fmac_f64_e32 v[150:151], v[146:147], v[130:131]
	ds_load_b128 v[128:131], v2 offset:672
	ds_load_b128 v[132:135], v2 offset:688
	s_wait_dscnt 0x1
	v_fmac_f64_e32 v[150:151], v[148:149], v[128:129]
	scratch_load_b128 v[146:149], off, off offset:312
	s_wait_loadcnt 0x5
	v_fmac_f64_e32 v[150:151], v[116:117], v[130:131]
	s_wait_dscnt 0x0
	s_delay_alu instid0(VALU_DEP_1)
	v_fmac_f64_e32 v[150:151], v[118:119], v[132:133]
	scratch_load_b128 v[116:119], off, off offset:328
	s_wait_loadcnt 0x5
	v_fmac_f64_e32 v[150:151], v[142:143], v[134:135]
	ds_load_b128 v[128:131], v2 offset:704
	ds_load_b128 v[132:135], v2 offset:720
	s_wait_dscnt 0x1
	v_fmac_f64_e32 v[150:151], v[144:145], v[128:129]
	scratch_load_b128 v[142:145], off, off offset:344
	s_wait_loadcnt 0x5
	v_fmac_f64_e32 v[150:151], v[120:121], v[130:131]
	s_wait_dscnt 0x0
	s_delay_alu instid0(VALU_DEP_1)
	v_fmac_f64_e32 v[150:151], v[122:123], v[132:133]
	scratch_load_b128 v[120:123], off, off offset:360
	s_wait_loadcnt 0x5
	v_fmac_f64_e32 v[150:151], v[138:139], v[134:135]
	ds_load_b128 v[128:131], v2 offset:736
	ds_load_b128 v[132:135], v2 offset:752
	s_wait_dscnt 0x1
	v_fmac_f64_e32 v[150:151], v[140:141], v[128:129]
	s_wait_loadcnt 0x4
	s_delay_alu instid0(VALU_DEP_1)
	v_fmac_f64_e32 v[150:151], v[124:125], v[130:131]
	scratch_load_b128 v[128:131], off, off offset:376
	s_wait_dscnt 0x0
	v_fmac_f64_e32 v[150:151], v[126:127], v[132:133]
	scratch_load_b128 v[124:127], off, off offset:392
	s_wait_loadcnt 0x5
	v_fmac_f64_e32 v[150:151], v[146:147], v[134:135]
	ds_load_b128 v[132:135], v2 offset:768
	ds_load_b128 v[136:139], v2 offset:784
	s_wait_dscnt 0x1
	v_fmac_f64_e32 v[150:151], v[148:149], v[132:133]
	s_wait_loadcnt 0x4
	s_delay_alu instid0(VALU_DEP_1)
	v_fmac_f64_e32 v[150:151], v[116:117], v[134:135]
	scratch_load_b128 v[132:135], off, off offset:408
	s_wait_dscnt 0x0
	v_fmac_f64_e32 v[150:151], v[118:119], v[136:137]
	scratch_load_b128 v[116:119], off, off offset:424
	s_wait_loadcnt 0x5
	v_fmac_f64_e32 v[150:151], v[142:143], v[138:139]
	ds_load_b128 v[136:139], v2 offset:800
	ds_load_b128 v[140:143], v2 offset:816
	s_wait_dscnt 0x1
	v_fmac_f64_e32 v[150:151], v[144:145], v[136:137]
	s_wait_loadcnt 0x4
	s_delay_alu instid0(VALU_DEP_1) | instskip(SKIP_1) | instid1(VALU_DEP_1)
	v_fmac_f64_e32 v[150:151], v[120:121], v[138:139]
	s_wait_dscnt 0x0
	v_fmac_f64_e32 v[150:151], v[122:123], v[140:141]
	ds_load_b128 v[120:123], v2 offset:832
	ds_load_b128 v[136:139], v2 offset:848
	s_wait_loadcnt 0x3
	v_fmac_f64_e32 v[150:151], v[128:129], v[142:143]
	s_wait_dscnt 0x1
	s_delay_alu instid0(VALU_DEP_1) | instskip(SKIP_1) | instid1(VALU_DEP_1)
	v_fmac_f64_e32 v[150:151], v[130:131], v[120:121]
	s_wait_loadcnt 0x2
	v_fmac_f64_e32 v[150:151], v[124:125], v[122:123]
	ds_load_b128 v[120:123], v2 offset:864
	ds_load_b64 v[124:125], v2 offset:880
	s_wait_dscnt 0x2
	v_fmac_f64_e32 v[150:151], v[126:127], v[136:137]
	s_wait_loadcnt 0x1
	s_delay_alu instid0(VALU_DEP_1) | instskip(SKIP_1) | instid1(VALU_DEP_1)
	v_fmac_f64_e32 v[150:151], v[132:133], v[138:139]
	s_wait_dscnt 0x1
	v_fmac_f64_e32 v[150:151], v[134:135], v[120:121]
	s_wait_loadcnt 0x0
	s_delay_alu instid0(VALU_DEP_1) | instskip(SKIP_1) | instid1(VALU_DEP_1)
	v_fmac_f64_e32 v[150:151], v[116:117], v[122:123]
	s_wait_dscnt 0x0
	v_fmac_f64_e32 v[150:151], v[118:119], v[124:125]
	s_delay_alu instid0(VALU_DEP_1)
	v_add_f64_e64 v[114:115], v[114:115], -v[150:151]
	scratch_store_b64 off, v[114:115], off offset:120
	s_wait_xcnt 0x0
	v_cmpx_lt_u32_e32 14, v0
	s_cbranch_execz .LBB118_311
; %bb.310:
	scratch_load_b64 v[114:115], off, off offset:112
	v_mov_b64_e32 v[116:117], 0
	scratch_store_b64 off, v[116:117], off offset:112
	s_wait_loadcnt 0x0
	ds_store_b64 v1, v[114:115]
.LBB118_311:
	s_wait_xcnt 0x0
	s_or_b32 exec_lo, exec_lo, s0
	s_wait_storecnt_dscnt 0x0
	s_barrier_signal -1
	s_barrier_wait -1
	s_clause 0x5
	scratch_load_b128 v[114:117], off, off offset:112
	scratch_load_b128 v[118:121], off, off offset:128
	;; [unrolled: 1-line block ×6, first 2 shown]
	ds_load_2addr_b64 v[138:141], v2 offset0:71 offset1:72
	ds_load_2addr_b64 v[142:145], v2 offset0:73 offset1:74
	scratch_load_b128 v[146:149], off, off offset:208
	s_mov_b32 s0, exec_lo
	s_wait_loadcnt_dscnt 0x601
	v_fma_f64 v[150:151], v[116:117], v[138:139], 0
	s_wait_loadcnt 0x5
	s_delay_alu instid0(VALU_DEP_1) | instskip(SKIP_4) | instid1(VALU_DEP_1)
	v_fmac_f64_e32 v[150:151], v[118:119], v[140:141]
	scratch_load_b128 v[116:119], off, off offset:224
	s_wait_dscnt 0x0
	v_fmac_f64_e32 v[150:151], v[120:121], v[142:143]
	s_wait_loadcnt 0x5
	v_fmac_f64_e32 v[150:151], v[122:123], v[144:145]
	ds_load_2addr_b64 v[120:123], v2 offset0:75 offset1:76
	ds_load_2addr_b64 v[138:141], v2 offset0:77 offset1:78
	scratch_load_b128 v[142:145], off, off offset:240
	s_wait_dscnt 0x1
	v_fmac_f64_e32 v[150:151], v[124:125], v[120:121]
	s_wait_loadcnt 0x5
	s_delay_alu instid0(VALU_DEP_1) | instskip(SKIP_4) | instid1(VALU_DEP_1)
	v_fmac_f64_e32 v[150:151], v[126:127], v[122:123]
	scratch_load_b128 v[120:123], off, off offset:256
	s_wait_dscnt 0x0
	v_fmac_f64_e32 v[150:151], v[128:129], v[138:139]
	s_wait_loadcnt 0x5
	v_fmac_f64_e32 v[150:151], v[130:131], v[140:141]
	ds_load_2addr_b64 v[124:127], v2 offset0:79 offset1:80
	ds_load_2addr_b64 v[128:131], v2 offset0:81 offset1:82
	scratch_load_b128 v[138:141], off, off offset:272
	s_wait_dscnt 0x1
	v_fmac_f64_e32 v[150:151], v[132:133], v[124:125]
	s_wait_loadcnt 0x5
	s_delay_alu instid0(VALU_DEP_1) | instskip(SKIP_4) | instid1(VALU_DEP_1)
	v_fmac_f64_e32 v[150:151], v[134:135], v[126:127]
	scratch_load_b128 v[124:127], off, off offset:288
	s_wait_dscnt 0x0
	v_fmac_f64_e32 v[150:151], v[136:137], v[128:129]
	s_wait_loadcnt 0x5
	v_fmac_f64_e32 v[150:151], v[146:147], v[130:131]
	ds_load_2addr_b64 v[128:131], v2 offset0:83 offset1:84
	ds_load_2addr_b64 v[132:135], v2 offset0:85 offset1:86
	s_wait_dscnt 0x1
	v_fmac_f64_e32 v[150:151], v[148:149], v[128:129]
	scratch_load_b128 v[146:149], off, off offset:304
	s_wait_loadcnt 0x5
	v_fmac_f64_e32 v[150:151], v[116:117], v[130:131]
	s_wait_dscnt 0x0
	s_delay_alu instid0(VALU_DEP_1)
	v_fmac_f64_e32 v[150:151], v[118:119], v[132:133]
	scratch_load_b128 v[116:119], off, off offset:320
	s_wait_loadcnt 0x5
	v_fmac_f64_e32 v[150:151], v[142:143], v[134:135]
	ds_load_2addr_b64 v[128:131], v2 offset0:87 offset1:88
	ds_load_2addr_b64 v[132:135], v2 offset0:89 offset1:90
	s_wait_dscnt 0x1
	v_fmac_f64_e32 v[150:151], v[144:145], v[128:129]
	scratch_load_b128 v[142:145], off, off offset:336
	s_wait_loadcnt 0x5
	v_fmac_f64_e32 v[150:151], v[120:121], v[130:131]
	s_wait_dscnt 0x0
	s_delay_alu instid0(VALU_DEP_1)
	v_fmac_f64_e32 v[150:151], v[122:123], v[132:133]
	scratch_load_b128 v[120:123], off, off offset:352
	s_wait_loadcnt 0x5
	v_fmac_f64_e32 v[150:151], v[138:139], v[134:135]
	ds_load_2addr_b64 v[128:131], v2 offset0:91 offset1:92
	ds_load_2addr_b64 v[132:135], v2 offset0:93 offset1:94
	s_wait_dscnt 0x1
	v_fmac_f64_e32 v[150:151], v[140:141], v[128:129]
	s_wait_loadcnt 0x4
	s_delay_alu instid0(VALU_DEP_1)
	v_fmac_f64_e32 v[150:151], v[124:125], v[130:131]
	scratch_load_b128 v[128:131], off, off offset:368
	s_wait_dscnt 0x0
	v_fmac_f64_e32 v[150:151], v[126:127], v[132:133]
	scratch_load_b128 v[124:127], off, off offset:384
	s_wait_loadcnt 0x5
	v_fmac_f64_e32 v[150:151], v[146:147], v[134:135]
	ds_load_2addr_b64 v[132:135], v2 offset0:95 offset1:96
	ds_load_2addr_b64 v[136:139], v2 offset0:97 offset1:98
	s_wait_dscnt 0x1
	v_fmac_f64_e32 v[150:151], v[148:149], v[132:133]
	s_wait_loadcnt 0x4
	s_delay_alu instid0(VALU_DEP_1)
	v_fmac_f64_e32 v[150:151], v[116:117], v[134:135]
	scratch_load_b128 v[132:135], off, off offset:400
	s_wait_dscnt 0x0
	v_fmac_f64_e32 v[150:151], v[118:119], v[136:137]
	scratch_load_b128 v[116:119], off, off offset:416
	s_wait_loadcnt 0x5
	v_fmac_f64_e32 v[150:151], v[142:143], v[138:139]
	ds_load_2addr_b64 v[136:139], v2 offset0:99 offset1:100
	ds_load_2addr_b64 v[140:143], v2 offset0:101 offset1:102
	s_wait_dscnt 0x1
	v_fmac_f64_e32 v[150:151], v[144:145], v[136:137]
	scratch_load_b64 v[144:145], off, off offset:432
	s_wait_loadcnt 0x5
	v_fmac_f64_e32 v[150:151], v[120:121], v[138:139]
	s_wait_dscnt 0x0
	s_delay_alu instid0(VALU_DEP_1)
	v_fmac_f64_e32 v[150:151], v[122:123], v[140:141]
	ds_load_2addr_b64 v[120:123], v2 offset0:103 offset1:104
	ds_load_2addr_b64 v[136:139], v2 offset0:105 offset1:106
	s_wait_loadcnt 0x4
	v_fmac_f64_e32 v[150:151], v[128:129], v[142:143]
	s_wait_dscnt 0x1
	s_delay_alu instid0(VALU_DEP_1) | instskip(SKIP_1) | instid1(VALU_DEP_1)
	v_fmac_f64_e32 v[150:151], v[130:131], v[120:121]
	s_wait_loadcnt 0x3
	v_fmac_f64_e32 v[150:151], v[124:125], v[122:123]
	s_wait_dscnt 0x0
	s_delay_alu instid0(VALU_DEP_1)
	v_fmac_f64_e32 v[150:151], v[126:127], v[136:137]
	ds_load_2addr_b64 v[120:123], v2 offset0:107 offset1:108
	ds_load_2addr_b64 v[124:127], v2 offset0:109 offset1:110
	s_wait_loadcnt 0x2
	v_fmac_f64_e32 v[150:151], v[132:133], v[138:139]
	s_wait_dscnt 0x1
	s_delay_alu instid0(VALU_DEP_1) | instskip(SKIP_1) | instid1(VALU_DEP_1)
	v_fmac_f64_e32 v[150:151], v[134:135], v[120:121]
	s_wait_loadcnt 0x1
	v_fmac_f64_e32 v[150:151], v[116:117], v[122:123]
	s_wait_dscnt 0x0
	s_delay_alu instid0(VALU_DEP_1) | instskip(SKIP_1) | instid1(VALU_DEP_1)
	v_fmac_f64_e32 v[150:151], v[118:119], v[124:125]
	s_wait_loadcnt 0x0
	v_fmac_f64_e32 v[150:151], v[144:145], v[126:127]
	s_delay_alu instid0(VALU_DEP_1)
	v_add_f64_e64 v[2:3], v[114:115], -v[150:151]
	scratch_store_b64 off, v[2:3], off offset:112
	s_wait_xcnt 0x0
	v_cmpx_lt_u32_e32 13, v0
	s_cbranch_execz .LBB118_313
; %bb.312:
	scratch_load_b64 v[2:3], off, off offset:104
	v_mov_b64_e32 v[114:115], 0
	scratch_store_b64 off, v[114:115], off offset:104
	s_wait_loadcnt 0x0
	ds_store_b64 v1, v[2:3]
.LBB118_313:
	s_wait_xcnt 0x0
	s_or_b32 exec_lo, exec_lo, s0
	s_wait_storecnt_dscnt 0x0
	s_barrier_signal -1
	s_barrier_wait -1
	s_clause 0x5
	scratch_load_b128 v[114:117], off, off offset:104
	scratch_load_b128 v[118:121], off, off offset:120
	;; [unrolled: 1-line block ×6, first 2 shown]
	v_mov_b32_e32 v2, 0
	ds_load_b128 v[138:141], v2 offset:560
	ds_load_b128 v[142:145], v2 offset:576
	scratch_load_b128 v[146:149], off, off offset:200
	s_mov_b32 s0, exec_lo
	s_wait_loadcnt_dscnt 0x601
	v_fma_f64 v[150:151], v[116:117], v[138:139], 0
	s_wait_loadcnt 0x5
	s_delay_alu instid0(VALU_DEP_1) | instskip(SKIP_4) | instid1(VALU_DEP_1)
	v_fmac_f64_e32 v[150:151], v[118:119], v[140:141]
	scratch_load_b128 v[116:119], off, off offset:216
	s_wait_dscnt 0x0
	v_fmac_f64_e32 v[150:151], v[120:121], v[142:143]
	s_wait_loadcnt 0x5
	v_fmac_f64_e32 v[150:151], v[122:123], v[144:145]
	ds_load_b128 v[120:123], v2 offset:592
	ds_load_b128 v[138:141], v2 offset:608
	scratch_load_b128 v[142:145], off, off offset:232
	s_wait_dscnt 0x1
	v_fmac_f64_e32 v[150:151], v[124:125], v[120:121]
	s_wait_loadcnt 0x5
	s_delay_alu instid0(VALU_DEP_1) | instskip(SKIP_4) | instid1(VALU_DEP_1)
	v_fmac_f64_e32 v[150:151], v[126:127], v[122:123]
	scratch_load_b128 v[120:123], off, off offset:248
	s_wait_dscnt 0x0
	v_fmac_f64_e32 v[150:151], v[128:129], v[138:139]
	s_wait_loadcnt 0x5
	v_fmac_f64_e32 v[150:151], v[130:131], v[140:141]
	ds_load_b128 v[124:127], v2 offset:624
	ds_load_b128 v[128:131], v2 offset:640
	scratch_load_b128 v[138:141], off, off offset:264
	s_wait_dscnt 0x1
	v_fmac_f64_e32 v[150:151], v[132:133], v[124:125]
	s_wait_loadcnt 0x5
	s_delay_alu instid0(VALU_DEP_1) | instskip(SKIP_4) | instid1(VALU_DEP_1)
	v_fmac_f64_e32 v[150:151], v[134:135], v[126:127]
	scratch_load_b128 v[124:127], off, off offset:280
	s_wait_dscnt 0x0
	v_fmac_f64_e32 v[150:151], v[136:137], v[128:129]
	s_wait_loadcnt 0x5
	v_fmac_f64_e32 v[150:151], v[146:147], v[130:131]
	ds_load_b128 v[128:131], v2 offset:656
	ds_load_b128 v[132:135], v2 offset:672
	s_wait_dscnt 0x1
	v_fmac_f64_e32 v[150:151], v[148:149], v[128:129]
	scratch_load_b128 v[146:149], off, off offset:296
	s_wait_loadcnt 0x5
	v_fmac_f64_e32 v[150:151], v[116:117], v[130:131]
	s_wait_dscnt 0x0
	s_delay_alu instid0(VALU_DEP_1)
	v_fmac_f64_e32 v[150:151], v[118:119], v[132:133]
	scratch_load_b128 v[116:119], off, off offset:312
	s_wait_loadcnt 0x5
	v_fmac_f64_e32 v[150:151], v[142:143], v[134:135]
	ds_load_b128 v[128:131], v2 offset:688
	ds_load_b128 v[132:135], v2 offset:704
	s_wait_dscnt 0x1
	v_fmac_f64_e32 v[150:151], v[144:145], v[128:129]
	scratch_load_b128 v[142:145], off, off offset:328
	s_wait_loadcnt 0x5
	v_fmac_f64_e32 v[150:151], v[120:121], v[130:131]
	s_wait_dscnt 0x0
	s_delay_alu instid0(VALU_DEP_1)
	v_fmac_f64_e32 v[150:151], v[122:123], v[132:133]
	scratch_load_b128 v[120:123], off, off offset:344
	s_wait_loadcnt 0x5
	v_fmac_f64_e32 v[150:151], v[138:139], v[134:135]
	ds_load_b128 v[128:131], v2 offset:720
	ds_load_b128 v[132:135], v2 offset:736
	s_wait_dscnt 0x1
	v_fmac_f64_e32 v[150:151], v[140:141], v[128:129]
	s_wait_loadcnt 0x4
	s_delay_alu instid0(VALU_DEP_1)
	v_fmac_f64_e32 v[150:151], v[124:125], v[130:131]
	scratch_load_b128 v[128:131], off, off offset:360
	s_wait_dscnt 0x0
	v_fmac_f64_e32 v[150:151], v[126:127], v[132:133]
	scratch_load_b128 v[124:127], off, off offset:376
	s_wait_loadcnt 0x5
	v_fmac_f64_e32 v[150:151], v[146:147], v[134:135]
	ds_load_b128 v[132:135], v2 offset:752
	ds_load_b128 v[136:139], v2 offset:768
	s_wait_dscnt 0x1
	v_fmac_f64_e32 v[150:151], v[148:149], v[132:133]
	s_wait_loadcnt 0x4
	s_delay_alu instid0(VALU_DEP_1)
	v_fmac_f64_e32 v[150:151], v[116:117], v[134:135]
	scratch_load_b128 v[132:135], off, off offset:392
	s_wait_dscnt 0x0
	v_fmac_f64_e32 v[150:151], v[118:119], v[136:137]
	scratch_load_b128 v[116:119], off, off offset:408
	s_wait_loadcnt 0x5
	v_fmac_f64_e32 v[150:151], v[142:143], v[138:139]
	ds_load_b128 v[136:139], v2 offset:784
	ds_load_b128 v[140:143], v2 offset:800
	s_wait_dscnt 0x1
	v_fmac_f64_e32 v[150:151], v[144:145], v[136:137]
	s_wait_loadcnt 0x4
	s_delay_alu instid0(VALU_DEP_1) | instskip(SKIP_4) | instid1(VALU_DEP_1)
	v_fmac_f64_e32 v[150:151], v[120:121], v[138:139]
	scratch_load_b128 v[136:139], off, off offset:424
	s_wait_dscnt 0x0
	v_fmac_f64_e32 v[150:151], v[122:123], v[140:141]
	s_wait_loadcnt 0x4
	v_fmac_f64_e32 v[150:151], v[128:129], v[142:143]
	ds_load_b128 v[120:123], v2 offset:816
	ds_load_b128 v[140:143], v2 offset:832
	s_wait_dscnt 0x1
	v_fmac_f64_e32 v[150:151], v[130:131], v[120:121]
	s_wait_loadcnt 0x3
	s_delay_alu instid0(VALU_DEP_1) | instskip(SKIP_1) | instid1(VALU_DEP_1)
	v_fmac_f64_e32 v[150:151], v[124:125], v[122:123]
	s_wait_dscnt 0x0
	v_fmac_f64_e32 v[150:151], v[126:127], v[140:141]
	ds_load_b128 v[120:123], v2 offset:848
	ds_load_b128 v[124:127], v2 offset:864
	s_wait_loadcnt 0x2
	v_fmac_f64_e32 v[150:151], v[132:133], v[142:143]
	s_wait_dscnt 0x1
	s_delay_alu instid0(VALU_DEP_1) | instskip(SKIP_1) | instid1(VALU_DEP_1)
	v_fmac_f64_e32 v[150:151], v[134:135], v[120:121]
	s_wait_loadcnt 0x1
	v_fmac_f64_e32 v[150:151], v[116:117], v[122:123]
	ds_load_b64 v[116:117], v2 offset:880
	s_wait_dscnt 0x1
	v_fmac_f64_e32 v[150:151], v[118:119], v[124:125]
	s_wait_loadcnt 0x0
	s_delay_alu instid0(VALU_DEP_1) | instskip(SKIP_1) | instid1(VALU_DEP_1)
	v_fmac_f64_e32 v[150:151], v[136:137], v[126:127]
	s_wait_dscnt 0x0
	v_fmac_f64_e32 v[150:151], v[138:139], v[116:117]
	s_delay_alu instid0(VALU_DEP_1)
	v_add_f64_e64 v[114:115], v[114:115], -v[150:151]
	scratch_store_b64 off, v[114:115], off offset:104
	s_wait_xcnt 0x0
	v_cmpx_lt_u32_e32 12, v0
	s_cbranch_execz .LBB118_315
; %bb.314:
	scratch_load_b64 v[114:115], off, off offset:96
	v_mov_b64_e32 v[116:117], 0
	scratch_store_b64 off, v[116:117], off offset:96
	s_wait_loadcnt 0x0
	ds_store_b64 v1, v[114:115]
.LBB118_315:
	s_wait_xcnt 0x0
	s_or_b32 exec_lo, exec_lo, s0
	s_wait_storecnt_dscnt 0x0
	s_barrier_signal -1
	s_barrier_wait -1
	s_clause 0x5
	scratch_load_b128 v[114:117], off, off offset:96
	scratch_load_b128 v[118:121], off, off offset:112
	;; [unrolled: 1-line block ×6, first 2 shown]
	ds_load_2addr_b64 v[138:141], v2 offset0:69 offset1:70
	ds_load_2addr_b64 v[142:145], v2 offset0:71 offset1:72
	scratch_load_b128 v[146:149], off, off offset:192
	s_mov_b32 s0, exec_lo
	s_wait_loadcnt_dscnt 0x601
	v_fma_f64 v[150:151], v[116:117], v[138:139], 0
	s_wait_loadcnt 0x5
	s_delay_alu instid0(VALU_DEP_1) | instskip(SKIP_4) | instid1(VALU_DEP_1)
	v_fmac_f64_e32 v[150:151], v[118:119], v[140:141]
	scratch_load_b128 v[116:119], off, off offset:208
	s_wait_dscnt 0x0
	v_fmac_f64_e32 v[150:151], v[120:121], v[142:143]
	s_wait_loadcnt 0x5
	v_fmac_f64_e32 v[150:151], v[122:123], v[144:145]
	ds_load_2addr_b64 v[120:123], v2 offset0:73 offset1:74
	ds_load_2addr_b64 v[138:141], v2 offset0:75 offset1:76
	scratch_load_b128 v[142:145], off, off offset:224
	s_wait_dscnt 0x1
	v_fmac_f64_e32 v[150:151], v[124:125], v[120:121]
	s_wait_loadcnt 0x5
	s_delay_alu instid0(VALU_DEP_1) | instskip(SKIP_4) | instid1(VALU_DEP_1)
	v_fmac_f64_e32 v[150:151], v[126:127], v[122:123]
	scratch_load_b128 v[120:123], off, off offset:240
	s_wait_dscnt 0x0
	v_fmac_f64_e32 v[150:151], v[128:129], v[138:139]
	s_wait_loadcnt 0x5
	v_fmac_f64_e32 v[150:151], v[130:131], v[140:141]
	ds_load_2addr_b64 v[124:127], v2 offset0:77 offset1:78
	ds_load_2addr_b64 v[128:131], v2 offset0:79 offset1:80
	scratch_load_b128 v[138:141], off, off offset:256
	s_wait_dscnt 0x1
	v_fmac_f64_e32 v[150:151], v[132:133], v[124:125]
	s_wait_loadcnt 0x5
	s_delay_alu instid0(VALU_DEP_1) | instskip(SKIP_4) | instid1(VALU_DEP_1)
	v_fmac_f64_e32 v[150:151], v[134:135], v[126:127]
	scratch_load_b128 v[124:127], off, off offset:272
	s_wait_dscnt 0x0
	v_fmac_f64_e32 v[150:151], v[136:137], v[128:129]
	s_wait_loadcnt 0x5
	v_fmac_f64_e32 v[150:151], v[146:147], v[130:131]
	ds_load_2addr_b64 v[128:131], v2 offset0:81 offset1:82
	ds_load_2addr_b64 v[132:135], v2 offset0:83 offset1:84
	s_wait_dscnt 0x1
	v_fmac_f64_e32 v[150:151], v[148:149], v[128:129]
	scratch_load_b128 v[146:149], off, off offset:288
	s_wait_loadcnt 0x5
	v_fmac_f64_e32 v[150:151], v[116:117], v[130:131]
	s_wait_dscnt 0x0
	s_delay_alu instid0(VALU_DEP_1)
	v_fmac_f64_e32 v[150:151], v[118:119], v[132:133]
	scratch_load_b128 v[116:119], off, off offset:304
	s_wait_loadcnt 0x5
	v_fmac_f64_e32 v[150:151], v[142:143], v[134:135]
	ds_load_2addr_b64 v[128:131], v2 offset0:85 offset1:86
	ds_load_2addr_b64 v[132:135], v2 offset0:87 offset1:88
	s_wait_dscnt 0x1
	v_fmac_f64_e32 v[150:151], v[144:145], v[128:129]
	scratch_load_b128 v[142:145], off, off offset:320
	s_wait_loadcnt 0x5
	v_fmac_f64_e32 v[150:151], v[120:121], v[130:131]
	s_wait_dscnt 0x0
	s_delay_alu instid0(VALU_DEP_1)
	v_fmac_f64_e32 v[150:151], v[122:123], v[132:133]
	scratch_load_b128 v[120:123], off, off offset:336
	s_wait_loadcnt 0x5
	v_fmac_f64_e32 v[150:151], v[138:139], v[134:135]
	ds_load_2addr_b64 v[128:131], v2 offset0:89 offset1:90
	ds_load_2addr_b64 v[132:135], v2 offset0:91 offset1:92
	scratch_load_b128 v[136:139], off, off offset:352
	s_wait_dscnt 0x1
	v_fmac_f64_e32 v[150:151], v[140:141], v[128:129]
	s_wait_loadcnt 0x5
	s_delay_alu instid0(VALU_DEP_1) | instskip(SKIP_1) | instid1(VALU_DEP_1)
	v_fmac_f64_e32 v[150:151], v[124:125], v[130:131]
	s_wait_dscnt 0x0
	v_fmac_f64_e32 v[150:151], v[126:127], v[132:133]
	scratch_load_b128 v[124:127], off, off offset:368
	s_wait_loadcnt 0x5
	v_fmac_f64_e32 v[150:151], v[146:147], v[134:135]
	ds_load_2addr_b64 v[128:131], v2 offset0:93 offset1:94
	ds_load_2addr_b64 v[132:135], v2 offset0:95 offset1:96
	s_wait_dscnt 0x1
	v_fmac_f64_e32 v[150:151], v[148:149], v[128:129]
	s_wait_loadcnt 0x4
	s_delay_alu instid0(VALU_DEP_1)
	v_fmac_f64_e32 v[150:151], v[116:117], v[130:131]
	scratch_load_b128 v[128:131], off, off offset:384
	s_wait_dscnt 0x0
	v_fmac_f64_e32 v[150:151], v[118:119], v[132:133]
	scratch_load_b128 v[116:119], off, off offset:400
	s_wait_loadcnt 0x5
	v_fmac_f64_e32 v[150:151], v[142:143], v[134:135]
	ds_load_2addr_b64 v[132:135], v2 offset0:97 offset1:98
	ds_load_2addr_b64 v[140:143], v2 offset0:99 offset1:100
	s_wait_dscnt 0x1
	v_fmac_f64_e32 v[150:151], v[144:145], v[132:133]
	s_wait_loadcnt 0x4
	s_delay_alu instid0(VALU_DEP_1) | instskip(SKIP_4) | instid1(VALU_DEP_1)
	v_fmac_f64_e32 v[150:151], v[120:121], v[134:135]
	scratch_load_b128 v[132:135], off, off offset:416
	s_wait_dscnt 0x0
	v_fmac_f64_e32 v[150:151], v[122:123], v[140:141]
	s_wait_loadcnt 0x4
	v_fmac_f64_e32 v[150:151], v[136:137], v[142:143]
	scratch_load_b64 v[136:137], off, off offset:432
	ds_load_2addr_b64 v[120:123], v2 offset0:101 offset1:102
	ds_load_2addr_b64 v[140:143], v2 offset0:103 offset1:104
	s_wait_dscnt 0x1
	v_fmac_f64_e32 v[150:151], v[138:139], v[120:121]
	s_wait_loadcnt 0x4
	s_delay_alu instid0(VALU_DEP_1) | instskip(SKIP_1) | instid1(VALU_DEP_1)
	v_fmac_f64_e32 v[150:151], v[124:125], v[122:123]
	s_wait_dscnt 0x0
	v_fmac_f64_e32 v[150:151], v[126:127], v[140:141]
	ds_load_2addr_b64 v[120:123], v2 offset0:105 offset1:106
	ds_load_2addr_b64 v[124:127], v2 offset0:107 offset1:108
	s_wait_loadcnt 0x3
	v_fmac_f64_e32 v[150:151], v[128:129], v[142:143]
	s_wait_dscnt 0x1
	s_delay_alu instid0(VALU_DEP_1) | instskip(SKIP_1) | instid1(VALU_DEP_1)
	v_fmac_f64_e32 v[150:151], v[130:131], v[120:121]
	s_wait_loadcnt 0x2
	v_fmac_f64_e32 v[150:151], v[116:117], v[122:123]
	s_wait_dscnt 0x0
	s_delay_alu instid0(VALU_DEP_1) | instskip(SKIP_4) | instid1(VALU_DEP_1)
	v_fmac_f64_e32 v[150:151], v[118:119], v[124:125]
	ds_load_2addr_b64 v[116:119], v2 offset0:109 offset1:110
	s_wait_loadcnt 0x1
	v_fmac_f64_e32 v[150:151], v[132:133], v[126:127]
	s_wait_dscnt 0x0
	v_fmac_f64_e32 v[150:151], v[134:135], v[116:117]
	s_wait_loadcnt 0x0
	s_delay_alu instid0(VALU_DEP_1) | instskip(NEXT) | instid1(VALU_DEP_1)
	v_fmac_f64_e32 v[150:151], v[136:137], v[118:119]
	v_add_f64_e64 v[2:3], v[114:115], -v[150:151]
	scratch_store_b64 off, v[2:3], off offset:96
	s_wait_xcnt 0x0
	v_cmpx_lt_u32_e32 11, v0
	s_cbranch_execz .LBB118_317
; %bb.316:
	scratch_load_b64 v[2:3], off, off offset:88
	v_mov_b64_e32 v[114:115], 0
	scratch_store_b64 off, v[114:115], off offset:88
	s_wait_loadcnt 0x0
	ds_store_b64 v1, v[2:3]
.LBB118_317:
	s_wait_xcnt 0x0
	s_or_b32 exec_lo, exec_lo, s0
	s_wait_storecnt_dscnt 0x0
	s_barrier_signal -1
	s_barrier_wait -1
	s_clause 0x5
	scratch_load_b128 v[114:117], off, off offset:88
	scratch_load_b128 v[118:121], off, off offset:104
	scratch_load_b128 v[122:125], off, off offset:120
	scratch_load_b128 v[126:129], off, off offset:136
	scratch_load_b128 v[130:133], off, off offset:152
	scratch_load_b128 v[134:137], off, off offset:168
	v_mov_b32_e32 v2, 0
	ds_load_b128 v[138:141], v2 offset:544
	ds_load_b128 v[142:145], v2 offset:560
	scratch_load_b128 v[146:149], off, off offset:184
	s_mov_b32 s0, exec_lo
	s_wait_loadcnt_dscnt 0x601
	v_fma_f64 v[150:151], v[116:117], v[138:139], 0
	s_wait_loadcnt 0x5
	s_delay_alu instid0(VALU_DEP_1) | instskip(SKIP_4) | instid1(VALU_DEP_1)
	v_fmac_f64_e32 v[150:151], v[118:119], v[140:141]
	scratch_load_b128 v[116:119], off, off offset:200
	s_wait_dscnt 0x0
	v_fmac_f64_e32 v[150:151], v[120:121], v[142:143]
	s_wait_loadcnt 0x5
	v_fmac_f64_e32 v[150:151], v[122:123], v[144:145]
	ds_load_b128 v[120:123], v2 offset:576
	ds_load_b128 v[138:141], v2 offset:592
	scratch_load_b128 v[142:145], off, off offset:216
	s_wait_dscnt 0x1
	v_fmac_f64_e32 v[150:151], v[124:125], v[120:121]
	s_wait_loadcnt 0x5
	s_delay_alu instid0(VALU_DEP_1) | instskip(SKIP_4) | instid1(VALU_DEP_1)
	v_fmac_f64_e32 v[150:151], v[126:127], v[122:123]
	scratch_load_b128 v[120:123], off, off offset:232
	s_wait_dscnt 0x0
	v_fmac_f64_e32 v[150:151], v[128:129], v[138:139]
	s_wait_loadcnt 0x5
	v_fmac_f64_e32 v[150:151], v[130:131], v[140:141]
	ds_load_b128 v[124:127], v2 offset:608
	ds_load_b128 v[128:131], v2 offset:624
	scratch_load_b128 v[138:141], off, off offset:248
	s_wait_dscnt 0x1
	v_fmac_f64_e32 v[150:151], v[132:133], v[124:125]
	s_wait_loadcnt 0x5
	s_delay_alu instid0(VALU_DEP_1) | instskip(SKIP_4) | instid1(VALU_DEP_1)
	v_fmac_f64_e32 v[150:151], v[134:135], v[126:127]
	scratch_load_b128 v[124:127], off, off offset:264
	s_wait_dscnt 0x0
	v_fmac_f64_e32 v[150:151], v[136:137], v[128:129]
	s_wait_loadcnt 0x5
	v_fmac_f64_e32 v[150:151], v[146:147], v[130:131]
	ds_load_b128 v[128:131], v2 offset:640
	ds_load_b128 v[132:135], v2 offset:656
	s_wait_dscnt 0x1
	v_fmac_f64_e32 v[150:151], v[148:149], v[128:129]
	scratch_load_b128 v[146:149], off, off offset:280
	s_wait_loadcnt 0x5
	v_fmac_f64_e32 v[150:151], v[116:117], v[130:131]
	s_wait_dscnt 0x0
	s_delay_alu instid0(VALU_DEP_1)
	v_fmac_f64_e32 v[150:151], v[118:119], v[132:133]
	scratch_load_b128 v[116:119], off, off offset:296
	s_wait_loadcnt 0x5
	v_fmac_f64_e32 v[150:151], v[142:143], v[134:135]
	ds_load_b128 v[128:131], v2 offset:672
	ds_load_b128 v[132:135], v2 offset:688
	s_wait_dscnt 0x1
	v_fmac_f64_e32 v[150:151], v[144:145], v[128:129]
	scratch_load_b128 v[142:145], off, off offset:312
	s_wait_loadcnt 0x5
	v_fmac_f64_e32 v[150:151], v[120:121], v[130:131]
	s_wait_dscnt 0x0
	s_delay_alu instid0(VALU_DEP_1)
	v_fmac_f64_e32 v[150:151], v[122:123], v[132:133]
	scratch_load_b128 v[120:123], off, off offset:328
	s_wait_loadcnt 0x5
	v_fmac_f64_e32 v[150:151], v[138:139], v[134:135]
	ds_load_b128 v[128:131], v2 offset:704
	ds_load_b128 v[132:135], v2 offset:720
	scratch_load_b128 v[136:139], off, off offset:344
	s_wait_dscnt 0x1
	v_fmac_f64_e32 v[150:151], v[140:141], v[128:129]
	s_wait_loadcnt 0x5
	s_delay_alu instid0(VALU_DEP_1) | instskip(SKIP_1) | instid1(VALU_DEP_1)
	v_fmac_f64_e32 v[150:151], v[124:125], v[130:131]
	s_wait_dscnt 0x0
	v_fmac_f64_e32 v[150:151], v[126:127], v[132:133]
	scratch_load_b128 v[124:127], off, off offset:360
	s_wait_loadcnt 0x5
	v_fmac_f64_e32 v[150:151], v[146:147], v[134:135]
	ds_load_b128 v[128:131], v2 offset:736
	ds_load_b128 v[132:135], v2 offset:752
	s_wait_dscnt 0x1
	v_fmac_f64_e32 v[150:151], v[148:149], v[128:129]
	s_wait_loadcnt 0x4
	s_delay_alu instid0(VALU_DEP_1)
	v_fmac_f64_e32 v[150:151], v[116:117], v[130:131]
	scratch_load_b128 v[128:131], off, off offset:376
	s_wait_dscnt 0x0
	v_fmac_f64_e32 v[150:151], v[118:119], v[132:133]
	scratch_load_b128 v[116:119], off, off offset:392
	s_wait_loadcnt 0x5
	v_fmac_f64_e32 v[150:151], v[142:143], v[134:135]
	ds_load_b128 v[132:135], v2 offset:768
	ds_load_b128 v[140:143], v2 offset:784
	s_wait_dscnt 0x1
	v_fmac_f64_e32 v[150:151], v[144:145], v[132:133]
	s_wait_loadcnt 0x4
	s_delay_alu instid0(VALU_DEP_1)
	v_fmac_f64_e32 v[150:151], v[120:121], v[134:135]
	scratch_load_b128 v[132:135], off, off offset:408
	s_wait_dscnt 0x0
	v_fmac_f64_e32 v[150:151], v[122:123], v[140:141]
	scratch_load_b128 v[120:123], off, off offset:424
	s_wait_loadcnt 0x5
	v_fmac_f64_e32 v[150:151], v[136:137], v[142:143]
	ds_load_b128 v[140:143], v2 offset:800
	ds_load_b128 v[144:147], v2 offset:816
	s_wait_dscnt 0x1
	v_fmac_f64_e32 v[150:151], v[138:139], v[140:141]
	s_wait_loadcnt 0x4
	s_delay_alu instid0(VALU_DEP_1) | instskip(SKIP_1) | instid1(VALU_DEP_1)
	v_fmac_f64_e32 v[150:151], v[124:125], v[142:143]
	s_wait_dscnt 0x0
	v_fmac_f64_e32 v[150:151], v[126:127], v[144:145]
	ds_load_b128 v[124:127], v2 offset:832
	ds_load_b128 v[136:139], v2 offset:848
	s_wait_loadcnt 0x3
	v_fmac_f64_e32 v[150:151], v[128:129], v[146:147]
	s_wait_dscnt 0x1
	s_delay_alu instid0(VALU_DEP_1) | instskip(SKIP_1) | instid1(VALU_DEP_1)
	v_fmac_f64_e32 v[150:151], v[130:131], v[124:125]
	s_wait_loadcnt 0x2
	v_fmac_f64_e32 v[150:151], v[116:117], v[126:127]
	s_wait_dscnt 0x0
	s_delay_alu instid0(VALU_DEP_1)
	v_fmac_f64_e32 v[150:151], v[118:119], v[136:137]
	ds_load_b128 v[116:119], v2 offset:864
	ds_load_b64 v[124:125], v2 offset:880
	s_wait_loadcnt 0x1
	v_fmac_f64_e32 v[150:151], v[132:133], v[138:139]
	s_wait_dscnt 0x1
	s_delay_alu instid0(VALU_DEP_1) | instskip(SKIP_1) | instid1(VALU_DEP_1)
	v_fmac_f64_e32 v[150:151], v[134:135], v[116:117]
	s_wait_loadcnt 0x0
	v_fmac_f64_e32 v[150:151], v[120:121], v[118:119]
	s_wait_dscnt 0x0
	s_delay_alu instid0(VALU_DEP_1) | instskip(NEXT) | instid1(VALU_DEP_1)
	v_fmac_f64_e32 v[150:151], v[122:123], v[124:125]
	v_add_f64_e64 v[114:115], v[114:115], -v[150:151]
	scratch_store_b64 off, v[114:115], off offset:88
	s_wait_xcnt 0x0
	v_cmpx_lt_u32_e32 10, v0
	s_cbranch_execz .LBB118_319
; %bb.318:
	scratch_load_b64 v[114:115], off, off offset:80
	v_mov_b64_e32 v[116:117], 0
	scratch_store_b64 off, v[116:117], off offset:80
	s_wait_loadcnt 0x0
	ds_store_b64 v1, v[114:115]
.LBB118_319:
	s_wait_xcnt 0x0
	s_or_b32 exec_lo, exec_lo, s0
	s_wait_storecnt_dscnt 0x0
	s_barrier_signal -1
	s_barrier_wait -1
	s_clause 0x5
	scratch_load_b128 v[114:117], off, off offset:80
	scratch_load_b128 v[118:121], off, off offset:96
	;; [unrolled: 1-line block ×6, first 2 shown]
	ds_load_2addr_b64 v[138:141], v2 offset0:67 offset1:68
	ds_load_2addr_b64 v[142:145], v2 offset0:69 offset1:70
	scratch_load_b128 v[146:149], off, off offset:176
	s_mov_b32 s0, exec_lo
	s_wait_loadcnt_dscnt 0x601
	v_fma_f64 v[150:151], v[116:117], v[138:139], 0
	s_wait_loadcnt 0x5
	s_delay_alu instid0(VALU_DEP_1) | instskip(SKIP_4) | instid1(VALU_DEP_1)
	v_fmac_f64_e32 v[150:151], v[118:119], v[140:141]
	scratch_load_b128 v[116:119], off, off offset:192
	s_wait_dscnt 0x0
	v_fmac_f64_e32 v[150:151], v[120:121], v[142:143]
	s_wait_loadcnt 0x5
	v_fmac_f64_e32 v[150:151], v[122:123], v[144:145]
	ds_load_2addr_b64 v[120:123], v2 offset0:71 offset1:72
	ds_load_2addr_b64 v[138:141], v2 offset0:73 offset1:74
	scratch_load_b128 v[142:145], off, off offset:208
	s_wait_dscnt 0x1
	v_fmac_f64_e32 v[150:151], v[124:125], v[120:121]
	s_wait_loadcnt 0x5
	s_delay_alu instid0(VALU_DEP_1) | instskip(SKIP_4) | instid1(VALU_DEP_1)
	v_fmac_f64_e32 v[150:151], v[126:127], v[122:123]
	scratch_load_b128 v[120:123], off, off offset:224
	s_wait_dscnt 0x0
	v_fmac_f64_e32 v[150:151], v[128:129], v[138:139]
	s_wait_loadcnt 0x5
	v_fmac_f64_e32 v[150:151], v[130:131], v[140:141]
	ds_load_2addr_b64 v[124:127], v2 offset0:75 offset1:76
	ds_load_2addr_b64 v[128:131], v2 offset0:77 offset1:78
	scratch_load_b128 v[138:141], off, off offset:240
	s_wait_dscnt 0x1
	v_fmac_f64_e32 v[150:151], v[132:133], v[124:125]
	s_wait_loadcnt 0x5
	s_delay_alu instid0(VALU_DEP_1) | instskip(SKIP_4) | instid1(VALU_DEP_1)
	v_fmac_f64_e32 v[150:151], v[134:135], v[126:127]
	scratch_load_b128 v[124:127], off, off offset:256
	s_wait_dscnt 0x0
	v_fmac_f64_e32 v[150:151], v[136:137], v[128:129]
	s_wait_loadcnt 0x5
	v_fmac_f64_e32 v[150:151], v[146:147], v[130:131]
	ds_load_2addr_b64 v[128:131], v2 offset0:79 offset1:80
	ds_load_2addr_b64 v[132:135], v2 offset0:81 offset1:82
	s_wait_dscnt 0x1
	v_fmac_f64_e32 v[150:151], v[148:149], v[128:129]
	scratch_load_b128 v[146:149], off, off offset:272
	s_wait_loadcnt 0x5
	v_fmac_f64_e32 v[150:151], v[116:117], v[130:131]
	s_wait_dscnt 0x0
	s_delay_alu instid0(VALU_DEP_1)
	v_fmac_f64_e32 v[150:151], v[118:119], v[132:133]
	scratch_load_b128 v[116:119], off, off offset:288
	s_wait_loadcnt 0x5
	v_fmac_f64_e32 v[150:151], v[142:143], v[134:135]
	ds_load_2addr_b64 v[128:131], v2 offset0:83 offset1:84
	ds_load_2addr_b64 v[132:135], v2 offset0:85 offset1:86
	s_wait_dscnt 0x1
	v_fmac_f64_e32 v[150:151], v[144:145], v[128:129]
	scratch_load_b128 v[142:145], off, off offset:304
	s_wait_loadcnt 0x5
	v_fmac_f64_e32 v[150:151], v[120:121], v[130:131]
	s_wait_dscnt 0x0
	s_delay_alu instid0(VALU_DEP_1)
	v_fmac_f64_e32 v[150:151], v[122:123], v[132:133]
	scratch_load_b128 v[120:123], off, off offset:320
	s_wait_loadcnt 0x5
	v_fmac_f64_e32 v[150:151], v[138:139], v[134:135]
	ds_load_2addr_b64 v[128:131], v2 offset0:87 offset1:88
	ds_load_2addr_b64 v[132:135], v2 offset0:89 offset1:90
	scratch_load_b128 v[136:139], off, off offset:336
	s_wait_dscnt 0x1
	v_fmac_f64_e32 v[150:151], v[140:141], v[128:129]
	s_wait_loadcnt 0x5
	s_delay_alu instid0(VALU_DEP_1) | instskip(SKIP_1) | instid1(VALU_DEP_1)
	v_fmac_f64_e32 v[150:151], v[124:125], v[130:131]
	s_wait_dscnt 0x0
	v_fmac_f64_e32 v[150:151], v[126:127], v[132:133]
	scratch_load_b128 v[124:127], off, off offset:352
	s_wait_loadcnt 0x5
	v_fmac_f64_e32 v[150:151], v[146:147], v[134:135]
	ds_load_2addr_b64 v[128:131], v2 offset0:91 offset1:92
	ds_load_2addr_b64 v[132:135], v2 offset0:93 offset1:94
	s_wait_dscnt 0x1
	v_fmac_f64_e32 v[150:151], v[148:149], v[128:129]
	s_wait_loadcnt 0x4
	s_delay_alu instid0(VALU_DEP_1)
	v_fmac_f64_e32 v[150:151], v[116:117], v[130:131]
	scratch_load_b128 v[128:131], off, off offset:368
	s_wait_dscnt 0x0
	v_fmac_f64_e32 v[150:151], v[118:119], v[132:133]
	scratch_load_b128 v[116:119], off, off offset:384
	s_wait_loadcnt 0x5
	v_fmac_f64_e32 v[150:151], v[142:143], v[134:135]
	ds_load_2addr_b64 v[132:135], v2 offset0:95 offset1:96
	ds_load_2addr_b64 v[140:143], v2 offset0:97 offset1:98
	s_wait_dscnt 0x1
	v_fmac_f64_e32 v[150:151], v[144:145], v[132:133]
	s_wait_loadcnt 0x4
	s_delay_alu instid0(VALU_DEP_1)
	v_fmac_f64_e32 v[150:151], v[120:121], v[134:135]
	scratch_load_b128 v[132:135], off, off offset:400
	s_wait_dscnt 0x0
	v_fmac_f64_e32 v[150:151], v[122:123], v[140:141]
	scratch_load_b128 v[120:123], off, off offset:416
	s_wait_loadcnt 0x5
	v_fmac_f64_e32 v[150:151], v[136:137], v[142:143]
	ds_load_2addr_b64 v[140:143], v2 offset0:99 offset1:100
	ds_load_2addr_b64 v[144:147], v2 offset0:101 offset1:102
	s_wait_dscnt 0x1
	v_fmac_f64_e32 v[150:151], v[138:139], v[140:141]
	scratch_load_b64 v[140:141], off, off offset:432
	s_wait_loadcnt 0x5
	v_fmac_f64_e32 v[150:151], v[124:125], v[142:143]
	s_wait_dscnt 0x0
	s_delay_alu instid0(VALU_DEP_1)
	v_fmac_f64_e32 v[150:151], v[126:127], v[144:145]
	ds_load_2addr_b64 v[124:127], v2 offset0:103 offset1:104
	ds_load_2addr_b64 v[136:139], v2 offset0:105 offset1:106
	s_wait_loadcnt 0x4
	v_fmac_f64_e32 v[150:151], v[128:129], v[146:147]
	s_wait_dscnt 0x1
	s_delay_alu instid0(VALU_DEP_1) | instskip(SKIP_1) | instid1(VALU_DEP_1)
	v_fmac_f64_e32 v[150:151], v[130:131], v[124:125]
	s_wait_loadcnt 0x3
	v_fmac_f64_e32 v[150:151], v[116:117], v[126:127]
	s_wait_dscnt 0x0
	s_delay_alu instid0(VALU_DEP_1)
	v_fmac_f64_e32 v[150:151], v[118:119], v[136:137]
	ds_load_2addr_b64 v[116:119], v2 offset0:107 offset1:108
	ds_load_2addr_b64 v[124:127], v2 offset0:109 offset1:110
	s_wait_loadcnt 0x2
	v_fmac_f64_e32 v[150:151], v[132:133], v[138:139]
	s_wait_dscnt 0x1
	s_delay_alu instid0(VALU_DEP_1) | instskip(SKIP_1) | instid1(VALU_DEP_1)
	v_fmac_f64_e32 v[150:151], v[134:135], v[116:117]
	s_wait_loadcnt 0x1
	v_fmac_f64_e32 v[150:151], v[120:121], v[118:119]
	s_wait_dscnt 0x0
	s_delay_alu instid0(VALU_DEP_1) | instskip(SKIP_1) | instid1(VALU_DEP_1)
	v_fmac_f64_e32 v[150:151], v[122:123], v[124:125]
	s_wait_loadcnt 0x0
	v_fmac_f64_e32 v[150:151], v[140:141], v[126:127]
	s_delay_alu instid0(VALU_DEP_1)
	v_add_f64_e64 v[2:3], v[114:115], -v[150:151]
	scratch_store_b64 off, v[2:3], off offset:80
	s_wait_xcnt 0x0
	v_cmpx_lt_u32_e32 9, v0
	s_cbranch_execz .LBB118_321
; %bb.320:
	scratch_load_b64 v[2:3], off, off offset:72
	v_mov_b64_e32 v[114:115], 0
	scratch_store_b64 off, v[114:115], off offset:72
	s_wait_loadcnt 0x0
	ds_store_b64 v1, v[2:3]
.LBB118_321:
	s_wait_xcnt 0x0
	s_or_b32 exec_lo, exec_lo, s0
	s_wait_storecnt_dscnt 0x0
	s_barrier_signal -1
	s_barrier_wait -1
	s_clause 0x5
	scratch_load_b128 v[114:117], off, off offset:72
	scratch_load_b128 v[118:121], off, off offset:88
	scratch_load_b128 v[122:125], off, off offset:104
	scratch_load_b128 v[126:129], off, off offset:120
	scratch_load_b128 v[130:133], off, off offset:136
	scratch_load_b128 v[134:137], off, off offset:152
	v_mov_b32_e32 v2, 0
	ds_load_b128 v[138:141], v2 offset:528
	ds_load_b128 v[142:145], v2 offset:544
	scratch_load_b128 v[146:149], off, off offset:168
	s_mov_b32 s0, exec_lo
	s_wait_loadcnt_dscnt 0x601
	v_fma_f64 v[150:151], v[116:117], v[138:139], 0
	s_wait_loadcnt 0x5
	s_delay_alu instid0(VALU_DEP_1) | instskip(SKIP_4) | instid1(VALU_DEP_1)
	v_fmac_f64_e32 v[150:151], v[118:119], v[140:141]
	scratch_load_b128 v[116:119], off, off offset:184
	s_wait_dscnt 0x0
	v_fmac_f64_e32 v[150:151], v[120:121], v[142:143]
	s_wait_loadcnt 0x5
	v_fmac_f64_e32 v[150:151], v[122:123], v[144:145]
	ds_load_b128 v[120:123], v2 offset:560
	ds_load_b128 v[138:141], v2 offset:576
	scratch_load_b128 v[142:145], off, off offset:200
	s_wait_dscnt 0x1
	v_fmac_f64_e32 v[150:151], v[124:125], v[120:121]
	s_wait_loadcnt 0x5
	s_delay_alu instid0(VALU_DEP_1) | instskip(SKIP_4) | instid1(VALU_DEP_1)
	v_fmac_f64_e32 v[150:151], v[126:127], v[122:123]
	scratch_load_b128 v[120:123], off, off offset:216
	s_wait_dscnt 0x0
	v_fmac_f64_e32 v[150:151], v[128:129], v[138:139]
	s_wait_loadcnt 0x5
	v_fmac_f64_e32 v[150:151], v[130:131], v[140:141]
	ds_load_b128 v[124:127], v2 offset:592
	ds_load_b128 v[128:131], v2 offset:608
	scratch_load_b128 v[138:141], off, off offset:232
	s_wait_dscnt 0x1
	v_fmac_f64_e32 v[150:151], v[132:133], v[124:125]
	s_wait_loadcnt 0x5
	s_delay_alu instid0(VALU_DEP_1) | instskip(SKIP_4) | instid1(VALU_DEP_1)
	v_fmac_f64_e32 v[150:151], v[134:135], v[126:127]
	scratch_load_b128 v[124:127], off, off offset:248
	s_wait_dscnt 0x0
	v_fmac_f64_e32 v[150:151], v[136:137], v[128:129]
	s_wait_loadcnt 0x5
	v_fmac_f64_e32 v[150:151], v[146:147], v[130:131]
	ds_load_b128 v[128:131], v2 offset:624
	ds_load_b128 v[132:135], v2 offset:640
	s_wait_dscnt 0x1
	v_fmac_f64_e32 v[150:151], v[148:149], v[128:129]
	scratch_load_b128 v[146:149], off, off offset:264
	s_wait_loadcnt 0x5
	v_fmac_f64_e32 v[150:151], v[116:117], v[130:131]
	s_wait_dscnt 0x0
	s_delay_alu instid0(VALU_DEP_1)
	v_fmac_f64_e32 v[150:151], v[118:119], v[132:133]
	scratch_load_b128 v[116:119], off, off offset:280
	s_wait_loadcnt 0x5
	v_fmac_f64_e32 v[150:151], v[142:143], v[134:135]
	ds_load_b128 v[128:131], v2 offset:656
	ds_load_b128 v[132:135], v2 offset:672
	s_wait_dscnt 0x1
	v_fmac_f64_e32 v[150:151], v[144:145], v[128:129]
	scratch_load_b128 v[142:145], off, off offset:296
	s_wait_loadcnt 0x5
	v_fmac_f64_e32 v[150:151], v[120:121], v[130:131]
	s_wait_dscnt 0x0
	s_delay_alu instid0(VALU_DEP_1)
	v_fmac_f64_e32 v[150:151], v[122:123], v[132:133]
	scratch_load_b128 v[120:123], off, off offset:312
	s_wait_loadcnt 0x5
	v_fmac_f64_e32 v[150:151], v[138:139], v[134:135]
	ds_load_b128 v[128:131], v2 offset:688
	ds_load_b128 v[132:135], v2 offset:704
	scratch_load_b128 v[136:139], off, off offset:328
	s_wait_dscnt 0x1
	v_fmac_f64_e32 v[150:151], v[140:141], v[128:129]
	s_wait_loadcnt 0x5
	s_delay_alu instid0(VALU_DEP_1) | instskip(SKIP_1) | instid1(VALU_DEP_1)
	v_fmac_f64_e32 v[150:151], v[124:125], v[130:131]
	s_wait_dscnt 0x0
	v_fmac_f64_e32 v[150:151], v[126:127], v[132:133]
	scratch_load_b128 v[124:127], off, off offset:344
	s_wait_loadcnt 0x5
	v_fmac_f64_e32 v[150:151], v[146:147], v[134:135]
	ds_load_b128 v[128:131], v2 offset:720
	ds_load_b128 v[132:135], v2 offset:736
	s_wait_dscnt 0x1
	v_fmac_f64_e32 v[150:151], v[148:149], v[128:129]
	s_wait_loadcnt 0x4
	s_delay_alu instid0(VALU_DEP_1)
	v_fmac_f64_e32 v[150:151], v[116:117], v[130:131]
	scratch_load_b128 v[128:131], off, off offset:360
	s_wait_dscnt 0x0
	v_fmac_f64_e32 v[150:151], v[118:119], v[132:133]
	scratch_load_b128 v[116:119], off, off offset:376
	s_wait_loadcnt 0x5
	v_fmac_f64_e32 v[150:151], v[142:143], v[134:135]
	ds_load_b128 v[132:135], v2 offset:752
	ds_load_b128 v[140:143], v2 offset:768
	s_wait_dscnt 0x1
	v_fmac_f64_e32 v[150:151], v[144:145], v[132:133]
	s_wait_loadcnt 0x4
	s_delay_alu instid0(VALU_DEP_1)
	v_fmac_f64_e32 v[150:151], v[120:121], v[134:135]
	scratch_load_b128 v[132:135], off, off offset:392
	s_wait_dscnt 0x0
	v_fmac_f64_e32 v[150:151], v[122:123], v[140:141]
	scratch_load_b128 v[120:123], off, off offset:408
	s_wait_loadcnt 0x5
	v_fmac_f64_e32 v[150:151], v[136:137], v[142:143]
	ds_load_b128 v[140:143], v2 offset:784
	ds_load_b128 v[144:147], v2 offset:800
	s_wait_dscnt 0x1
	v_fmac_f64_e32 v[150:151], v[138:139], v[140:141]
	scratch_load_b128 v[136:139], off, off offset:424
	s_wait_loadcnt 0x5
	v_fmac_f64_e32 v[150:151], v[124:125], v[142:143]
	s_wait_dscnt 0x0
	s_delay_alu instid0(VALU_DEP_1)
	v_fmac_f64_e32 v[150:151], v[126:127], v[144:145]
	ds_load_b128 v[124:127], v2 offset:816
	ds_load_b128 v[140:143], v2 offset:832
	s_wait_loadcnt 0x4
	v_fmac_f64_e32 v[150:151], v[128:129], v[146:147]
	s_wait_dscnt 0x1
	s_delay_alu instid0(VALU_DEP_1) | instskip(SKIP_1) | instid1(VALU_DEP_1)
	v_fmac_f64_e32 v[150:151], v[130:131], v[124:125]
	s_wait_loadcnt 0x3
	v_fmac_f64_e32 v[150:151], v[116:117], v[126:127]
	s_wait_dscnt 0x0
	s_delay_alu instid0(VALU_DEP_1)
	v_fmac_f64_e32 v[150:151], v[118:119], v[140:141]
	ds_load_b128 v[116:119], v2 offset:848
	ds_load_b128 v[124:127], v2 offset:864
	s_wait_loadcnt 0x2
	v_fmac_f64_e32 v[150:151], v[132:133], v[142:143]
	s_wait_dscnt 0x1
	s_delay_alu instid0(VALU_DEP_1) | instskip(SKIP_4) | instid1(VALU_DEP_1)
	v_fmac_f64_e32 v[150:151], v[134:135], v[116:117]
	ds_load_b64 v[116:117], v2 offset:880
	s_wait_loadcnt 0x1
	v_fmac_f64_e32 v[150:151], v[120:121], v[118:119]
	s_wait_dscnt 0x1
	v_fmac_f64_e32 v[150:151], v[122:123], v[124:125]
	s_wait_loadcnt 0x0
	s_delay_alu instid0(VALU_DEP_1) | instskip(SKIP_1) | instid1(VALU_DEP_1)
	v_fmac_f64_e32 v[150:151], v[136:137], v[126:127]
	s_wait_dscnt 0x0
	v_fmac_f64_e32 v[150:151], v[138:139], v[116:117]
	s_delay_alu instid0(VALU_DEP_1)
	v_add_f64_e64 v[114:115], v[114:115], -v[150:151]
	scratch_store_b64 off, v[114:115], off offset:72
	s_wait_xcnt 0x0
	v_cmpx_lt_u32_e32 8, v0
	s_cbranch_execz .LBB118_323
; %bb.322:
	scratch_load_b64 v[114:115], off, off offset:64
	v_mov_b64_e32 v[116:117], 0
	scratch_store_b64 off, v[116:117], off offset:64
	s_wait_loadcnt 0x0
	ds_store_b64 v1, v[114:115]
.LBB118_323:
	s_wait_xcnt 0x0
	s_or_b32 exec_lo, exec_lo, s0
	s_wait_storecnt_dscnt 0x0
	s_barrier_signal -1
	s_barrier_wait -1
	s_clause 0x5
	scratch_load_b128 v[114:117], off, off offset:64
	scratch_load_b128 v[118:121], off, off offset:80
	;; [unrolled: 1-line block ×6, first 2 shown]
	ds_load_2addr_b64 v[138:141], v2 offset0:65 offset1:66
	ds_load_2addr_b64 v[142:145], v2 offset0:67 offset1:68
	scratch_load_b128 v[146:149], off, off offset:160
	s_mov_b32 s0, exec_lo
	s_wait_loadcnt_dscnt 0x601
	v_fma_f64 v[150:151], v[116:117], v[138:139], 0
	s_wait_loadcnt 0x5
	s_delay_alu instid0(VALU_DEP_1) | instskip(SKIP_4) | instid1(VALU_DEP_1)
	v_fmac_f64_e32 v[150:151], v[118:119], v[140:141]
	scratch_load_b128 v[116:119], off, off offset:176
	s_wait_dscnt 0x0
	v_fmac_f64_e32 v[150:151], v[120:121], v[142:143]
	s_wait_loadcnt 0x5
	v_fmac_f64_e32 v[150:151], v[122:123], v[144:145]
	ds_load_2addr_b64 v[120:123], v2 offset0:69 offset1:70
	ds_load_2addr_b64 v[138:141], v2 offset0:71 offset1:72
	scratch_load_b128 v[142:145], off, off offset:192
	s_wait_dscnt 0x1
	v_fmac_f64_e32 v[150:151], v[124:125], v[120:121]
	s_wait_loadcnt 0x5
	s_delay_alu instid0(VALU_DEP_1) | instskip(SKIP_4) | instid1(VALU_DEP_1)
	v_fmac_f64_e32 v[150:151], v[126:127], v[122:123]
	scratch_load_b128 v[120:123], off, off offset:208
	s_wait_dscnt 0x0
	v_fmac_f64_e32 v[150:151], v[128:129], v[138:139]
	s_wait_loadcnt 0x5
	v_fmac_f64_e32 v[150:151], v[130:131], v[140:141]
	ds_load_2addr_b64 v[124:127], v2 offset0:73 offset1:74
	ds_load_2addr_b64 v[128:131], v2 offset0:75 offset1:76
	scratch_load_b128 v[138:141], off, off offset:224
	s_wait_dscnt 0x1
	v_fmac_f64_e32 v[150:151], v[132:133], v[124:125]
	s_wait_loadcnt 0x5
	s_delay_alu instid0(VALU_DEP_1) | instskip(SKIP_4) | instid1(VALU_DEP_1)
	v_fmac_f64_e32 v[150:151], v[134:135], v[126:127]
	scratch_load_b128 v[124:127], off, off offset:240
	s_wait_dscnt 0x0
	v_fmac_f64_e32 v[150:151], v[136:137], v[128:129]
	s_wait_loadcnt 0x5
	v_fmac_f64_e32 v[150:151], v[146:147], v[130:131]
	ds_load_2addr_b64 v[128:131], v2 offset0:77 offset1:78
	ds_load_2addr_b64 v[132:135], v2 offset0:79 offset1:80
	s_wait_dscnt 0x1
	v_fmac_f64_e32 v[150:151], v[148:149], v[128:129]
	scratch_load_b128 v[146:149], off, off offset:256
	s_wait_loadcnt 0x5
	v_fmac_f64_e32 v[150:151], v[116:117], v[130:131]
	s_wait_dscnt 0x0
	s_delay_alu instid0(VALU_DEP_1)
	v_fmac_f64_e32 v[150:151], v[118:119], v[132:133]
	scratch_load_b128 v[116:119], off, off offset:272
	s_wait_loadcnt 0x5
	v_fmac_f64_e32 v[150:151], v[142:143], v[134:135]
	ds_load_2addr_b64 v[128:131], v2 offset0:81 offset1:82
	ds_load_2addr_b64 v[132:135], v2 offset0:83 offset1:84
	s_wait_dscnt 0x1
	v_fmac_f64_e32 v[150:151], v[144:145], v[128:129]
	scratch_load_b128 v[142:145], off, off offset:288
	s_wait_loadcnt 0x5
	v_fmac_f64_e32 v[150:151], v[120:121], v[130:131]
	s_wait_dscnt 0x0
	s_delay_alu instid0(VALU_DEP_1)
	v_fmac_f64_e32 v[150:151], v[122:123], v[132:133]
	scratch_load_b128 v[120:123], off, off offset:304
	s_wait_loadcnt 0x5
	v_fmac_f64_e32 v[150:151], v[138:139], v[134:135]
	ds_load_2addr_b64 v[128:131], v2 offset0:85 offset1:86
	ds_load_2addr_b64 v[132:135], v2 offset0:87 offset1:88
	scratch_load_b128 v[136:139], off, off offset:320
	s_wait_dscnt 0x1
	v_fmac_f64_e32 v[150:151], v[140:141], v[128:129]
	s_wait_loadcnt 0x5
	s_delay_alu instid0(VALU_DEP_1) | instskip(SKIP_1) | instid1(VALU_DEP_1)
	v_fmac_f64_e32 v[150:151], v[124:125], v[130:131]
	s_wait_dscnt 0x0
	v_fmac_f64_e32 v[150:151], v[126:127], v[132:133]
	scratch_load_b128 v[124:127], off, off offset:336
	s_wait_loadcnt 0x5
	v_fmac_f64_e32 v[150:151], v[146:147], v[134:135]
	ds_load_2addr_b64 v[128:131], v2 offset0:89 offset1:90
	ds_load_2addr_b64 v[132:135], v2 offset0:91 offset1:92
	s_wait_dscnt 0x1
	v_fmac_f64_e32 v[150:151], v[148:149], v[128:129]
	scratch_load_b128 v[146:149], off, off offset:352
	s_wait_loadcnt 0x5
	v_fmac_f64_e32 v[150:151], v[116:117], v[130:131]
	s_wait_dscnt 0x0
	s_delay_alu instid0(VALU_DEP_1)
	v_fmac_f64_e32 v[150:151], v[118:119], v[132:133]
	scratch_load_b128 v[116:119], off, off offset:368
	s_wait_loadcnt 0x5
	v_fmac_f64_e32 v[150:151], v[142:143], v[134:135]
	ds_load_2addr_b64 v[128:131], v2 offset0:93 offset1:94
	ds_load_2addr_b64 v[132:135], v2 offset0:95 offset1:96
	s_wait_dscnt 0x1
	v_fmac_f64_e32 v[150:151], v[144:145], v[128:129]
	s_wait_loadcnt 0x4
	s_delay_alu instid0(VALU_DEP_1)
	v_fmac_f64_e32 v[150:151], v[120:121], v[130:131]
	scratch_load_b128 v[128:131], off, off offset:384
	s_wait_dscnt 0x0
	v_fmac_f64_e32 v[150:151], v[122:123], v[132:133]
	scratch_load_b128 v[120:123], off, off offset:400
	s_wait_loadcnt 0x5
	v_fmac_f64_e32 v[150:151], v[136:137], v[134:135]
	ds_load_2addr_b64 v[132:135], v2 offset0:97 offset1:98
	ds_load_2addr_b64 v[140:143], v2 offset0:99 offset1:100
	s_wait_dscnt 0x1
	v_fmac_f64_e32 v[150:151], v[138:139], v[132:133]
	s_wait_loadcnt 0x4
	s_delay_alu instid0(VALU_DEP_1)
	v_fmac_f64_e32 v[150:151], v[124:125], v[134:135]
	scratch_load_b128 v[132:135], off, off offset:416
	s_wait_dscnt 0x0
	v_fmac_f64_e32 v[150:151], v[126:127], v[140:141]
	scratch_load_b64 v[140:141], off, off offset:432
	ds_load_2addr_b64 v[124:127], v2 offset0:101 offset1:102
	ds_load_2addr_b64 v[136:139], v2 offset0:103 offset1:104
	s_wait_loadcnt 0x5
	v_fmac_f64_e32 v[150:151], v[146:147], v[142:143]
	s_wait_dscnt 0x1
	s_delay_alu instid0(VALU_DEP_1) | instskip(SKIP_1) | instid1(VALU_DEP_1)
	v_fmac_f64_e32 v[150:151], v[148:149], v[124:125]
	s_wait_loadcnt 0x4
	v_fmac_f64_e32 v[150:151], v[116:117], v[126:127]
	s_wait_dscnt 0x0
	s_delay_alu instid0(VALU_DEP_1)
	v_fmac_f64_e32 v[150:151], v[118:119], v[136:137]
	ds_load_2addr_b64 v[116:119], v2 offset0:105 offset1:106
	ds_load_2addr_b64 v[124:127], v2 offset0:107 offset1:108
	s_wait_loadcnt 0x3
	v_fmac_f64_e32 v[150:151], v[128:129], v[138:139]
	s_wait_dscnt 0x1
	s_delay_alu instid0(VALU_DEP_1) | instskip(SKIP_1) | instid1(VALU_DEP_1)
	v_fmac_f64_e32 v[150:151], v[130:131], v[116:117]
	s_wait_loadcnt 0x2
	v_fmac_f64_e32 v[150:151], v[120:121], v[118:119]
	ds_load_2addr_b64 v[116:119], v2 offset0:109 offset1:110
	s_wait_dscnt 0x1
	v_fmac_f64_e32 v[150:151], v[122:123], v[124:125]
	s_wait_loadcnt 0x1
	s_delay_alu instid0(VALU_DEP_1) | instskip(SKIP_1) | instid1(VALU_DEP_1)
	v_fmac_f64_e32 v[150:151], v[132:133], v[126:127]
	s_wait_dscnt 0x0
	v_fmac_f64_e32 v[150:151], v[134:135], v[116:117]
	s_wait_loadcnt 0x0
	s_delay_alu instid0(VALU_DEP_1) | instskip(NEXT) | instid1(VALU_DEP_1)
	v_fmac_f64_e32 v[150:151], v[140:141], v[118:119]
	v_add_f64_e64 v[2:3], v[114:115], -v[150:151]
	scratch_store_b64 off, v[2:3], off offset:64
	s_wait_xcnt 0x0
	v_cmpx_lt_u32_e32 7, v0
	s_cbranch_execz .LBB118_325
; %bb.324:
	scratch_load_b64 v[2:3], off, off offset:56
	v_mov_b64_e32 v[114:115], 0
	scratch_store_b64 off, v[114:115], off offset:56
	s_wait_loadcnt 0x0
	ds_store_b64 v1, v[2:3]
.LBB118_325:
	s_wait_xcnt 0x0
	s_or_b32 exec_lo, exec_lo, s0
	s_wait_storecnt_dscnt 0x0
	s_barrier_signal -1
	s_barrier_wait -1
	s_clause 0x5
	scratch_load_b128 v[114:117], off, off offset:56
	scratch_load_b128 v[118:121], off, off offset:72
	;; [unrolled: 1-line block ×6, first 2 shown]
	v_mov_b32_e32 v2, 0
	ds_load_b128 v[138:141], v2 offset:512
	ds_load_b128 v[142:145], v2 offset:528
	scratch_load_b128 v[146:149], off, off offset:152
	s_mov_b32 s0, exec_lo
	s_wait_loadcnt_dscnt 0x601
	v_fma_f64 v[150:151], v[116:117], v[138:139], 0
	s_wait_loadcnt 0x5
	s_delay_alu instid0(VALU_DEP_1) | instskip(SKIP_4) | instid1(VALU_DEP_1)
	v_fmac_f64_e32 v[150:151], v[118:119], v[140:141]
	scratch_load_b128 v[116:119], off, off offset:168
	s_wait_dscnt 0x0
	v_fmac_f64_e32 v[150:151], v[120:121], v[142:143]
	s_wait_loadcnt 0x5
	v_fmac_f64_e32 v[150:151], v[122:123], v[144:145]
	ds_load_b128 v[120:123], v2 offset:544
	ds_load_b128 v[138:141], v2 offset:560
	scratch_load_b128 v[142:145], off, off offset:184
	s_wait_dscnt 0x1
	v_fmac_f64_e32 v[150:151], v[124:125], v[120:121]
	s_wait_loadcnt 0x5
	s_delay_alu instid0(VALU_DEP_1) | instskip(SKIP_4) | instid1(VALU_DEP_1)
	v_fmac_f64_e32 v[150:151], v[126:127], v[122:123]
	scratch_load_b128 v[120:123], off, off offset:200
	s_wait_dscnt 0x0
	v_fmac_f64_e32 v[150:151], v[128:129], v[138:139]
	s_wait_loadcnt 0x5
	v_fmac_f64_e32 v[150:151], v[130:131], v[140:141]
	ds_load_b128 v[124:127], v2 offset:576
	ds_load_b128 v[128:131], v2 offset:592
	scratch_load_b128 v[138:141], off, off offset:216
	s_wait_dscnt 0x1
	v_fmac_f64_e32 v[150:151], v[132:133], v[124:125]
	s_wait_loadcnt 0x5
	s_delay_alu instid0(VALU_DEP_1) | instskip(SKIP_4) | instid1(VALU_DEP_1)
	v_fmac_f64_e32 v[150:151], v[134:135], v[126:127]
	scratch_load_b128 v[124:127], off, off offset:232
	s_wait_dscnt 0x0
	v_fmac_f64_e32 v[150:151], v[136:137], v[128:129]
	s_wait_loadcnt 0x5
	v_fmac_f64_e32 v[150:151], v[146:147], v[130:131]
	ds_load_b128 v[128:131], v2 offset:608
	ds_load_b128 v[132:135], v2 offset:624
	s_wait_dscnt 0x1
	v_fmac_f64_e32 v[150:151], v[148:149], v[128:129]
	scratch_load_b128 v[146:149], off, off offset:248
	s_wait_loadcnt 0x5
	v_fmac_f64_e32 v[150:151], v[116:117], v[130:131]
	s_wait_dscnt 0x0
	s_delay_alu instid0(VALU_DEP_1)
	v_fmac_f64_e32 v[150:151], v[118:119], v[132:133]
	scratch_load_b128 v[116:119], off, off offset:264
	s_wait_loadcnt 0x5
	v_fmac_f64_e32 v[150:151], v[142:143], v[134:135]
	ds_load_b128 v[128:131], v2 offset:640
	ds_load_b128 v[132:135], v2 offset:656
	s_wait_dscnt 0x1
	v_fmac_f64_e32 v[150:151], v[144:145], v[128:129]
	scratch_load_b128 v[142:145], off, off offset:280
	s_wait_loadcnt 0x5
	v_fmac_f64_e32 v[150:151], v[120:121], v[130:131]
	s_wait_dscnt 0x0
	s_delay_alu instid0(VALU_DEP_1)
	v_fmac_f64_e32 v[150:151], v[122:123], v[132:133]
	scratch_load_b128 v[120:123], off, off offset:296
	s_wait_loadcnt 0x5
	v_fmac_f64_e32 v[150:151], v[138:139], v[134:135]
	ds_load_b128 v[128:131], v2 offset:672
	ds_load_b128 v[132:135], v2 offset:688
	scratch_load_b128 v[136:139], off, off offset:312
	s_wait_dscnt 0x1
	v_fmac_f64_e32 v[150:151], v[140:141], v[128:129]
	s_wait_loadcnt 0x5
	s_delay_alu instid0(VALU_DEP_1) | instskip(SKIP_1) | instid1(VALU_DEP_1)
	v_fmac_f64_e32 v[150:151], v[124:125], v[130:131]
	s_wait_dscnt 0x0
	v_fmac_f64_e32 v[150:151], v[126:127], v[132:133]
	scratch_load_b128 v[124:127], off, off offset:328
	s_wait_loadcnt 0x5
	v_fmac_f64_e32 v[150:151], v[146:147], v[134:135]
	ds_load_b128 v[128:131], v2 offset:704
	ds_load_b128 v[132:135], v2 offset:720
	s_wait_dscnt 0x1
	v_fmac_f64_e32 v[150:151], v[148:149], v[128:129]
	scratch_load_b128 v[146:149], off, off offset:344
	s_wait_loadcnt 0x5
	v_fmac_f64_e32 v[150:151], v[116:117], v[130:131]
	s_wait_dscnt 0x0
	s_delay_alu instid0(VALU_DEP_1)
	v_fmac_f64_e32 v[150:151], v[118:119], v[132:133]
	scratch_load_b128 v[116:119], off, off offset:360
	s_wait_loadcnt 0x5
	v_fmac_f64_e32 v[150:151], v[142:143], v[134:135]
	ds_load_b128 v[128:131], v2 offset:736
	ds_load_b128 v[132:135], v2 offset:752
	s_wait_dscnt 0x1
	v_fmac_f64_e32 v[150:151], v[144:145], v[128:129]
	s_wait_loadcnt 0x4
	s_delay_alu instid0(VALU_DEP_1)
	v_fmac_f64_e32 v[150:151], v[120:121], v[130:131]
	scratch_load_b128 v[128:131], off, off offset:376
	s_wait_dscnt 0x0
	v_fmac_f64_e32 v[150:151], v[122:123], v[132:133]
	scratch_load_b128 v[120:123], off, off offset:392
	s_wait_loadcnt 0x5
	v_fmac_f64_e32 v[150:151], v[136:137], v[134:135]
	ds_load_b128 v[132:135], v2 offset:768
	ds_load_b128 v[140:143], v2 offset:784
	s_wait_dscnt 0x1
	v_fmac_f64_e32 v[150:151], v[138:139], v[132:133]
	s_wait_loadcnt 0x4
	s_delay_alu instid0(VALU_DEP_1)
	v_fmac_f64_e32 v[150:151], v[124:125], v[134:135]
	scratch_load_b128 v[132:135], off, off offset:408
	s_wait_dscnt 0x0
	v_fmac_f64_e32 v[150:151], v[126:127], v[140:141]
	scratch_load_b128 v[124:127], off, off offset:424
	s_wait_loadcnt 0x5
	v_fmac_f64_e32 v[150:151], v[146:147], v[142:143]
	ds_load_b128 v[136:139], v2 offset:800
	ds_load_b128 v[140:143], v2 offset:816
	s_wait_dscnt 0x1
	v_fmac_f64_e32 v[150:151], v[148:149], v[136:137]
	s_wait_loadcnt 0x4
	s_delay_alu instid0(VALU_DEP_1) | instskip(SKIP_1) | instid1(VALU_DEP_1)
	v_fmac_f64_e32 v[150:151], v[116:117], v[138:139]
	s_wait_dscnt 0x0
	v_fmac_f64_e32 v[150:151], v[118:119], v[140:141]
	ds_load_b128 v[116:119], v2 offset:832
	ds_load_b128 v[136:139], v2 offset:848
	s_wait_loadcnt 0x3
	v_fmac_f64_e32 v[150:151], v[128:129], v[142:143]
	s_wait_dscnt 0x1
	s_delay_alu instid0(VALU_DEP_1) | instskip(SKIP_1) | instid1(VALU_DEP_1)
	v_fmac_f64_e32 v[150:151], v[130:131], v[116:117]
	s_wait_loadcnt 0x2
	v_fmac_f64_e32 v[150:151], v[120:121], v[118:119]
	ds_load_b128 v[116:119], v2 offset:864
	ds_load_b64 v[120:121], v2 offset:880
	s_wait_dscnt 0x2
	v_fmac_f64_e32 v[150:151], v[122:123], v[136:137]
	s_wait_loadcnt 0x1
	s_delay_alu instid0(VALU_DEP_1) | instskip(SKIP_1) | instid1(VALU_DEP_1)
	v_fmac_f64_e32 v[150:151], v[132:133], v[138:139]
	s_wait_dscnt 0x1
	v_fmac_f64_e32 v[150:151], v[134:135], v[116:117]
	s_wait_loadcnt 0x0
	s_delay_alu instid0(VALU_DEP_1) | instskip(SKIP_1) | instid1(VALU_DEP_1)
	v_fmac_f64_e32 v[150:151], v[124:125], v[118:119]
	s_wait_dscnt 0x0
	v_fmac_f64_e32 v[150:151], v[126:127], v[120:121]
	s_delay_alu instid0(VALU_DEP_1)
	v_add_f64_e64 v[114:115], v[114:115], -v[150:151]
	scratch_store_b64 off, v[114:115], off offset:56
	s_wait_xcnt 0x0
	v_cmpx_lt_u32_e32 6, v0
	s_cbranch_execz .LBB118_327
; %bb.326:
	scratch_load_b64 v[114:115], off, off offset:48
	v_mov_b64_e32 v[116:117], 0
	scratch_store_b64 off, v[116:117], off offset:48
	s_wait_loadcnt 0x0
	ds_store_b64 v1, v[114:115]
.LBB118_327:
	s_wait_xcnt 0x0
	s_or_b32 exec_lo, exec_lo, s0
	s_wait_storecnt_dscnt 0x0
	s_barrier_signal -1
	s_barrier_wait -1
	s_clause 0x5
	scratch_load_b128 v[114:117], off, off offset:48
	scratch_load_b128 v[118:121], off, off offset:64
	;; [unrolled: 1-line block ×6, first 2 shown]
	ds_load_2addr_b64 v[138:141], v2 offset0:63 offset1:64
	ds_load_2addr_b64 v[142:145], v2 offset0:65 offset1:66
	scratch_load_b128 v[146:149], off, off offset:144
	s_mov_b32 s0, exec_lo
	s_wait_loadcnt_dscnt 0x601
	v_fma_f64 v[150:151], v[116:117], v[138:139], 0
	s_wait_loadcnt 0x5
	s_delay_alu instid0(VALU_DEP_1) | instskip(SKIP_4) | instid1(VALU_DEP_1)
	v_fmac_f64_e32 v[150:151], v[118:119], v[140:141]
	scratch_load_b128 v[116:119], off, off offset:160
	s_wait_dscnt 0x0
	v_fmac_f64_e32 v[150:151], v[120:121], v[142:143]
	s_wait_loadcnt 0x5
	v_fmac_f64_e32 v[150:151], v[122:123], v[144:145]
	ds_load_2addr_b64 v[120:123], v2 offset0:67 offset1:68
	ds_load_2addr_b64 v[138:141], v2 offset0:69 offset1:70
	scratch_load_b128 v[142:145], off, off offset:176
	s_wait_dscnt 0x1
	v_fmac_f64_e32 v[150:151], v[124:125], v[120:121]
	s_wait_loadcnt 0x5
	s_delay_alu instid0(VALU_DEP_1) | instskip(SKIP_4) | instid1(VALU_DEP_1)
	v_fmac_f64_e32 v[150:151], v[126:127], v[122:123]
	scratch_load_b128 v[120:123], off, off offset:192
	s_wait_dscnt 0x0
	v_fmac_f64_e32 v[150:151], v[128:129], v[138:139]
	s_wait_loadcnt 0x5
	v_fmac_f64_e32 v[150:151], v[130:131], v[140:141]
	ds_load_2addr_b64 v[124:127], v2 offset0:71 offset1:72
	ds_load_2addr_b64 v[128:131], v2 offset0:73 offset1:74
	scratch_load_b128 v[138:141], off, off offset:208
	s_wait_dscnt 0x1
	v_fmac_f64_e32 v[150:151], v[132:133], v[124:125]
	s_wait_loadcnt 0x5
	s_delay_alu instid0(VALU_DEP_1) | instskip(SKIP_4) | instid1(VALU_DEP_1)
	v_fmac_f64_e32 v[150:151], v[134:135], v[126:127]
	scratch_load_b128 v[124:127], off, off offset:224
	s_wait_dscnt 0x0
	v_fmac_f64_e32 v[150:151], v[136:137], v[128:129]
	s_wait_loadcnt 0x5
	v_fmac_f64_e32 v[150:151], v[146:147], v[130:131]
	ds_load_2addr_b64 v[128:131], v2 offset0:75 offset1:76
	ds_load_2addr_b64 v[132:135], v2 offset0:77 offset1:78
	s_wait_dscnt 0x1
	v_fmac_f64_e32 v[150:151], v[148:149], v[128:129]
	scratch_load_b128 v[146:149], off, off offset:240
	s_wait_loadcnt 0x5
	v_fmac_f64_e32 v[150:151], v[116:117], v[130:131]
	s_wait_dscnt 0x0
	s_delay_alu instid0(VALU_DEP_1)
	v_fmac_f64_e32 v[150:151], v[118:119], v[132:133]
	scratch_load_b128 v[116:119], off, off offset:256
	s_wait_loadcnt 0x5
	v_fmac_f64_e32 v[150:151], v[142:143], v[134:135]
	ds_load_2addr_b64 v[128:131], v2 offset0:79 offset1:80
	ds_load_2addr_b64 v[132:135], v2 offset0:81 offset1:82
	s_wait_dscnt 0x1
	v_fmac_f64_e32 v[150:151], v[144:145], v[128:129]
	scratch_load_b128 v[142:145], off, off offset:272
	s_wait_loadcnt 0x5
	v_fmac_f64_e32 v[150:151], v[120:121], v[130:131]
	s_wait_dscnt 0x0
	s_delay_alu instid0(VALU_DEP_1)
	v_fmac_f64_e32 v[150:151], v[122:123], v[132:133]
	scratch_load_b128 v[120:123], off, off offset:288
	s_wait_loadcnt 0x5
	v_fmac_f64_e32 v[150:151], v[138:139], v[134:135]
	ds_load_2addr_b64 v[128:131], v2 offset0:83 offset1:84
	ds_load_2addr_b64 v[132:135], v2 offset0:85 offset1:86
	scratch_load_b128 v[136:139], off, off offset:304
	s_wait_dscnt 0x1
	v_fmac_f64_e32 v[150:151], v[140:141], v[128:129]
	s_wait_loadcnt 0x5
	s_delay_alu instid0(VALU_DEP_1) | instskip(SKIP_1) | instid1(VALU_DEP_1)
	v_fmac_f64_e32 v[150:151], v[124:125], v[130:131]
	s_wait_dscnt 0x0
	v_fmac_f64_e32 v[150:151], v[126:127], v[132:133]
	scratch_load_b128 v[124:127], off, off offset:320
	s_wait_loadcnt 0x5
	v_fmac_f64_e32 v[150:151], v[146:147], v[134:135]
	ds_load_2addr_b64 v[128:131], v2 offset0:87 offset1:88
	ds_load_2addr_b64 v[132:135], v2 offset0:89 offset1:90
	s_wait_dscnt 0x1
	v_fmac_f64_e32 v[150:151], v[148:149], v[128:129]
	scratch_load_b128 v[146:149], off, off offset:336
	s_wait_loadcnt 0x5
	v_fmac_f64_e32 v[150:151], v[116:117], v[130:131]
	s_wait_dscnt 0x0
	s_delay_alu instid0(VALU_DEP_1)
	v_fmac_f64_e32 v[150:151], v[118:119], v[132:133]
	scratch_load_b128 v[116:119], off, off offset:352
	s_wait_loadcnt 0x5
	v_fmac_f64_e32 v[150:151], v[142:143], v[134:135]
	ds_load_2addr_b64 v[128:131], v2 offset0:91 offset1:92
	ds_load_2addr_b64 v[132:135], v2 offset0:93 offset1:94
	s_wait_dscnt 0x1
	v_fmac_f64_e32 v[150:151], v[144:145], v[128:129]
	s_wait_loadcnt 0x4
	s_delay_alu instid0(VALU_DEP_1)
	v_fmac_f64_e32 v[150:151], v[120:121], v[130:131]
	scratch_load_b128 v[128:131], off, off offset:368
	s_wait_dscnt 0x0
	v_fmac_f64_e32 v[150:151], v[122:123], v[132:133]
	scratch_load_b128 v[120:123], off, off offset:384
	s_wait_loadcnt 0x5
	v_fmac_f64_e32 v[150:151], v[136:137], v[134:135]
	ds_load_2addr_b64 v[132:135], v2 offset0:95 offset1:96
	ds_load_2addr_b64 v[140:143], v2 offset0:97 offset1:98
	s_wait_dscnt 0x1
	v_fmac_f64_e32 v[150:151], v[138:139], v[132:133]
	s_wait_loadcnt 0x4
	s_delay_alu instid0(VALU_DEP_1)
	v_fmac_f64_e32 v[150:151], v[124:125], v[134:135]
	scratch_load_b128 v[132:135], off, off offset:400
	s_wait_dscnt 0x0
	v_fmac_f64_e32 v[150:151], v[126:127], v[140:141]
	scratch_load_b128 v[124:127], off, off offset:416
	s_wait_loadcnt 0x5
	v_fmac_f64_e32 v[150:151], v[146:147], v[142:143]
	ds_load_2addr_b64 v[136:139], v2 offset0:99 offset1:100
	ds_load_2addr_b64 v[140:143], v2 offset0:101 offset1:102
	scratch_load_b64 v[144:145], off, off offset:432
	s_wait_dscnt 0x1
	v_fmac_f64_e32 v[150:151], v[148:149], v[136:137]
	s_wait_loadcnt 0x5
	s_delay_alu instid0(VALU_DEP_1) | instskip(SKIP_1) | instid1(VALU_DEP_1)
	v_fmac_f64_e32 v[150:151], v[116:117], v[138:139]
	s_wait_dscnt 0x0
	v_fmac_f64_e32 v[150:151], v[118:119], v[140:141]
	ds_load_2addr_b64 v[116:119], v2 offset0:103 offset1:104
	ds_load_2addr_b64 v[136:139], v2 offset0:105 offset1:106
	s_wait_loadcnt 0x4
	v_fmac_f64_e32 v[150:151], v[128:129], v[142:143]
	s_wait_dscnt 0x1
	s_delay_alu instid0(VALU_DEP_1) | instskip(SKIP_1) | instid1(VALU_DEP_1)
	v_fmac_f64_e32 v[150:151], v[130:131], v[116:117]
	s_wait_loadcnt 0x3
	v_fmac_f64_e32 v[150:151], v[120:121], v[118:119]
	s_wait_dscnt 0x0
	s_delay_alu instid0(VALU_DEP_1)
	v_fmac_f64_e32 v[150:151], v[122:123], v[136:137]
	ds_load_2addr_b64 v[116:119], v2 offset0:107 offset1:108
	ds_load_2addr_b64 v[120:123], v2 offset0:109 offset1:110
	s_wait_loadcnt 0x2
	v_fmac_f64_e32 v[150:151], v[132:133], v[138:139]
	s_wait_dscnt 0x1
	s_delay_alu instid0(VALU_DEP_1) | instskip(SKIP_1) | instid1(VALU_DEP_1)
	v_fmac_f64_e32 v[150:151], v[134:135], v[116:117]
	s_wait_loadcnt 0x1
	v_fmac_f64_e32 v[150:151], v[124:125], v[118:119]
	s_wait_dscnt 0x0
	s_delay_alu instid0(VALU_DEP_1) | instskip(SKIP_1) | instid1(VALU_DEP_1)
	v_fmac_f64_e32 v[150:151], v[126:127], v[120:121]
	s_wait_loadcnt 0x0
	v_fmac_f64_e32 v[150:151], v[144:145], v[122:123]
	s_delay_alu instid0(VALU_DEP_1)
	v_add_f64_e64 v[2:3], v[114:115], -v[150:151]
	scratch_store_b64 off, v[2:3], off offset:48
	s_wait_xcnt 0x0
	v_cmpx_lt_u32_e32 5, v0
	s_cbranch_execz .LBB118_329
; %bb.328:
	scratch_load_b64 v[2:3], off, off offset:40
	v_mov_b64_e32 v[114:115], 0
	scratch_store_b64 off, v[114:115], off offset:40
	s_wait_loadcnt 0x0
	ds_store_b64 v1, v[2:3]
.LBB118_329:
	s_wait_xcnt 0x0
	s_or_b32 exec_lo, exec_lo, s0
	s_wait_storecnt_dscnt 0x0
	s_barrier_signal -1
	s_barrier_wait -1
	s_clause 0x5
	scratch_load_b128 v[114:117], off, off offset:40
	scratch_load_b128 v[118:121], off, off offset:56
	;; [unrolled: 1-line block ×6, first 2 shown]
	v_mov_b32_e32 v2, 0
	ds_load_b128 v[138:141], v2 offset:496
	ds_load_b128 v[142:145], v2 offset:512
	scratch_load_b128 v[146:149], off, off offset:136
	s_mov_b32 s0, exec_lo
	s_wait_loadcnt_dscnt 0x601
	v_fma_f64 v[150:151], v[116:117], v[138:139], 0
	s_wait_loadcnt 0x5
	s_delay_alu instid0(VALU_DEP_1) | instskip(SKIP_4) | instid1(VALU_DEP_1)
	v_fmac_f64_e32 v[150:151], v[118:119], v[140:141]
	scratch_load_b128 v[116:119], off, off offset:152
	s_wait_dscnt 0x0
	v_fmac_f64_e32 v[150:151], v[120:121], v[142:143]
	s_wait_loadcnt 0x5
	v_fmac_f64_e32 v[150:151], v[122:123], v[144:145]
	ds_load_b128 v[120:123], v2 offset:528
	ds_load_b128 v[138:141], v2 offset:544
	scratch_load_b128 v[142:145], off, off offset:168
	s_wait_dscnt 0x1
	v_fmac_f64_e32 v[150:151], v[124:125], v[120:121]
	s_wait_loadcnt 0x5
	s_delay_alu instid0(VALU_DEP_1) | instskip(SKIP_4) | instid1(VALU_DEP_1)
	v_fmac_f64_e32 v[150:151], v[126:127], v[122:123]
	scratch_load_b128 v[120:123], off, off offset:184
	s_wait_dscnt 0x0
	v_fmac_f64_e32 v[150:151], v[128:129], v[138:139]
	s_wait_loadcnt 0x5
	v_fmac_f64_e32 v[150:151], v[130:131], v[140:141]
	ds_load_b128 v[124:127], v2 offset:560
	ds_load_b128 v[128:131], v2 offset:576
	scratch_load_b128 v[138:141], off, off offset:200
	s_wait_dscnt 0x1
	v_fmac_f64_e32 v[150:151], v[132:133], v[124:125]
	s_wait_loadcnt 0x5
	s_delay_alu instid0(VALU_DEP_1) | instskip(SKIP_4) | instid1(VALU_DEP_1)
	v_fmac_f64_e32 v[150:151], v[134:135], v[126:127]
	scratch_load_b128 v[124:127], off, off offset:216
	s_wait_dscnt 0x0
	v_fmac_f64_e32 v[150:151], v[136:137], v[128:129]
	s_wait_loadcnt 0x5
	v_fmac_f64_e32 v[150:151], v[146:147], v[130:131]
	ds_load_b128 v[128:131], v2 offset:592
	ds_load_b128 v[132:135], v2 offset:608
	s_wait_dscnt 0x1
	v_fmac_f64_e32 v[150:151], v[148:149], v[128:129]
	scratch_load_b128 v[146:149], off, off offset:232
	s_wait_loadcnt 0x5
	v_fmac_f64_e32 v[150:151], v[116:117], v[130:131]
	s_wait_dscnt 0x0
	s_delay_alu instid0(VALU_DEP_1)
	v_fmac_f64_e32 v[150:151], v[118:119], v[132:133]
	scratch_load_b128 v[116:119], off, off offset:248
	s_wait_loadcnt 0x5
	v_fmac_f64_e32 v[150:151], v[142:143], v[134:135]
	ds_load_b128 v[128:131], v2 offset:624
	ds_load_b128 v[132:135], v2 offset:640
	s_wait_dscnt 0x1
	v_fmac_f64_e32 v[150:151], v[144:145], v[128:129]
	scratch_load_b128 v[142:145], off, off offset:264
	s_wait_loadcnt 0x5
	v_fmac_f64_e32 v[150:151], v[120:121], v[130:131]
	s_wait_dscnt 0x0
	s_delay_alu instid0(VALU_DEP_1)
	v_fmac_f64_e32 v[150:151], v[122:123], v[132:133]
	scratch_load_b128 v[120:123], off, off offset:280
	s_wait_loadcnt 0x5
	v_fmac_f64_e32 v[150:151], v[138:139], v[134:135]
	ds_load_b128 v[128:131], v2 offset:656
	ds_load_b128 v[132:135], v2 offset:672
	scratch_load_b128 v[136:139], off, off offset:296
	s_wait_dscnt 0x1
	v_fmac_f64_e32 v[150:151], v[140:141], v[128:129]
	s_wait_loadcnt 0x5
	s_delay_alu instid0(VALU_DEP_1) | instskip(SKIP_1) | instid1(VALU_DEP_1)
	v_fmac_f64_e32 v[150:151], v[124:125], v[130:131]
	s_wait_dscnt 0x0
	v_fmac_f64_e32 v[150:151], v[126:127], v[132:133]
	scratch_load_b128 v[124:127], off, off offset:312
	s_wait_loadcnt 0x5
	v_fmac_f64_e32 v[150:151], v[146:147], v[134:135]
	ds_load_b128 v[128:131], v2 offset:688
	ds_load_b128 v[132:135], v2 offset:704
	s_wait_dscnt 0x1
	v_fmac_f64_e32 v[150:151], v[148:149], v[128:129]
	scratch_load_b128 v[146:149], off, off offset:328
	s_wait_loadcnt 0x5
	v_fmac_f64_e32 v[150:151], v[116:117], v[130:131]
	s_wait_dscnt 0x0
	s_delay_alu instid0(VALU_DEP_1)
	v_fmac_f64_e32 v[150:151], v[118:119], v[132:133]
	scratch_load_b128 v[116:119], off, off offset:344
	s_wait_loadcnt 0x5
	v_fmac_f64_e32 v[150:151], v[142:143], v[134:135]
	ds_load_b128 v[128:131], v2 offset:720
	ds_load_b128 v[132:135], v2 offset:736
	s_wait_dscnt 0x1
	v_fmac_f64_e32 v[150:151], v[144:145], v[128:129]
	s_wait_loadcnt 0x4
	s_delay_alu instid0(VALU_DEP_1)
	v_fmac_f64_e32 v[150:151], v[120:121], v[130:131]
	scratch_load_b128 v[128:131], off, off offset:360
	s_wait_dscnt 0x0
	v_fmac_f64_e32 v[150:151], v[122:123], v[132:133]
	scratch_load_b128 v[120:123], off, off offset:376
	s_wait_loadcnt 0x5
	v_fmac_f64_e32 v[150:151], v[136:137], v[134:135]
	ds_load_b128 v[132:135], v2 offset:752
	ds_load_b128 v[140:143], v2 offset:768
	s_wait_dscnt 0x1
	v_fmac_f64_e32 v[150:151], v[138:139], v[132:133]
	s_wait_loadcnt 0x4
	s_delay_alu instid0(VALU_DEP_1)
	v_fmac_f64_e32 v[150:151], v[124:125], v[134:135]
	scratch_load_b128 v[132:135], off, off offset:392
	s_wait_dscnt 0x0
	v_fmac_f64_e32 v[150:151], v[126:127], v[140:141]
	scratch_load_b128 v[124:127], off, off offset:408
	s_wait_loadcnt 0x5
	v_fmac_f64_e32 v[150:151], v[146:147], v[142:143]
	ds_load_b128 v[136:139], v2 offset:784
	ds_load_b128 v[140:143], v2 offset:800
	s_wait_dscnt 0x1
	v_fmac_f64_e32 v[150:151], v[148:149], v[136:137]
	s_wait_loadcnt 0x4
	s_delay_alu instid0(VALU_DEP_1) | instskip(SKIP_4) | instid1(VALU_DEP_1)
	v_fmac_f64_e32 v[150:151], v[116:117], v[138:139]
	scratch_load_b128 v[136:139], off, off offset:424
	s_wait_dscnt 0x0
	v_fmac_f64_e32 v[150:151], v[118:119], v[140:141]
	s_wait_loadcnt 0x4
	v_fmac_f64_e32 v[150:151], v[128:129], v[142:143]
	ds_load_b128 v[116:119], v2 offset:816
	ds_load_b128 v[140:143], v2 offset:832
	s_wait_dscnt 0x1
	v_fmac_f64_e32 v[150:151], v[130:131], v[116:117]
	s_wait_loadcnt 0x3
	s_delay_alu instid0(VALU_DEP_1) | instskip(SKIP_1) | instid1(VALU_DEP_1)
	v_fmac_f64_e32 v[150:151], v[120:121], v[118:119]
	s_wait_dscnt 0x0
	v_fmac_f64_e32 v[150:151], v[122:123], v[140:141]
	ds_load_b128 v[116:119], v2 offset:848
	ds_load_b128 v[120:123], v2 offset:864
	s_wait_loadcnt 0x2
	v_fmac_f64_e32 v[150:151], v[132:133], v[142:143]
	s_wait_dscnt 0x1
	s_delay_alu instid0(VALU_DEP_1) | instskip(SKIP_4) | instid1(VALU_DEP_1)
	v_fmac_f64_e32 v[150:151], v[134:135], v[116:117]
	ds_load_b64 v[116:117], v2 offset:880
	s_wait_loadcnt 0x1
	v_fmac_f64_e32 v[150:151], v[124:125], v[118:119]
	s_wait_dscnt 0x1
	v_fmac_f64_e32 v[150:151], v[126:127], v[120:121]
	s_wait_loadcnt 0x0
	s_delay_alu instid0(VALU_DEP_1) | instskip(SKIP_1) | instid1(VALU_DEP_1)
	v_fmac_f64_e32 v[150:151], v[136:137], v[122:123]
	s_wait_dscnt 0x0
	v_fmac_f64_e32 v[150:151], v[138:139], v[116:117]
	s_delay_alu instid0(VALU_DEP_1)
	v_add_f64_e64 v[114:115], v[114:115], -v[150:151]
	scratch_store_b64 off, v[114:115], off offset:40
	s_wait_xcnt 0x0
	v_cmpx_lt_u32_e32 4, v0
	s_cbranch_execz .LBB118_331
; %bb.330:
	scratch_load_b64 v[114:115], off, off offset:32
	v_mov_b64_e32 v[116:117], 0
	scratch_store_b64 off, v[116:117], off offset:32
	s_wait_loadcnt 0x0
	ds_store_b64 v1, v[114:115]
.LBB118_331:
	s_wait_xcnt 0x0
	s_or_b32 exec_lo, exec_lo, s0
	s_wait_storecnt_dscnt 0x0
	s_barrier_signal -1
	s_barrier_wait -1
	s_clause 0x5
	scratch_load_b128 v[114:117], off, off offset:32
	scratch_load_b128 v[118:121], off, off offset:48
	scratch_load_b128 v[122:125], off, off offset:64
	scratch_load_b128 v[126:129], off, off offset:80
	scratch_load_b128 v[130:133], off, off offset:96
	scratch_load_b128 v[134:137], off, off offset:112
	ds_load_2addr_b64 v[138:141], v2 offset0:61 offset1:62
	ds_load_2addr_b64 v[142:145], v2 offset0:63 offset1:64
	scratch_load_b128 v[146:149], off, off offset:128
	s_mov_b32 s0, exec_lo
	s_wait_loadcnt_dscnt 0x601
	v_fma_f64 v[150:151], v[116:117], v[138:139], 0
	s_wait_loadcnt 0x5
	s_delay_alu instid0(VALU_DEP_1) | instskip(SKIP_4) | instid1(VALU_DEP_1)
	v_fmac_f64_e32 v[150:151], v[118:119], v[140:141]
	scratch_load_b128 v[116:119], off, off offset:144
	s_wait_dscnt 0x0
	v_fmac_f64_e32 v[150:151], v[120:121], v[142:143]
	s_wait_loadcnt 0x5
	v_fmac_f64_e32 v[150:151], v[122:123], v[144:145]
	ds_load_2addr_b64 v[120:123], v2 offset0:65 offset1:66
	ds_load_2addr_b64 v[138:141], v2 offset0:67 offset1:68
	scratch_load_b128 v[142:145], off, off offset:160
	s_wait_dscnt 0x1
	v_fmac_f64_e32 v[150:151], v[124:125], v[120:121]
	s_wait_loadcnt 0x5
	s_delay_alu instid0(VALU_DEP_1) | instskip(SKIP_4) | instid1(VALU_DEP_1)
	v_fmac_f64_e32 v[150:151], v[126:127], v[122:123]
	scratch_load_b128 v[120:123], off, off offset:176
	s_wait_dscnt 0x0
	v_fmac_f64_e32 v[150:151], v[128:129], v[138:139]
	s_wait_loadcnt 0x5
	v_fmac_f64_e32 v[150:151], v[130:131], v[140:141]
	ds_load_2addr_b64 v[124:127], v2 offset0:69 offset1:70
	ds_load_2addr_b64 v[128:131], v2 offset0:71 offset1:72
	scratch_load_b128 v[138:141], off, off offset:192
	s_wait_dscnt 0x1
	v_fmac_f64_e32 v[150:151], v[132:133], v[124:125]
	s_wait_loadcnt 0x5
	s_delay_alu instid0(VALU_DEP_1) | instskip(SKIP_4) | instid1(VALU_DEP_1)
	v_fmac_f64_e32 v[150:151], v[134:135], v[126:127]
	scratch_load_b128 v[124:127], off, off offset:208
	s_wait_dscnt 0x0
	v_fmac_f64_e32 v[150:151], v[136:137], v[128:129]
	s_wait_loadcnt 0x5
	v_fmac_f64_e32 v[150:151], v[146:147], v[130:131]
	ds_load_2addr_b64 v[128:131], v2 offset0:73 offset1:74
	ds_load_2addr_b64 v[132:135], v2 offset0:75 offset1:76
	s_wait_dscnt 0x1
	v_fmac_f64_e32 v[150:151], v[148:149], v[128:129]
	scratch_load_b128 v[146:149], off, off offset:224
	s_wait_loadcnt 0x5
	v_fmac_f64_e32 v[150:151], v[116:117], v[130:131]
	s_wait_dscnt 0x0
	s_delay_alu instid0(VALU_DEP_1)
	v_fmac_f64_e32 v[150:151], v[118:119], v[132:133]
	scratch_load_b128 v[116:119], off, off offset:240
	s_wait_loadcnt 0x5
	v_fmac_f64_e32 v[150:151], v[142:143], v[134:135]
	ds_load_2addr_b64 v[128:131], v2 offset0:77 offset1:78
	ds_load_2addr_b64 v[132:135], v2 offset0:79 offset1:80
	s_wait_dscnt 0x1
	v_fmac_f64_e32 v[150:151], v[144:145], v[128:129]
	scratch_load_b128 v[142:145], off, off offset:256
	s_wait_loadcnt 0x5
	v_fmac_f64_e32 v[150:151], v[120:121], v[130:131]
	s_wait_dscnt 0x0
	s_delay_alu instid0(VALU_DEP_1)
	v_fmac_f64_e32 v[150:151], v[122:123], v[132:133]
	scratch_load_b128 v[120:123], off, off offset:272
	s_wait_loadcnt 0x5
	v_fmac_f64_e32 v[150:151], v[138:139], v[134:135]
	ds_load_2addr_b64 v[128:131], v2 offset0:81 offset1:82
	ds_load_2addr_b64 v[132:135], v2 offset0:83 offset1:84
	scratch_load_b128 v[136:139], off, off offset:288
	s_wait_dscnt 0x1
	v_fmac_f64_e32 v[150:151], v[140:141], v[128:129]
	s_wait_loadcnt 0x5
	s_delay_alu instid0(VALU_DEP_1) | instskip(SKIP_1) | instid1(VALU_DEP_1)
	v_fmac_f64_e32 v[150:151], v[124:125], v[130:131]
	s_wait_dscnt 0x0
	v_fmac_f64_e32 v[150:151], v[126:127], v[132:133]
	scratch_load_b128 v[124:127], off, off offset:304
	s_wait_loadcnt 0x5
	v_fmac_f64_e32 v[150:151], v[146:147], v[134:135]
	ds_load_2addr_b64 v[128:131], v2 offset0:85 offset1:86
	ds_load_2addr_b64 v[132:135], v2 offset0:87 offset1:88
	s_wait_dscnt 0x1
	v_fmac_f64_e32 v[150:151], v[148:149], v[128:129]
	scratch_load_b128 v[146:149], off, off offset:320
	s_wait_loadcnt 0x5
	v_fmac_f64_e32 v[150:151], v[116:117], v[130:131]
	s_wait_dscnt 0x0
	s_delay_alu instid0(VALU_DEP_1)
	v_fmac_f64_e32 v[150:151], v[118:119], v[132:133]
	scratch_load_b128 v[116:119], off, off offset:336
	s_wait_loadcnt 0x5
	v_fmac_f64_e32 v[150:151], v[142:143], v[134:135]
	ds_load_2addr_b64 v[128:131], v2 offset0:89 offset1:90
	ds_load_2addr_b64 v[132:135], v2 offset0:91 offset1:92
	scratch_load_b128 v[140:143], off, off offset:352
	s_wait_dscnt 0x1
	v_fmac_f64_e32 v[150:151], v[144:145], v[128:129]
	s_wait_loadcnt 0x5
	s_delay_alu instid0(VALU_DEP_1) | instskip(SKIP_1) | instid1(VALU_DEP_1)
	v_fmac_f64_e32 v[150:151], v[120:121], v[130:131]
	s_wait_dscnt 0x0
	v_fmac_f64_e32 v[150:151], v[122:123], v[132:133]
	scratch_load_b128 v[120:123], off, off offset:368
	s_wait_loadcnt 0x5
	v_fmac_f64_e32 v[150:151], v[136:137], v[134:135]
	ds_load_2addr_b64 v[128:131], v2 offset0:93 offset1:94
	ds_load_2addr_b64 v[132:135], v2 offset0:95 offset1:96
	s_wait_dscnt 0x1
	v_fmac_f64_e32 v[150:151], v[138:139], v[128:129]
	s_wait_loadcnt 0x4
	s_delay_alu instid0(VALU_DEP_1)
	v_fmac_f64_e32 v[150:151], v[124:125], v[130:131]
	scratch_load_b128 v[128:131], off, off offset:384
	s_wait_dscnt 0x0
	v_fmac_f64_e32 v[150:151], v[126:127], v[132:133]
	scratch_load_b128 v[124:127], off, off offset:400
	s_wait_loadcnt 0x5
	v_fmac_f64_e32 v[150:151], v[146:147], v[134:135]
	ds_load_2addr_b64 v[132:135], v2 offset0:97 offset1:98
	ds_load_2addr_b64 v[136:139], v2 offset0:99 offset1:100
	s_wait_dscnt 0x1
	v_fmac_f64_e32 v[150:151], v[148:149], v[132:133]
	s_wait_loadcnt 0x4
	s_delay_alu instid0(VALU_DEP_1) | instskip(SKIP_4) | instid1(VALU_DEP_1)
	v_fmac_f64_e32 v[150:151], v[116:117], v[134:135]
	scratch_load_b128 v[132:135], off, off offset:416
	s_wait_dscnt 0x0
	v_fmac_f64_e32 v[150:151], v[118:119], v[136:137]
	s_wait_loadcnt 0x4
	v_fmac_f64_e32 v[150:151], v[140:141], v[138:139]
	scratch_load_b64 v[140:141], off, off offset:432
	ds_load_2addr_b64 v[116:119], v2 offset0:101 offset1:102
	ds_load_2addr_b64 v[136:139], v2 offset0:103 offset1:104
	s_wait_dscnt 0x1
	v_fmac_f64_e32 v[150:151], v[142:143], v[116:117]
	s_wait_loadcnt 0x4
	s_delay_alu instid0(VALU_DEP_1) | instskip(SKIP_1) | instid1(VALU_DEP_1)
	v_fmac_f64_e32 v[150:151], v[120:121], v[118:119]
	s_wait_dscnt 0x0
	v_fmac_f64_e32 v[150:151], v[122:123], v[136:137]
	ds_load_2addr_b64 v[116:119], v2 offset0:105 offset1:106
	ds_load_2addr_b64 v[120:123], v2 offset0:107 offset1:108
	s_wait_loadcnt 0x3
	v_fmac_f64_e32 v[150:151], v[128:129], v[138:139]
	s_wait_dscnt 0x1
	s_delay_alu instid0(VALU_DEP_1) | instskip(SKIP_1) | instid1(VALU_DEP_1)
	v_fmac_f64_e32 v[150:151], v[130:131], v[116:117]
	s_wait_loadcnt 0x2
	v_fmac_f64_e32 v[150:151], v[124:125], v[118:119]
	ds_load_2addr_b64 v[116:119], v2 offset0:109 offset1:110
	s_wait_dscnt 0x1
	v_fmac_f64_e32 v[150:151], v[126:127], v[120:121]
	s_wait_loadcnt 0x1
	s_delay_alu instid0(VALU_DEP_1) | instskip(SKIP_1) | instid1(VALU_DEP_1)
	v_fmac_f64_e32 v[150:151], v[132:133], v[122:123]
	s_wait_dscnt 0x0
	v_fmac_f64_e32 v[150:151], v[134:135], v[116:117]
	s_wait_loadcnt 0x0
	s_delay_alu instid0(VALU_DEP_1) | instskip(NEXT) | instid1(VALU_DEP_1)
	v_fmac_f64_e32 v[150:151], v[140:141], v[118:119]
	v_add_f64_e64 v[2:3], v[114:115], -v[150:151]
	scratch_store_b64 off, v[2:3], off offset:32
	s_wait_xcnt 0x0
	v_cmpx_lt_u32_e32 3, v0
	s_cbranch_execz .LBB118_333
; %bb.332:
	scratch_load_b64 v[2:3], off, off offset:24
	v_mov_b64_e32 v[114:115], 0
	scratch_store_b64 off, v[114:115], off offset:24
	s_wait_loadcnt 0x0
	ds_store_b64 v1, v[2:3]
.LBB118_333:
	s_wait_xcnt 0x0
	s_or_b32 exec_lo, exec_lo, s0
	s_wait_storecnt_dscnt 0x0
	s_barrier_signal -1
	s_barrier_wait -1
	s_clause 0x5
	scratch_load_b128 v[114:117], off, off offset:24
	scratch_load_b128 v[118:121], off, off offset:40
	;; [unrolled: 1-line block ×6, first 2 shown]
	v_mov_b32_e32 v2, 0
	ds_load_b128 v[138:141], v2 offset:480
	ds_load_b128 v[142:145], v2 offset:496
	scratch_load_b128 v[146:149], off, off offset:120
	s_mov_b32 s0, exec_lo
	s_wait_loadcnt_dscnt 0x601
	v_fma_f64 v[150:151], v[116:117], v[138:139], 0
	s_wait_loadcnt 0x5
	s_delay_alu instid0(VALU_DEP_1) | instskip(SKIP_4) | instid1(VALU_DEP_1)
	v_fmac_f64_e32 v[150:151], v[118:119], v[140:141]
	scratch_load_b128 v[116:119], off, off offset:136
	s_wait_dscnt 0x0
	v_fmac_f64_e32 v[150:151], v[120:121], v[142:143]
	s_wait_loadcnt 0x5
	v_fmac_f64_e32 v[150:151], v[122:123], v[144:145]
	ds_load_b128 v[120:123], v2 offset:512
	ds_load_b128 v[138:141], v2 offset:528
	scratch_load_b128 v[142:145], off, off offset:152
	s_wait_dscnt 0x1
	v_fmac_f64_e32 v[150:151], v[124:125], v[120:121]
	s_wait_loadcnt 0x5
	s_delay_alu instid0(VALU_DEP_1) | instskip(SKIP_4) | instid1(VALU_DEP_1)
	v_fmac_f64_e32 v[150:151], v[126:127], v[122:123]
	scratch_load_b128 v[120:123], off, off offset:168
	s_wait_dscnt 0x0
	v_fmac_f64_e32 v[150:151], v[128:129], v[138:139]
	s_wait_loadcnt 0x5
	v_fmac_f64_e32 v[150:151], v[130:131], v[140:141]
	ds_load_b128 v[124:127], v2 offset:544
	ds_load_b128 v[128:131], v2 offset:560
	scratch_load_b128 v[138:141], off, off offset:184
	s_wait_dscnt 0x1
	v_fmac_f64_e32 v[150:151], v[132:133], v[124:125]
	s_wait_loadcnt 0x5
	s_delay_alu instid0(VALU_DEP_1) | instskip(SKIP_4) | instid1(VALU_DEP_1)
	v_fmac_f64_e32 v[150:151], v[134:135], v[126:127]
	scratch_load_b128 v[124:127], off, off offset:200
	s_wait_dscnt 0x0
	v_fmac_f64_e32 v[150:151], v[136:137], v[128:129]
	s_wait_loadcnt 0x5
	v_fmac_f64_e32 v[150:151], v[146:147], v[130:131]
	ds_load_b128 v[128:131], v2 offset:576
	ds_load_b128 v[132:135], v2 offset:592
	s_wait_dscnt 0x1
	v_fmac_f64_e32 v[150:151], v[148:149], v[128:129]
	scratch_load_b128 v[146:149], off, off offset:216
	s_wait_loadcnt 0x5
	v_fmac_f64_e32 v[150:151], v[116:117], v[130:131]
	s_wait_dscnt 0x0
	s_delay_alu instid0(VALU_DEP_1)
	v_fmac_f64_e32 v[150:151], v[118:119], v[132:133]
	scratch_load_b128 v[116:119], off, off offset:232
	s_wait_loadcnt 0x5
	v_fmac_f64_e32 v[150:151], v[142:143], v[134:135]
	ds_load_b128 v[128:131], v2 offset:608
	ds_load_b128 v[132:135], v2 offset:624
	s_wait_dscnt 0x1
	v_fmac_f64_e32 v[150:151], v[144:145], v[128:129]
	scratch_load_b128 v[142:145], off, off offset:248
	s_wait_loadcnt 0x5
	v_fmac_f64_e32 v[150:151], v[120:121], v[130:131]
	s_wait_dscnt 0x0
	s_delay_alu instid0(VALU_DEP_1)
	v_fmac_f64_e32 v[150:151], v[122:123], v[132:133]
	scratch_load_b128 v[120:123], off, off offset:264
	s_wait_loadcnt 0x5
	v_fmac_f64_e32 v[150:151], v[138:139], v[134:135]
	ds_load_b128 v[128:131], v2 offset:640
	ds_load_b128 v[132:135], v2 offset:656
	scratch_load_b128 v[136:139], off, off offset:280
	s_wait_dscnt 0x1
	v_fmac_f64_e32 v[150:151], v[140:141], v[128:129]
	s_wait_loadcnt 0x5
	s_delay_alu instid0(VALU_DEP_1) | instskip(SKIP_1) | instid1(VALU_DEP_1)
	v_fmac_f64_e32 v[150:151], v[124:125], v[130:131]
	s_wait_dscnt 0x0
	v_fmac_f64_e32 v[150:151], v[126:127], v[132:133]
	scratch_load_b128 v[124:127], off, off offset:296
	s_wait_loadcnt 0x5
	v_fmac_f64_e32 v[150:151], v[146:147], v[134:135]
	ds_load_b128 v[128:131], v2 offset:672
	ds_load_b128 v[132:135], v2 offset:688
	s_wait_dscnt 0x1
	v_fmac_f64_e32 v[150:151], v[148:149], v[128:129]
	scratch_load_b128 v[146:149], off, off offset:312
	s_wait_loadcnt 0x5
	v_fmac_f64_e32 v[150:151], v[116:117], v[130:131]
	s_wait_dscnt 0x0
	s_delay_alu instid0(VALU_DEP_1)
	v_fmac_f64_e32 v[150:151], v[118:119], v[132:133]
	scratch_load_b128 v[116:119], off, off offset:328
	s_wait_loadcnt 0x5
	v_fmac_f64_e32 v[150:151], v[142:143], v[134:135]
	ds_load_b128 v[128:131], v2 offset:704
	ds_load_b128 v[132:135], v2 offset:720
	scratch_load_b128 v[140:143], off, off offset:344
	s_wait_dscnt 0x1
	v_fmac_f64_e32 v[150:151], v[144:145], v[128:129]
	s_wait_loadcnt 0x5
	s_delay_alu instid0(VALU_DEP_1) | instskip(SKIP_1) | instid1(VALU_DEP_1)
	v_fmac_f64_e32 v[150:151], v[120:121], v[130:131]
	s_wait_dscnt 0x0
	v_fmac_f64_e32 v[150:151], v[122:123], v[132:133]
	scratch_load_b128 v[120:123], off, off offset:360
	s_wait_loadcnt 0x5
	v_fmac_f64_e32 v[150:151], v[136:137], v[134:135]
	ds_load_b128 v[128:131], v2 offset:736
	ds_load_b128 v[132:135], v2 offset:752
	s_wait_dscnt 0x1
	v_fmac_f64_e32 v[150:151], v[138:139], v[128:129]
	s_wait_loadcnt 0x4
	s_delay_alu instid0(VALU_DEP_1)
	v_fmac_f64_e32 v[150:151], v[124:125], v[130:131]
	scratch_load_b128 v[128:131], off, off offset:376
	s_wait_dscnt 0x0
	v_fmac_f64_e32 v[150:151], v[126:127], v[132:133]
	scratch_load_b128 v[124:127], off, off offset:392
	s_wait_loadcnt 0x5
	v_fmac_f64_e32 v[150:151], v[146:147], v[134:135]
	ds_load_b128 v[132:135], v2 offset:768
	ds_load_b128 v[136:139], v2 offset:784
	s_wait_dscnt 0x1
	v_fmac_f64_e32 v[150:151], v[148:149], v[132:133]
	s_wait_loadcnt 0x4
	s_delay_alu instid0(VALU_DEP_1)
	v_fmac_f64_e32 v[150:151], v[116:117], v[134:135]
	scratch_load_b128 v[132:135], off, off offset:408
	s_wait_dscnt 0x0
	v_fmac_f64_e32 v[150:151], v[118:119], v[136:137]
	scratch_load_b128 v[116:119], off, off offset:424
	s_wait_loadcnt 0x5
	v_fmac_f64_e32 v[150:151], v[140:141], v[138:139]
	ds_load_b128 v[136:139], v2 offset:800
	ds_load_b128 v[144:147], v2 offset:816
	s_wait_dscnt 0x1
	v_fmac_f64_e32 v[150:151], v[142:143], v[136:137]
	s_wait_loadcnt 0x4
	s_delay_alu instid0(VALU_DEP_1) | instskip(SKIP_1) | instid1(VALU_DEP_1)
	v_fmac_f64_e32 v[150:151], v[120:121], v[138:139]
	s_wait_dscnt 0x0
	v_fmac_f64_e32 v[150:151], v[122:123], v[144:145]
	ds_load_b128 v[120:123], v2 offset:832
	ds_load_b128 v[136:139], v2 offset:848
	s_wait_loadcnt 0x3
	v_fmac_f64_e32 v[150:151], v[128:129], v[146:147]
	s_wait_dscnt 0x1
	s_delay_alu instid0(VALU_DEP_1) | instskip(SKIP_1) | instid1(VALU_DEP_1)
	v_fmac_f64_e32 v[150:151], v[130:131], v[120:121]
	s_wait_loadcnt 0x2
	v_fmac_f64_e32 v[150:151], v[124:125], v[122:123]
	ds_load_b128 v[120:123], v2 offset:864
	ds_load_b64 v[124:125], v2 offset:880
	s_wait_dscnt 0x2
	v_fmac_f64_e32 v[150:151], v[126:127], v[136:137]
	s_wait_loadcnt 0x1
	s_delay_alu instid0(VALU_DEP_1) | instskip(SKIP_1) | instid1(VALU_DEP_1)
	v_fmac_f64_e32 v[150:151], v[132:133], v[138:139]
	s_wait_dscnt 0x1
	v_fmac_f64_e32 v[150:151], v[134:135], v[120:121]
	s_wait_loadcnt 0x0
	s_delay_alu instid0(VALU_DEP_1) | instskip(SKIP_1) | instid1(VALU_DEP_1)
	v_fmac_f64_e32 v[150:151], v[116:117], v[122:123]
	s_wait_dscnt 0x0
	v_fmac_f64_e32 v[150:151], v[118:119], v[124:125]
	s_delay_alu instid0(VALU_DEP_1)
	v_add_f64_e64 v[114:115], v[114:115], -v[150:151]
	scratch_store_b64 off, v[114:115], off offset:24
	s_wait_xcnt 0x0
	v_cmpx_lt_u32_e32 2, v0
	s_cbranch_execz .LBB118_335
; %bb.334:
	scratch_load_b64 v[114:115], off, off offset:16
	v_mov_b64_e32 v[116:117], 0
	scratch_store_b64 off, v[116:117], off offset:16
	s_wait_loadcnt 0x0
	ds_store_b64 v1, v[114:115]
.LBB118_335:
	s_wait_xcnt 0x0
	s_or_b32 exec_lo, exec_lo, s0
	s_wait_storecnt_dscnt 0x0
	s_barrier_signal -1
	s_barrier_wait -1
	s_clause 0x5
	scratch_load_b128 v[114:117], off, off offset:16
	scratch_load_b128 v[118:121], off, off offset:32
	;; [unrolled: 1-line block ×6, first 2 shown]
	ds_load_2addr_b64 v[138:141], v2 offset0:59 offset1:60
	ds_load_2addr_b64 v[142:145], v2 offset0:61 offset1:62
	scratch_load_b128 v[146:149], off, off offset:112
	s_mov_b32 s0, exec_lo
	s_wait_loadcnt_dscnt 0x601
	v_fma_f64 v[150:151], v[116:117], v[138:139], 0
	s_wait_loadcnt 0x5
	s_delay_alu instid0(VALU_DEP_1) | instskip(SKIP_4) | instid1(VALU_DEP_1)
	v_fmac_f64_e32 v[150:151], v[118:119], v[140:141]
	scratch_load_b128 v[116:119], off, off offset:128
	s_wait_dscnt 0x0
	v_fmac_f64_e32 v[150:151], v[120:121], v[142:143]
	s_wait_loadcnt 0x5
	v_fmac_f64_e32 v[150:151], v[122:123], v[144:145]
	ds_load_2addr_b64 v[120:123], v2 offset0:63 offset1:64
	ds_load_2addr_b64 v[138:141], v2 offset0:65 offset1:66
	scratch_load_b128 v[142:145], off, off offset:144
	s_wait_dscnt 0x1
	v_fmac_f64_e32 v[150:151], v[124:125], v[120:121]
	s_wait_loadcnt 0x5
	s_delay_alu instid0(VALU_DEP_1) | instskip(SKIP_4) | instid1(VALU_DEP_1)
	v_fmac_f64_e32 v[150:151], v[126:127], v[122:123]
	scratch_load_b128 v[120:123], off, off offset:160
	s_wait_dscnt 0x0
	v_fmac_f64_e32 v[150:151], v[128:129], v[138:139]
	s_wait_loadcnt 0x5
	v_fmac_f64_e32 v[150:151], v[130:131], v[140:141]
	ds_load_2addr_b64 v[124:127], v2 offset0:67 offset1:68
	ds_load_2addr_b64 v[128:131], v2 offset0:69 offset1:70
	scratch_load_b128 v[138:141], off, off offset:176
	s_wait_dscnt 0x1
	v_fmac_f64_e32 v[150:151], v[132:133], v[124:125]
	s_wait_loadcnt 0x5
	s_delay_alu instid0(VALU_DEP_1) | instskip(SKIP_4) | instid1(VALU_DEP_1)
	v_fmac_f64_e32 v[150:151], v[134:135], v[126:127]
	scratch_load_b128 v[124:127], off, off offset:192
	s_wait_dscnt 0x0
	v_fmac_f64_e32 v[150:151], v[136:137], v[128:129]
	s_wait_loadcnt 0x5
	v_fmac_f64_e32 v[150:151], v[146:147], v[130:131]
	ds_load_2addr_b64 v[128:131], v2 offset0:71 offset1:72
	ds_load_2addr_b64 v[132:135], v2 offset0:73 offset1:74
	s_wait_dscnt 0x1
	v_fmac_f64_e32 v[150:151], v[148:149], v[128:129]
	scratch_load_b128 v[146:149], off, off offset:208
	s_wait_loadcnt 0x5
	v_fmac_f64_e32 v[150:151], v[116:117], v[130:131]
	s_wait_dscnt 0x0
	s_delay_alu instid0(VALU_DEP_1)
	v_fmac_f64_e32 v[150:151], v[118:119], v[132:133]
	scratch_load_b128 v[116:119], off, off offset:224
	s_wait_loadcnt 0x5
	v_fmac_f64_e32 v[150:151], v[142:143], v[134:135]
	ds_load_2addr_b64 v[128:131], v2 offset0:75 offset1:76
	ds_load_2addr_b64 v[132:135], v2 offset0:77 offset1:78
	s_wait_dscnt 0x1
	v_fmac_f64_e32 v[150:151], v[144:145], v[128:129]
	scratch_load_b128 v[142:145], off, off offset:240
	s_wait_loadcnt 0x5
	v_fmac_f64_e32 v[150:151], v[120:121], v[130:131]
	s_wait_dscnt 0x0
	s_delay_alu instid0(VALU_DEP_1)
	v_fmac_f64_e32 v[150:151], v[122:123], v[132:133]
	scratch_load_b128 v[120:123], off, off offset:256
	s_wait_loadcnt 0x5
	v_fmac_f64_e32 v[150:151], v[138:139], v[134:135]
	ds_load_2addr_b64 v[128:131], v2 offset0:79 offset1:80
	ds_load_2addr_b64 v[132:135], v2 offset0:81 offset1:82
	scratch_load_b128 v[136:139], off, off offset:272
	s_wait_dscnt 0x1
	v_fmac_f64_e32 v[150:151], v[140:141], v[128:129]
	s_wait_loadcnt 0x5
	s_delay_alu instid0(VALU_DEP_1) | instskip(SKIP_1) | instid1(VALU_DEP_1)
	v_fmac_f64_e32 v[150:151], v[124:125], v[130:131]
	s_wait_dscnt 0x0
	v_fmac_f64_e32 v[150:151], v[126:127], v[132:133]
	scratch_load_b128 v[124:127], off, off offset:288
	s_wait_loadcnt 0x5
	v_fmac_f64_e32 v[150:151], v[146:147], v[134:135]
	ds_load_2addr_b64 v[128:131], v2 offset0:83 offset1:84
	ds_load_2addr_b64 v[132:135], v2 offset0:85 offset1:86
	s_wait_dscnt 0x1
	v_fmac_f64_e32 v[150:151], v[148:149], v[128:129]
	scratch_load_b128 v[146:149], off, off offset:304
	s_wait_loadcnt 0x5
	v_fmac_f64_e32 v[150:151], v[116:117], v[130:131]
	s_wait_dscnt 0x0
	s_delay_alu instid0(VALU_DEP_1)
	v_fmac_f64_e32 v[150:151], v[118:119], v[132:133]
	scratch_load_b128 v[116:119], off, off offset:320
	s_wait_loadcnt 0x5
	v_fmac_f64_e32 v[150:151], v[142:143], v[134:135]
	ds_load_2addr_b64 v[128:131], v2 offset0:87 offset1:88
	ds_load_2addr_b64 v[132:135], v2 offset0:89 offset1:90
	scratch_load_b128 v[140:143], off, off offset:336
	s_wait_dscnt 0x1
	v_fmac_f64_e32 v[150:151], v[144:145], v[128:129]
	s_wait_loadcnt 0x5
	s_delay_alu instid0(VALU_DEP_1) | instskip(SKIP_1) | instid1(VALU_DEP_1)
	v_fmac_f64_e32 v[150:151], v[120:121], v[130:131]
	s_wait_dscnt 0x0
	v_fmac_f64_e32 v[150:151], v[122:123], v[132:133]
	scratch_load_b128 v[120:123], off, off offset:352
	s_wait_loadcnt 0x5
	v_fmac_f64_e32 v[150:151], v[136:137], v[134:135]
	ds_load_2addr_b64 v[128:131], v2 offset0:91 offset1:92
	ds_load_2addr_b64 v[132:135], v2 offset0:93 offset1:94
	s_wait_dscnt 0x1
	v_fmac_f64_e32 v[150:151], v[138:139], v[128:129]
	s_wait_loadcnt 0x4
	s_delay_alu instid0(VALU_DEP_1)
	v_fmac_f64_e32 v[150:151], v[124:125], v[130:131]
	scratch_load_b128 v[128:131], off, off offset:368
	s_wait_dscnt 0x0
	v_fmac_f64_e32 v[150:151], v[126:127], v[132:133]
	scratch_load_b128 v[124:127], off, off offset:384
	s_wait_loadcnt 0x5
	v_fmac_f64_e32 v[150:151], v[146:147], v[134:135]
	ds_load_2addr_b64 v[132:135], v2 offset0:95 offset1:96
	ds_load_2addr_b64 v[136:139], v2 offset0:97 offset1:98
	s_wait_dscnt 0x1
	v_fmac_f64_e32 v[150:151], v[148:149], v[132:133]
	s_wait_loadcnt 0x4
	s_delay_alu instid0(VALU_DEP_1)
	v_fmac_f64_e32 v[150:151], v[116:117], v[134:135]
	scratch_load_b128 v[132:135], off, off offset:400
	s_wait_dscnt 0x0
	v_fmac_f64_e32 v[150:151], v[118:119], v[136:137]
	scratch_load_b128 v[116:119], off, off offset:416
	s_wait_loadcnt 0x5
	v_fmac_f64_e32 v[150:151], v[140:141], v[138:139]
	ds_load_2addr_b64 v[136:139], v2 offset0:99 offset1:100
	ds_load_2addr_b64 v[144:147], v2 offset0:101 offset1:102
	scratch_load_b64 v[140:141], off, off offset:432
	s_wait_dscnt 0x1
	v_fmac_f64_e32 v[150:151], v[142:143], v[136:137]
	s_wait_loadcnt 0x5
	s_delay_alu instid0(VALU_DEP_1) | instskip(SKIP_1) | instid1(VALU_DEP_1)
	v_fmac_f64_e32 v[150:151], v[120:121], v[138:139]
	s_wait_dscnt 0x0
	v_fmac_f64_e32 v[150:151], v[122:123], v[144:145]
	ds_load_2addr_b64 v[120:123], v2 offset0:103 offset1:104
	ds_load_2addr_b64 v[136:139], v2 offset0:105 offset1:106
	s_wait_loadcnt 0x4
	v_fmac_f64_e32 v[150:151], v[128:129], v[146:147]
	s_wait_dscnt 0x1
	s_delay_alu instid0(VALU_DEP_1) | instskip(SKIP_1) | instid1(VALU_DEP_1)
	v_fmac_f64_e32 v[150:151], v[130:131], v[120:121]
	s_wait_loadcnt 0x3
	v_fmac_f64_e32 v[150:151], v[124:125], v[122:123]
	s_wait_dscnt 0x0
	s_delay_alu instid0(VALU_DEP_1)
	v_fmac_f64_e32 v[150:151], v[126:127], v[136:137]
	ds_load_2addr_b64 v[120:123], v2 offset0:107 offset1:108
	ds_load_2addr_b64 v[124:127], v2 offset0:109 offset1:110
	s_wait_loadcnt 0x2
	v_fmac_f64_e32 v[150:151], v[132:133], v[138:139]
	s_wait_dscnt 0x1
	s_delay_alu instid0(VALU_DEP_1) | instskip(SKIP_1) | instid1(VALU_DEP_1)
	v_fmac_f64_e32 v[150:151], v[134:135], v[120:121]
	s_wait_loadcnt 0x1
	v_fmac_f64_e32 v[150:151], v[116:117], v[122:123]
	s_wait_dscnt 0x0
	s_delay_alu instid0(VALU_DEP_1) | instskip(SKIP_1) | instid1(VALU_DEP_1)
	v_fmac_f64_e32 v[150:151], v[118:119], v[124:125]
	s_wait_loadcnt 0x0
	v_fmac_f64_e32 v[150:151], v[140:141], v[126:127]
	s_delay_alu instid0(VALU_DEP_1)
	v_add_f64_e64 v[2:3], v[114:115], -v[150:151]
	scratch_store_b64 off, v[2:3], off offset:16
	s_wait_xcnt 0x0
	v_cmpx_lt_u32_e32 1, v0
	s_cbranch_execz .LBB118_337
; %bb.336:
	scratch_load_b64 v[2:3], off, off offset:8
	v_mov_b64_e32 v[114:115], 0
	scratch_store_b64 off, v[114:115], off offset:8
	s_wait_loadcnt 0x0
	ds_store_b64 v1, v[2:3]
.LBB118_337:
	s_wait_xcnt 0x0
	s_or_b32 exec_lo, exec_lo, s0
	s_wait_storecnt_dscnt 0x0
	s_barrier_signal -1
	s_barrier_wait -1
	s_clause 0x3
	scratch_load_b128 v[116:119], off, off offset:8
	scratch_load_b128 v[120:123], off, off offset:24
	;; [unrolled: 1-line block ×4, first 2 shown]
	v_dual_mov_b32 v114, 0 :: v_dual_ashrrev_i32 v9, 31, v8
	ds_load_b128 v[132:135], v114 offset:464
	ds_load_b128 v[136:139], v114 offset:480
	scratch_load_b128 v[140:143], off, off offset:72
	v_dual_ashrrev_i32 v11, 31, v10 :: v_dual_ashrrev_i32 v13, 31, v12
	v_dual_ashrrev_i32 v15, 31, v14 :: v_dual_ashrrev_i32 v17, 31, v16
	;; [unrolled: 1-line block ×25, first 2 shown]
	v_ashrrev_i32_e32 v111, 31, v110
	s_mov_b32 s0, exec_lo
	v_ashrrev_i32_e32 v65, 31, v64
	s_wait_loadcnt_dscnt 0x401
	v_fma_f64 v[2:3], v[118:119], v[132:133], 0
	s_wait_loadcnt 0x3
	s_delay_alu instid0(VALU_DEP_1) | instskip(SKIP_4) | instid1(VALU_DEP_1)
	v_fmac_f64_e32 v[2:3], v[120:121], v[134:135]
	scratch_load_b128 v[118:121], off, off offset:88
	s_wait_dscnt 0x0
	v_fmac_f64_e32 v[2:3], v[122:123], v[136:137]
	s_wait_loadcnt 0x3
	v_fmac_f64_e32 v[2:3], v[124:125], v[138:139]
	ds_load_b128 v[122:125], v114 offset:496
	ds_load_b128 v[132:135], v114 offset:512
	scratch_load_b128 v[136:139], off, off offset:104
	s_wait_dscnt 0x1
	v_fmac_f64_e32 v[2:3], v[126:127], v[122:123]
	s_wait_loadcnt 0x3
	s_delay_alu instid0(VALU_DEP_1)
	v_fmac_f64_e32 v[2:3], v[128:129], v[124:125]
	scratch_load_b128 v[122:125], off, off offset:120
	s_wait_dscnt 0x0
	v_fmac_f64_e32 v[2:3], v[130:131], v[132:133]
	ds_load_b128 v[126:129], v114 offset:528
	ds_load_b128 v[130:133], v114 offset:544
	s_wait_loadcnt 0x3
	v_fmac_f64_e32 v[2:3], v[140:141], v[134:135]
	s_wait_dscnt 0x1
	s_delay_alu instid0(VALU_DEP_1) | instskip(SKIP_4) | instid1(VALU_DEP_1)
	v_fmac_f64_e32 v[2:3], v[142:143], v[126:127]
	scratch_load_b128 v[140:143], off, off offset:136
	s_wait_loadcnt 0x3
	v_fmac_f64_e32 v[2:3], v[118:119], v[128:129]
	s_wait_dscnt 0x0
	v_fmac_f64_e32 v[2:3], v[120:121], v[130:131]
	scratch_load_b128 v[118:121], off, off offset:152
	s_wait_loadcnt 0x3
	v_fmac_f64_e32 v[2:3], v[136:137], v[132:133]
	ds_load_b128 v[126:129], v114 offset:560
	ds_load_b128 v[130:133], v114 offset:576
	scratch_load_b128 v[134:137], off, off offset:168
	s_wait_dscnt 0x1
	v_fmac_f64_e32 v[2:3], v[138:139], v[126:127]
	s_wait_loadcnt 0x3
	s_delay_alu instid0(VALU_DEP_1) | instskip(SKIP_1) | instid1(VALU_DEP_1)
	v_fmac_f64_e32 v[2:3], v[122:123], v[128:129]
	s_wait_dscnt 0x0
	v_fmac_f64_e32 v[2:3], v[124:125], v[130:131]
	scratch_load_b128 v[122:125], off, off offset:184
	s_wait_loadcnt 0x3
	v_fmac_f64_e32 v[2:3], v[140:141], v[132:133]
	ds_load_b128 v[126:129], v114 offset:592
	ds_load_b128 v[130:133], v114 offset:608
	scratch_load_b128 v[138:141], off, off offset:200
	s_wait_dscnt 0x1
	v_fmac_f64_e32 v[2:3], v[142:143], v[126:127]
	s_wait_loadcnt 0x3
	s_delay_alu instid0(VALU_DEP_1) | instskip(SKIP_1) | instid1(VALU_DEP_1)
	v_fmac_f64_e32 v[2:3], v[118:119], v[128:129]
	s_wait_dscnt 0x0
	v_fmac_f64_e32 v[2:3], v[120:121], v[130:131]
	scratch_load_b128 v[118:121], off, off offset:216
	s_wait_loadcnt 0x3
	v_fmac_f64_e32 v[2:3], v[134:135], v[132:133]
	ds_load_b128 v[126:129], v114 offset:624
	ds_load_b128 v[130:133], v114 offset:640
	s_wait_dscnt 0x1
	v_fmac_f64_e32 v[2:3], v[136:137], v[126:127]
	scratch_load_b128 v[134:137], off, off offset:232
	s_wait_loadcnt 0x3
	v_fmac_f64_e32 v[2:3], v[122:123], v[128:129]
	s_wait_dscnt 0x0
	s_delay_alu instid0(VALU_DEP_1)
	v_fmac_f64_e32 v[2:3], v[124:125], v[130:131]
	scratch_load_b128 v[122:125], off, off offset:248
	s_wait_loadcnt 0x3
	v_fmac_f64_e32 v[2:3], v[138:139], v[132:133]
	ds_load_b128 v[126:129], v114 offset:656
	ds_load_b128 v[130:133], v114 offset:672
	s_wait_dscnt 0x1
	v_fmac_f64_e32 v[2:3], v[140:141], v[126:127]
	scratch_load_b128 v[138:141], off, off offset:264
	s_wait_loadcnt 0x3
	v_fmac_f64_e32 v[2:3], v[118:119], v[128:129]
	s_wait_dscnt 0x0
	s_delay_alu instid0(VALU_DEP_1)
	;; [unrolled: 13-line block ×7, first 2 shown]
	v_fmac_f64_e32 v[2:3], v[124:125], v[130:131]
	ds_load_b128 v[122:125], v114 offset:848
	ds_load_b128 v[126:129], v114 offset:864
	s_wait_loadcnt 0x2
	v_fmac_f64_e32 v[2:3], v[138:139], v[132:133]
	s_wait_dscnt 0x1
	s_delay_alu instid0(VALU_DEP_1) | instskip(SKIP_1) | instid1(VALU_DEP_1)
	v_fmac_f64_e32 v[2:3], v[140:141], v[122:123]
	s_wait_loadcnt 0x1
	v_fmac_f64_e32 v[2:3], v[118:119], v[124:125]
	ds_load_b64 v[118:119], v114 offset:880
	s_wait_dscnt 0x1
	v_fmac_f64_e32 v[2:3], v[120:121], v[126:127]
	s_wait_loadcnt 0x0
	s_delay_alu instid0(VALU_DEP_1) | instskip(SKIP_1) | instid1(VALU_DEP_1)
	v_fmac_f64_e32 v[2:3], v[134:135], v[128:129]
	s_wait_dscnt 0x0
	v_fmac_f64_e32 v[2:3], v[136:137], v[118:119]
	s_delay_alu instid0(VALU_DEP_1)
	v_add_f64_e64 v[2:3], v[116:117], -v[2:3]
	scratch_store_b64 off, v[2:3], off offset:8
	s_wait_xcnt 0x0
	v_cmpx_ne_u32_e32 0, v0
	s_cbranch_execz .LBB118_339
; %bb.338:
	scratch_load_b64 v[2:3], off, off
	v_mov_b64_e32 v[116:117], 0
	scratch_store_b64 off, v[116:117], off
	s_wait_loadcnt 0x0
	ds_store_b64 v1, v[2:3]
.LBB118_339:
	s_wait_xcnt 0x0
	s_or_b32 exec_lo, exec_lo, s0
	s_wait_storecnt_dscnt 0x0
	s_barrier_signal -1
	s_barrier_wait -1
	s_clause 0x5
	scratch_load_b128 v[116:119], off, off
	scratch_load_b128 v[0:3], off, off offset:16
	scratch_load_b128 v[120:123], off, off offset:32
	;; [unrolled: 1-line block ×5, first 2 shown]
	ds_load_2addr_b64 v[136:139], v114 offset0:57 offset1:58
	scratch_load_b128 v[140:143], off, off offset:96
	s_and_b32 vcc_lo, exec_lo, s12
	s_wait_loadcnt_dscnt 0x600
	v_fma_f64 v[146:147], v[118:119], v[136:137], 0
	s_wait_loadcnt 0x5
	s_delay_alu instid0(VALU_DEP_1)
	v_fmac_f64_e32 v[146:147], v[0:1], v[138:139]
	ds_load_2addr_b64 v[136:139], v114 offset0:59 offset1:60
	s_wait_dscnt 0x0
	v_fmac_f64_e32 v[146:147], v[2:3], v[136:137]
	scratch_load_b128 v[0:3], off, off offset:112
	s_wait_loadcnt 0x5
	v_fmac_f64_e32 v[146:147], v[120:121], v[138:139]
	ds_load_2addr_b64 v[118:121], v114 offset0:61 offset1:62
	scratch_load_b128 v[136:139], off, off offset:128
	s_wait_dscnt 0x0
	v_fmac_f64_e32 v[146:147], v[122:123], v[118:119]
	s_wait_loadcnt 0x5
	s_delay_alu instid0(VALU_DEP_1)
	v_fmac_f64_e32 v[146:147], v[124:125], v[120:121]
	ds_load_2addr_b64 v[118:121], v114 offset0:63 offset1:64
	scratch_load_b128 v[122:125], off, off offset:144
	s_wait_dscnt 0x0
	v_fmac_f64_e32 v[146:147], v[126:127], v[118:119]
	s_wait_loadcnt 0x5
	s_delay_alu instid0(VALU_DEP_1)
	;; [unrolled: 7-line block ×4, first 2 shown]
	v_fmac_f64_e32 v[146:147], v[140:141], v[120:121]
	ds_load_2addr_b64 v[118:121], v114 offset0:69 offset1:70
	s_wait_dscnt 0x0
	v_fmac_f64_e32 v[146:147], v[142:143], v[118:119]
	scratch_load_b128 v[140:143], off, off offset:192
	s_wait_loadcnt 0x5
	v_fmac_f64_e32 v[146:147], v[0:1], v[120:121]
	ds_load_2addr_b64 v[118:121], v114 offset0:71 offset1:72
	s_wait_dscnt 0x0
	v_fmac_f64_e32 v[146:147], v[2:3], v[118:119]
	scratch_load_b128 v[0:3], off, off offset:208
	s_wait_loadcnt 0x5
	v_fmac_f64_e32 v[146:147], v[136:137], v[120:121]
	ds_load_2addr_b64 v[118:121], v114 offset0:73 offset1:74
	scratch_load_b128 v[134:137], off, off offset:224
	s_wait_dscnt 0x0
	v_fmac_f64_e32 v[146:147], v[138:139], v[118:119]
	s_wait_loadcnt 0x5
	s_delay_alu instid0(VALU_DEP_1)
	v_fmac_f64_e32 v[146:147], v[122:123], v[120:121]
	ds_load_2addr_b64 v[118:121], v114 offset0:75 offset1:76
	s_wait_dscnt 0x0
	v_fmac_f64_e32 v[146:147], v[124:125], v[118:119]
	scratch_load_b128 v[122:125], off, off offset:240
	s_wait_loadcnt 0x5
	v_fmac_f64_e32 v[146:147], v[126:127], v[120:121]
	ds_load_2addr_b64 v[118:121], v114 offset0:77 offset1:78
	s_wait_dscnt 0x0
	v_fmac_f64_e32 v[146:147], v[128:129], v[118:119]
	scratch_load_b128 v[126:129], off, off offset:256
	s_wait_loadcnt 0x5
	;; [unrolled: 6-line block ×3, first 2 shown]
	v_fmac_f64_e32 v[146:147], v[140:141], v[120:121]
	ds_load_2addr_b64 v[118:121], v114 offset0:81 offset1:82
	scratch_load_b128 v[138:141], off, off offset:288
	s_wait_dscnt 0x0
	v_fmac_f64_e32 v[146:147], v[142:143], v[118:119]
	scratch_load_b128 v[142:145], off, off offset:400
	s_wait_loadcnt 0x6
	v_fmac_f64_e32 v[146:147], v[0:1], v[120:121]
	ds_load_2addr_b64 v[118:121], v114 offset0:83 offset1:84
	s_wait_dscnt 0x0
	v_fmac_f64_e32 v[146:147], v[2:3], v[118:119]
	scratch_load_b128 v[0:3], off, off offset:304
	s_wait_loadcnt 0x6
	v_fmac_f64_e32 v[146:147], v[134:135], v[120:121]
	ds_load_2addr_b64 v[118:121], v114 offset0:85 offset1:86
	;; [unrolled: 6-line block ×8, first 2 shown]
	s_wait_dscnt 0x0
	v_fmac_f64_e32 v[146:147], v[136:137], v[118:119]
	s_wait_loadcnt 0x4
	s_delay_alu instid0(VALU_DEP_1)
	v_fmac_f64_e32 v[146:147], v[122:123], v[120:121]
	ds_load_2addr_b64 v[118:121], v114 offset0:99 offset1:100
	scratch_load_b64 v[122:123], off, off offset:432
	s_wait_dscnt 0x0
	v_fmac_f64_e32 v[146:147], v[124:125], v[118:119]
	s_wait_loadcnt 0x4
	s_delay_alu instid0(VALU_DEP_1) | instskip(SKIP_4) | instid1(VALU_DEP_1)
	v_fmac_f64_e32 v[146:147], v[126:127], v[120:121]
	ds_load_2addr_b64 v[118:121], v114 offset0:101 offset1:102
	s_wait_dscnt 0x0
	v_fmac_f64_e32 v[146:147], v[128:129], v[118:119]
	s_wait_loadcnt 0x3
	v_fmac_f64_e32 v[146:147], v[130:131], v[120:121]
	ds_load_2addr_b64 v[118:121], v114 offset0:103 offset1:104
	s_wait_dscnt 0x0
	v_fmac_f64_e32 v[146:147], v[132:133], v[118:119]
	s_wait_loadcnt 0x2
	s_delay_alu instid0(VALU_DEP_1) | instskip(SKIP_3) | instid1(VALU_DEP_1)
	v_fmac_f64_e32 v[146:147], v[138:139], v[120:121]
	ds_load_2addr_b64 v[118:121], v114 offset0:105 offset1:106
	s_wait_dscnt 0x0
	v_fmac_f64_e32 v[146:147], v[140:141], v[118:119]
	v_fmac_f64_e32 v[146:147], v[142:143], v[120:121]
	ds_load_2addr_b64 v[118:121], v114 offset0:107 offset1:108
	s_wait_dscnt 0x0
	v_fmac_f64_e32 v[146:147], v[144:145], v[118:119]
	s_wait_loadcnt 0x1
	s_delay_alu instid0(VALU_DEP_1) | instskip(SKIP_4) | instid1(VALU_DEP_1)
	v_fmac_f64_e32 v[146:147], v[0:1], v[120:121]
	ds_load_2addr_b64 v[118:121], v114 offset0:109 offset1:110
	s_wait_dscnt 0x0
	v_fmac_f64_e32 v[146:147], v[2:3], v[118:119]
	s_wait_loadcnt 0x0
	v_fmac_f64_e32 v[146:147], v[122:123], v[120:121]
	s_delay_alu instid0(VALU_DEP_1)
	v_add_f64_e64 v[116:117], v[116:117], -v[146:147]
	scratch_store_b64 off, v[116:117], off
	s_cbranch_vccz .LBB118_448
; %bb.340:
	v_mov_b32_e32 v0, 0
	global_load_b32 v1, v0, s[8:9] offset:212
	s_wait_loadcnt 0x0
	v_cmp_ne_u32_e32 vcc_lo, 54, v1
	s_cbranch_vccz .LBB118_342
; %bb.341:
	v_lshlrev_b32_e32 v1, 3, v1
	scratch_load_b64 v[114:115], v1, off offset:-8
	s_wait_loadcnt 0x0
	scratch_store_b64 off, v[114:115], off offset:424
	scratch_store_b64 v1, v[2:3], off offset:-8
.LBB118_342:
	global_load_b32 v0, v0, s[8:9] offset:208
	s_wait_loadcnt 0x0
	v_cmp_eq_u32_e32 vcc_lo, 53, v0
	s_cbranch_vccnz .LBB118_344
; %bb.343:
	s_wait_xcnt 0x0
	v_lshlrev_b32_e32 v0, 3, v0
	s_delay_alu instid0(VALU_DEP_1)
	v_mov_b32_e32 v114, v0
	scratch_load_b64 v[0:1], v114, off offset:-8
	scratch_load_b64 v[2:3], off, off offset:416
	s_wait_loadcnt 0x1
	scratch_store_b64 off, v[0:1], off offset:416
	s_wait_loadcnt 0x0
	scratch_store_b64 v114, v[2:3], off offset:-8
.LBB118_344:
	s_wait_xcnt 0x0
	v_mov_b32_e32 v0, 0
	global_load_b32 v1, v0, s[8:9] offset:204
	s_wait_loadcnt 0x0
	v_cmp_eq_u32_e32 vcc_lo, 52, v1
	s_cbranch_vccnz .LBB118_346
; %bb.345:
	v_lshlrev_b32_e32 v1, 3, v1
	scratch_load_b64 v[2:3], v1, off offset:-8
	scratch_load_b64 v[114:115], off, off offset:408
	s_wait_loadcnt 0x1
	scratch_store_b64 off, v[2:3], off offset:408
	s_wait_loadcnt 0x0
	scratch_store_b64 v1, v[114:115], off offset:-8
.LBB118_346:
	global_load_b32 v0, v0, s[8:9] offset:200
	s_wait_loadcnt 0x0
	v_cmp_eq_u32_e32 vcc_lo, 51, v0
	s_cbranch_vccnz .LBB118_348
; %bb.347:
	s_wait_xcnt 0x0
	v_lshlrev_b32_e32 v0, 3, v0
	s_delay_alu instid0(VALU_DEP_1)
	v_mov_b32_e32 v114, v0
	scratch_load_b64 v[0:1], v114, off offset:-8
	scratch_load_b64 v[2:3], off, off offset:400
	s_wait_loadcnt 0x1
	scratch_store_b64 off, v[0:1], off offset:400
	s_wait_loadcnt 0x0
	scratch_store_b64 v114, v[2:3], off offset:-8
.LBB118_348:
	s_wait_xcnt 0x0
	v_mov_b32_e32 v0, 0
	global_load_b32 v1, v0, s[8:9] offset:196
	s_wait_loadcnt 0x0
	v_cmp_eq_u32_e32 vcc_lo, 50, v1
	s_cbranch_vccnz .LBB118_350
; %bb.349:
	v_lshlrev_b32_e32 v1, 3, v1
	scratch_load_b64 v[2:3], v1, off offset:-8
	scratch_load_b64 v[114:115], off, off offset:392
	s_wait_loadcnt 0x1
	scratch_store_b64 off, v[2:3], off offset:392
	s_wait_loadcnt 0x0
	scratch_store_b64 v1, v[114:115], off offset:-8
.LBB118_350:
	;; [unrolled: 31-line block ×26, first 2 shown]
	global_load_b32 v0, v0, s[8:9]
	scratch_load_b64 v[116:117], off, off
	s_wait_loadcnt 0x1
	v_cmp_eq_u32_e32 vcc_lo, 1, v0
	s_cbranch_vccnz .LBB118_448
; %bb.447:
	s_wait_xcnt 0x1
	v_lshlrev_b32_e32 v0, 3, v0
	s_delay_alu instid0(VALU_DEP_1)
	v_mov_b32_e32 v2, v0
	scratch_load_b64 v[0:1], v2, off offset:-8
	s_wait_loadcnt 0x0
	scratch_store_b64 off, v[0:1], off
	scratch_store_b64 v2, v[116:117], off offset:-8
	scratch_load_b64 v[116:117], off, off
.LBB118_448:
	s_wait_loadcnt 0x0
	flat_store_b64 v[4:5], v[116:117]
	scratch_load_b64 v[4:5], off, off offset:8
	v_lshl_add_u64 v[164:165], v[8:9], 3, s[2:3]
	v_lshl_add_u64 v[162:163], v[10:11], 3, s[2:3]
	;; [unrolled: 1-line block ×53, first 2 shown]
	s_wait_loadcnt 0x0
	flat_store_b64 v[6:7], v[4:5]
	scratch_load_b64 v[4:5], off, off offset:16
	s_wait_loadcnt 0x0
	flat_store_b64 v[164:165], v[4:5]
	scratch_load_b64 v[4:5], off, off offset:24
	s_wait_loadcnt 0x0
	flat_store_b64 v[162:163], v[4:5]
	scratch_load_b64 v[4:5], off, off offset:32
	s_wait_loadcnt 0x0
	flat_store_b64 v[160:161], v[4:5]
	scratch_load_b64 v[4:5], off, off offset:40
	s_wait_loadcnt 0x0
	flat_store_b64 v[158:159], v[4:5]
	scratch_load_b64 v[4:5], off, off offset:48
	s_wait_loadcnt 0x0
	flat_store_b64 v[156:157], v[4:5]
	scratch_load_b64 v[4:5], off, off offset:56
	s_wait_loadcnt 0x0
	flat_store_b64 v[154:155], v[4:5]
	scratch_load_b64 v[4:5], off, off offset:64
	s_wait_loadcnt 0x0
	flat_store_b64 v[152:153], v[4:5]
	scratch_load_b64 v[4:5], off, off offset:72
	s_wait_loadcnt 0x0
	flat_store_b64 v[150:151], v[4:5]
	scratch_load_b64 v[4:5], off, off offset:80
	s_wait_loadcnt 0x0
	flat_store_b64 v[148:149], v[4:5]
	scratch_load_b64 v[4:5], off, off offset:88
	s_wait_loadcnt 0x0
	flat_store_b64 v[146:147], v[4:5]
	scratch_load_b64 v[4:5], off, off offset:96
	s_wait_loadcnt 0x0
	flat_store_b64 v[144:145], v[4:5]
	scratch_load_b64 v[4:5], off, off offset:104
	s_wait_loadcnt 0x0
	flat_store_b64 v[142:143], v[4:5]
	scratch_load_b64 v[4:5], off, off offset:112
	s_wait_loadcnt 0x0
	flat_store_b64 v[140:141], v[4:5]
	scratch_load_b64 v[4:5], off, off offset:120
	s_wait_loadcnt 0x0
	flat_store_b64 v[138:139], v[4:5]
	scratch_load_b64 v[4:5], off, off offset:128
	s_wait_loadcnt 0x0
	flat_store_b64 v[136:137], v[4:5]
	scratch_load_b64 v[4:5], off, off offset:136
	s_wait_loadcnt 0x0
	flat_store_b64 v[134:135], v[4:5]
	scratch_load_b64 v[4:5], off, off offset:144
	s_wait_loadcnt 0x0
	flat_store_b64 v[132:133], v[4:5]
	scratch_load_b64 v[4:5], off, off offset:152
	s_wait_loadcnt 0x0
	flat_store_b64 v[130:131], v[4:5]
	scratch_load_b64 v[4:5], off, off offset:160
	s_wait_loadcnt 0x0
	flat_store_b64 v[128:129], v[4:5]
	scratch_load_b64 v[4:5], off, off offset:168
	s_wait_loadcnt 0x0
	flat_store_b64 v[126:127], v[4:5]
	scratch_load_b64 v[4:5], off, off offset:176
	s_wait_loadcnt 0x0
	flat_store_b64 v[124:125], v[4:5]
	scratch_load_b64 v[4:5], off, off offset:184
	s_wait_loadcnt 0x0
	flat_store_b64 v[122:123], v[4:5]
	scratch_load_b64 v[4:5], off, off offset:192
	s_wait_loadcnt 0x0
	flat_store_b64 v[120:121], v[4:5]
	scratch_load_b64 v[4:5], off, off offset:200
	s_wait_loadcnt 0x0
	flat_store_b64 v[118:119], v[4:5]
	scratch_load_b64 v[4:5], off, off offset:208
	s_wait_loadcnt 0x0
	flat_store_b64 v[114:115], v[4:5]
	scratch_load_b64 v[4:5], off, off offset:216
	s_wait_loadcnt 0x0
	flat_store_b64 v[58:59], v[4:5]
	scratch_load_b64 v[4:5], off, off offset:224
	s_wait_loadcnt 0x0
	flat_store_b64 v[56:57], v[4:5]
	scratch_load_b64 v[4:5], off, off offset:232
	s_wait_loadcnt 0x0
	flat_store_b64 v[54:55], v[4:5]
	scratch_load_b64 v[4:5], off, off offset:240
	s_wait_loadcnt 0x0
	flat_store_b64 v[52:53], v[4:5]
	scratch_load_b64 v[4:5], off, off offset:248
	s_wait_loadcnt 0x0
	flat_store_b64 v[50:51], v[4:5]
	scratch_load_b64 v[4:5], off, off offset:256
	s_wait_loadcnt 0x0
	flat_store_b64 v[48:49], v[4:5]
	scratch_load_b64 v[4:5], off, off offset:264
	s_wait_loadcnt 0x0
	flat_store_b64 v[46:47], v[4:5]
	scratch_load_b64 v[4:5], off, off offset:272
	s_wait_loadcnt 0x0
	flat_store_b64 v[44:45], v[4:5]
	scratch_load_b64 v[4:5], off, off offset:280
	s_wait_loadcnt 0x0
	flat_store_b64 v[42:43], v[4:5]
	scratch_load_b64 v[4:5], off, off offset:288
	s_wait_loadcnt 0x0
	flat_store_b64 v[40:41], v[4:5]
	scratch_load_b64 v[4:5], off, off offset:296
	s_wait_loadcnt 0x0
	flat_store_b64 v[38:39], v[4:5]
	scratch_load_b64 v[4:5], off, off offset:304
	s_wait_loadcnt 0x0
	flat_store_b64 v[36:37], v[4:5]
	scratch_load_b64 v[4:5], off, off offset:312
	s_wait_loadcnt 0x0
	flat_store_b64 v[34:35], v[4:5]
	scratch_load_b64 v[4:5], off, off offset:320
	s_wait_loadcnt 0x0
	flat_store_b64 v[32:33], v[4:5]
	scratch_load_b64 v[4:5], off, off offset:328
	s_wait_loadcnt 0x0
	flat_store_b64 v[30:31], v[4:5]
	scratch_load_b64 v[4:5], off, off offset:336
	s_wait_loadcnt 0x0
	flat_store_b64 v[28:29], v[4:5]
	scratch_load_b64 v[4:5], off, off offset:344
	s_wait_loadcnt 0x0
	flat_store_b64 v[26:27], v[4:5]
	scratch_load_b64 v[4:5], off, off offset:352
	s_wait_loadcnt 0x0
	flat_store_b64 v[24:25], v[4:5]
	scratch_load_b64 v[4:5], off, off offset:360
	s_wait_loadcnt 0x0
	flat_store_b64 v[22:23], v[4:5]
	scratch_load_b64 v[4:5], off, off offset:368
	s_wait_loadcnt 0x0
	flat_store_b64 v[20:21], v[4:5]
	scratch_load_b64 v[4:5], off, off offset:376
	s_wait_loadcnt 0x0
	flat_store_b64 v[18:19], v[4:5]
	scratch_load_b64 v[4:5], off, off offset:384
	s_wait_loadcnt 0x0
	flat_store_b64 v[16:17], v[4:5]
	scratch_load_b64 v[4:5], off, off offset:392
	s_wait_loadcnt 0x0
	flat_store_b64 v[14:15], v[4:5]
	scratch_load_b64 v[4:5], off, off offset:400
	s_wait_loadcnt 0x0
	flat_store_b64 v[12:13], v[4:5]
	scratch_load_b64 v[4:5], off, off offset:408
	s_wait_loadcnt 0x0
	flat_store_b64 v[10:11], v[4:5]
	scratch_load_b64 v[4:5], off, off offset:416
	s_wait_loadcnt 0x0
	flat_store_b64 v[8:9], v[4:5]
	scratch_load_b64 v[4:5], off, off offset:424
	s_wait_loadcnt 0x0
	flat_store_b64 v[2:3], v[4:5]
	scratch_load_b64 v[2:3], off, off offset:432
	s_wait_loadcnt 0x0
	flat_store_b64 v[0:1], v[2:3]
	s_sendmsg sendmsg(MSG_DEALLOC_VGPRS)
	s_endpgm
	.section	.rodata,"a",@progbits
	.p2align	6, 0x0
	.amdhsa_kernel _ZN9rocsolver6v33100L18getri_kernel_smallILi55EdPKPdEEvT1_iilPiilS6_bb
		.amdhsa_group_segment_fixed_size 888
		.amdhsa_private_segment_fixed_size 448
		.amdhsa_kernarg_size 60
		.amdhsa_user_sgpr_count 2
		.amdhsa_user_sgpr_dispatch_ptr 0
		.amdhsa_user_sgpr_queue_ptr 0
		.amdhsa_user_sgpr_kernarg_segment_ptr 1
		.amdhsa_user_sgpr_dispatch_id 0
		.amdhsa_user_sgpr_kernarg_preload_length 0
		.amdhsa_user_sgpr_kernarg_preload_offset 0
		.amdhsa_user_sgpr_private_segment_size 0
		.amdhsa_wavefront_size32 1
		.amdhsa_uses_dynamic_stack 0
		.amdhsa_enable_private_segment 1
		.amdhsa_system_sgpr_workgroup_id_x 1
		.amdhsa_system_sgpr_workgroup_id_y 0
		.amdhsa_system_sgpr_workgroup_id_z 0
		.amdhsa_system_sgpr_workgroup_info 0
		.amdhsa_system_vgpr_workitem_id 0
		.amdhsa_next_free_vgpr 166
		.amdhsa_next_free_sgpr 19
		.amdhsa_named_barrier_count 0
		.amdhsa_reserve_vcc 1
		.amdhsa_float_round_mode_32 0
		.amdhsa_float_round_mode_16_64 0
		.amdhsa_float_denorm_mode_32 3
		.amdhsa_float_denorm_mode_16_64 3
		.amdhsa_fp16_overflow 0
		.amdhsa_memory_ordered 1
		.amdhsa_forward_progress 1
		.amdhsa_inst_pref_size 255
		.amdhsa_round_robin_scheduling 0
		.amdhsa_exception_fp_ieee_invalid_op 0
		.amdhsa_exception_fp_denorm_src 0
		.amdhsa_exception_fp_ieee_div_zero 0
		.amdhsa_exception_fp_ieee_overflow 0
		.amdhsa_exception_fp_ieee_underflow 0
		.amdhsa_exception_fp_ieee_inexact 0
		.amdhsa_exception_int_div_zero 0
	.end_amdhsa_kernel
	.section	.text._ZN9rocsolver6v33100L18getri_kernel_smallILi55EdPKPdEEvT1_iilPiilS6_bb,"axG",@progbits,_ZN9rocsolver6v33100L18getri_kernel_smallILi55EdPKPdEEvT1_iilPiilS6_bb,comdat
.Lfunc_end118:
	.size	_ZN9rocsolver6v33100L18getri_kernel_smallILi55EdPKPdEEvT1_iilPiilS6_bb, .Lfunc_end118-_ZN9rocsolver6v33100L18getri_kernel_smallILi55EdPKPdEEvT1_iilPiilS6_bb
                                        ; -- End function
	.set _ZN9rocsolver6v33100L18getri_kernel_smallILi55EdPKPdEEvT1_iilPiilS6_bb.num_vgpr, 166
	.set _ZN9rocsolver6v33100L18getri_kernel_smallILi55EdPKPdEEvT1_iilPiilS6_bb.num_agpr, 0
	.set _ZN9rocsolver6v33100L18getri_kernel_smallILi55EdPKPdEEvT1_iilPiilS6_bb.numbered_sgpr, 19
	.set _ZN9rocsolver6v33100L18getri_kernel_smallILi55EdPKPdEEvT1_iilPiilS6_bb.num_named_barrier, 0
	.set _ZN9rocsolver6v33100L18getri_kernel_smallILi55EdPKPdEEvT1_iilPiilS6_bb.private_seg_size, 448
	.set _ZN9rocsolver6v33100L18getri_kernel_smallILi55EdPKPdEEvT1_iilPiilS6_bb.uses_vcc, 1
	.set _ZN9rocsolver6v33100L18getri_kernel_smallILi55EdPKPdEEvT1_iilPiilS6_bb.uses_flat_scratch, 1
	.set _ZN9rocsolver6v33100L18getri_kernel_smallILi55EdPKPdEEvT1_iilPiilS6_bb.has_dyn_sized_stack, 0
	.set _ZN9rocsolver6v33100L18getri_kernel_smallILi55EdPKPdEEvT1_iilPiilS6_bb.has_recursion, 0
	.set _ZN9rocsolver6v33100L18getri_kernel_smallILi55EdPKPdEEvT1_iilPiilS6_bb.has_indirect_call, 0
	.section	.AMDGPU.csdata,"",@progbits
; Kernel info:
; codeLenInByte = 55756
; TotalNumSgprs: 21
; NumVgprs: 166
; ScratchSize: 448
; MemoryBound: 0
; FloatMode: 240
; IeeeMode: 1
; LDSByteSize: 888 bytes/workgroup (compile time only)
; SGPRBlocks: 0
; VGPRBlocks: 10
; NumSGPRsForWavesPerEU: 21
; NumVGPRsForWavesPerEU: 166
; NamedBarCnt: 0
; Occupancy: 5
; WaveLimiterHint : 1
; COMPUTE_PGM_RSRC2:SCRATCH_EN: 1
; COMPUTE_PGM_RSRC2:USER_SGPR: 2
; COMPUTE_PGM_RSRC2:TRAP_HANDLER: 0
; COMPUTE_PGM_RSRC2:TGID_X_EN: 1
; COMPUTE_PGM_RSRC2:TGID_Y_EN: 0
; COMPUTE_PGM_RSRC2:TGID_Z_EN: 0
; COMPUTE_PGM_RSRC2:TIDIG_COMP_CNT: 0
	.section	.text._ZN9rocsolver6v33100L18getri_kernel_smallILi56EdPKPdEEvT1_iilPiilS6_bb,"axG",@progbits,_ZN9rocsolver6v33100L18getri_kernel_smallILi56EdPKPdEEvT1_iilPiilS6_bb,comdat
	.globl	_ZN9rocsolver6v33100L18getri_kernel_smallILi56EdPKPdEEvT1_iilPiilS6_bb ; -- Begin function _ZN9rocsolver6v33100L18getri_kernel_smallILi56EdPKPdEEvT1_iilPiilS6_bb
	.p2align	8
	.type	_ZN9rocsolver6v33100L18getri_kernel_smallILi56EdPKPdEEvT1_iilPiilS6_bb,@function
_ZN9rocsolver6v33100L18getri_kernel_smallILi56EdPKPdEEvT1_iilPiilS6_bb: ; @_ZN9rocsolver6v33100L18getri_kernel_smallILi56EdPKPdEEvT1_iilPiilS6_bb
; %bb.0:
	s_mov_b32 s2, exec_lo
	v_cmpx_gt_u32_e32 56, v0
	s_cbranch_execz .LBB119_234
; %bb.1:
	s_clause 0x1
	s_load_b32 s13, s[0:1], 0x38
	s_load_b64 s[2:3], s[0:1], 0x0
	s_getreg_b32 s6, hwreg(HW_REG_IB_STS2, 6, 4)
	s_wait_kmcnt 0x0
	s_bitcmp1_b32 s13, 8
	s_cselect_b32 s12, -1, 0
	s_bfe_u32 s4, ttmp6, 0x4000c
	s_and_b32 s5, ttmp6, 15
	s_add_co_i32 s4, s4, 1
	s_delay_alu instid0(SALU_CYCLE_1) | instskip(NEXT) | instid1(SALU_CYCLE_1)
	s_mul_i32 s4, ttmp9, s4
	s_add_co_i32 s5, s5, s4
	s_cmp_eq_u32 s6, 0
	s_cselect_b32 s10, ttmp9, s5
	s_load_b128 s[4:7], s[0:1], 0x28
	s_ashr_i32 s11, s10, 31
	s_delay_alu instid0(SALU_CYCLE_1) | instskip(NEXT) | instid1(SALU_CYCLE_1)
	s_lshl_b64 s[8:9], s[10:11], 3
	s_add_nc_u64 s[2:3], s[2:3], s[8:9]
	s_bfe_u32 s8, s13, 0x10008
	s_load_b64 s[2:3], s[2:3], 0x0
	s_cmp_eq_u32 s8, 0
                                        ; implicit-def: $sgpr8_sgpr9
	s_cbranch_scc1 .LBB119_3
; %bb.2:
	s_load_b96 s[16:18], s[0:1], 0x18
	s_wait_kmcnt 0x0
	s_mul_u64 s[4:5], s[4:5], s[10:11]
	s_delay_alu instid0(SALU_CYCLE_1) | instskip(SKIP_4) | instid1(SALU_CYCLE_1)
	s_lshl_b64 s[4:5], s[4:5], 2
	s_ashr_i32 s9, s18, 31
	s_mov_b32 s8, s18
	s_add_nc_u64 s[4:5], s[16:17], s[4:5]
	s_lshl_b64 s[8:9], s[8:9], 2
	s_add_nc_u64 s[8:9], s[4:5], s[8:9]
.LBB119_3:
	s_wait_kmcnt 0x0
	s_clause 0x1
	s_load_b64 s[4:5], s[0:1], 0x8
	s_load_b32 s13, s[0:1], 0x38
	v_dual_mov_b32 v3, 0 :: v_dual_lshlrev_b32 v2, 3, v0
	s_wait_kmcnt 0x0
	s_ashr_i32 s1, s4, 31
	s_mov_b32 s0, s4
	s_delay_alu instid0(SALU_CYCLE_1) | instskip(NEXT) | instid1(SALU_CYCLE_1)
	s_lshl_b64 s[0:1], s[0:1], 3
	s_add_nc_u64 s[2:3], s[2:3], s[0:1]
	s_ashr_i32 s1, s5, 31
	flat_load_b64 v[8:9], v0, s[2:3] scale_offset
	v_add_nc_u64_e32 v[4:5], s[2:3], v[2:3]
	s_mov_b32 s0, s5
	s_bitcmp0_b32 s13, 0
	s_delay_alu instid0(VALU_DEP_1)
	v_lshl_add_u64 v[6:7], s[0:1], 3, v[4:5]
	s_mov_b32 s1, -1
	s_wait_loadcnt_dscnt 0x0
	scratch_store_b64 off, v[8:9], off
	flat_load_b64 v[10:11], v[6:7]
	s_wait_xcnt 0x1
	v_add3_u32 v8, s5, s5, v0
	s_wait_loadcnt_dscnt 0x0
	scratch_store_b64 off, v[10:11], off offset:8
	flat_load_b64 v[12:13], v8, s[2:3] scale_offset
	s_wait_xcnt 0x1
	v_add_nc_u32_e32 v10, s5, v8
	s_wait_loadcnt_dscnt 0x0
	scratch_store_b64 off, v[12:13], off offset:16
	flat_load_b64 v[14:15], v10, s[2:3] scale_offset
	s_wait_xcnt 0x1
	v_add_nc_u32_e32 v12, s5, v10
	s_wait_loadcnt_dscnt 0x0
	scratch_store_b64 off, v[14:15], off offset:24
	flat_load_b64 v[16:17], v12, s[2:3] scale_offset
	s_wait_xcnt 0x1
	v_add_nc_u32_e32 v14, s5, v12
	s_wait_loadcnt_dscnt 0x0
	scratch_store_b64 off, v[16:17], off offset:32
	flat_load_b64 v[18:19], v14, s[2:3] scale_offset
	s_wait_xcnt 0x1
	v_add_nc_u32_e32 v16, s5, v14
	s_wait_loadcnt_dscnt 0x0
	scratch_store_b64 off, v[18:19], off offset:40
	flat_load_b64 v[20:21], v16, s[2:3] scale_offset
	s_wait_xcnt 0x1
	v_add_nc_u32_e32 v18, s5, v16
	s_wait_loadcnt_dscnt 0x0
	scratch_store_b64 off, v[20:21], off offset:48
	flat_load_b64 v[22:23], v18, s[2:3] scale_offset
	s_wait_xcnt 0x1
	v_add_nc_u32_e32 v20, s5, v18
	s_wait_loadcnt_dscnt 0x0
	scratch_store_b64 off, v[22:23], off offset:56
	flat_load_b64 v[24:25], v20, s[2:3] scale_offset
	s_wait_xcnt 0x1
	v_add_nc_u32_e32 v22, s5, v20
	s_wait_loadcnt_dscnt 0x0
	scratch_store_b64 off, v[24:25], off offset:64
	flat_load_b64 v[26:27], v22, s[2:3] scale_offset
	s_wait_xcnt 0x1
	v_add_nc_u32_e32 v24, s5, v22
	s_wait_loadcnt_dscnt 0x0
	scratch_store_b64 off, v[26:27], off offset:72
	flat_load_b64 v[28:29], v24, s[2:3] scale_offset
	s_wait_xcnt 0x1
	v_add_nc_u32_e32 v26, s5, v24
	s_wait_loadcnt_dscnt 0x0
	scratch_store_b64 off, v[28:29], off offset:80
	flat_load_b64 v[30:31], v26, s[2:3] scale_offset
	s_wait_xcnt 0x1
	v_add_nc_u32_e32 v28, s5, v26
	s_wait_loadcnt_dscnt 0x0
	scratch_store_b64 off, v[30:31], off offset:88
	flat_load_b64 v[32:33], v28, s[2:3] scale_offset
	s_wait_xcnt 0x1
	v_add_nc_u32_e32 v30, s5, v28
	s_wait_loadcnt_dscnt 0x0
	scratch_store_b64 off, v[32:33], off offset:96
	flat_load_b64 v[34:35], v30, s[2:3] scale_offset
	s_wait_xcnt 0x1
	v_add_nc_u32_e32 v32, s5, v30
	s_wait_loadcnt_dscnt 0x0
	scratch_store_b64 off, v[34:35], off offset:104
	flat_load_b64 v[36:37], v32, s[2:3] scale_offset
	s_wait_xcnt 0x1
	v_add_nc_u32_e32 v34, s5, v32
	s_wait_loadcnt_dscnt 0x0
	scratch_store_b64 off, v[36:37], off offset:112
	flat_load_b64 v[38:39], v34, s[2:3] scale_offset
	s_wait_xcnt 0x1
	v_add_nc_u32_e32 v36, s5, v34
	s_wait_loadcnt_dscnt 0x0
	scratch_store_b64 off, v[38:39], off offset:120
	flat_load_b64 v[40:41], v36, s[2:3] scale_offset
	s_wait_xcnt 0x1
	v_add_nc_u32_e32 v38, s5, v36
	s_wait_loadcnt_dscnt 0x0
	scratch_store_b64 off, v[40:41], off offset:128
	flat_load_b64 v[42:43], v38, s[2:3] scale_offset
	s_wait_xcnt 0x1
	v_add_nc_u32_e32 v40, s5, v38
	s_wait_loadcnt_dscnt 0x0
	scratch_store_b64 off, v[42:43], off offset:136
	flat_load_b64 v[44:45], v40, s[2:3] scale_offset
	s_wait_xcnt 0x1
	v_add_nc_u32_e32 v42, s5, v40
	s_wait_loadcnt_dscnt 0x0
	scratch_store_b64 off, v[44:45], off offset:144
	flat_load_b64 v[46:47], v42, s[2:3] scale_offset
	s_wait_xcnt 0x1
	v_add_nc_u32_e32 v44, s5, v42
	s_wait_loadcnt_dscnt 0x0
	scratch_store_b64 off, v[46:47], off offset:152
	flat_load_b64 v[48:49], v44, s[2:3] scale_offset
	s_wait_xcnt 0x1
	v_add_nc_u32_e32 v46, s5, v44
	s_wait_loadcnt_dscnt 0x0
	scratch_store_b64 off, v[48:49], off offset:160
	flat_load_b64 v[50:51], v46, s[2:3] scale_offset
	s_wait_xcnt 0x1
	v_add_nc_u32_e32 v48, s5, v46
	s_wait_loadcnt_dscnt 0x0
	scratch_store_b64 off, v[50:51], off offset:168
	flat_load_b64 v[52:53], v48, s[2:3] scale_offset
	s_wait_xcnt 0x1
	v_add_nc_u32_e32 v50, s5, v48
	s_wait_loadcnt_dscnt 0x0
	scratch_store_b64 off, v[52:53], off offset:176
	flat_load_b64 v[54:55], v50, s[2:3] scale_offset
	s_wait_xcnt 0x1
	v_add_nc_u32_e32 v52, s5, v50
	s_wait_loadcnt_dscnt 0x0
	scratch_store_b64 off, v[54:55], off offset:184
	flat_load_b64 v[56:57], v52, s[2:3] scale_offset
	s_wait_xcnt 0x1
	v_add_nc_u32_e32 v54, s5, v52
	s_wait_loadcnt_dscnt 0x0
	scratch_store_b64 off, v[56:57], off offset:192
	flat_load_b64 v[58:59], v54, s[2:3] scale_offset
	s_wait_xcnt 0x1
	v_add_nc_u32_e32 v56, s5, v54
	s_wait_loadcnt_dscnt 0x0
	scratch_store_b64 off, v[58:59], off offset:200
	flat_load_b64 v[60:61], v56, s[2:3] scale_offset
	s_wait_xcnt 0x1
	v_add_nc_u32_e32 v58, s5, v56
	s_wait_loadcnt_dscnt 0x0
	scratch_store_b64 off, v[60:61], off offset:208
	flat_load_b64 v[62:63], v58, s[2:3] scale_offset
	s_wait_xcnt 0x1
	v_add_nc_u32_e32 v60, s5, v58
	s_wait_loadcnt_dscnt 0x0
	scratch_store_b64 off, v[62:63], off offset:216
	flat_load_b64 v[64:65], v60, s[2:3] scale_offset
	s_wait_xcnt 0x1
	v_add_nc_u32_e32 v62, s5, v60
	s_wait_loadcnt_dscnt 0x0
	scratch_store_b64 off, v[64:65], off offset:224
	flat_load_b64 v[66:67], v62, s[2:3] scale_offset
	s_wait_xcnt 0x1
	v_add_nc_u32_e32 v64, s5, v62
	s_wait_loadcnt_dscnt 0x0
	scratch_store_b64 off, v[66:67], off offset:232
	flat_load_b64 v[68:69], v64, s[2:3] scale_offset
	s_wait_xcnt 0x1
	v_add_nc_u32_e32 v66, s5, v64
	s_wait_loadcnt_dscnt 0x0
	scratch_store_b64 off, v[68:69], off offset:240
	flat_load_b64 v[70:71], v66, s[2:3] scale_offset
	s_wait_xcnt 0x1
	v_add_nc_u32_e32 v68, s5, v66
	s_wait_loadcnt_dscnt 0x0
	scratch_store_b64 off, v[70:71], off offset:248
	flat_load_b64 v[72:73], v68, s[2:3] scale_offset
	s_wait_xcnt 0x1
	v_add_nc_u32_e32 v70, s5, v68
	s_wait_loadcnt_dscnt 0x0
	scratch_store_b64 off, v[72:73], off offset:256
	flat_load_b64 v[74:75], v70, s[2:3] scale_offset
	s_wait_xcnt 0x1
	v_add_nc_u32_e32 v72, s5, v70
	s_wait_loadcnt_dscnt 0x0
	scratch_store_b64 off, v[74:75], off offset:264
	flat_load_b64 v[76:77], v72, s[2:3] scale_offset
	s_wait_xcnt 0x1
	v_add_nc_u32_e32 v74, s5, v72
	s_wait_loadcnt_dscnt 0x0
	scratch_store_b64 off, v[76:77], off offset:272
	flat_load_b64 v[78:79], v74, s[2:3] scale_offset
	s_wait_xcnt 0x1
	v_add_nc_u32_e32 v76, s5, v74
	s_wait_loadcnt_dscnt 0x0
	scratch_store_b64 off, v[78:79], off offset:280
	flat_load_b64 v[80:81], v76, s[2:3] scale_offset
	s_wait_xcnt 0x1
	v_add_nc_u32_e32 v78, s5, v76
	s_wait_loadcnt_dscnt 0x0
	scratch_store_b64 off, v[80:81], off offset:288
	flat_load_b64 v[82:83], v78, s[2:3] scale_offset
	s_wait_xcnt 0x1
	v_add_nc_u32_e32 v80, s5, v78
	s_wait_loadcnt_dscnt 0x0
	scratch_store_b64 off, v[82:83], off offset:296
	flat_load_b64 v[84:85], v80, s[2:3] scale_offset
	s_wait_xcnt 0x1
	v_add_nc_u32_e32 v82, s5, v80
	s_wait_loadcnt_dscnt 0x0
	scratch_store_b64 off, v[84:85], off offset:304
	flat_load_b64 v[86:87], v82, s[2:3] scale_offset
	s_wait_xcnt 0x1
	v_add_nc_u32_e32 v84, s5, v82
	s_wait_loadcnt_dscnt 0x0
	scratch_store_b64 off, v[86:87], off offset:312
	flat_load_b64 v[88:89], v84, s[2:3] scale_offset
	s_wait_xcnt 0x1
	v_add_nc_u32_e32 v86, s5, v84
	s_wait_loadcnt_dscnt 0x0
	scratch_store_b64 off, v[88:89], off offset:320
	flat_load_b64 v[90:91], v86, s[2:3] scale_offset
	s_wait_xcnt 0x1
	v_add_nc_u32_e32 v88, s5, v86
	s_wait_loadcnt_dscnt 0x0
	scratch_store_b64 off, v[90:91], off offset:328
	flat_load_b64 v[92:93], v88, s[2:3] scale_offset
	s_wait_xcnt 0x1
	v_add_nc_u32_e32 v90, s5, v88
	s_wait_loadcnt_dscnt 0x0
	scratch_store_b64 off, v[92:93], off offset:336
	flat_load_b64 v[94:95], v90, s[2:3] scale_offset
	s_wait_xcnt 0x1
	v_add_nc_u32_e32 v92, s5, v90
	s_wait_loadcnt_dscnt 0x0
	scratch_store_b64 off, v[94:95], off offset:344
	flat_load_b64 v[96:97], v92, s[2:3] scale_offset
	s_wait_xcnt 0x1
	v_add_nc_u32_e32 v94, s5, v92
	s_wait_loadcnt_dscnt 0x0
	scratch_store_b64 off, v[96:97], off offset:352
	flat_load_b64 v[98:99], v94, s[2:3] scale_offset
	s_wait_xcnt 0x1
	v_add_nc_u32_e32 v96, s5, v94
	s_wait_loadcnt_dscnt 0x0
	scratch_store_b64 off, v[98:99], off offset:360
	flat_load_b64 v[100:101], v96, s[2:3] scale_offset
	s_wait_xcnt 0x1
	v_add_nc_u32_e32 v98, s5, v96
	s_wait_loadcnt_dscnt 0x0
	scratch_store_b64 off, v[100:101], off offset:368
	flat_load_b64 v[102:103], v98, s[2:3] scale_offset
	s_wait_xcnt 0x1
	v_add_nc_u32_e32 v100, s5, v98
	s_wait_loadcnt_dscnt 0x0
	scratch_store_b64 off, v[102:103], off offset:376
	flat_load_b64 v[104:105], v100, s[2:3] scale_offset
	s_wait_xcnt 0x1
	v_add_nc_u32_e32 v102, s5, v100
	s_wait_loadcnt_dscnt 0x0
	scratch_store_b64 off, v[104:105], off offset:384
	flat_load_b64 v[106:107], v102, s[2:3] scale_offset
	s_wait_xcnt 0x1
	v_add_nc_u32_e32 v104, s5, v102
	s_wait_loadcnt_dscnt 0x0
	scratch_store_b64 off, v[106:107], off offset:392
	flat_load_b64 v[108:109], v104, s[2:3] scale_offset
	s_wait_xcnt 0x1
	v_add_nc_u32_e32 v106, s5, v104
	s_wait_loadcnt_dscnt 0x0
	scratch_store_b64 off, v[108:109], off offset:400
	flat_load_b64 v[110:111], v106, s[2:3] scale_offset
	s_wait_xcnt 0x1
	v_add_nc_u32_e32 v108, s5, v106
	s_wait_loadcnt_dscnt 0x0
	scratch_store_b64 off, v[110:111], off offset:408
	flat_load_b64 v[112:113], v108, s[2:3] scale_offset
	s_wait_xcnt 0x1
	v_add_nc_u32_e32 v110, s5, v108
	s_wait_loadcnt_dscnt 0x0
	scratch_store_b64 off, v[112:113], off offset:416
	flat_load_b64 v[114:115], v110, s[2:3] scale_offset
	s_wait_xcnt 0x1
	v_add_nc_u32_e32 v112, s5, v110
	s_wait_loadcnt_dscnt 0x0
	scratch_store_b64 off, v[114:115], off offset:424
	flat_load_b64 v[116:117], v112, s[2:3] scale_offset
	s_wait_xcnt 0x1
	v_add_nc_u32_e32 v114, s5, v112
	s_wait_loadcnt_dscnt 0x0
	scratch_store_b64 off, v[116:117], off offset:432
	flat_load_b64 v[116:117], v114, s[2:3] scale_offset
	s_wait_loadcnt_dscnt 0x0
	scratch_store_b64 off, v[116:117], off offset:440
	s_cbranch_scc1 .LBB119_232
; %bb.4:
	v_cmp_eq_u32_e64 s0, 0, v0
	s_wait_xcnt 0x0
	s_and_saveexec_b32 s1, s0
; %bb.5:
	v_mov_b32_e32 v1, 0
	ds_store_b32 v1, v1 offset:896
; %bb.6:
	s_or_b32 exec_lo, exec_lo, s1
	s_wait_storecnt_dscnt 0x0
	s_barrier_signal -1
	s_barrier_wait -1
	scratch_load_b64 v[116:117], v0, off scale_offset
	s_mov_b32 s4, exec_lo
	s_wait_loadcnt 0x0
	v_cmpx_eq_f64_e32 0, v[116:117]
	s_cbranch_execz .LBB119_10
; %bb.7:
	v_mov_b32_e32 v1, 0
	s_mov_b32 s5, 0
	ds_load_b32 v3, v1 offset:896
	s_wait_dscnt 0x0
	v_readfirstlane_b32 s1, v3
	v_add_nc_u32_e32 v3, 1, v0
	s_cmp_eq_u32 s1, 0
	s_delay_alu instid0(VALU_DEP_1) | instskip(SKIP_1) | instid1(SALU_CYCLE_1)
	v_cmp_gt_i32_e32 vcc_lo, s1, v3
	s_cselect_b32 s13, -1, 0
	s_or_b32 s13, s13, vcc_lo
	s_delay_alu instid0(SALU_CYCLE_1)
	s_and_b32 exec_lo, exec_lo, s13
	s_cbranch_execz .LBB119_10
; %bb.8:
	v_mov_b32_e32 v9, s1
.LBB119_9:                              ; =>This Inner Loop Header: Depth=1
	ds_cmpstore_rtn_b32 v9, v1, v3, v9 offset:896
	s_wait_dscnt 0x0
	v_cmp_ne_u32_e32 vcc_lo, 0, v9
	v_cmp_le_i32_e64 s1, v9, v3
	s_and_b32 s1, vcc_lo, s1
	s_delay_alu instid0(SALU_CYCLE_1) | instskip(NEXT) | instid1(SALU_CYCLE_1)
	s_and_b32 s1, exec_lo, s1
	s_or_b32 s5, s1, s5
	s_delay_alu instid0(SALU_CYCLE_1)
	s_and_not1_b32 exec_lo, exec_lo, s5
	s_cbranch_execnz .LBB119_9
.LBB119_10:
	s_or_b32 exec_lo, exec_lo, s4
	v_mov_b32_e32 v1, 0
	s_barrier_signal -1
	s_barrier_wait -1
	ds_load_b32 v3, v1 offset:896
	s_and_saveexec_b32 s1, s0
	s_cbranch_execz .LBB119_12
; %bb.11:
	s_lshl_b64 s[4:5], s[10:11], 2
	s_delay_alu instid0(SALU_CYCLE_1)
	s_add_nc_u64 s[4:5], s[6:7], s[4:5]
	s_wait_dscnt 0x0
	global_store_b32 v1, v3, s[4:5]
.LBB119_12:
	s_wait_xcnt 0x0
	s_or_b32 exec_lo, exec_lo, s1
	s_wait_dscnt 0x0
	v_cmp_ne_u32_e32 vcc_lo, 0, v3
	s_mov_b32 s1, 0
	s_cbranch_vccnz .LBB119_232
; %bb.13:
	v_lshl_add_u32 v3, v0, 3, 0
	v_add_nc_u32_e32 v1, 0x1c0, v2
	scratch_load_b64 v[116:117], v3, off
	s_wait_loadcnt 0x0
	v_div_scale_f64 v[118:119], null, v[116:117], v[116:117], 1.0
	v_div_scale_f64 v[124:125], vcc_lo, 1.0, v[116:117], 1.0
	s_delay_alu instid0(VALU_DEP_2) | instskip(SKIP_1) | instid1(TRANS32_DEP_1)
	v_rcp_f64_e32 v[120:121], v[118:119]
	v_nop
	v_fma_f64 v[122:123], -v[118:119], v[120:121], 1.0
	s_delay_alu instid0(VALU_DEP_1) | instskip(NEXT) | instid1(VALU_DEP_1)
	v_fmac_f64_e32 v[120:121], v[120:121], v[122:123]
	v_fma_f64 v[122:123], -v[118:119], v[120:121], 1.0
	s_delay_alu instid0(VALU_DEP_1) | instskip(NEXT) | instid1(VALU_DEP_1)
	v_fmac_f64_e32 v[120:121], v[120:121], v[122:123]
	v_mul_f64_e32 v[122:123], v[124:125], v[120:121]
	s_delay_alu instid0(VALU_DEP_1) | instskip(NEXT) | instid1(VALU_DEP_1)
	v_fma_f64 v[118:119], -v[118:119], v[122:123], v[124:125]
	v_div_fmas_f64 v[118:119], v[118:119], v[120:121], v[122:123]
	s_delay_alu instid0(VALU_DEP_1)
	v_div_fixup_f64 v[116:117], v[118:119], v[116:117], 1.0
	scratch_store_b64 v3, v[116:117], off
	scratch_load_b64 v[118:119], off, off offset:8
	s_wait_xcnt 0x1
	v_xor_b32_e32 v117, 0x80000000, v117
	s_wait_loadcnt 0x0
	ds_store_2addr_b64 v2, v[116:117], v[118:119] offset1:56
	s_wait_storecnt_dscnt 0x0
	s_barrier_signal -1
	s_barrier_wait -1
	s_wait_xcnt 0x0
	s_and_saveexec_b32 s1, s0
	s_cbranch_execz .LBB119_15
; %bb.14:
	scratch_load_b64 v[116:117], v3, off
	ds_load_b64 v[118:119], v1
	s_wait_loadcnt_dscnt 0x0
	v_fma_f64 v[116:117], v[116:117], v[118:119], 0
	v_mov_b32_e32 v9, 0
	ds_load_b64 v[120:121], v9 offset:8
	s_wait_dscnt 0x0
	v_mul_f64_e32 v[116:117], v[116:117], v[120:121]
	scratch_store_b64 off, v[116:117], off offset:8
.LBB119_15:
	s_wait_xcnt 0x0
	s_or_b32 exec_lo, exec_lo, s1
	s_wait_storecnt 0x0
	s_barrier_signal -1
	s_barrier_wait -1
	scratch_load_b64 v[116:117], off, off offset:16
	s_mov_b32 s1, exec_lo
	s_wait_loadcnt 0x0
	ds_store_b64 v1, v[116:117]
	s_wait_dscnt 0x0
	s_barrier_signal -1
	s_barrier_wait -1
	v_cmpx_gt_u32_e32 2, v0
	s_cbranch_execz .LBB119_19
; %bb.16:
	scratch_load_b64 v[116:117], v3, off
	ds_load_b64 v[118:119], v1
	s_wait_loadcnt_dscnt 0x0
	v_fma_f64 v[116:117], v[116:117], v[118:119], 0
	s_and_saveexec_b32 s4, s0
	s_cbranch_execz .LBB119_18
; %bb.17:
	scratch_load_b64 v[118:119], off, off offset:8
	v_mov_b32_e32 v3, 0
	ds_load_b64 v[120:121], v3 offset:456
	s_wait_loadcnt_dscnt 0x0
	v_fmac_f64_e32 v[116:117], v[118:119], v[120:121]
.LBB119_18:
	s_or_b32 exec_lo, exec_lo, s4
	v_mov_b32_e32 v3, 0
	ds_load_b64 v[118:119], v3 offset:16
	s_wait_dscnt 0x0
	v_mul_f64_e32 v[116:117], v[116:117], v[118:119]
	scratch_store_b64 off, v[116:117], off offset:16
.LBB119_19:
	s_wait_xcnt 0x0
	s_or_b32 exec_lo, exec_lo, s1
	s_wait_storecnt 0x0
	s_barrier_signal -1
	s_barrier_wait -1
	scratch_load_b64 v[116:117], off, off offset:24
	v_add_nc_u32_e32 v3, -1, v0
	s_mov_b32 s0, exec_lo
	s_wait_loadcnt 0x0
	ds_store_b64 v1, v[116:117]
	s_wait_dscnt 0x0
	s_barrier_signal -1
	s_barrier_wait -1
	v_cmpx_gt_u32_e32 3, v0
	s_cbranch_execz .LBB119_23
; %bb.20:
	v_mov_b64_e32 v[116:117], 0
	v_dual_add_nc_u32 v9, -1, v0 :: v_dual_mov_b32 v13, v2
	v_add_nc_u32_e32 v11, 0x1c0, v2
	s_mov_b32 s1, 0
.LBB119_21:                             ; =>This Inner Loop Header: Depth=1
	scratch_load_b64 v[118:119], v13, off
	ds_load_b64 v[120:121], v11
	v_dual_add_nc_u32 v9, 1, v9 :: v_dual_add_nc_u32 v11, 8, v11
	s_wait_xcnt 0x0
	v_add_nc_u32_e32 v13, 8, v13
	s_delay_alu instid0(VALU_DEP_2)
	v_cmp_lt_u32_e32 vcc_lo, 1, v9
	s_or_b32 s1, vcc_lo, s1
	s_wait_loadcnt_dscnt 0x0
	v_fmac_f64_e32 v[116:117], v[118:119], v[120:121]
	s_and_not1_b32 exec_lo, exec_lo, s1
	s_cbranch_execnz .LBB119_21
; %bb.22:
	s_or_b32 exec_lo, exec_lo, s1
	v_mov_b32_e32 v9, 0
	ds_load_b64 v[118:119], v9 offset:24
	s_wait_dscnt 0x0
	v_mul_f64_e32 v[116:117], v[116:117], v[118:119]
	scratch_store_b64 off, v[116:117], off offset:24
.LBB119_23:
	s_wait_xcnt 0x0
	s_or_b32 exec_lo, exec_lo, s0
	s_wait_storecnt 0x0
	s_barrier_signal -1
	s_barrier_wait -1
	scratch_load_b64 v[116:117], off, off offset:32
	s_mov_b32 s0, exec_lo
	s_wait_loadcnt 0x0
	ds_store_b64 v1, v[116:117]
	s_wait_dscnt 0x0
	s_barrier_signal -1
	s_barrier_wait -1
	v_cmpx_gt_u32_e32 4, v0
	s_cbranch_execz .LBB119_27
; %bb.24:
	v_mov_b64_e32 v[116:117], 0
	v_dual_add_nc_u32 v9, -1, v0 :: v_dual_mov_b32 v13, v2
	v_add_nc_u32_e32 v11, 0x1c0, v2
	s_mov_b32 s1, 0
.LBB119_25:                             ; =>This Inner Loop Header: Depth=1
	scratch_load_b64 v[118:119], v13, off
	ds_load_b64 v[120:121], v11
	v_dual_add_nc_u32 v9, 1, v9 :: v_dual_add_nc_u32 v11, 8, v11
	s_wait_xcnt 0x0
	v_add_nc_u32_e32 v13, 8, v13
	s_delay_alu instid0(VALU_DEP_2)
	v_cmp_lt_u32_e32 vcc_lo, 2, v9
	s_or_b32 s1, vcc_lo, s1
	s_wait_loadcnt_dscnt 0x0
	v_fmac_f64_e32 v[116:117], v[118:119], v[120:121]
	s_and_not1_b32 exec_lo, exec_lo, s1
	s_cbranch_execnz .LBB119_25
; %bb.26:
	s_or_b32 exec_lo, exec_lo, s1
	v_mov_b32_e32 v9, 0
	ds_load_b64 v[118:119], v9 offset:32
	s_wait_dscnt 0x0
	v_mul_f64_e32 v[116:117], v[116:117], v[118:119]
	scratch_store_b64 off, v[116:117], off offset:32
.LBB119_27:
	s_wait_xcnt 0x0
	s_or_b32 exec_lo, exec_lo, s0
	s_wait_storecnt 0x0
	s_barrier_signal -1
	s_barrier_wait -1
	scratch_load_b64 v[116:117], off, off offset:40
	;; [unrolled: 40-line block ×20, first 2 shown]
	s_mov_b32 s0, exec_lo
	s_wait_loadcnt 0x0
	ds_store_b64 v1, v[116:117]
	s_wait_dscnt 0x0
	s_barrier_signal -1
	s_barrier_wait -1
	v_cmpx_gt_u32_e32 23, v0
	s_cbranch_execz .LBB119_103
; %bb.100:
	v_mov_b64_e32 v[116:117], 0
	v_dual_add_nc_u32 v9, -1, v0 :: v_dual_mov_b32 v13, v2
	v_add_nc_u32_e32 v11, 0x1c0, v2
	s_mov_b32 s1, 0
.LBB119_101:                            ; =>This Inner Loop Header: Depth=1
	scratch_load_b64 v[118:119], v13, off
	ds_load_b64 v[120:121], v11
	v_dual_add_nc_u32 v9, 1, v9 :: v_dual_add_nc_u32 v11, 8, v11
	s_wait_xcnt 0x0
	v_add_nc_u32_e32 v13, 8, v13
	s_delay_alu instid0(VALU_DEP_2)
	v_cmp_lt_u32_e32 vcc_lo, 21, v9
	s_or_b32 s1, vcc_lo, s1
	s_wait_loadcnt_dscnt 0x0
	v_fmac_f64_e32 v[116:117], v[118:119], v[120:121]
	s_and_not1_b32 exec_lo, exec_lo, s1
	s_cbranch_execnz .LBB119_101
; %bb.102:
	s_or_b32 exec_lo, exec_lo, s1
	v_mov_b32_e32 v9, 0
	ds_load_b64 v[118:119], v9 offset:184
	s_wait_dscnt 0x0
	v_mul_f64_e32 v[116:117], v[116:117], v[118:119]
	scratch_store_b64 off, v[116:117], off offset:184
.LBB119_103:
	s_wait_xcnt 0x0
	s_or_b32 exec_lo, exec_lo, s0
	s_wait_storecnt 0x0
	s_barrier_signal -1
	s_barrier_wait -1
	scratch_load_b64 v[116:117], off, off offset:192
	s_mov_b32 s0, exec_lo
	s_wait_loadcnt 0x0
	ds_store_b64 v1, v[116:117]
	s_wait_dscnt 0x0
	s_barrier_signal -1
	s_barrier_wait -1
	v_cmpx_gt_u32_e32 24, v0
	s_cbranch_execz .LBB119_107
; %bb.104:
	v_mov_b64_e32 v[116:117], 0
	v_dual_add_nc_u32 v9, -1, v0 :: v_dual_mov_b32 v13, v2
	v_add_nc_u32_e32 v11, 0x1c0, v2
	s_mov_b32 s1, 0
.LBB119_105:                            ; =>This Inner Loop Header: Depth=1
	scratch_load_b64 v[118:119], v13, off
	ds_load_b64 v[120:121], v11
	v_dual_add_nc_u32 v9, 1, v9 :: v_dual_add_nc_u32 v11, 8, v11
	s_wait_xcnt 0x0
	v_add_nc_u32_e32 v13, 8, v13
	s_delay_alu instid0(VALU_DEP_2)
	v_cmp_lt_u32_e32 vcc_lo, 22, v9
	s_or_b32 s1, vcc_lo, s1
	s_wait_loadcnt_dscnt 0x0
	v_fmac_f64_e32 v[116:117], v[118:119], v[120:121]
	s_and_not1_b32 exec_lo, exec_lo, s1
	s_cbranch_execnz .LBB119_105
; %bb.106:
	s_or_b32 exec_lo, exec_lo, s1
	v_mov_b32_e32 v9, 0
	ds_load_b64 v[118:119], v9 offset:192
	s_wait_dscnt 0x0
	v_mul_f64_e32 v[116:117], v[116:117], v[118:119]
	scratch_store_b64 off, v[116:117], off offset:192
.LBB119_107:
	s_wait_xcnt 0x0
	s_or_b32 exec_lo, exec_lo, s0
	s_wait_storecnt 0x0
	s_barrier_signal -1
	s_barrier_wait -1
	scratch_load_b64 v[116:117], off, off offset:200
	;; [unrolled: 40-line block ×32, first 2 shown]
	s_mov_b32 s0, exec_lo
	s_wait_loadcnt 0x0
	ds_store_b64 v1, v[116:117]
	s_wait_dscnt 0x0
	s_barrier_signal -1
	s_barrier_wait -1
	v_cmpx_ne_u32_e32 55, v0
	s_cbranch_execz .LBB119_231
; %bb.228:
	v_mov_b64_e32 v[116:117], 0
	s_mov_b32 s1, 0
.LBB119_229:                            ; =>This Inner Loop Header: Depth=1
	scratch_load_b64 v[118:119], v2, off
	ds_load_b64 v[120:121], v1
	v_dual_add_nc_u32 v3, 1, v3 :: v_dual_add_nc_u32 v1, 8, v1
	s_wait_xcnt 0x0
	v_add_nc_u32_e32 v2, 8, v2
	s_delay_alu instid0(VALU_DEP_2)
	v_cmp_lt_u32_e32 vcc_lo, 53, v3
	s_or_b32 s1, vcc_lo, s1
	s_wait_loadcnt_dscnt 0x0
	v_fmac_f64_e32 v[116:117], v[118:119], v[120:121]
	s_and_not1_b32 exec_lo, exec_lo, s1
	s_cbranch_execnz .LBB119_229
; %bb.230:
	s_or_b32 exec_lo, exec_lo, s1
	v_mov_b32_e32 v1, 0
	ds_load_b64 v[2:3], v1 offset:440
	s_wait_dscnt 0x0
	v_mul_f64_e32 v[2:3], v[116:117], v[2:3]
	scratch_store_b64 off, v[2:3], off offset:440
.LBB119_231:
	s_wait_xcnt 0x0
	s_or_b32 exec_lo, exec_lo, s0
	s_mov_b32 s1, -1
	s_wait_storecnt 0x0
	s_barrier_signal -1
	s_barrier_wait -1
.LBB119_232:
	s_and_b32 vcc_lo, exec_lo, s1
	s_cbranch_vccz .LBB119_234
; %bb.233:
	v_mov_b32_e32 v1, 0
	s_lshl_b64 s[0:1], s[10:11], 2
	s_delay_alu instid0(SALU_CYCLE_1)
	s_add_nc_u64 s[0:1], s[6:7], s[0:1]
	global_load_b32 v1, v1, s[0:1]
	s_wait_loadcnt 0x0
	v_cmp_ne_u32_e32 vcc_lo, 0, v1
	s_cbranch_vccz .LBB119_235
.LBB119_234:
	s_sendmsg sendmsg(MSG_DEALLOC_VGPRS)
	s_endpgm
.LBB119_235:
	s_wait_xcnt 0x0
	v_lshl_add_u32 v1, v0, 3, 0x1c0
	s_mov_b32 s0, exec_lo
	v_cmpx_eq_u32_e32 55, v0
	s_cbranch_execz .LBB119_237
; %bb.236:
	scratch_load_b64 v[2:3], off, off offset:432
	v_mov_b64_e32 v[116:117], 0
	scratch_store_b64 off, v[116:117], off offset:432
	s_wait_loadcnt 0x0
	ds_store_b64 v1, v[2:3]
.LBB119_237:
	s_wait_xcnt 0x0
	s_or_b32 exec_lo, exec_lo, s0
	s_wait_storecnt_dscnt 0x0
	s_barrier_signal -1
	s_barrier_wait -1
	scratch_load_b128 v[116:119], off, off offset:432
	v_mov_b32_e32 v2, 0
	s_mov_b32 s0, exec_lo
	ds_load_b64 v[120:121], v2 offset:888
	s_wait_loadcnt_dscnt 0x0
	v_fma_f64 v[118:119], v[118:119], v[120:121], 0
	s_delay_alu instid0(VALU_DEP_1)
	v_add_f64_e64 v[116:117], v[116:117], -v[118:119]
	scratch_store_b64 off, v[116:117], off offset:432
	s_wait_xcnt 0x0
	v_cmpx_lt_u32_e32 53, v0
	s_cbranch_execz .LBB119_239
; %bb.238:
	scratch_load_b64 v[116:117], off, off offset:424
	v_mov_b64_e32 v[118:119], 0
	scratch_store_b64 off, v[118:119], off offset:424
	s_wait_loadcnt 0x0
	ds_store_b64 v1, v[116:117]
.LBB119_239:
	s_wait_xcnt 0x0
	s_or_b32 exec_lo, exec_lo, s0
	s_wait_storecnt_dscnt 0x0
	s_barrier_signal -1
	s_barrier_wait -1
	s_clause 0x1
	scratch_load_b128 v[116:119], off, off offset:424
	scratch_load_b64 v[124:125], off, off offset:440
	ds_load_b128 v[120:123], v2 offset:880
	s_mov_b32 s0, exec_lo
	s_wait_loadcnt_dscnt 0x100
	v_fma_f64 v[2:3], v[118:119], v[120:121], 0
	s_wait_loadcnt 0x0
	s_delay_alu instid0(VALU_DEP_1) | instskip(NEXT) | instid1(VALU_DEP_1)
	v_fmac_f64_e32 v[2:3], v[124:125], v[122:123]
	v_add_f64_e64 v[2:3], v[116:117], -v[2:3]
	scratch_store_b64 off, v[2:3], off offset:424
	s_wait_xcnt 0x0
	v_cmpx_lt_u32_e32 52, v0
	s_cbranch_execz .LBB119_241
; %bb.240:
	scratch_load_b64 v[2:3], off, off offset:416
	v_mov_b64_e32 v[116:117], 0
	scratch_store_b64 off, v[116:117], off offset:416
	s_wait_loadcnt 0x0
	ds_store_b64 v1, v[2:3]
.LBB119_241:
	s_wait_xcnt 0x0
	s_or_b32 exec_lo, exec_lo, s0
	s_wait_storecnt_dscnt 0x0
	s_barrier_signal -1
	s_barrier_wait -1
	s_clause 0x1
	scratch_load_b128 v[116:119], off, off offset:416
	scratch_load_b128 v[120:123], off, off offset:432
	v_mov_b32_e32 v2, 0
	ds_load_2addr_b64 v[124:127], v2 offset0:109 offset1:110
	ds_load_b64 v[128:129], v2 offset:888
	s_mov_b32 s0, exec_lo
	s_wait_loadcnt_dscnt 0x101
	v_fma_f64 v[118:119], v[118:119], v[124:125], 0
	s_wait_loadcnt 0x0
	s_delay_alu instid0(VALU_DEP_1) | instskip(SKIP_1) | instid1(VALU_DEP_1)
	v_fmac_f64_e32 v[118:119], v[120:121], v[126:127]
	s_wait_dscnt 0x0
	v_fmac_f64_e32 v[118:119], v[122:123], v[128:129]
	s_delay_alu instid0(VALU_DEP_1)
	v_add_f64_e64 v[116:117], v[116:117], -v[118:119]
	scratch_store_b64 off, v[116:117], off offset:416
	s_wait_xcnt 0x0
	v_cmpx_lt_u32_e32 51, v0
	s_cbranch_execz .LBB119_243
; %bb.242:
	scratch_load_b64 v[116:117], off, off offset:408
	v_mov_b64_e32 v[118:119], 0
	scratch_store_b64 off, v[118:119], off offset:408
	s_wait_loadcnt 0x0
	ds_store_b64 v1, v[116:117]
.LBB119_243:
	s_wait_xcnt 0x0
	s_or_b32 exec_lo, exec_lo, s0
	s_wait_storecnt_dscnt 0x0
	s_barrier_signal -1
	s_barrier_wait -1
	s_clause 0x2
	scratch_load_b128 v[116:119], off, off offset:408
	scratch_load_b128 v[120:123], off, off offset:424
	scratch_load_b64 v[132:133], off, off offset:440
	ds_load_b128 v[124:127], v2 offset:864
	ds_load_b128 v[128:131], v2 offset:880
	s_mov_b32 s0, exec_lo
	s_wait_loadcnt_dscnt 0x201
	v_fma_f64 v[2:3], v[118:119], v[124:125], 0
	s_wait_loadcnt 0x1
	s_delay_alu instid0(VALU_DEP_1) | instskip(SKIP_1) | instid1(VALU_DEP_1)
	v_fmac_f64_e32 v[2:3], v[120:121], v[126:127]
	s_wait_dscnt 0x0
	v_fmac_f64_e32 v[2:3], v[122:123], v[128:129]
	s_wait_loadcnt 0x0
	s_delay_alu instid0(VALU_DEP_1) | instskip(NEXT) | instid1(VALU_DEP_1)
	v_fmac_f64_e32 v[2:3], v[132:133], v[130:131]
	v_add_f64_e64 v[2:3], v[116:117], -v[2:3]
	scratch_store_b64 off, v[2:3], off offset:408
	s_wait_xcnt 0x0
	v_cmpx_lt_u32_e32 50, v0
	s_cbranch_execz .LBB119_245
; %bb.244:
	scratch_load_b64 v[2:3], off, off offset:400
	v_mov_b64_e32 v[116:117], 0
	scratch_store_b64 off, v[116:117], off offset:400
	s_wait_loadcnt 0x0
	ds_store_b64 v1, v[2:3]
.LBB119_245:
	s_wait_xcnt 0x0
	s_or_b32 exec_lo, exec_lo, s0
	s_wait_storecnt_dscnt 0x0
	s_barrier_signal -1
	s_barrier_wait -1
	s_clause 0x2
	scratch_load_b128 v[116:119], off, off offset:400
	scratch_load_b128 v[120:123], off, off offset:416
	scratch_load_b128 v[124:127], off, off offset:432
	v_mov_b32_e32 v2, 0
	ds_load_2addr_b64 v[128:131], v2 offset0:107 offset1:108
	ds_load_2addr_b64 v[132:135], v2 offset0:109 offset1:110
	s_mov_b32 s0, exec_lo
	s_wait_loadcnt_dscnt 0x201
	v_fma_f64 v[118:119], v[118:119], v[128:129], 0
	s_wait_loadcnt 0x1
	s_delay_alu instid0(VALU_DEP_1) | instskip(SKIP_4) | instid1(VALU_DEP_1)
	v_fmac_f64_e32 v[118:119], v[120:121], v[130:131]
	ds_load_b64 v[120:121], v2 offset:888
	s_wait_dscnt 0x1
	v_fmac_f64_e32 v[118:119], v[122:123], v[132:133]
	s_wait_loadcnt 0x0
	v_fmac_f64_e32 v[118:119], v[124:125], v[134:135]
	s_wait_dscnt 0x0
	s_delay_alu instid0(VALU_DEP_1) | instskip(NEXT) | instid1(VALU_DEP_1)
	v_fmac_f64_e32 v[118:119], v[126:127], v[120:121]
	v_add_f64_e64 v[116:117], v[116:117], -v[118:119]
	scratch_store_b64 off, v[116:117], off offset:400
	s_wait_xcnt 0x0
	v_cmpx_lt_u32_e32 49, v0
	s_cbranch_execz .LBB119_247
; %bb.246:
	scratch_load_b64 v[116:117], off, off offset:392
	v_mov_b64_e32 v[118:119], 0
	scratch_store_b64 off, v[118:119], off offset:392
	s_wait_loadcnt 0x0
	ds_store_b64 v1, v[116:117]
.LBB119_247:
	s_wait_xcnt 0x0
	s_or_b32 exec_lo, exec_lo, s0
	s_wait_storecnt_dscnt 0x0
	s_barrier_signal -1
	s_barrier_wait -1
	s_clause 0x3
	scratch_load_b128 v[116:119], off, off offset:392
	scratch_load_b128 v[120:123], off, off offset:408
	;; [unrolled: 1-line block ×3, first 2 shown]
	scratch_load_b64 v[136:137], off, off offset:440
	ds_load_b128 v[128:131], v2 offset:848
	ds_load_b128 v[132:135], v2 offset:864
	s_mov_b32 s0, exec_lo
	s_wait_loadcnt_dscnt 0x301
	v_fma_f64 v[128:129], v[118:119], v[128:129], 0
	s_wait_loadcnt 0x2
	s_delay_alu instid0(VALU_DEP_1) | instskip(SKIP_4) | instid1(VALU_DEP_1)
	v_fmac_f64_e32 v[128:129], v[120:121], v[130:131]
	ds_load_b128 v[118:121], v2 offset:880
	s_wait_dscnt 0x1
	v_fmac_f64_e32 v[128:129], v[122:123], v[132:133]
	s_wait_loadcnt 0x1
	v_fmac_f64_e32 v[128:129], v[124:125], v[134:135]
	s_wait_dscnt 0x0
	s_delay_alu instid0(VALU_DEP_1) | instskip(SKIP_1) | instid1(VALU_DEP_1)
	v_fmac_f64_e32 v[128:129], v[126:127], v[118:119]
	s_wait_loadcnt 0x0
	v_fmac_f64_e32 v[128:129], v[136:137], v[120:121]
	s_delay_alu instid0(VALU_DEP_1)
	v_add_f64_e64 v[2:3], v[116:117], -v[128:129]
	scratch_store_b64 off, v[2:3], off offset:392
	s_wait_xcnt 0x0
	v_cmpx_lt_u32_e32 48, v0
	s_cbranch_execz .LBB119_249
; %bb.248:
	scratch_load_b64 v[2:3], off, off offset:384
	v_mov_b64_e32 v[116:117], 0
	scratch_store_b64 off, v[116:117], off offset:384
	s_wait_loadcnt 0x0
	ds_store_b64 v1, v[2:3]
.LBB119_249:
	s_wait_xcnt 0x0
	s_or_b32 exec_lo, exec_lo, s0
	s_wait_storecnt_dscnt 0x0
	s_barrier_signal -1
	s_barrier_wait -1
	s_clause 0x3
	scratch_load_b128 v[116:119], off, off offset:384
	scratch_load_b128 v[120:123], off, off offset:400
	scratch_load_b128 v[124:127], off, off offset:416
	scratch_load_b128 v[128:131], off, off offset:432
	v_mov_b32_e32 v2, 0
	ds_load_2addr_b64 v[132:135], v2 offset0:105 offset1:106
	ds_load_2addr_b64 v[136:139], v2 offset0:107 offset1:108
	s_mov_b32 s0, exec_lo
	s_wait_loadcnt_dscnt 0x301
	v_fma_f64 v[132:133], v[118:119], v[132:133], 0
	s_wait_loadcnt 0x2
	s_delay_alu instid0(VALU_DEP_1) | instskip(SKIP_1) | instid1(VALU_DEP_1)
	v_fmac_f64_e32 v[132:133], v[120:121], v[134:135]
	s_wait_dscnt 0x0
	v_fmac_f64_e32 v[132:133], v[122:123], v[136:137]
	ds_load_2addr_b64 v[118:121], v2 offset0:109 offset1:110
	ds_load_b64 v[122:123], v2 offset:888
	s_wait_loadcnt 0x1
	v_fmac_f64_e32 v[132:133], v[124:125], v[138:139]
	s_wait_dscnt 0x1
	s_delay_alu instid0(VALU_DEP_1) | instskip(SKIP_1) | instid1(VALU_DEP_1)
	v_fmac_f64_e32 v[132:133], v[126:127], v[118:119]
	s_wait_loadcnt 0x0
	v_fmac_f64_e32 v[132:133], v[128:129], v[120:121]
	s_wait_dscnt 0x0
	s_delay_alu instid0(VALU_DEP_1) | instskip(NEXT) | instid1(VALU_DEP_1)
	v_fmac_f64_e32 v[132:133], v[130:131], v[122:123]
	v_add_f64_e64 v[116:117], v[116:117], -v[132:133]
	scratch_store_b64 off, v[116:117], off offset:384
	s_wait_xcnt 0x0
	v_cmpx_lt_u32_e32 47, v0
	s_cbranch_execz .LBB119_251
; %bb.250:
	scratch_load_b64 v[116:117], off, off offset:376
	v_mov_b64_e32 v[118:119], 0
	scratch_store_b64 off, v[118:119], off offset:376
	s_wait_loadcnt 0x0
	ds_store_b64 v1, v[116:117]
.LBB119_251:
	s_wait_xcnt 0x0
	s_or_b32 exec_lo, exec_lo, s0
	s_wait_storecnt_dscnt 0x0
	s_barrier_signal -1
	s_barrier_wait -1
	s_clause 0x4
	scratch_load_b128 v[116:119], off, off offset:376
	scratch_load_b128 v[120:123], off, off offset:392
	;; [unrolled: 1-line block ×4, first 2 shown]
	scratch_load_b64 v[140:141], off, off offset:440
	ds_load_b128 v[132:135], v2 offset:832
	ds_load_b128 v[136:139], v2 offset:848
	s_mov_b32 s0, exec_lo
	s_wait_loadcnt_dscnt 0x401
	v_fma_f64 v[132:133], v[118:119], v[132:133], 0
	s_wait_loadcnt 0x3
	s_delay_alu instid0(VALU_DEP_1) | instskip(SKIP_1) | instid1(VALU_DEP_1)
	v_fmac_f64_e32 v[132:133], v[120:121], v[134:135]
	s_wait_dscnt 0x0
	v_fmac_f64_e32 v[132:133], v[122:123], v[136:137]
	s_wait_loadcnt 0x2
	s_delay_alu instid0(VALU_DEP_1)
	v_fmac_f64_e32 v[132:133], v[124:125], v[138:139]
	ds_load_b128 v[118:121], v2 offset:864
	ds_load_b128 v[122:125], v2 offset:880
	s_wait_dscnt 0x1
	v_fmac_f64_e32 v[132:133], v[126:127], v[118:119]
	s_wait_loadcnt 0x1
	s_delay_alu instid0(VALU_DEP_1) | instskip(SKIP_1) | instid1(VALU_DEP_1)
	v_fmac_f64_e32 v[132:133], v[128:129], v[120:121]
	s_wait_dscnt 0x0
	v_fmac_f64_e32 v[132:133], v[130:131], v[122:123]
	s_wait_loadcnt 0x0
	s_delay_alu instid0(VALU_DEP_1) | instskip(NEXT) | instid1(VALU_DEP_1)
	v_fmac_f64_e32 v[132:133], v[140:141], v[124:125]
	v_add_f64_e64 v[2:3], v[116:117], -v[132:133]
	scratch_store_b64 off, v[2:3], off offset:376
	s_wait_xcnt 0x0
	v_cmpx_lt_u32_e32 46, v0
	s_cbranch_execz .LBB119_253
; %bb.252:
	scratch_load_b64 v[2:3], off, off offset:368
	v_mov_b64_e32 v[116:117], 0
	scratch_store_b64 off, v[116:117], off offset:368
	s_wait_loadcnt 0x0
	ds_store_b64 v1, v[2:3]
.LBB119_253:
	s_wait_xcnt 0x0
	s_or_b32 exec_lo, exec_lo, s0
	s_wait_storecnt_dscnt 0x0
	s_barrier_signal -1
	s_barrier_wait -1
	s_clause 0x4
	scratch_load_b128 v[116:119], off, off offset:368
	scratch_load_b128 v[120:123], off, off offset:384
	;; [unrolled: 1-line block ×5, first 2 shown]
	v_mov_b32_e32 v2, 0
	ds_load_2addr_b64 v[136:139], v2 offset0:103 offset1:104
	ds_load_2addr_b64 v[140:143], v2 offset0:105 offset1:106
	s_mov_b32 s0, exec_lo
	s_wait_loadcnt_dscnt 0x401
	v_fma_f64 v[136:137], v[118:119], v[136:137], 0
	s_wait_loadcnt 0x3
	s_delay_alu instid0(VALU_DEP_1) | instskip(SKIP_1) | instid1(VALU_DEP_1)
	v_fmac_f64_e32 v[136:137], v[120:121], v[138:139]
	s_wait_dscnt 0x0
	v_fmac_f64_e32 v[136:137], v[122:123], v[140:141]
	s_wait_loadcnt 0x2
	s_delay_alu instid0(VALU_DEP_1)
	v_fmac_f64_e32 v[136:137], v[124:125], v[142:143]
	ds_load_2addr_b64 v[118:121], v2 offset0:107 offset1:108
	ds_load_2addr_b64 v[122:125], v2 offset0:109 offset1:110
	s_wait_dscnt 0x1
	v_fmac_f64_e32 v[136:137], v[126:127], v[118:119]
	ds_load_b64 v[118:119], v2 offset:888
	s_wait_loadcnt 0x1
	v_fmac_f64_e32 v[136:137], v[128:129], v[120:121]
	s_wait_dscnt 0x1
	s_delay_alu instid0(VALU_DEP_1) | instskip(SKIP_1) | instid1(VALU_DEP_1)
	v_fmac_f64_e32 v[136:137], v[130:131], v[122:123]
	s_wait_loadcnt 0x0
	v_fmac_f64_e32 v[136:137], v[132:133], v[124:125]
	s_wait_dscnt 0x0
	s_delay_alu instid0(VALU_DEP_1) | instskip(NEXT) | instid1(VALU_DEP_1)
	v_fmac_f64_e32 v[136:137], v[134:135], v[118:119]
	v_add_f64_e64 v[116:117], v[116:117], -v[136:137]
	scratch_store_b64 off, v[116:117], off offset:368
	s_wait_xcnt 0x0
	v_cmpx_lt_u32_e32 45, v0
	s_cbranch_execz .LBB119_255
; %bb.254:
	scratch_load_b64 v[116:117], off, off offset:360
	v_mov_b64_e32 v[118:119], 0
	scratch_store_b64 off, v[118:119], off offset:360
	s_wait_loadcnt 0x0
	ds_store_b64 v1, v[116:117]
.LBB119_255:
	s_wait_xcnt 0x0
	s_or_b32 exec_lo, exec_lo, s0
	s_wait_storecnt_dscnt 0x0
	s_barrier_signal -1
	s_barrier_wait -1
	s_clause 0x5
	scratch_load_b128 v[116:119], off, off offset:360
	scratch_load_b128 v[120:123], off, off offset:376
	;; [unrolled: 1-line block ×5, first 2 shown]
	scratch_load_b64 v[144:145], off, off offset:440
	ds_load_b128 v[136:139], v2 offset:816
	ds_load_b128 v[140:143], v2 offset:832
	s_mov_b32 s0, exec_lo
	s_wait_loadcnt_dscnt 0x501
	v_fma_f64 v[136:137], v[118:119], v[136:137], 0
	s_wait_loadcnt 0x4
	s_delay_alu instid0(VALU_DEP_1) | instskip(SKIP_1) | instid1(VALU_DEP_1)
	v_fmac_f64_e32 v[136:137], v[120:121], v[138:139]
	s_wait_dscnt 0x0
	v_fmac_f64_e32 v[136:137], v[122:123], v[140:141]
	s_wait_loadcnt 0x3
	s_delay_alu instid0(VALU_DEP_1)
	v_fmac_f64_e32 v[136:137], v[124:125], v[142:143]
	ds_load_b128 v[118:121], v2 offset:848
	ds_load_b128 v[122:125], v2 offset:864
	s_wait_dscnt 0x1
	v_fmac_f64_e32 v[136:137], v[126:127], v[118:119]
	s_wait_loadcnt 0x2
	s_delay_alu instid0(VALU_DEP_1) | instskip(SKIP_4) | instid1(VALU_DEP_1)
	v_fmac_f64_e32 v[136:137], v[128:129], v[120:121]
	ds_load_b128 v[118:121], v2 offset:880
	s_wait_dscnt 0x1
	v_fmac_f64_e32 v[136:137], v[130:131], v[122:123]
	s_wait_loadcnt 0x1
	v_fmac_f64_e32 v[136:137], v[132:133], v[124:125]
	s_wait_dscnt 0x0
	s_delay_alu instid0(VALU_DEP_1) | instskip(SKIP_1) | instid1(VALU_DEP_1)
	v_fmac_f64_e32 v[136:137], v[134:135], v[118:119]
	s_wait_loadcnt 0x0
	v_fmac_f64_e32 v[136:137], v[144:145], v[120:121]
	s_delay_alu instid0(VALU_DEP_1)
	v_add_f64_e64 v[2:3], v[116:117], -v[136:137]
	scratch_store_b64 off, v[2:3], off offset:360
	s_wait_xcnt 0x0
	v_cmpx_lt_u32_e32 44, v0
	s_cbranch_execz .LBB119_257
; %bb.256:
	scratch_load_b64 v[2:3], off, off offset:352
	v_mov_b64_e32 v[116:117], 0
	scratch_store_b64 off, v[116:117], off offset:352
	s_wait_loadcnt 0x0
	ds_store_b64 v1, v[2:3]
.LBB119_257:
	s_wait_xcnt 0x0
	s_or_b32 exec_lo, exec_lo, s0
	s_wait_storecnt_dscnt 0x0
	s_barrier_signal -1
	s_barrier_wait -1
	s_clause 0x5
	scratch_load_b128 v[116:119], off, off offset:352
	scratch_load_b128 v[120:123], off, off offset:368
	;; [unrolled: 1-line block ×6, first 2 shown]
	v_mov_b32_e32 v2, 0
	ds_load_2addr_b64 v[140:143], v2 offset0:101 offset1:102
	ds_load_2addr_b64 v[144:147], v2 offset0:103 offset1:104
	s_mov_b32 s0, exec_lo
	s_wait_loadcnt_dscnt 0x501
	v_fma_f64 v[140:141], v[118:119], v[140:141], 0
	s_wait_loadcnt 0x4
	s_delay_alu instid0(VALU_DEP_1) | instskip(SKIP_1) | instid1(VALU_DEP_1)
	v_fmac_f64_e32 v[140:141], v[120:121], v[142:143]
	s_wait_dscnt 0x0
	v_fmac_f64_e32 v[140:141], v[122:123], v[144:145]
	s_wait_loadcnt 0x3
	s_delay_alu instid0(VALU_DEP_1)
	v_fmac_f64_e32 v[140:141], v[124:125], v[146:147]
	ds_load_2addr_b64 v[118:121], v2 offset0:105 offset1:106
	ds_load_2addr_b64 v[122:125], v2 offset0:107 offset1:108
	s_wait_dscnt 0x1
	v_fmac_f64_e32 v[140:141], v[126:127], v[118:119]
	s_wait_loadcnt 0x2
	s_delay_alu instid0(VALU_DEP_1) | instskip(SKIP_1) | instid1(VALU_DEP_1)
	v_fmac_f64_e32 v[140:141], v[128:129], v[120:121]
	s_wait_dscnt 0x0
	v_fmac_f64_e32 v[140:141], v[130:131], v[122:123]
	ds_load_2addr_b64 v[118:121], v2 offset0:109 offset1:110
	ds_load_b64 v[122:123], v2 offset:888
	s_wait_loadcnt 0x1
	v_fmac_f64_e32 v[140:141], v[132:133], v[124:125]
	s_wait_dscnt 0x1
	s_delay_alu instid0(VALU_DEP_1) | instskip(SKIP_1) | instid1(VALU_DEP_1)
	v_fmac_f64_e32 v[140:141], v[134:135], v[118:119]
	s_wait_loadcnt 0x0
	v_fmac_f64_e32 v[140:141], v[136:137], v[120:121]
	s_wait_dscnt 0x0
	s_delay_alu instid0(VALU_DEP_1) | instskip(NEXT) | instid1(VALU_DEP_1)
	v_fmac_f64_e32 v[140:141], v[138:139], v[122:123]
	v_add_f64_e64 v[116:117], v[116:117], -v[140:141]
	scratch_store_b64 off, v[116:117], off offset:352
	s_wait_xcnt 0x0
	v_cmpx_lt_u32_e32 43, v0
	s_cbranch_execz .LBB119_259
; %bb.258:
	scratch_load_b64 v[116:117], off, off offset:344
	v_mov_b64_e32 v[118:119], 0
	scratch_store_b64 off, v[118:119], off offset:344
	s_wait_loadcnt 0x0
	ds_store_b64 v1, v[116:117]
.LBB119_259:
	s_wait_xcnt 0x0
	s_or_b32 exec_lo, exec_lo, s0
	s_wait_storecnt_dscnt 0x0
	s_barrier_signal -1
	s_barrier_wait -1
	s_clause 0x5
	scratch_load_b128 v[116:119], off, off offset:344
	scratch_load_b128 v[120:123], off, off offset:360
	;; [unrolled: 1-line block ×6, first 2 shown]
	ds_load_b128 v[140:143], v2 offset:800
	ds_load_b128 v[144:147], v2 offset:816
	s_mov_b32 s0, exec_lo
	s_wait_loadcnt_dscnt 0x501
	v_fma_f64 v[140:141], v[118:119], v[140:141], 0
	s_wait_loadcnt 0x4
	s_delay_alu instid0(VALU_DEP_1) | instskip(SKIP_4) | instid1(VALU_DEP_1)
	v_fmac_f64_e32 v[140:141], v[120:121], v[142:143]
	scratch_load_b64 v[142:143], off, off offset:440
	s_wait_dscnt 0x0
	v_fmac_f64_e32 v[140:141], v[122:123], v[144:145]
	s_wait_loadcnt 0x4
	v_fmac_f64_e32 v[140:141], v[124:125], v[146:147]
	ds_load_b128 v[118:121], v2 offset:832
	ds_load_b128 v[122:125], v2 offset:848
	s_wait_dscnt 0x1
	v_fmac_f64_e32 v[140:141], v[126:127], v[118:119]
	s_wait_loadcnt 0x3
	s_delay_alu instid0(VALU_DEP_1) | instskip(SKIP_1) | instid1(VALU_DEP_1)
	v_fmac_f64_e32 v[140:141], v[128:129], v[120:121]
	s_wait_dscnt 0x0
	v_fmac_f64_e32 v[140:141], v[130:131], v[122:123]
	s_wait_loadcnt 0x2
	s_delay_alu instid0(VALU_DEP_1)
	v_fmac_f64_e32 v[140:141], v[132:133], v[124:125]
	ds_load_b128 v[118:121], v2 offset:864
	ds_load_b128 v[122:125], v2 offset:880
	s_wait_dscnt 0x1
	v_fmac_f64_e32 v[140:141], v[134:135], v[118:119]
	s_wait_loadcnt 0x1
	s_delay_alu instid0(VALU_DEP_1) | instskip(SKIP_1) | instid1(VALU_DEP_1)
	v_fmac_f64_e32 v[140:141], v[136:137], v[120:121]
	s_wait_dscnt 0x0
	v_fmac_f64_e32 v[140:141], v[138:139], v[122:123]
	s_wait_loadcnt 0x0
	s_delay_alu instid0(VALU_DEP_1) | instskip(NEXT) | instid1(VALU_DEP_1)
	v_fmac_f64_e32 v[140:141], v[142:143], v[124:125]
	v_add_f64_e64 v[2:3], v[116:117], -v[140:141]
	scratch_store_b64 off, v[2:3], off offset:344
	s_wait_xcnt 0x0
	v_cmpx_lt_u32_e32 42, v0
	s_cbranch_execz .LBB119_261
; %bb.260:
	scratch_load_b64 v[2:3], off, off offset:336
	v_mov_b64_e32 v[116:117], 0
	scratch_store_b64 off, v[116:117], off offset:336
	s_wait_loadcnt 0x0
	ds_store_b64 v1, v[2:3]
.LBB119_261:
	s_wait_xcnt 0x0
	s_or_b32 exec_lo, exec_lo, s0
	s_wait_storecnt_dscnt 0x0
	s_barrier_signal -1
	s_barrier_wait -1
	s_clause 0x5
	scratch_load_b128 v[116:119], off, off offset:336
	scratch_load_b128 v[120:123], off, off offset:352
	;; [unrolled: 1-line block ×6, first 2 shown]
	v_mov_b32_e32 v2, 0
	ds_load_2addr_b64 v[140:143], v2 offset0:99 offset1:100
	ds_load_2addr_b64 v[144:147], v2 offset0:101 offset1:102
	s_mov_b32 s0, exec_lo
	s_wait_loadcnt_dscnt 0x501
	v_fma_f64 v[148:149], v[118:119], v[140:141], 0
	s_wait_loadcnt 0x4
	s_delay_alu instid0(VALU_DEP_1) | instskip(SKIP_4) | instid1(VALU_DEP_1)
	v_fmac_f64_e32 v[148:149], v[120:121], v[142:143]
	scratch_load_b128 v[118:121], off, off offset:432
	s_wait_dscnt 0x0
	v_fmac_f64_e32 v[148:149], v[122:123], v[144:145]
	s_wait_loadcnt 0x4
	v_fmac_f64_e32 v[148:149], v[124:125], v[146:147]
	ds_load_2addr_b64 v[122:125], v2 offset0:103 offset1:104
	ds_load_2addr_b64 v[140:143], v2 offset0:105 offset1:106
	s_wait_dscnt 0x1
	v_fmac_f64_e32 v[148:149], v[126:127], v[122:123]
	s_wait_loadcnt 0x3
	s_delay_alu instid0(VALU_DEP_1)
	v_fmac_f64_e32 v[148:149], v[128:129], v[124:125]
	ds_load_2addr_b64 v[122:125], v2 offset0:107 offset1:108
	ds_load_2addr_b64 v[126:129], v2 offset0:109 offset1:110
	s_wait_dscnt 0x2
	v_fmac_f64_e32 v[148:149], v[130:131], v[140:141]
	s_wait_loadcnt 0x2
	s_delay_alu instid0(VALU_DEP_1) | instskip(SKIP_1) | instid1(VALU_DEP_1)
	v_fmac_f64_e32 v[148:149], v[132:133], v[142:143]
	s_wait_dscnt 0x1
	v_fmac_f64_e32 v[148:149], v[134:135], v[122:123]
	s_wait_loadcnt 0x1
	s_delay_alu instid0(VALU_DEP_1) | instskip(SKIP_1) | instid1(VALU_DEP_1)
	v_fmac_f64_e32 v[148:149], v[136:137], v[124:125]
	s_wait_dscnt 0x0
	v_fmac_f64_e32 v[148:149], v[138:139], v[126:127]
	s_wait_loadcnt 0x0
	s_delay_alu instid0(VALU_DEP_1) | instskip(SKIP_3) | instid1(VALU_DEP_1)
	v_fmac_f64_e32 v[148:149], v[118:119], v[128:129]
	ds_load_b64 v[118:119], v2 offset:888
	s_wait_dscnt 0x0
	v_fmac_f64_e32 v[148:149], v[120:121], v[118:119]
	v_add_f64_e64 v[116:117], v[116:117], -v[148:149]
	scratch_store_b64 off, v[116:117], off offset:336
	s_wait_xcnt 0x0
	v_cmpx_lt_u32_e32 41, v0
	s_cbranch_execz .LBB119_263
; %bb.262:
	scratch_load_b64 v[116:117], off, off offset:328
	v_mov_b64_e32 v[118:119], 0
	scratch_store_b64 off, v[118:119], off offset:328
	s_wait_loadcnt 0x0
	ds_store_b64 v1, v[116:117]
.LBB119_263:
	s_wait_xcnt 0x0
	s_or_b32 exec_lo, exec_lo, s0
	s_wait_storecnt_dscnt 0x0
	s_barrier_signal -1
	s_barrier_wait -1
	s_clause 0x5
	scratch_load_b128 v[116:119], off, off offset:328
	scratch_load_b128 v[120:123], off, off offset:344
	scratch_load_b128 v[124:127], off, off offset:360
	scratch_load_b128 v[128:131], off, off offset:376
	scratch_load_b128 v[132:135], off, off offset:392
	scratch_load_b128 v[136:139], off, off offset:408
	ds_load_b128 v[140:143], v2 offset:784
	ds_load_b128 v[144:147], v2 offset:800
	s_mov_b32 s0, exec_lo
	s_wait_loadcnt_dscnt 0x501
	v_fma_f64 v[148:149], v[118:119], v[140:141], 0
	s_wait_loadcnt 0x4
	s_delay_alu instid0(VALU_DEP_1)
	v_fmac_f64_e32 v[148:149], v[120:121], v[142:143]
	scratch_load_b128 v[118:121], off, off offset:424
	s_wait_dscnt 0x0
	v_fmac_f64_e32 v[148:149], v[122:123], v[144:145]
	scratch_load_b64 v[144:145], off, off offset:440
	s_wait_loadcnt 0x5
	v_fmac_f64_e32 v[148:149], v[124:125], v[146:147]
	ds_load_b128 v[122:125], v2 offset:816
	ds_load_b128 v[140:143], v2 offset:832
	s_wait_dscnt 0x1
	v_fmac_f64_e32 v[148:149], v[126:127], v[122:123]
	s_wait_loadcnt 0x4
	s_delay_alu instid0(VALU_DEP_1)
	v_fmac_f64_e32 v[148:149], v[128:129], v[124:125]
	ds_load_b128 v[122:125], v2 offset:848
	ds_load_b128 v[126:129], v2 offset:864
	s_wait_dscnt 0x2
	v_fmac_f64_e32 v[148:149], v[130:131], v[140:141]
	s_wait_loadcnt 0x3
	s_delay_alu instid0(VALU_DEP_1) | instskip(SKIP_1) | instid1(VALU_DEP_1)
	v_fmac_f64_e32 v[148:149], v[132:133], v[142:143]
	s_wait_dscnt 0x1
	v_fmac_f64_e32 v[148:149], v[134:135], v[122:123]
	s_wait_loadcnt 0x2
	s_delay_alu instid0(VALU_DEP_1) | instskip(SKIP_4) | instid1(VALU_DEP_1)
	v_fmac_f64_e32 v[148:149], v[136:137], v[124:125]
	ds_load_b128 v[122:125], v2 offset:880
	s_wait_dscnt 0x1
	v_fmac_f64_e32 v[148:149], v[138:139], v[126:127]
	s_wait_loadcnt 0x1
	v_fmac_f64_e32 v[148:149], v[118:119], v[128:129]
	s_wait_dscnt 0x0
	s_delay_alu instid0(VALU_DEP_1) | instskip(SKIP_1) | instid1(VALU_DEP_1)
	v_fmac_f64_e32 v[148:149], v[120:121], v[122:123]
	s_wait_loadcnt 0x0
	v_fmac_f64_e32 v[148:149], v[144:145], v[124:125]
	s_delay_alu instid0(VALU_DEP_1)
	v_add_f64_e64 v[2:3], v[116:117], -v[148:149]
	scratch_store_b64 off, v[2:3], off offset:328
	s_wait_xcnt 0x0
	v_cmpx_lt_u32_e32 40, v0
	s_cbranch_execz .LBB119_265
; %bb.264:
	scratch_load_b64 v[2:3], off, off offset:320
	v_mov_b64_e32 v[116:117], 0
	scratch_store_b64 off, v[116:117], off offset:320
	s_wait_loadcnt 0x0
	ds_store_b64 v1, v[2:3]
.LBB119_265:
	s_wait_xcnt 0x0
	s_or_b32 exec_lo, exec_lo, s0
	s_wait_storecnt_dscnt 0x0
	s_barrier_signal -1
	s_barrier_wait -1
	s_clause 0x5
	scratch_load_b128 v[116:119], off, off offset:320
	scratch_load_b128 v[120:123], off, off offset:336
	;; [unrolled: 1-line block ×6, first 2 shown]
	v_mov_b32_e32 v2, 0
	ds_load_2addr_b64 v[140:143], v2 offset0:97 offset1:98
	ds_load_2addr_b64 v[144:147], v2 offset0:99 offset1:100
	s_mov_b32 s0, exec_lo
	s_wait_loadcnt_dscnt 0x501
	v_fma_f64 v[148:149], v[118:119], v[140:141], 0
	s_wait_loadcnt 0x4
	s_delay_alu instid0(VALU_DEP_1) | instskip(SKIP_4) | instid1(VALU_DEP_1)
	v_fmac_f64_e32 v[148:149], v[120:121], v[142:143]
	scratch_load_b128 v[118:121], off, off offset:416
	s_wait_dscnt 0x0
	v_fmac_f64_e32 v[148:149], v[122:123], v[144:145]
	s_wait_loadcnt 0x4
	v_fmac_f64_e32 v[148:149], v[124:125], v[146:147]
	scratch_load_b128 v[122:125], off, off offset:432
	ds_load_2addr_b64 v[140:143], v2 offset0:101 offset1:102
	ds_load_2addr_b64 v[144:147], v2 offset0:103 offset1:104
	s_wait_dscnt 0x1
	v_fmac_f64_e32 v[148:149], v[126:127], v[140:141]
	s_wait_loadcnt 0x4
	s_delay_alu instid0(VALU_DEP_1) | instskip(SKIP_1) | instid1(VALU_DEP_1)
	v_fmac_f64_e32 v[148:149], v[128:129], v[142:143]
	s_wait_dscnt 0x0
	v_fmac_f64_e32 v[148:149], v[130:131], v[144:145]
	s_wait_loadcnt 0x3
	s_delay_alu instid0(VALU_DEP_1)
	v_fmac_f64_e32 v[148:149], v[132:133], v[146:147]
	ds_load_2addr_b64 v[126:129], v2 offset0:105 offset1:106
	ds_load_2addr_b64 v[130:133], v2 offset0:107 offset1:108
	s_wait_dscnt 0x1
	v_fmac_f64_e32 v[148:149], v[134:135], v[126:127]
	s_wait_loadcnt 0x2
	s_delay_alu instid0(VALU_DEP_1) | instskip(SKIP_1) | instid1(VALU_DEP_1)
	v_fmac_f64_e32 v[148:149], v[136:137], v[128:129]
	s_wait_dscnt 0x0
	v_fmac_f64_e32 v[148:149], v[138:139], v[130:131]
	s_wait_loadcnt 0x1
	s_delay_alu instid0(VALU_DEP_1)
	v_fmac_f64_e32 v[148:149], v[118:119], v[132:133]
	ds_load_2addr_b64 v[126:129], v2 offset0:109 offset1:110
	ds_load_b64 v[118:119], v2 offset:888
	s_wait_dscnt 0x1
	v_fmac_f64_e32 v[148:149], v[120:121], v[126:127]
	s_wait_loadcnt 0x0
	s_delay_alu instid0(VALU_DEP_1) | instskip(SKIP_1) | instid1(VALU_DEP_1)
	v_fmac_f64_e32 v[148:149], v[122:123], v[128:129]
	s_wait_dscnt 0x0
	v_fmac_f64_e32 v[148:149], v[124:125], v[118:119]
	s_delay_alu instid0(VALU_DEP_1)
	v_add_f64_e64 v[116:117], v[116:117], -v[148:149]
	scratch_store_b64 off, v[116:117], off offset:320
	s_wait_xcnt 0x0
	v_cmpx_lt_u32_e32 39, v0
	s_cbranch_execz .LBB119_267
; %bb.266:
	scratch_load_b64 v[116:117], off, off offset:312
	v_mov_b64_e32 v[118:119], 0
	scratch_store_b64 off, v[118:119], off offset:312
	s_wait_loadcnt 0x0
	ds_store_b64 v1, v[116:117]
.LBB119_267:
	s_wait_xcnt 0x0
	s_or_b32 exec_lo, exec_lo, s0
	s_wait_storecnt_dscnt 0x0
	s_barrier_signal -1
	s_barrier_wait -1
	s_clause 0x5
	scratch_load_b128 v[116:119], off, off offset:312
	scratch_load_b128 v[120:123], off, off offset:328
	scratch_load_b128 v[124:127], off, off offset:344
	scratch_load_b128 v[128:131], off, off offset:360
	scratch_load_b128 v[132:135], off, off offset:376
	scratch_load_b128 v[136:139], off, off offset:392
	ds_load_b128 v[140:143], v2 offset:768
	ds_load_b128 v[144:147], v2 offset:784
	s_mov_b32 s0, exec_lo
	s_wait_loadcnt_dscnt 0x501
	v_fma_f64 v[148:149], v[118:119], v[140:141], 0
	s_wait_loadcnt 0x4
	s_delay_alu instid0(VALU_DEP_1) | instskip(SKIP_4) | instid1(VALU_DEP_1)
	v_fmac_f64_e32 v[148:149], v[120:121], v[142:143]
	scratch_load_b128 v[118:121], off, off offset:408
	s_wait_dscnt 0x0
	v_fmac_f64_e32 v[148:149], v[122:123], v[144:145]
	s_wait_loadcnt 0x4
	v_fmac_f64_e32 v[148:149], v[124:125], v[146:147]
	scratch_load_b128 v[122:125], off, off offset:424
	ds_load_b128 v[140:143], v2 offset:800
	ds_load_b128 v[144:147], v2 offset:816
	s_wait_dscnt 0x1
	v_fmac_f64_e32 v[148:149], v[126:127], v[140:141]
	scratch_load_b64 v[140:141], off, off offset:440
	s_wait_loadcnt 0x5
	v_fmac_f64_e32 v[148:149], v[128:129], v[142:143]
	s_wait_dscnt 0x0
	s_delay_alu instid0(VALU_DEP_1) | instskip(SKIP_1) | instid1(VALU_DEP_1)
	v_fmac_f64_e32 v[148:149], v[130:131], v[144:145]
	s_wait_loadcnt 0x4
	v_fmac_f64_e32 v[148:149], v[132:133], v[146:147]
	ds_load_b128 v[126:129], v2 offset:832
	ds_load_b128 v[130:133], v2 offset:848
	s_wait_dscnt 0x1
	v_fmac_f64_e32 v[148:149], v[134:135], v[126:127]
	s_wait_loadcnt 0x3
	s_delay_alu instid0(VALU_DEP_1) | instskip(SKIP_1) | instid1(VALU_DEP_1)
	v_fmac_f64_e32 v[148:149], v[136:137], v[128:129]
	s_wait_dscnt 0x0
	v_fmac_f64_e32 v[148:149], v[138:139], v[130:131]
	s_wait_loadcnt 0x2
	s_delay_alu instid0(VALU_DEP_1)
	v_fmac_f64_e32 v[148:149], v[118:119], v[132:133]
	ds_load_b128 v[126:129], v2 offset:864
	ds_load_b128 v[130:133], v2 offset:880
	s_wait_dscnt 0x1
	v_fmac_f64_e32 v[148:149], v[120:121], v[126:127]
	s_wait_loadcnt 0x1
	s_delay_alu instid0(VALU_DEP_1) | instskip(SKIP_1) | instid1(VALU_DEP_1)
	v_fmac_f64_e32 v[148:149], v[122:123], v[128:129]
	s_wait_dscnt 0x0
	v_fmac_f64_e32 v[148:149], v[124:125], v[130:131]
	s_wait_loadcnt 0x0
	s_delay_alu instid0(VALU_DEP_1) | instskip(NEXT) | instid1(VALU_DEP_1)
	v_fmac_f64_e32 v[148:149], v[140:141], v[132:133]
	v_add_f64_e64 v[2:3], v[116:117], -v[148:149]
	scratch_store_b64 off, v[2:3], off offset:312
	s_wait_xcnt 0x0
	v_cmpx_lt_u32_e32 38, v0
	s_cbranch_execz .LBB119_269
; %bb.268:
	scratch_load_b64 v[2:3], off, off offset:304
	v_mov_b64_e32 v[116:117], 0
	scratch_store_b64 off, v[116:117], off offset:304
	s_wait_loadcnt 0x0
	ds_store_b64 v1, v[2:3]
.LBB119_269:
	s_wait_xcnt 0x0
	s_or_b32 exec_lo, exec_lo, s0
	s_wait_storecnt_dscnt 0x0
	s_barrier_signal -1
	s_barrier_wait -1
	s_clause 0x5
	scratch_load_b128 v[116:119], off, off offset:304
	scratch_load_b128 v[120:123], off, off offset:320
	;; [unrolled: 1-line block ×6, first 2 shown]
	v_mov_b32_e32 v2, 0
	ds_load_2addr_b64 v[140:143], v2 offset0:95 offset1:96
	ds_load_2addr_b64 v[144:147], v2 offset0:97 offset1:98
	s_mov_b32 s0, exec_lo
	s_wait_loadcnt_dscnt 0x501
	v_fma_f64 v[148:149], v[118:119], v[140:141], 0
	s_wait_loadcnt 0x4
	s_delay_alu instid0(VALU_DEP_1) | instskip(SKIP_4) | instid1(VALU_DEP_1)
	v_fmac_f64_e32 v[148:149], v[120:121], v[142:143]
	scratch_load_b128 v[118:121], off, off offset:400
	s_wait_dscnt 0x0
	v_fmac_f64_e32 v[148:149], v[122:123], v[144:145]
	s_wait_loadcnt 0x4
	v_fmac_f64_e32 v[148:149], v[124:125], v[146:147]
	scratch_load_b128 v[122:125], off, off offset:416
	ds_load_2addr_b64 v[140:143], v2 offset0:99 offset1:100
	ds_load_2addr_b64 v[144:147], v2 offset0:101 offset1:102
	s_wait_dscnt 0x1
	v_fmac_f64_e32 v[148:149], v[126:127], v[140:141]
	s_wait_loadcnt 0x4
	s_delay_alu instid0(VALU_DEP_1) | instskip(SKIP_4) | instid1(VALU_DEP_1)
	v_fmac_f64_e32 v[148:149], v[128:129], v[142:143]
	scratch_load_b128 v[126:129], off, off offset:432
	s_wait_dscnt 0x0
	v_fmac_f64_e32 v[148:149], v[130:131], v[144:145]
	s_wait_loadcnt 0x4
	v_fmac_f64_e32 v[148:149], v[132:133], v[146:147]
	ds_load_2addr_b64 v[130:133], v2 offset0:103 offset1:104
	ds_load_2addr_b64 v[140:143], v2 offset0:105 offset1:106
	s_wait_dscnt 0x1
	v_fmac_f64_e32 v[148:149], v[134:135], v[130:131]
	s_wait_loadcnt 0x3
	s_delay_alu instid0(VALU_DEP_1)
	v_fmac_f64_e32 v[148:149], v[136:137], v[132:133]
	ds_load_2addr_b64 v[130:133], v2 offset0:107 offset1:108
	ds_load_2addr_b64 v[134:137], v2 offset0:109 offset1:110
	s_wait_dscnt 0x2
	v_fmac_f64_e32 v[148:149], v[138:139], v[140:141]
	s_wait_loadcnt 0x2
	s_delay_alu instid0(VALU_DEP_1) | instskip(SKIP_4) | instid1(VALU_DEP_1)
	v_fmac_f64_e32 v[148:149], v[118:119], v[142:143]
	ds_load_b64 v[118:119], v2 offset:888
	s_wait_dscnt 0x2
	v_fmac_f64_e32 v[148:149], v[120:121], v[130:131]
	s_wait_loadcnt 0x1
	v_fmac_f64_e32 v[148:149], v[122:123], v[132:133]
	s_wait_dscnt 0x1
	s_delay_alu instid0(VALU_DEP_1) | instskip(SKIP_1) | instid1(VALU_DEP_1)
	v_fmac_f64_e32 v[148:149], v[124:125], v[134:135]
	s_wait_loadcnt 0x0
	v_fmac_f64_e32 v[148:149], v[126:127], v[136:137]
	s_wait_dscnt 0x0
	s_delay_alu instid0(VALU_DEP_1) | instskip(NEXT) | instid1(VALU_DEP_1)
	v_fmac_f64_e32 v[148:149], v[128:129], v[118:119]
	v_add_f64_e64 v[116:117], v[116:117], -v[148:149]
	scratch_store_b64 off, v[116:117], off offset:304
	s_wait_xcnt 0x0
	v_cmpx_lt_u32_e32 37, v0
	s_cbranch_execz .LBB119_271
; %bb.270:
	scratch_load_b64 v[116:117], off, off offset:296
	v_mov_b64_e32 v[118:119], 0
	scratch_store_b64 off, v[118:119], off offset:296
	s_wait_loadcnt 0x0
	ds_store_b64 v1, v[116:117]
.LBB119_271:
	s_wait_xcnt 0x0
	s_or_b32 exec_lo, exec_lo, s0
	s_wait_storecnt_dscnt 0x0
	s_barrier_signal -1
	s_barrier_wait -1
	s_clause 0x5
	scratch_load_b128 v[116:119], off, off offset:296
	scratch_load_b128 v[120:123], off, off offset:312
	;; [unrolled: 1-line block ×6, first 2 shown]
	ds_load_b128 v[140:143], v2 offset:752
	ds_load_b128 v[144:147], v2 offset:768
	s_mov_b32 s0, exec_lo
	s_wait_loadcnt_dscnt 0x501
	v_fma_f64 v[148:149], v[118:119], v[140:141], 0
	s_wait_loadcnt 0x4
	s_delay_alu instid0(VALU_DEP_1) | instskip(SKIP_4) | instid1(VALU_DEP_1)
	v_fmac_f64_e32 v[148:149], v[120:121], v[142:143]
	scratch_load_b128 v[118:121], off, off offset:392
	s_wait_dscnt 0x0
	v_fmac_f64_e32 v[148:149], v[122:123], v[144:145]
	s_wait_loadcnt 0x4
	v_fmac_f64_e32 v[148:149], v[124:125], v[146:147]
	scratch_load_b128 v[122:125], off, off offset:408
	ds_load_b128 v[140:143], v2 offset:784
	ds_load_b128 v[144:147], v2 offset:800
	s_wait_dscnt 0x1
	v_fmac_f64_e32 v[148:149], v[126:127], v[140:141]
	s_wait_loadcnt 0x4
	s_delay_alu instid0(VALU_DEP_1)
	v_fmac_f64_e32 v[148:149], v[128:129], v[142:143]
	scratch_load_b128 v[126:129], off, off offset:424
	s_wait_dscnt 0x0
	v_fmac_f64_e32 v[148:149], v[130:131], v[144:145]
	scratch_load_b64 v[144:145], off, off offset:440
	s_wait_loadcnt 0x5
	v_fmac_f64_e32 v[148:149], v[132:133], v[146:147]
	ds_load_b128 v[130:133], v2 offset:816
	ds_load_b128 v[140:143], v2 offset:832
	s_wait_dscnt 0x1
	v_fmac_f64_e32 v[148:149], v[134:135], v[130:131]
	s_wait_loadcnt 0x4
	s_delay_alu instid0(VALU_DEP_1)
	v_fmac_f64_e32 v[148:149], v[136:137], v[132:133]
	ds_load_b128 v[130:133], v2 offset:848
	ds_load_b128 v[134:137], v2 offset:864
	s_wait_dscnt 0x2
	v_fmac_f64_e32 v[148:149], v[138:139], v[140:141]
	s_wait_loadcnt 0x3
	s_delay_alu instid0(VALU_DEP_1) | instskip(SKIP_1) | instid1(VALU_DEP_1)
	v_fmac_f64_e32 v[148:149], v[118:119], v[142:143]
	s_wait_dscnt 0x1
	v_fmac_f64_e32 v[148:149], v[120:121], v[130:131]
	ds_load_b128 v[118:121], v2 offset:880
	s_wait_loadcnt 0x2
	v_fmac_f64_e32 v[148:149], v[122:123], v[132:133]
	s_wait_dscnt 0x1
	s_delay_alu instid0(VALU_DEP_1) | instskip(SKIP_1) | instid1(VALU_DEP_1)
	v_fmac_f64_e32 v[148:149], v[124:125], v[134:135]
	s_wait_loadcnt 0x1
	v_fmac_f64_e32 v[148:149], v[126:127], v[136:137]
	s_wait_dscnt 0x0
	s_delay_alu instid0(VALU_DEP_1) | instskip(SKIP_1) | instid1(VALU_DEP_1)
	v_fmac_f64_e32 v[148:149], v[128:129], v[118:119]
	s_wait_loadcnt 0x0
	v_fmac_f64_e32 v[148:149], v[144:145], v[120:121]
	s_delay_alu instid0(VALU_DEP_1)
	v_add_f64_e64 v[2:3], v[116:117], -v[148:149]
	scratch_store_b64 off, v[2:3], off offset:296
	s_wait_xcnt 0x0
	v_cmpx_lt_u32_e32 36, v0
	s_cbranch_execz .LBB119_273
; %bb.272:
	scratch_load_b64 v[2:3], off, off offset:288
	v_mov_b64_e32 v[116:117], 0
	scratch_store_b64 off, v[116:117], off offset:288
	s_wait_loadcnt 0x0
	ds_store_b64 v1, v[2:3]
.LBB119_273:
	s_wait_xcnt 0x0
	s_or_b32 exec_lo, exec_lo, s0
	s_wait_storecnt_dscnt 0x0
	s_barrier_signal -1
	s_barrier_wait -1
	s_clause 0x5
	scratch_load_b128 v[116:119], off, off offset:288
	scratch_load_b128 v[120:123], off, off offset:304
	;; [unrolled: 1-line block ×6, first 2 shown]
	v_mov_b32_e32 v2, 0
	ds_load_2addr_b64 v[140:143], v2 offset0:93 offset1:94
	ds_load_2addr_b64 v[144:147], v2 offset0:95 offset1:96
	s_mov_b32 s0, exec_lo
	s_wait_loadcnt_dscnt 0x501
	v_fma_f64 v[148:149], v[118:119], v[140:141], 0
	s_wait_loadcnt 0x4
	s_delay_alu instid0(VALU_DEP_1) | instskip(SKIP_4) | instid1(VALU_DEP_1)
	v_fmac_f64_e32 v[148:149], v[120:121], v[142:143]
	scratch_load_b128 v[118:121], off, off offset:384
	s_wait_dscnt 0x0
	v_fmac_f64_e32 v[148:149], v[122:123], v[144:145]
	s_wait_loadcnt 0x4
	v_fmac_f64_e32 v[148:149], v[124:125], v[146:147]
	scratch_load_b128 v[122:125], off, off offset:400
	ds_load_2addr_b64 v[140:143], v2 offset0:97 offset1:98
	ds_load_2addr_b64 v[144:147], v2 offset0:99 offset1:100
	s_wait_dscnt 0x1
	v_fmac_f64_e32 v[148:149], v[126:127], v[140:141]
	s_wait_loadcnt 0x4
	s_delay_alu instid0(VALU_DEP_1) | instskip(SKIP_4) | instid1(VALU_DEP_1)
	v_fmac_f64_e32 v[148:149], v[128:129], v[142:143]
	scratch_load_b128 v[126:129], off, off offset:416
	s_wait_dscnt 0x0
	v_fmac_f64_e32 v[148:149], v[130:131], v[144:145]
	s_wait_loadcnt 0x4
	v_fmac_f64_e32 v[148:149], v[132:133], v[146:147]
	scratch_load_b128 v[130:133], off, off offset:432
	ds_load_2addr_b64 v[140:143], v2 offset0:101 offset1:102
	ds_load_2addr_b64 v[144:147], v2 offset0:103 offset1:104
	s_wait_dscnt 0x1
	v_fmac_f64_e32 v[148:149], v[134:135], v[140:141]
	s_wait_loadcnt 0x4
	s_delay_alu instid0(VALU_DEP_1) | instskip(SKIP_1) | instid1(VALU_DEP_1)
	v_fmac_f64_e32 v[148:149], v[136:137], v[142:143]
	s_wait_dscnt 0x0
	v_fmac_f64_e32 v[148:149], v[138:139], v[144:145]
	ds_load_2addr_b64 v[134:137], v2 offset0:105 offset1:106
	ds_load_2addr_b64 v[138:141], v2 offset0:107 offset1:108
	s_wait_loadcnt 0x3
	v_fmac_f64_e32 v[148:149], v[118:119], v[146:147]
	s_wait_dscnt 0x1
	s_delay_alu instid0(VALU_DEP_1) | instskip(SKIP_1) | instid1(VALU_DEP_1)
	v_fmac_f64_e32 v[148:149], v[120:121], v[134:135]
	s_wait_loadcnt 0x2
	v_fmac_f64_e32 v[148:149], v[122:123], v[136:137]
	ds_load_2addr_b64 v[118:121], v2 offset0:109 offset1:110
	ds_load_b64 v[122:123], v2 offset:888
	s_wait_dscnt 0x2
	v_fmac_f64_e32 v[148:149], v[124:125], v[138:139]
	s_wait_loadcnt 0x1
	s_delay_alu instid0(VALU_DEP_1) | instskip(SKIP_1) | instid1(VALU_DEP_1)
	v_fmac_f64_e32 v[148:149], v[126:127], v[140:141]
	s_wait_dscnt 0x1
	v_fmac_f64_e32 v[148:149], v[128:129], v[118:119]
	s_wait_loadcnt 0x0
	s_delay_alu instid0(VALU_DEP_1) | instskip(SKIP_1) | instid1(VALU_DEP_1)
	v_fmac_f64_e32 v[148:149], v[130:131], v[120:121]
	s_wait_dscnt 0x0
	v_fmac_f64_e32 v[148:149], v[132:133], v[122:123]
	s_delay_alu instid0(VALU_DEP_1)
	v_add_f64_e64 v[116:117], v[116:117], -v[148:149]
	scratch_store_b64 off, v[116:117], off offset:288
	s_wait_xcnt 0x0
	v_cmpx_lt_u32_e32 35, v0
	s_cbranch_execz .LBB119_275
; %bb.274:
	scratch_load_b64 v[116:117], off, off offset:280
	v_mov_b64_e32 v[118:119], 0
	scratch_store_b64 off, v[118:119], off offset:280
	s_wait_loadcnt 0x0
	ds_store_b64 v1, v[116:117]
.LBB119_275:
	s_wait_xcnt 0x0
	s_or_b32 exec_lo, exec_lo, s0
	s_wait_storecnt_dscnt 0x0
	s_barrier_signal -1
	s_barrier_wait -1
	s_clause 0x5
	scratch_load_b128 v[116:119], off, off offset:280
	scratch_load_b128 v[120:123], off, off offset:296
	;; [unrolled: 1-line block ×6, first 2 shown]
	ds_load_b128 v[140:143], v2 offset:736
	ds_load_b128 v[144:147], v2 offset:752
	s_mov_b32 s0, exec_lo
	s_wait_loadcnt_dscnt 0x501
	v_fma_f64 v[148:149], v[118:119], v[140:141], 0
	s_wait_loadcnt 0x4
	s_delay_alu instid0(VALU_DEP_1) | instskip(SKIP_4) | instid1(VALU_DEP_1)
	v_fmac_f64_e32 v[148:149], v[120:121], v[142:143]
	scratch_load_b128 v[118:121], off, off offset:376
	s_wait_dscnt 0x0
	v_fmac_f64_e32 v[148:149], v[122:123], v[144:145]
	s_wait_loadcnt 0x4
	v_fmac_f64_e32 v[148:149], v[124:125], v[146:147]
	scratch_load_b128 v[122:125], off, off offset:392
	ds_load_b128 v[140:143], v2 offset:768
	ds_load_b128 v[144:147], v2 offset:784
	s_wait_dscnt 0x1
	v_fmac_f64_e32 v[148:149], v[126:127], v[140:141]
	s_wait_loadcnt 0x4
	s_delay_alu instid0(VALU_DEP_1) | instskip(SKIP_4) | instid1(VALU_DEP_1)
	v_fmac_f64_e32 v[148:149], v[128:129], v[142:143]
	scratch_load_b128 v[126:129], off, off offset:408
	s_wait_dscnt 0x0
	v_fmac_f64_e32 v[148:149], v[130:131], v[144:145]
	s_wait_loadcnt 0x4
	v_fmac_f64_e32 v[148:149], v[132:133], v[146:147]
	scratch_load_b128 v[130:133], off, off offset:424
	ds_load_b128 v[140:143], v2 offset:800
	ds_load_b128 v[144:147], v2 offset:816
	s_wait_dscnt 0x1
	v_fmac_f64_e32 v[148:149], v[134:135], v[140:141]
	s_wait_loadcnt 0x4
	s_delay_alu instid0(VALU_DEP_1)
	v_fmac_f64_e32 v[148:149], v[136:137], v[142:143]
	scratch_load_b64 v[142:143], off, off offset:440
	s_wait_dscnt 0x0
	v_fmac_f64_e32 v[148:149], v[138:139], v[144:145]
	ds_load_b128 v[134:137], v2 offset:832
	ds_load_b128 v[138:141], v2 offset:848
	s_wait_loadcnt 0x4
	v_fmac_f64_e32 v[148:149], v[118:119], v[146:147]
	s_wait_dscnt 0x1
	s_delay_alu instid0(VALU_DEP_1) | instskip(SKIP_1) | instid1(VALU_DEP_1)
	v_fmac_f64_e32 v[148:149], v[120:121], v[134:135]
	s_wait_loadcnt 0x3
	v_fmac_f64_e32 v[148:149], v[122:123], v[136:137]
	s_wait_dscnt 0x0
	s_delay_alu instid0(VALU_DEP_1)
	v_fmac_f64_e32 v[148:149], v[124:125], v[138:139]
	ds_load_b128 v[118:121], v2 offset:864
	ds_load_b128 v[122:125], v2 offset:880
	s_wait_loadcnt 0x2
	v_fmac_f64_e32 v[148:149], v[126:127], v[140:141]
	s_wait_dscnt 0x1
	s_delay_alu instid0(VALU_DEP_1) | instskip(SKIP_1) | instid1(VALU_DEP_1)
	v_fmac_f64_e32 v[148:149], v[128:129], v[118:119]
	s_wait_loadcnt 0x1
	v_fmac_f64_e32 v[148:149], v[130:131], v[120:121]
	s_wait_dscnt 0x0
	s_delay_alu instid0(VALU_DEP_1) | instskip(SKIP_1) | instid1(VALU_DEP_1)
	v_fmac_f64_e32 v[148:149], v[132:133], v[122:123]
	s_wait_loadcnt 0x0
	v_fmac_f64_e32 v[148:149], v[142:143], v[124:125]
	s_delay_alu instid0(VALU_DEP_1)
	v_add_f64_e64 v[2:3], v[116:117], -v[148:149]
	scratch_store_b64 off, v[2:3], off offset:280
	s_wait_xcnt 0x0
	v_cmpx_lt_u32_e32 34, v0
	s_cbranch_execz .LBB119_277
; %bb.276:
	scratch_load_b64 v[2:3], off, off offset:272
	v_mov_b64_e32 v[116:117], 0
	scratch_store_b64 off, v[116:117], off offset:272
	s_wait_loadcnt 0x0
	ds_store_b64 v1, v[2:3]
.LBB119_277:
	s_wait_xcnt 0x0
	s_or_b32 exec_lo, exec_lo, s0
	s_wait_storecnt_dscnt 0x0
	s_barrier_signal -1
	s_barrier_wait -1
	s_clause 0x5
	scratch_load_b128 v[116:119], off, off offset:272
	scratch_load_b128 v[120:123], off, off offset:288
	;; [unrolled: 1-line block ×6, first 2 shown]
	v_mov_b32_e32 v2, 0
	ds_load_2addr_b64 v[140:143], v2 offset0:91 offset1:92
	ds_load_2addr_b64 v[144:147], v2 offset0:93 offset1:94
	s_mov_b32 s0, exec_lo
	s_wait_loadcnt_dscnt 0x501
	v_fma_f64 v[148:149], v[118:119], v[140:141], 0
	s_wait_loadcnt 0x4
	s_delay_alu instid0(VALU_DEP_1) | instskip(SKIP_4) | instid1(VALU_DEP_1)
	v_fmac_f64_e32 v[148:149], v[120:121], v[142:143]
	scratch_load_b128 v[118:121], off, off offset:368
	s_wait_dscnt 0x0
	v_fmac_f64_e32 v[148:149], v[122:123], v[144:145]
	s_wait_loadcnt 0x4
	v_fmac_f64_e32 v[148:149], v[124:125], v[146:147]
	scratch_load_b128 v[122:125], off, off offset:384
	ds_load_2addr_b64 v[140:143], v2 offset0:95 offset1:96
	ds_load_2addr_b64 v[144:147], v2 offset0:97 offset1:98
	s_wait_dscnt 0x1
	v_fmac_f64_e32 v[148:149], v[126:127], v[140:141]
	s_wait_loadcnt 0x4
	s_delay_alu instid0(VALU_DEP_1) | instskip(SKIP_4) | instid1(VALU_DEP_1)
	v_fmac_f64_e32 v[148:149], v[128:129], v[142:143]
	scratch_load_b128 v[126:129], off, off offset:400
	s_wait_dscnt 0x0
	v_fmac_f64_e32 v[148:149], v[130:131], v[144:145]
	s_wait_loadcnt 0x4
	v_fmac_f64_e32 v[148:149], v[132:133], v[146:147]
	scratch_load_b128 v[130:133], off, off offset:416
	ds_load_2addr_b64 v[140:143], v2 offset0:99 offset1:100
	ds_load_2addr_b64 v[144:147], v2 offset0:101 offset1:102
	s_wait_dscnt 0x1
	v_fmac_f64_e32 v[148:149], v[134:135], v[140:141]
	s_wait_loadcnt 0x4
	s_delay_alu instid0(VALU_DEP_1)
	v_fmac_f64_e32 v[148:149], v[136:137], v[142:143]
	scratch_load_b128 v[134:137], off, off offset:432
	s_wait_dscnt 0x0
	v_fmac_f64_e32 v[148:149], v[138:139], v[144:145]
	ds_load_2addr_b64 v[138:141], v2 offset0:103 offset1:104
	ds_load_2addr_b64 v[142:145], v2 offset0:105 offset1:106
	s_wait_loadcnt 0x4
	v_fmac_f64_e32 v[148:149], v[118:119], v[146:147]
	s_wait_dscnt 0x1
	s_delay_alu instid0(VALU_DEP_1) | instskip(SKIP_1) | instid1(VALU_DEP_1)
	v_fmac_f64_e32 v[148:149], v[120:121], v[138:139]
	s_wait_loadcnt 0x3
	v_fmac_f64_e32 v[148:149], v[122:123], v[140:141]
	s_wait_dscnt 0x0
	s_delay_alu instid0(VALU_DEP_1)
	v_fmac_f64_e32 v[148:149], v[124:125], v[142:143]
	ds_load_2addr_b64 v[118:121], v2 offset0:107 offset1:108
	ds_load_2addr_b64 v[122:125], v2 offset0:109 offset1:110
	s_wait_loadcnt 0x2
	v_fmac_f64_e32 v[148:149], v[126:127], v[144:145]
	s_wait_dscnt 0x1
	s_delay_alu instid0(VALU_DEP_1) | instskip(SKIP_4) | instid1(VALU_DEP_1)
	v_fmac_f64_e32 v[148:149], v[128:129], v[118:119]
	ds_load_b64 v[118:119], v2 offset:888
	s_wait_loadcnt 0x1
	v_fmac_f64_e32 v[148:149], v[130:131], v[120:121]
	s_wait_dscnt 0x1
	v_fmac_f64_e32 v[148:149], v[132:133], v[122:123]
	s_wait_loadcnt 0x0
	s_delay_alu instid0(VALU_DEP_1) | instskip(SKIP_1) | instid1(VALU_DEP_1)
	v_fmac_f64_e32 v[148:149], v[134:135], v[124:125]
	s_wait_dscnt 0x0
	v_fmac_f64_e32 v[148:149], v[136:137], v[118:119]
	s_delay_alu instid0(VALU_DEP_1)
	v_add_f64_e64 v[116:117], v[116:117], -v[148:149]
	scratch_store_b64 off, v[116:117], off offset:272
	s_wait_xcnt 0x0
	v_cmpx_lt_u32_e32 33, v0
	s_cbranch_execz .LBB119_279
; %bb.278:
	scratch_load_b64 v[116:117], off, off offset:264
	v_mov_b64_e32 v[118:119], 0
	scratch_store_b64 off, v[118:119], off offset:264
	s_wait_loadcnt 0x0
	ds_store_b64 v1, v[116:117]
.LBB119_279:
	s_wait_xcnt 0x0
	s_or_b32 exec_lo, exec_lo, s0
	s_wait_storecnt_dscnt 0x0
	s_barrier_signal -1
	s_barrier_wait -1
	s_clause 0x5
	scratch_load_b128 v[116:119], off, off offset:264
	scratch_load_b128 v[120:123], off, off offset:280
	;; [unrolled: 1-line block ×6, first 2 shown]
	ds_load_b128 v[140:143], v2 offset:720
	ds_load_b128 v[144:147], v2 offset:736
	scratch_load_b128 v[148:151], off, off offset:360
	s_mov_b32 s0, exec_lo
	s_wait_loadcnt_dscnt 0x601
	v_fma_f64 v[152:153], v[118:119], v[140:141], 0
	s_wait_loadcnt 0x5
	s_delay_alu instid0(VALU_DEP_1) | instskip(SKIP_4) | instid1(VALU_DEP_1)
	v_fmac_f64_e32 v[152:153], v[120:121], v[142:143]
	scratch_load_b128 v[118:121], off, off offset:376
	s_wait_dscnt 0x0
	v_fmac_f64_e32 v[152:153], v[122:123], v[144:145]
	s_wait_loadcnt 0x5
	v_fmac_f64_e32 v[152:153], v[124:125], v[146:147]
	ds_load_b128 v[122:125], v2 offset:752
	ds_load_b128 v[140:143], v2 offset:768
	s_wait_dscnt 0x1
	v_fmac_f64_e32 v[152:153], v[126:127], v[122:123]
	s_wait_loadcnt 0x4
	s_delay_alu instid0(VALU_DEP_1)
	v_fmac_f64_e32 v[152:153], v[128:129], v[124:125]
	s_clause 0x1
	scratch_load_b128 v[122:125], off, off offset:392
	scratch_load_b128 v[126:129], off, off offset:408
	s_wait_dscnt 0x0
	v_fmac_f64_e32 v[152:153], v[130:131], v[140:141]
	s_wait_loadcnt 0x5
	s_delay_alu instid0(VALU_DEP_1)
	v_fmac_f64_e32 v[152:153], v[132:133], v[142:143]
	ds_load_b128 v[130:133], v2 offset:784
	ds_load_b128 v[140:143], v2 offset:800
	s_wait_dscnt 0x1
	v_fmac_f64_e32 v[152:153], v[134:135], v[130:131]
	s_wait_loadcnt 0x4
	s_delay_alu instid0(VALU_DEP_1) | instskip(SKIP_4) | instid1(VALU_DEP_1)
	v_fmac_f64_e32 v[152:153], v[136:137], v[132:133]
	scratch_load_b128 v[130:133], off, off offset:424
	s_wait_dscnt 0x0
	v_fmac_f64_e32 v[152:153], v[138:139], v[140:141]
	s_wait_loadcnt 0x4
	v_fmac_f64_e32 v[152:153], v[148:149], v[142:143]
	scratch_load_b64 v[142:143], off, off offset:440
	ds_load_b128 v[134:137], v2 offset:816
	ds_load_b128 v[138:141], v2 offset:832
	s_wait_dscnt 0x1
	v_fmac_f64_e32 v[152:153], v[150:151], v[134:135]
	s_wait_loadcnt 0x4
	s_delay_alu instid0(VALU_DEP_1) | instskip(SKIP_1) | instid1(VALU_DEP_1)
	v_fmac_f64_e32 v[152:153], v[118:119], v[136:137]
	s_wait_dscnt 0x0
	v_fmac_f64_e32 v[152:153], v[120:121], v[138:139]
	ds_load_b128 v[118:121], v2 offset:848
	ds_load_b128 v[134:137], v2 offset:864
	s_wait_loadcnt 0x3
	v_fmac_f64_e32 v[152:153], v[122:123], v[140:141]
	s_wait_dscnt 0x1
	s_delay_alu instid0(VALU_DEP_1) | instskip(SKIP_1) | instid1(VALU_DEP_1)
	v_fmac_f64_e32 v[152:153], v[124:125], v[118:119]
	s_wait_loadcnt 0x2
	v_fmac_f64_e32 v[152:153], v[126:127], v[120:121]
	ds_load_b128 v[118:121], v2 offset:880
	s_wait_dscnt 0x1
	v_fmac_f64_e32 v[152:153], v[128:129], v[134:135]
	s_wait_loadcnt 0x1
	s_delay_alu instid0(VALU_DEP_1) | instskip(SKIP_1) | instid1(VALU_DEP_1)
	v_fmac_f64_e32 v[152:153], v[130:131], v[136:137]
	s_wait_dscnt 0x0
	v_fmac_f64_e32 v[152:153], v[132:133], v[118:119]
	s_wait_loadcnt 0x0
	s_delay_alu instid0(VALU_DEP_1) | instskip(NEXT) | instid1(VALU_DEP_1)
	v_fmac_f64_e32 v[152:153], v[142:143], v[120:121]
	v_add_f64_e64 v[2:3], v[116:117], -v[152:153]
	scratch_store_b64 off, v[2:3], off offset:264
	s_wait_xcnt 0x0
	v_cmpx_lt_u32_e32 32, v0
	s_cbranch_execz .LBB119_281
; %bb.280:
	scratch_load_b64 v[2:3], off, off offset:256
	v_mov_b64_e32 v[116:117], 0
	scratch_store_b64 off, v[116:117], off offset:256
	s_wait_loadcnt 0x0
	ds_store_b64 v1, v[2:3]
.LBB119_281:
	s_wait_xcnt 0x0
	s_or_b32 exec_lo, exec_lo, s0
	s_wait_storecnt_dscnt 0x0
	s_barrier_signal -1
	s_barrier_wait -1
	s_clause 0x5
	scratch_load_b128 v[116:119], off, off offset:256
	scratch_load_b128 v[120:123], off, off offset:272
	;; [unrolled: 1-line block ×6, first 2 shown]
	v_mov_b32_e32 v2, 0
	ds_load_2addr_b64 v[140:143], v2 offset0:89 offset1:90
	ds_load_2addr_b64 v[144:147], v2 offset0:91 offset1:92
	scratch_load_b128 v[148:151], off, off offset:352
	s_mov_b32 s0, exec_lo
	s_wait_loadcnt_dscnt 0x601
	v_fma_f64 v[152:153], v[118:119], v[140:141], 0
	s_wait_loadcnt 0x5
	s_delay_alu instid0(VALU_DEP_1) | instskip(SKIP_4) | instid1(VALU_DEP_1)
	v_fmac_f64_e32 v[152:153], v[120:121], v[142:143]
	scratch_load_b128 v[118:121], off, off offset:368
	s_wait_dscnt 0x0
	v_fmac_f64_e32 v[152:153], v[122:123], v[144:145]
	s_wait_loadcnt 0x5
	v_fmac_f64_e32 v[152:153], v[124:125], v[146:147]
	ds_load_2addr_b64 v[122:125], v2 offset0:93 offset1:94
	ds_load_2addr_b64 v[140:143], v2 offset0:95 offset1:96
	s_wait_dscnt 0x1
	v_fmac_f64_e32 v[152:153], v[126:127], v[122:123]
	s_wait_loadcnt 0x4
	s_delay_alu instid0(VALU_DEP_1)
	v_fmac_f64_e32 v[152:153], v[128:129], v[124:125]
	s_clause 0x1
	scratch_load_b128 v[122:125], off, off offset:384
	scratch_load_b128 v[126:129], off, off offset:400
	s_wait_dscnt 0x0
	v_fmac_f64_e32 v[152:153], v[130:131], v[140:141]
	s_wait_loadcnt 0x5
	s_delay_alu instid0(VALU_DEP_1)
	v_fmac_f64_e32 v[152:153], v[132:133], v[142:143]
	ds_load_2addr_b64 v[130:133], v2 offset0:97 offset1:98
	ds_load_2addr_b64 v[140:143], v2 offset0:99 offset1:100
	s_wait_dscnt 0x1
	v_fmac_f64_e32 v[152:153], v[134:135], v[130:131]
	s_wait_loadcnt 0x4
	s_delay_alu instid0(VALU_DEP_1)
	v_fmac_f64_e32 v[152:153], v[136:137], v[132:133]
	s_clause 0x1
	scratch_load_b128 v[130:133], off, off offset:416
	scratch_load_b128 v[134:137], off, off offset:432
	s_wait_dscnt 0x0
	v_fmac_f64_e32 v[152:153], v[138:139], v[140:141]
	s_wait_loadcnt 0x5
	s_delay_alu instid0(VALU_DEP_1)
	v_fmac_f64_e32 v[152:153], v[148:149], v[142:143]
	ds_load_2addr_b64 v[138:141], v2 offset0:101 offset1:102
	ds_load_2addr_b64 v[142:145], v2 offset0:103 offset1:104
	s_wait_dscnt 0x1
	v_fmac_f64_e32 v[152:153], v[150:151], v[138:139]
	s_wait_loadcnt 0x4
	s_delay_alu instid0(VALU_DEP_1) | instskip(SKIP_1) | instid1(VALU_DEP_1)
	v_fmac_f64_e32 v[152:153], v[118:119], v[140:141]
	s_wait_dscnt 0x0
	v_fmac_f64_e32 v[152:153], v[120:121], v[142:143]
	ds_load_2addr_b64 v[118:121], v2 offset0:105 offset1:106
	ds_load_2addr_b64 v[138:141], v2 offset0:107 offset1:108
	s_wait_loadcnt 0x3
	v_fmac_f64_e32 v[152:153], v[122:123], v[144:145]
	s_wait_dscnt 0x1
	s_delay_alu instid0(VALU_DEP_1) | instskip(SKIP_1) | instid1(VALU_DEP_1)
	v_fmac_f64_e32 v[152:153], v[124:125], v[118:119]
	s_wait_loadcnt 0x2
	v_fmac_f64_e32 v[152:153], v[126:127], v[120:121]
	ds_load_2addr_b64 v[118:121], v2 offset0:109 offset1:110
	ds_load_b64 v[122:123], v2 offset:888
	s_wait_dscnt 0x2
	v_fmac_f64_e32 v[152:153], v[128:129], v[138:139]
	s_wait_loadcnt 0x1
	s_delay_alu instid0(VALU_DEP_1) | instskip(SKIP_1) | instid1(VALU_DEP_1)
	v_fmac_f64_e32 v[152:153], v[130:131], v[140:141]
	s_wait_dscnt 0x1
	v_fmac_f64_e32 v[152:153], v[132:133], v[118:119]
	s_wait_loadcnt 0x0
	s_delay_alu instid0(VALU_DEP_1) | instskip(SKIP_1) | instid1(VALU_DEP_1)
	v_fmac_f64_e32 v[152:153], v[134:135], v[120:121]
	s_wait_dscnt 0x0
	v_fmac_f64_e32 v[152:153], v[136:137], v[122:123]
	s_delay_alu instid0(VALU_DEP_1)
	v_add_f64_e64 v[116:117], v[116:117], -v[152:153]
	scratch_store_b64 off, v[116:117], off offset:256
	s_wait_xcnt 0x0
	v_cmpx_lt_u32_e32 31, v0
	s_cbranch_execz .LBB119_283
; %bb.282:
	scratch_load_b64 v[116:117], off, off offset:248
	v_mov_b64_e32 v[118:119], 0
	scratch_store_b64 off, v[118:119], off offset:248
	s_wait_loadcnt 0x0
	ds_store_b64 v1, v[116:117]
.LBB119_283:
	s_wait_xcnt 0x0
	s_or_b32 exec_lo, exec_lo, s0
	s_wait_storecnt_dscnt 0x0
	s_barrier_signal -1
	s_barrier_wait -1
	s_clause 0x5
	scratch_load_b128 v[116:119], off, off offset:248
	scratch_load_b128 v[120:123], off, off offset:264
	;; [unrolled: 1-line block ×6, first 2 shown]
	ds_load_b128 v[140:143], v2 offset:704
	ds_load_b128 v[144:147], v2 offset:720
	scratch_load_b128 v[148:151], off, off offset:344
	s_mov_b32 s0, exec_lo
	s_wait_loadcnt_dscnt 0x601
	v_fma_f64 v[152:153], v[118:119], v[140:141], 0
	s_wait_loadcnt 0x5
	s_delay_alu instid0(VALU_DEP_1) | instskip(SKIP_4) | instid1(VALU_DEP_1)
	v_fmac_f64_e32 v[152:153], v[120:121], v[142:143]
	scratch_load_b128 v[118:121], off, off offset:360
	s_wait_dscnt 0x0
	v_fmac_f64_e32 v[152:153], v[122:123], v[144:145]
	s_wait_loadcnt 0x5
	v_fmac_f64_e32 v[152:153], v[124:125], v[146:147]
	ds_load_b128 v[122:125], v2 offset:736
	ds_load_b128 v[140:143], v2 offset:752
	s_wait_dscnt 0x1
	v_fmac_f64_e32 v[152:153], v[126:127], v[122:123]
	s_wait_loadcnt 0x4
	s_delay_alu instid0(VALU_DEP_1)
	v_fmac_f64_e32 v[152:153], v[128:129], v[124:125]
	s_clause 0x1
	scratch_load_b128 v[122:125], off, off offset:376
	scratch_load_b128 v[126:129], off, off offset:392
	s_wait_dscnt 0x0
	v_fmac_f64_e32 v[152:153], v[130:131], v[140:141]
	s_wait_loadcnt 0x5
	s_delay_alu instid0(VALU_DEP_1)
	v_fmac_f64_e32 v[152:153], v[132:133], v[142:143]
	ds_load_b128 v[130:133], v2 offset:768
	ds_load_b128 v[140:143], v2 offset:784
	s_wait_dscnt 0x1
	v_fmac_f64_e32 v[152:153], v[134:135], v[130:131]
	s_wait_loadcnt 0x4
	s_delay_alu instid0(VALU_DEP_1)
	v_fmac_f64_e32 v[152:153], v[136:137], v[132:133]
	s_clause 0x1
	scratch_load_b128 v[130:133], off, off offset:408
	scratch_load_b128 v[134:137], off, off offset:424
	s_wait_dscnt 0x0
	v_fmac_f64_e32 v[152:153], v[138:139], v[140:141]
	s_wait_loadcnt 0x5
	s_delay_alu instid0(VALU_DEP_1)
	v_fmac_f64_e32 v[152:153], v[148:149], v[142:143]
	ds_load_b128 v[138:141], v2 offset:800
	ds_load_b128 v[142:145], v2 offset:816
	scratch_load_b64 v[146:147], off, off offset:440
	s_wait_dscnt 0x1
	v_fmac_f64_e32 v[152:153], v[150:151], v[138:139]
	s_wait_loadcnt 0x5
	s_delay_alu instid0(VALU_DEP_1) | instskip(SKIP_1) | instid1(VALU_DEP_1)
	v_fmac_f64_e32 v[152:153], v[118:119], v[140:141]
	s_wait_dscnt 0x0
	v_fmac_f64_e32 v[152:153], v[120:121], v[142:143]
	ds_load_b128 v[118:121], v2 offset:832
	ds_load_b128 v[138:141], v2 offset:848
	s_wait_loadcnt 0x4
	v_fmac_f64_e32 v[152:153], v[122:123], v[144:145]
	s_wait_dscnt 0x1
	s_delay_alu instid0(VALU_DEP_1) | instskip(SKIP_1) | instid1(VALU_DEP_1)
	v_fmac_f64_e32 v[152:153], v[124:125], v[118:119]
	s_wait_loadcnt 0x3
	v_fmac_f64_e32 v[152:153], v[126:127], v[120:121]
	ds_load_b128 v[118:121], v2 offset:864
	ds_load_b128 v[122:125], v2 offset:880
	s_wait_dscnt 0x2
	v_fmac_f64_e32 v[152:153], v[128:129], v[138:139]
	s_wait_loadcnt 0x2
	s_delay_alu instid0(VALU_DEP_1) | instskip(SKIP_1) | instid1(VALU_DEP_1)
	v_fmac_f64_e32 v[152:153], v[130:131], v[140:141]
	s_wait_dscnt 0x1
	v_fmac_f64_e32 v[152:153], v[132:133], v[118:119]
	s_wait_loadcnt 0x1
	s_delay_alu instid0(VALU_DEP_1) | instskip(SKIP_1) | instid1(VALU_DEP_1)
	v_fmac_f64_e32 v[152:153], v[134:135], v[120:121]
	s_wait_dscnt 0x0
	v_fmac_f64_e32 v[152:153], v[136:137], v[122:123]
	s_wait_loadcnt 0x0
	s_delay_alu instid0(VALU_DEP_1) | instskip(NEXT) | instid1(VALU_DEP_1)
	v_fmac_f64_e32 v[152:153], v[146:147], v[124:125]
	v_add_f64_e64 v[2:3], v[116:117], -v[152:153]
	scratch_store_b64 off, v[2:3], off offset:248
	s_wait_xcnt 0x0
	v_cmpx_lt_u32_e32 30, v0
	s_cbranch_execz .LBB119_285
; %bb.284:
	scratch_load_b64 v[2:3], off, off offset:240
	v_mov_b64_e32 v[116:117], 0
	scratch_store_b64 off, v[116:117], off offset:240
	s_wait_loadcnt 0x0
	ds_store_b64 v1, v[2:3]
.LBB119_285:
	s_wait_xcnt 0x0
	s_or_b32 exec_lo, exec_lo, s0
	s_wait_storecnt_dscnt 0x0
	s_barrier_signal -1
	s_barrier_wait -1
	s_clause 0x5
	scratch_load_b128 v[116:119], off, off offset:240
	scratch_load_b128 v[120:123], off, off offset:256
	;; [unrolled: 1-line block ×6, first 2 shown]
	v_mov_b32_e32 v2, 0
	ds_load_2addr_b64 v[140:143], v2 offset0:87 offset1:88
	ds_load_2addr_b64 v[144:147], v2 offset0:89 offset1:90
	scratch_load_b128 v[148:151], off, off offset:336
	s_mov_b32 s0, exec_lo
	s_wait_loadcnt_dscnt 0x601
	v_fma_f64 v[152:153], v[118:119], v[140:141], 0
	s_wait_loadcnt 0x5
	s_delay_alu instid0(VALU_DEP_1) | instskip(SKIP_4) | instid1(VALU_DEP_1)
	v_fmac_f64_e32 v[152:153], v[120:121], v[142:143]
	scratch_load_b128 v[118:121], off, off offset:352
	s_wait_dscnt 0x0
	v_fmac_f64_e32 v[152:153], v[122:123], v[144:145]
	s_wait_loadcnt 0x5
	v_fmac_f64_e32 v[152:153], v[124:125], v[146:147]
	ds_load_2addr_b64 v[122:125], v2 offset0:91 offset1:92
	ds_load_2addr_b64 v[140:143], v2 offset0:93 offset1:94
	s_wait_dscnt 0x1
	v_fmac_f64_e32 v[152:153], v[126:127], v[122:123]
	s_wait_loadcnt 0x4
	s_delay_alu instid0(VALU_DEP_1)
	v_fmac_f64_e32 v[152:153], v[128:129], v[124:125]
	s_clause 0x1
	scratch_load_b128 v[122:125], off, off offset:368
	scratch_load_b128 v[126:129], off, off offset:384
	s_wait_dscnt 0x0
	v_fmac_f64_e32 v[152:153], v[130:131], v[140:141]
	s_wait_loadcnt 0x5
	s_delay_alu instid0(VALU_DEP_1)
	v_fmac_f64_e32 v[152:153], v[132:133], v[142:143]
	ds_load_2addr_b64 v[130:133], v2 offset0:95 offset1:96
	ds_load_2addr_b64 v[140:143], v2 offset0:97 offset1:98
	s_wait_dscnt 0x1
	v_fmac_f64_e32 v[152:153], v[134:135], v[130:131]
	s_wait_loadcnt 0x4
	s_delay_alu instid0(VALU_DEP_1)
	v_fmac_f64_e32 v[152:153], v[136:137], v[132:133]
	s_clause 0x1
	scratch_load_b128 v[130:133], off, off offset:400
	scratch_load_b128 v[134:137], off, off offset:416
	s_wait_dscnt 0x0
	v_fmac_f64_e32 v[152:153], v[138:139], v[140:141]
	s_wait_loadcnt 0x5
	s_delay_alu instid0(VALU_DEP_1)
	v_fmac_f64_e32 v[152:153], v[148:149], v[142:143]
	ds_load_2addr_b64 v[138:141], v2 offset0:99 offset1:100
	ds_load_2addr_b64 v[142:145], v2 offset0:101 offset1:102
	s_wait_dscnt 0x1
	v_fmac_f64_e32 v[152:153], v[150:151], v[138:139]
	s_wait_loadcnt 0x4
	s_delay_alu instid0(VALU_DEP_1) | instskip(SKIP_4) | instid1(VALU_DEP_1)
	v_fmac_f64_e32 v[152:153], v[118:119], v[140:141]
	scratch_load_b128 v[138:141], off, off offset:432
	s_wait_dscnt 0x0
	v_fmac_f64_e32 v[152:153], v[120:121], v[142:143]
	s_wait_loadcnt 0x4
	v_fmac_f64_e32 v[152:153], v[122:123], v[144:145]
	ds_load_2addr_b64 v[118:121], v2 offset0:103 offset1:104
	ds_load_2addr_b64 v[142:145], v2 offset0:105 offset1:106
	s_wait_dscnt 0x1
	v_fmac_f64_e32 v[152:153], v[124:125], v[118:119]
	s_wait_loadcnt 0x3
	s_delay_alu instid0(VALU_DEP_1)
	v_fmac_f64_e32 v[152:153], v[126:127], v[120:121]
	ds_load_2addr_b64 v[118:121], v2 offset0:107 offset1:108
	ds_load_2addr_b64 v[122:125], v2 offset0:109 offset1:110
	s_wait_dscnt 0x2
	v_fmac_f64_e32 v[152:153], v[128:129], v[142:143]
	s_wait_loadcnt 0x2
	s_delay_alu instid0(VALU_DEP_1) | instskip(SKIP_1) | instid1(VALU_DEP_1)
	v_fmac_f64_e32 v[152:153], v[130:131], v[144:145]
	s_wait_dscnt 0x1
	v_fmac_f64_e32 v[152:153], v[132:133], v[118:119]
	ds_load_b64 v[118:119], v2 offset:888
	s_wait_loadcnt 0x1
	v_fmac_f64_e32 v[152:153], v[134:135], v[120:121]
	s_wait_dscnt 0x1
	s_delay_alu instid0(VALU_DEP_1) | instskip(SKIP_1) | instid1(VALU_DEP_1)
	v_fmac_f64_e32 v[152:153], v[136:137], v[122:123]
	s_wait_loadcnt 0x0
	v_fmac_f64_e32 v[152:153], v[138:139], v[124:125]
	s_wait_dscnt 0x0
	s_delay_alu instid0(VALU_DEP_1) | instskip(NEXT) | instid1(VALU_DEP_1)
	v_fmac_f64_e32 v[152:153], v[140:141], v[118:119]
	v_add_f64_e64 v[116:117], v[116:117], -v[152:153]
	scratch_store_b64 off, v[116:117], off offset:240
	s_wait_xcnt 0x0
	v_cmpx_lt_u32_e32 29, v0
	s_cbranch_execz .LBB119_287
; %bb.286:
	scratch_load_b64 v[116:117], off, off offset:232
	v_mov_b64_e32 v[118:119], 0
	scratch_store_b64 off, v[118:119], off offset:232
	s_wait_loadcnt 0x0
	ds_store_b64 v1, v[116:117]
.LBB119_287:
	s_wait_xcnt 0x0
	s_or_b32 exec_lo, exec_lo, s0
	s_wait_storecnt_dscnt 0x0
	s_barrier_signal -1
	s_barrier_wait -1
	s_clause 0x5
	scratch_load_b128 v[116:119], off, off offset:232
	scratch_load_b128 v[120:123], off, off offset:248
	scratch_load_b128 v[124:127], off, off offset:264
	scratch_load_b128 v[128:131], off, off offset:280
	scratch_load_b128 v[132:135], off, off offset:296
	scratch_load_b128 v[136:139], off, off offset:312
	ds_load_b128 v[140:143], v2 offset:688
	ds_load_b128 v[144:147], v2 offset:704
	scratch_load_b128 v[148:151], off, off offset:328
	s_mov_b32 s0, exec_lo
	s_wait_loadcnt_dscnt 0x601
	v_fma_f64 v[152:153], v[118:119], v[140:141], 0
	s_wait_loadcnt 0x5
	s_delay_alu instid0(VALU_DEP_1) | instskip(SKIP_4) | instid1(VALU_DEP_1)
	v_fmac_f64_e32 v[152:153], v[120:121], v[142:143]
	scratch_load_b128 v[118:121], off, off offset:344
	s_wait_dscnt 0x0
	v_fmac_f64_e32 v[152:153], v[122:123], v[144:145]
	s_wait_loadcnt 0x5
	v_fmac_f64_e32 v[152:153], v[124:125], v[146:147]
	ds_load_b128 v[122:125], v2 offset:720
	ds_load_b128 v[140:143], v2 offset:736
	scratch_load_b128 v[144:147], off, off offset:360
	s_wait_dscnt 0x1
	v_fmac_f64_e32 v[152:153], v[126:127], v[122:123]
	s_wait_loadcnt 0x5
	s_delay_alu instid0(VALU_DEP_1) | instskip(SKIP_4) | instid1(VALU_DEP_1)
	v_fmac_f64_e32 v[152:153], v[128:129], v[124:125]
	scratch_load_b128 v[122:125], off, off offset:376
	s_wait_dscnt 0x0
	v_fmac_f64_e32 v[152:153], v[130:131], v[140:141]
	s_wait_loadcnt 0x5
	v_fmac_f64_e32 v[152:153], v[132:133], v[142:143]
	ds_load_b128 v[126:129], v2 offset:752
	ds_load_b128 v[130:133], v2 offset:768
	s_wait_dscnt 0x1
	v_fmac_f64_e32 v[152:153], v[134:135], v[126:127]
	s_wait_loadcnt 0x4
	s_delay_alu instid0(VALU_DEP_1) | instskip(SKIP_4) | instid1(VALU_DEP_1)
	v_fmac_f64_e32 v[152:153], v[136:137], v[128:129]
	scratch_load_b128 v[126:129], off, off offset:392
	s_wait_dscnt 0x0
	v_fmac_f64_e32 v[152:153], v[138:139], v[130:131]
	s_wait_loadcnt 0x4
	v_fmac_f64_e32 v[152:153], v[148:149], v[132:133]
	scratch_load_b128 v[130:133], off, off offset:408
	ds_load_b128 v[134:137], v2 offset:784
	ds_load_b128 v[138:141], v2 offset:800
	scratch_load_b64 v[142:143], off, off offset:440
	s_wait_dscnt 0x1
	v_fmac_f64_e32 v[152:153], v[150:151], v[134:135]
	s_wait_loadcnt 0x5
	s_delay_alu instid0(VALU_DEP_1) | instskip(SKIP_4) | instid1(VALU_DEP_1)
	v_fmac_f64_e32 v[152:153], v[118:119], v[136:137]
	scratch_load_b128 v[134:137], off, off offset:424
	s_wait_dscnt 0x0
	v_fmac_f64_e32 v[152:153], v[120:121], v[138:139]
	s_wait_loadcnt 0x5
	v_fmac_f64_e32 v[152:153], v[144:145], v[140:141]
	ds_load_b128 v[118:121], v2 offset:816
	ds_load_b128 v[138:141], v2 offset:832
	s_wait_dscnt 0x1
	v_fmac_f64_e32 v[152:153], v[146:147], v[118:119]
	s_wait_loadcnt 0x4
	s_delay_alu instid0(VALU_DEP_1) | instskip(SKIP_1) | instid1(VALU_DEP_1)
	v_fmac_f64_e32 v[152:153], v[122:123], v[120:121]
	s_wait_dscnt 0x0
	v_fmac_f64_e32 v[152:153], v[124:125], v[138:139]
	ds_load_b128 v[118:121], v2 offset:848
	ds_load_b128 v[122:125], v2 offset:864
	s_wait_loadcnt 0x3
	v_fmac_f64_e32 v[152:153], v[126:127], v[140:141]
	s_wait_dscnt 0x1
	s_delay_alu instid0(VALU_DEP_1) | instskip(SKIP_1) | instid1(VALU_DEP_1)
	v_fmac_f64_e32 v[152:153], v[128:129], v[118:119]
	s_wait_loadcnt 0x2
	v_fmac_f64_e32 v[152:153], v[130:131], v[120:121]
	ds_load_b128 v[118:121], v2 offset:880
	s_wait_dscnt 0x1
	v_fmac_f64_e32 v[152:153], v[132:133], v[122:123]
	s_wait_loadcnt 0x0
	s_delay_alu instid0(VALU_DEP_1) | instskip(SKIP_1) | instid1(VALU_DEP_1)
	v_fmac_f64_e32 v[152:153], v[134:135], v[124:125]
	s_wait_dscnt 0x0
	v_fmac_f64_e32 v[152:153], v[136:137], v[118:119]
	s_delay_alu instid0(VALU_DEP_1) | instskip(NEXT) | instid1(VALU_DEP_1)
	v_fmac_f64_e32 v[152:153], v[142:143], v[120:121]
	v_add_f64_e64 v[2:3], v[116:117], -v[152:153]
	scratch_store_b64 off, v[2:3], off offset:232
	s_wait_xcnt 0x0
	v_cmpx_lt_u32_e32 28, v0
	s_cbranch_execz .LBB119_289
; %bb.288:
	scratch_load_b64 v[2:3], off, off offset:224
	v_mov_b64_e32 v[116:117], 0
	scratch_store_b64 off, v[116:117], off offset:224
	s_wait_loadcnt 0x0
	ds_store_b64 v1, v[2:3]
.LBB119_289:
	s_wait_xcnt 0x0
	s_or_b32 exec_lo, exec_lo, s0
	s_wait_storecnt_dscnt 0x0
	s_barrier_signal -1
	s_barrier_wait -1
	s_clause 0x5
	scratch_load_b128 v[116:119], off, off offset:224
	scratch_load_b128 v[120:123], off, off offset:240
	;; [unrolled: 1-line block ×6, first 2 shown]
	v_mov_b32_e32 v2, 0
	ds_load_2addr_b64 v[140:143], v2 offset0:85 offset1:86
	ds_load_2addr_b64 v[144:147], v2 offset0:87 offset1:88
	scratch_load_b128 v[148:151], off, off offset:320
	s_mov_b32 s0, exec_lo
	s_wait_loadcnt_dscnt 0x601
	v_fma_f64 v[152:153], v[118:119], v[140:141], 0
	s_wait_loadcnt 0x5
	s_delay_alu instid0(VALU_DEP_1) | instskip(SKIP_4) | instid1(VALU_DEP_1)
	v_fmac_f64_e32 v[152:153], v[120:121], v[142:143]
	scratch_load_b128 v[118:121], off, off offset:336
	s_wait_dscnt 0x0
	v_fmac_f64_e32 v[152:153], v[122:123], v[144:145]
	s_wait_loadcnt 0x5
	v_fmac_f64_e32 v[152:153], v[124:125], v[146:147]
	ds_load_2addr_b64 v[122:125], v2 offset0:89 offset1:90
	ds_load_2addr_b64 v[140:143], v2 offset0:91 offset1:92
	scratch_load_b128 v[144:147], off, off offset:352
	s_wait_dscnt 0x1
	v_fmac_f64_e32 v[152:153], v[126:127], v[122:123]
	s_wait_loadcnt 0x5
	s_delay_alu instid0(VALU_DEP_1) | instskip(SKIP_4) | instid1(VALU_DEP_1)
	v_fmac_f64_e32 v[152:153], v[128:129], v[124:125]
	scratch_load_b128 v[122:125], off, off offset:368
	s_wait_dscnt 0x0
	v_fmac_f64_e32 v[152:153], v[130:131], v[140:141]
	s_wait_loadcnt 0x5
	v_fmac_f64_e32 v[152:153], v[132:133], v[142:143]
	ds_load_2addr_b64 v[126:129], v2 offset0:93 offset1:94
	ds_load_2addr_b64 v[130:133], v2 offset0:95 offset1:96
	s_wait_dscnt 0x1
	v_fmac_f64_e32 v[152:153], v[134:135], v[126:127]
	s_wait_loadcnt 0x4
	s_delay_alu instid0(VALU_DEP_1) | instskip(SKIP_4) | instid1(VALU_DEP_1)
	v_fmac_f64_e32 v[152:153], v[136:137], v[128:129]
	scratch_load_b128 v[126:129], off, off offset:384
	s_wait_dscnt 0x0
	v_fmac_f64_e32 v[152:153], v[138:139], v[130:131]
	s_wait_loadcnt 0x4
	v_fmac_f64_e32 v[152:153], v[148:149], v[132:133]
	scratch_load_b128 v[130:133], off, off offset:400
	ds_load_2addr_b64 v[134:137], v2 offset0:97 offset1:98
	ds_load_2addr_b64 v[138:141], v2 offset0:99 offset1:100
	s_wait_dscnt 0x1
	v_fmac_f64_e32 v[152:153], v[150:151], v[134:135]
	s_wait_loadcnt 0x4
	s_delay_alu instid0(VALU_DEP_1)
	v_fmac_f64_e32 v[152:153], v[118:119], v[136:137]
	scratch_load_b128 v[134:137], off, off offset:416
	s_wait_dscnt 0x0
	v_fmac_f64_e32 v[152:153], v[120:121], v[138:139]
	scratch_load_b128 v[118:121], off, off offset:432
	s_wait_loadcnt 0x5
	v_fmac_f64_e32 v[152:153], v[144:145], v[140:141]
	ds_load_2addr_b64 v[138:141], v2 offset0:101 offset1:102
	ds_load_2addr_b64 v[142:145], v2 offset0:103 offset1:104
	s_wait_dscnt 0x1
	v_fmac_f64_e32 v[152:153], v[146:147], v[138:139]
	s_wait_loadcnt 0x4
	s_delay_alu instid0(VALU_DEP_1) | instskip(SKIP_1) | instid1(VALU_DEP_1)
	v_fmac_f64_e32 v[152:153], v[122:123], v[140:141]
	s_wait_dscnt 0x0
	v_fmac_f64_e32 v[152:153], v[124:125], v[142:143]
	ds_load_2addr_b64 v[122:125], v2 offset0:105 offset1:106
	ds_load_2addr_b64 v[138:141], v2 offset0:107 offset1:108
	s_wait_loadcnt 0x3
	v_fmac_f64_e32 v[152:153], v[126:127], v[144:145]
	s_wait_dscnt 0x1
	s_delay_alu instid0(VALU_DEP_1) | instskip(SKIP_1) | instid1(VALU_DEP_1)
	v_fmac_f64_e32 v[152:153], v[128:129], v[122:123]
	s_wait_loadcnt 0x2
	v_fmac_f64_e32 v[152:153], v[130:131], v[124:125]
	ds_load_2addr_b64 v[122:125], v2 offset0:109 offset1:110
	ds_load_b64 v[126:127], v2 offset:888
	s_wait_dscnt 0x2
	v_fmac_f64_e32 v[152:153], v[132:133], v[138:139]
	s_wait_loadcnt 0x1
	s_delay_alu instid0(VALU_DEP_1) | instskip(SKIP_1) | instid1(VALU_DEP_1)
	v_fmac_f64_e32 v[152:153], v[134:135], v[140:141]
	s_wait_dscnt 0x1
	v_fmac_f64_e32 v[152:153], v[136:137], v[122:123]
	s_wait_loadcnt 0x0
	s_delay_alu instid0(VALU_DEP_1) | instskip(SKIP_1) | instid1(VALU_DEP_1)
	v_fmac_f64_e32 v[152:153], v[118:119], v[124:125]
	s_wait_dscnt 0x0
	v_fmac_f64_e32 v[152:153], v[120:121], v[126:127]
	s_delay_alu instid0(VALU_DEP_1)
	v_add_f64_e64 v[116:117], v[116:117], -v[152:153]
	scratch_store_b64 off, v[116:117], off offset:224
	s_wait_xcnt 0x0
	v_cmpx_lt_u32_e32 27, v0
	s_cbranch_execz .LBB119_291
; %bb.290:
	scratch_load_b64 v[116:117], off, off offset:216
	v_mov_b64_e32 v[118:119], 0
	scratch_store_b64 off, v[118:119], off offset:216
	s_wait_loadcnt 0x0
	ds_store_b64 v1, v[116:117]
.LBB119_291:
	s_wait_xcnt 0x0
	s_or_b32 exec_lo, exec_lo, s0
	s_wait_storecnt_dscnt 0x0
	s_barrier_signal -1
	s_barrier_wait -1
	s_clause 0x5
	scratch_load_b128 v[116:119], off, off offset:216
	scratch_load_b128 v[120:123], off, off offset:232
	;; [unrolled: 1-line block ×6, first 2 shown]
	ds_load_b128 v[140:143], v2 offset:672
	ds_load_b128 v[144:147], v2 offset:688
	scratch_load_b128 v[148:151], off, off offset:312
	s_mov_b32 s0, exec_lo
	s_wait_loadcnt_dscnt 0x601
	v_fma_f64 v[152:153], v[118:119], v[140:141], 0
	s_wait_loadcnt 0x5
	s_delay_alu instid0(VALU_DEP_1) | instskip(SKIP_4) | instid1(VALU_DEP_1)
	v_fmac_f64_e32 v[152:153], v[120:121], v[142:143]
	scratch_load_b128 v[118:121], off, off offset:328
	s_wait_dscnt 0x0
	v_fmac_f64_e32 v[152:153], v[122:123], v[144:145]
	s_wait_loadcnt 0x5
	v_fmac_f64_e32 v[152:153], v[124:125], v[146:147]
	ds_load_b128 v[122:125], v2 offset:704
	ds_load_b128 v[140:143], v2 offset:720
	scratch_load_b128 v[144:147], off, off offset:344
	s_wait_dscnt 0x1
	v_fmac_f64_e32 v[152:153], v[126:127], v[122:123]
	s_wait_loadcnt 0x5
	s_delay_alu instid0(VALU_DEP_1) | instskip(SKIP_4) | instid1(VALU_DEP_1)
	v_fmac_f64_e32 v[152:153], v[128:129], v[124:125]
	scratch_load_b128 v[122:125], off, off offset:360
	s_wait_dscnt 0x0
	v_fmac_f64_e32 v[152:153], v[130:131], v[140:141]
	s_wait_loadcnt 0x5
	v_fmac_f64_e32 v[152:153], v[132:133], v[142:143]
	ds_load_b128 v[126:129], v2 offset:736
	ds_load_b128 v[130:133], v2 offset:752
	s_wait_dscnt 0x1
	v_fmac_f64_e32 v[152:153], v[134:135], v[126:127]
	s_wait_loadcnt 0x4
	s_delay_alu instid0(VALU_DEP_1) | instskip(SKIP_4) | instid1(VALU_DEP_1)
	v_fmac_f64_e32 v[152:153], v[136:137], v[128:129]
	scratch_load_b128 v[126:129], off, off offset:376
	s_wait_dscnt 0x0
	v_fmac_f64_e32 v[152:153], v[138:139], v[130:131]
	s_wait_loadcnt 0x4
	v_fmac_f64_e32 v[152:153], v[148:149], v[132:133]
	scratch_load_b128 v[130:133], off, off offset:392
	ds_load_b128 v[134:137], v2 offset:768
	ds_load_b128 v[138:141], v2 offset:784
	s_wait_dscnt 0x1
	v_fmac_f64_e32 v[152:153], v[150:151], v[134:135]
	s_wait_loadcnt 0x4
	s_delay_alu instid0(VALU_DEP_1)
	v_fmac_f64_e32 v[152:153], v[118:119], v[136:137]
	scratch_load_b128 v[134:137], off, off offset:408
	s_wait_dscnt 0x0
	v_fmac_f64_e32 v[152:153], v[120:121], v[138:139]
	scratch_load_b128 v[118:121], off, off offset:424
	s_wait_loadcnt 0x5
	v_fmac_f64_e32 v[152:153], v[144:145], v[140:141]
	ds_load_b128 v[138:141], v2 offset:800
	ds_load_b128 v[142:145], v2 offset:816
	s_wait_dscnt 0x1
	v_fmac_f64_e32 v[152:153], v[146:147], v[138:139]
	scratch_load_b64 v[146:147], off, off offset:440
	s_wait_loadcnt 0x5
	v_fmac_f64_e32 v[152:153], v[122:123], v[140:141]
	s_wait_dscnt 0x0
	s_delay_alu instid0(VALU_DEP_1)
	v_fmac_f64_e32 v[152:153], v[124:125], v[142:143]
	ds_load_b128 v[122:125], v2 offset:832
	ds_load_b128 v[138:141], v2 offset:848
	s_wait_loadcnt 0x4
	v_fmac_f64_e32 v[152:153], v[126:127], v[144:145]
	s_wait_dscnt 0x1
	s_delay_alu instid0(VALU_DEP_1) | instskip(SKIP_1) | instid1(VALU_DEP_1)
	v_fmac_f64_e32 v[152:153], v[128:129], v[122:123]
	s_wait_loadcnt 0x3
	v_fmac_f64_e32 v[152:153], v[130:131], v[124:125]
	ds_load_b128 v[122:125], v2 offset:864
	ds_load_b128 v[126:129], v2 offset:880
	s_wait_dscnt 0x2
	v_fmac_f64_e32 v[152:153], v[132:133], v[138:139]
	s_wait_loadcnt 0x2
	s_delay_alu instid0(VALU_DEP_1) | instskip(SKIP_1) | instid1(VALU_DEP_1)
	v_fmac_f64_e32 v[152:153], v[134:135], v[140:141]
	s_wait_dscnt 0x1
	v_fmac_f64_e32 v[152:153], v[136:137], v[122:123]
	s_wait_loadcnt 0x1
	s_delay_alu instid0(VALU_DEP_1) | instskip(SKIP_1) | instid1(VALU_DEP_1)
	v_fmac_f64_e32 v[152:153], v[118:119], v[124:125]
	s_wait_dscnt 0x0
	v_fmac_f64_e32 v[152:153], v[120:121], v[126:127]
	s_wait_loadcnt 0x0
	s_delay_alu instid0(VALU_DEP_1) | instskip(NEXT) | instid1(VALU_DEP_1)
	v_fmac_f64_e32 v[152:153], v[146:147], v[128:129]
	v_add_f64_e64 v[2:3], v[116:117], -v[152:153]
	scratch_store_b64 off, v[2:3], off offset:216
	s_wait_xcnt 0x0
	v_cmpx_lt_u32_e32 26, v0
	s_cbranch_execz .LBB119_293
; %bb.292:
	scratch_load_b64 v[2:3], off, off offset:208
	v_mov_b64_e32 v[116:117], 0
	scratch_store_b64 off, v[116:117], off offset:208
	s_wait_loadcnt 0x0
	ds_store_b64 v1, v[2:3]
.LBB119_293:
	s_wait_xcnt 0x0
	s_or_b32 exec_lo, exec_lo, s0
	s_wait_storecnt_dscnt 0x0
	s_barrier_signal -1
	s_barrier_wait -1
	s_clause 0x5
	scratch_load_b128 v[116:119], off, off offset:208
	scratch_load_b128 v[120:123], off, off offset:224
	;; [unrolled: 1-line block ×6, first 2 shown]
	v_mov_b32_e32 v2, 0
	ds_load_2addr_b64 v[140:143], v2 offset0:83 offset1:84
	ds_load_2addr_b64 v[144:147], v2 offset0:85 offset1:86
	scratch_load_b128 v[148:151], off, off offset:304
	s_mov_b32 s0, exec_lo
	s_wait_loadcnt_dscnt 0x601
	v_fma_f64 v[152:153], v[118:119], v[140:141], 0
	s_wait_loadcnt 0x5
	s_delay_alu instid0(VALU_DEP_1) | instskip(SKIP_4) | instid1(VALU_DEP_1)
	v_fmac_f64_e32 v[152:153], v[120:121], v[142:143]
	scratch_load_b128 v[118:121], off, off offset:320
	s_wait_dscnt 0x0
	v_fmac_f64_e32 v[152:153], v[122:123], v[144:145]
	s_wait_loadcnt 0x5
	v_fmac_f64_e32 v[152:153], v[124:125], v[146:147]
	ds_load_2addr_b64 v[122:125], v2 offset0:87 offset1:88
	ds_load_2addr_b64 v[140:143], v2 offset0:89 offset1:90
	scratch_load_b128 v[144:147], off, off offset:336
	s_wait_dscnt 0x1
	v_fmac_f64_e32 v[152:153], v[126:127], v[122:123]
	s_wait_loadcnt 0x5
	s_delay_alu instid0(VALU_DEP_1) | instskip(SKIP_4) | instid1(VALU_DEP_1)
	v_fmac_f64_e32 v[152:153], v[128:129], v[124:125]
	scratch_load_b128 v[122:125], off, off offset:352
	s_wait_dscnt 0x0
	v_fmac_f64_e32 v[152:153], v[130:131], v[140:141]
	s_wait_loadcnt 0x5
	v_fmac_f64_e32 v[152:153], v[132:133], v[142:143]
	ds_load_2addr_b64 v[126:129], v2 offset0:91 offset1:92
	ds_load_2addr_b64 v[130:133], v2 offset0:93 offset1:94
	s_wait_dscnt 0x1
	v_fmac_f64_e32 v[152:153], v[134:135], v[126:127]
	s_wait_loadcnt 0x4
	s_delay_alu instid0(VALU_DEP_1) | instskip(SKIP_4) | instid1(VALU_DEP_1)
	v_fmac_f64_e32 v[152:153], v[136:137], v[128:129]
	scratch_load_b128 v[126:129], off, off offset:368
	s_wait_dscnt 0x0
	v_fmac_f64_e32 v[152:153], v[138:139], v[130:131]
	s_wait_loadcnt 0x4
	v_fmac_f64_e32 v[152:153], v[148:149], v[132:133]
	scratch_load_b128 v[130:133], off, off offset:384
	ds_load_2addr_b64 v[134:137], v2 offset0:95 offset1:96
	ds_load_2addr_b64 v[138:141], v2 offset0:97 offset1:98
	s_wait_dscnt 0x1
	v_fmac_f64_e32 v[152:153], v[150:151], v[134:135]
	s_wait_loadcnt 0x4
	s_delay_alu instid0(VALU_DEP_1)
	v_fmac_f64_e32 v[152:153], v[118:119], v[136:137]
	scratch_load_b128 v[134:137], off, off offset:400
	s_wait_dscnt 0x0
	v_fmac_f64_e32 v[152:153], v[120:121], v[138:139]
	scratch_load_b128 v[118:121], off, off offset:416
	s_wait_loadcnt 0x5
	v_fmac_f64_e32 v[152:153], v[144:145], v[140:141]
	ds_load_2addr_b64 v[138:141], v2 offset0:99 offset1:100
	ds_load_2addr_b64 v[142:145], v2 offset0:101 offset1:102
	s_wait_dscnt 0x1
	v_fmac_f64_e32 v[152:153], v[146:147], v[138:139]
	s_wait_loadcnt 0x4
	s_delay_alu instid0(VALU_DEP_1) | instskip(SKIP_4) | instid1(VALU_DEP_1)
	v_fmac_f64_e32 v[152:153], v[122:123], v[140:141]
	scratch_load_b128 v[138:141], off, off offset:432
	s_wait_dscnt 0x0
	v_fmac_f64_e32 v[152:153], v[124:125], v[142:143]
	s_wait_loadcnt 0x4
	v_fmac_f64_e32 v[152:153], v[126:127], v[144:145]
	ds_load_2addr_b64 v[122:125], v2 offset0:103 offset1:104
	ds_load_2addr_b64 v[142:145], v2 offset0:105 offset1:106
	s_wait_dscnt 0x1
	v_fmac_f64_e32 v[152:153], v[128:129], v[122:123]
	s_wait_loadcnt 0x3
	s_delay_alu instid0(VALU_DEP_1)
	v_fmac_f64_e32 v[152:153], v[130:131], v[124:125]
	ds_load_2addr_b64 v[122:125], v2 offset0:107 offset1:108
	ds_load_2addr_b64 v[126:129], v2 offset0:109 offset1:110
	s_wait_dscnt 0x2
	v_fmac_f64_e32 v[152:153], v[132:133], v[142:143]
	s_wait_loadcnt 0x2
	s_delay_alu instid0(VALU_DEP_1) | instskip(SKIP_1) | instid1(VALU_DEP_1)
	v_fmac_f64_e32 v[152:153], v[134:135], v[144:145]
	s_wait_dscnt 0x1
	v_fmac_f64_e32 v[152:153], v[136:137], v[122:123]
	s_wait_loadcnt 0x1
	s_delay_alu instid0(VALU_DEP_1) | instskip(SKIP_4) | instid1(VALU_DEP_1)
	v_fmac_f64_e32 v[152:153], v[118:119], v[124:125]
	ds_load_b64 v[118:119], v2 offset:888
	s_wait_dscnt 0x1
	v_fmac_f64_e32 v[152:153], v[120:121], v[126:127]
	s_wait_loadcnt 0x0
	v_fmac_f64_e32 v[152:153], v[138:139], v[128:129]
	s_wait_dscnt 0x0
	s_delay_alu instid0(VALU_DEP_1) | instskip(NEXT) | instid1(VALU_DEP_1)
	v_fmac_f64_e32 v[152:153], v[140:141], v[118:119]
	v_add_f64_e64 v[116:117], v[116:117], -v[152:153]
	scratch_store_b64 off, v[116:117], off offset:208
	s_wait_xcnt 0x0
	v_cmpx_lt_u32_e32 25, v0
	s_cbranch_execz .LBB119_295
; %bb.294:
	scratch_load_b64 v[116:117], off, off offset:200
	v_mov_b64_e32 v[118:119], 0
	scratch_store_b64 off, v[118:119], off offset:200
	s_wait_loadcnt 0x0
	ds_store_b64 v1, v[116:117]
.LBB119_295:
	s_wait_xcnt 0x0
	s_or_b32 exec_lo, exec_lo, s0
	s_wait_storecnt_dscnt 0x0
	s_barrier_signal -1
	s_barrier_wait -1
	s_clause 0x5
	scratch_load_b128 v[116:119], off, off offset:200
	scratch_load_b128 v[120:123], off, off offset:216
	scratch_load_b128 v[124:127], off, off offset:232
	scratch_load_b128 v[128:131], off, off offset:248
	scratch_load_b128 v[132:135], off, off offset:264
	scratch_load_b128 v[136:139], off, off offset:280
	ds_load_b128 v[140:143], v2 offset:656
	ds_load_b128 v[144:147], v2 offset:672
	scratch_load_b128 v[148:151], off, off offset:296
	s_mov_b32 s0, exec_lo
	s_wait_loadcnt_dscnt 0x601
	v_fma_f64 v[152:153], v[118:119], v[140:141], 0
	s_wait_loadcnt 0x5
	s_delay_alu instid0(VALU_DEP_1) | instskip(SKIP_4) | instid1(VALU_DEP_1)
	v_fmac_f64_e32 v[152:153], v[120:121], v[142:143]
	scratch_load_b128 v[118:121], off, off offset:312
	s_wait_dscnt 0x0
	v_fmac_f64_e32 v[152:153], v[122:123], v[144:145]
	s_wait_loadcnt 0x5
	v_fmac_f64_e32 v[152:153], v[124:125], v[146:147]
	ds_load_b128 v[122:125], v2 offset:688
	ds_load_b128 v[140:143], v2 offset:704
	scratch_load_b128 v[144:147], off, off offset:328
	s_wait_dscnt 0x1
	v_fmac_f64_e32 v[152:153], v[126:127], v[122:123]
	s_wait_loadcnt 0x5
	s_delay_alu instid0(VALU_DEP_1) | instskip(SKIP_4) | instid1(VALU_DEP_1)
	v_fmac_f64_e32 v[152:153], v[128:129], v[124:125]
	scratch_load_b128 v[122:125], off, off offset:344
	s_wait_dscnt 0x0
	v_fmac_f64_e32 v[152:153], v[130:131], v[140:141]
	s_wait_loadcnt 0x5
	v_fmac_f64_e32 v[152:153], v[132:133], v[142:143]
	ds_load_b128 v[126:129], v2 offset:720
	ds_load_b128 v[130:133], v2 offset:736
	scratch_load_b128 v[140:143], off, off offset:360
	s_wait_dscnt 0x1
	v_fmac_f64_e32 v[152:153], v[134:135], v[126:127]
	s_wait_loadcnt 0x5
	s_delay_alu instid0(VALU_DEP_1) | instskip(SKIP_4) | instid1(VALU_DEP_1)
	v_fmac_f64_e32 v[152:153], v[136:137], v[128:129]
	scratch_load_b128 v[126:129], off, off offset:376
	s_wait_dscnt 0x0
	v_fmac_f64_e32 v[152:153], v[138:139], v[130:131]
	s_wait_loadcnt 0x5
	v_fmac_f64_e32 v[152:153], v[148:149], v[132:133]
	ds_load_b128 v[130:133], v2 offset:752
	ds_load_b128 v[134:137], v2 offset:768
	s_wait_dscnt 0x1
	v_fmac_f64_e32 v[152:153], v[150:151], v[130:131]
	s_wait_loadcnt 0x4
	s_delay_alu instid0(VALU_DEP_1)
	v_fmac_f64_e32 v[152:153], v[118:119], v[132:133]
	scratch_load_b128 v[130:133], off, off offset:392
	s_wait_dscnt 0x0
	v_fmac_f64_e32 v[152:153], v[120:121], v[134:135]
	scratch_load_b128 v[118:121], off, off offset:408
	s_wait_loadcnt 0x5
	v_fmac_f64_e32 v[152:153], v[144:145], v[136:137]
	ds_load_b128 v[134:137], v2 offset:784
	ds_load_b128 v[148:151], v2 offset:800
	scratch_load_b64 v[144:145], off, off offset:440
	s_wait_dscnt 0x1
	v_fmac_f64_e32 v[152:153], v[146:147], v[134:135]
	s_wait_loadcnt 0x5
	s_delay_alu instid0(VALU_DEP_1) | instskip(SKIP_4) | instid1(VALU_DEP_1)
	v_fmac_f64_e32 v[152:153], v[122:123], v[136:137]
	scratch_load_b128 v[134:137], off, off offset:424
	s_wait_dscnt 0x0
	v_fmac_f64_e32 v[152:153], v[124:125], v[148:149]
	s_wait_loadcnt 0x5
	v_fmac_f64_e32 v[152:153], v[140:141], v[150:151]
	ds_load_b128 v[122:125], v2 offset:816
	ds_load_b128 v[138:141], v2 offset:832
	s_wait_dscnt 0x1
	v_fmac_f64_e32 v[152:153], v[142:143], v[122:123]
	s_wait_loadcnt 0x4
	s_delay_alu instid0(VALU_DEP_1) | instskip(SKIP_1) | instid1(VALU_DEP_1)
	v_fmac_f64_e32 v[152:153], v[126:127], v[124:125]
	s_wait_dscnt 0x0
	v_fmac_f64_e32 v[152:153], v[128:129], v[138:139]
	ds_load_b128 v[122:125], v2 offset:848
	ds_load_b128 v[126:129], v2 offset:864
	s_wait_loadcnt 0x3
	v_fmac_f64_e32 v[152:153], v[130:131], v[140:141]
	s_wait_dscnt 0x1
	s_delay_alu instid0(VALU_DEP_1) | instskip(SKIP_1) | instid1(VALU_DEP_1)
	v_fmac_f64_e32 v[152:153], v[132:133], v[122:123]
	s_wait_loadcnt 0x2
	v_fmac_f64_e32 v[152:153], v[118:119], v[124:125]
	s_wait_dscnt 0x0
	s_delay_alu instid0(VALU_DEP_1) | instskip(SKIP_4) | instid1(VALU_DEP_1)
	v_fmac_f64_e32 v[152:153], v[120:121], v[126:127]
	ds_load_b128 v[118:121], v2 offset:880
	s_wait_loadcnt 0x0
	v_fmac_f64_e32 v[152:153], v[134:135], v[128:129]
	s_wait_dscnt 0x0
	v_fmac_f64_e32 v[152:153], v[136:137], v[118:119]
	s_delay_alu instid0(VALU_DEP_1) | instskip(NEXT) | instid1(VALU_DEP_1)
	v_fmac_f64_e32 v[152:153], v[144:145], v[120:121]
	v_add_f64_e64 v[2:3], v[116:117], -v[152:153]
	scratch_store_b64 off, v[2:3], off offset:200
	s_wait_xcnt 0x0
	v_cmpx_lt_u32_e32 24, v0
	s_cbranch_execz .LBB119_297
; %bb.296:
	scratch_load_b64 v[2:3], off, off offset:192
	v_mov_b64_e32 v[116:117], 0
	scratch_store_b64 off, v[116:117], off offset:192
	s_wait_loadcnt 0x0
	ds_store_b64 v1, v[2:3]
.LBB119_297:
	s_wait_xcnt 0x0
	s_or_b32 exec_lo, exec_lo, s0
	s_wait_storecnt_dscnt 0x0
	s_barrier_signal -1
	s_barrier_wait -1
	s_clause 0x5
	scratch_load_b128 v[116:119], off, off offset:192
	scratch_load_b128 v[120:123], off, off offset:208
	;; [unrolled: 1-line block ×6, first 2 shown]
	v_mov_b32_e32 v2, 0
	ds_load_2addr_b64 v[140:143], v2 offset0:81 offset1:82
	ds_load_2addr_b64 v[144:147], v2 offset0:83 offset1:84
	scratch_load_b128 v[148:151], off, off offset:288
	s_mov_b32 s0, exec_lo
	s_wait_loadcnt_dscnt 0x601
	v_fma_f64 v[152:153], v[118:119], v[140:141], 0
	s_wait_loadcnt 0x5
	s_delay_alu instid0(VALU_DEP_1) | instskip(SKIP_4) | instid1(VALU_DEP_1)
	v_fmac_f64_e32 v[152:153], v[120:121], v[142:143]
	scratch_load_b128 v[118:121], off, off offset:304
	s_wait_dscnt 0x0
	v_fmac_f64_e32 v[152:153], v[122:123], v[144:145]
	s_wait_loadcnt 0x5
	v_fmac_f64_e32 v[152:153], v[124:125], v[146:147]
	ds_load_2addr_b64 v[122:125], v2 offset0:85 offset1:86
	ds_load_2addr_b64 v[140:143], v2 offset0:87 offset1:88
	scratch_load_b128 v[144:147], off, off offset:320
	s_wait_dscnt 0x1
	v_fmac_f64_e32 v[152:153], v[126:127], v[122:123]
	s_wait_loadcnt 0x5
	s_delay_alu instid0(VALU_DEP_1) | instskip(SKIP_4) | instid1(VALU_DEP_1)
	v_fmac_f64_e32 v[152:153], v[128:129], v[124:125]
	scratch_load_b128 v[122:125], off, off offset:336
	s_wait_dscnt 0x0
	v_fmac_f64_e32 v[152:153], v[130:131], v[140:141]
	s_wait_loadcnt 0x5
	v_fmac_f64_e32 v[152:153], v[132:133], v[142:143]
	ds_load_2addr_b64 v[126:129], v2 offset0:89 offset1:90
	ds_load_2addr_b64 v[130:133], v2 offset0:91 offset1:92
	scratch_load_b128 v[140:143], off, off offset:352
	s_wait_dscnt 0x1
	v_fmac_f64_e32 v[152:153], v[134:135], v[126:127]
	s_wait_loadcnt 0x5
	s_delay_alu instid0(VALU_DEP_1) | instskip(SKIP_4) | instid1(VALU_DEP_1)
	v_fmac_f64_e32 v[152:153], v[136:137], v[128:129]
	scratch_load_b128 v[126:129], off, off offset:368
	s_wait_dscnt 0x0
	v_fmac_f64_e32 v[152:153], v[138:139], v[130:131]
	s_wait_loadcnt 0x5
	v_fmac_f64_e32 v[152:153], v[148:149], v[132:133]
	ds_load_2addr_b64 v[130:133], v2 offset0:93 offset1:94
	ds_load_2addr_b64 v[134:137], v2 offset0:95 offset1:96
	s_wait_dscnt 0x1
	v_fmac_f64_e32 v[152:153], v[150:151], v[130:131]
	s_wait_loadcnt 0x4
	s_delay_alu instid0(VALU_DEP_1)
	v_fmac_f64_e32 v[152:153], v[118:119], v[132:133]
	scratch_load_b128 v[130:133], off, off offset:384
	s_wait_dscnt 0x0
	v_fmac_f64_e32 v[152:153], v[120:121], v[134:135]
	scratch_load_b128 v[118:121], off, off offset:400
	s_wait_loadcnt 0x5
	v_fmac_f64_e32 v[152:153], v[144:145], v[136:137]
	ds_load_2addr_b64 v[134:137], v2 offset0:97 offset1:98
	ds_load_2addr_b64 v[148:151], v2 offset0:99 offset1:100
	s_wait_dscnt 0x1
	v_fmac_f64_e32 v[152:153], v[146:147], v[134:135]
	s_wait_loadcnt 0x4
	s_delay_alu instid0(VALU_DEP_1)
	v_fmac_f64_e32 v[152:153], v[122:123], v[136:137]
	scratch_load_b128 v[134:137], off, off offset:416
	s_wait_dscnt 0x0
	v_fmac_f64_e32 v[152:153], v[124:125], v[148:149]
	scratch_load_b128 v[122:125], off, off offset:432
	s_wait_loadcnt 0x5
	v_fmac_f64_e32 v[152:153], v[140:141], v[150:151]
	ds_load_2addr_b64 v[138:141], v2 offset0:101 offset1:102
	ds_load_2addr_b64 v[144:147], v2 offset0:103 offset1:104
	s_wait_dscnt 0x1
	v_fmac_f64_e32 v[152:153], v[142:143], v[138:139]
	s_wait_loadcnt 0x4
	s_delay_alu instid0(VALU_DEP_1) | instskip(SKIP_1) | instid1(VALU_DEP_1)
	v_fmac_f64_e32 v[152:153], v[126:127], v[140:141]
	s_wait_dscnt 0x0
	v_fmac_f64_e32 v[152:153], v[128:129], v[144:145]
	ds_load_2addr_b64 v[126:129], v2 offset0:105 offset1:106
	ds_load_2addr_b64 v[138:141], v2 offset0:107 offset1:108
	s_wait_loadcnt 0x3
	v_fmac_f64_e32 v[152:153], v[130:131], v[146:147]
	s_wait_dscnt 0x1
	s_delay_alu instid0(VALU_DEP_1) | instskip(SKIP_1) | instid1(VALU_DEP_1)
	v_fmac_f64_e32 v[152:153], v[132:133], v[126:127]
	s_wait_loadcnt 0x2
	v_fmac_f64_e32 v[152:153], v[118:119], v[128:129]
	s_wait_dscnt 0x0
	s_delay_alu instid0(VALU_DEP_1)
	v_fmac_f64_e32 v[152:153], v[120:121], v[138:139]
	ds_load_2addr_b64 v[118:121], v2 offset0:109 offset1:110
	ds_load_b64 v[126:127], v2 offset:888
	s_wait_loadcnt 0x1
	v_fmac_f64_e32 v[152:153], v[134:135], v[140:141]
	s_wait_dscnt 0x1
	s_delay_alu instid0(VALU_DEP_1) | instskip(SKIP_1) | instid1(VALU_DEP_1)
	v_fmac_f64_e32 v[152:153], v[136:137], v[118:119]
	s_wait_loadcnt 0x0
	v_fmac_f64_e32 v[152:153], v[122:123], v[120:121]
	s_wait_dscnt 0x0
	s_delay_alu instid0(VALU_DEP_1) | instskip(NEXT) | instid1(VALU_DEP_1)
	v_fmac_f64_e32 v[152:153], v[124:125], v[126:127]
	v_add_f64_e64 v[116:117], v[116:117], -v[152:153]
	scratch_store_b64 off, v[116:117], off offset:192
	s_wait_xcnt 0x0
	v_cmpx_lt_u32_e32 23, v0
	s_cbranch_execz .LBB119_299
; %bb.298:
	scratch_load_b64 v[116:117], off, off offset:184
	v_mov_b64_e32 v[118:119], 0
	scratch_store_b64 off, v[118:119], off offset:184
	s_wait_loadcnt 0x0
	ds_store_b64 v1, v[116:117]
.LBB119_299:
	s_wait_xcnt 0x0
	s_or_b32 exec_lo, exec_lo, s0
	s_wait_storecnt_dscnt 0x0
	s_barrier_signal -1
	s_barrier_wait -1
	s_clause 0x5
	scratch_load_b128 v[116:119], off, off offset:184
	scratch_load_b128 v[120:123], off, off offset:200
	;; [unrolled: 1-line block ×6, first 2 shown]
	ds_load_b128 v[140:143], v2 offset:640
	ds_load_b128 v[144:147], v2 offset:656
	scratch_load_b128 v[148:151], off, off offset:280
	s_mov_b32 s0, exec_lo
	s_wait_loadcnt_dscnt 0x601
	v_fma_f64 v[152:153], v[118:119], v[140:141], 0
	s_wait_loadcnt 0x5
	s_delay_alu instid0(VALU_DEP_1) | instskip(SKIP_4) | instid1(VALU_DEP_1)
	v_fmac_f64_e32 v[152:153], v[120:121], v[142:143]
	scratch_load_b128 v[118:121], off, off offset:296
	s_wait_dscnt 0x0
	v_fmac_f64_e32 v[152:153], v[122:123], v[144:145]
	s_wait_loadcnt 0x5
	v_fmac_f64_e32 v[152:153], v[124:125], v[146:147]
	ds_load_b128 v[122:125], v2 offset:672
	ds_load_b128 v[140:143], v2 offset:688
	scratch_load_b128 v[144:147], off, off offset:312
	s_wait_dscnt 0x1
	v_fmac_f64_e32 v[152:153], v[126:127], v[122:123]
	s_wait_loadcnt 0x5
	s_delay_alu instid0(VALU_DEP_1) | instskip(SKIP_4) | instid1(VALU_DEP_1)
	v_fmac_f64_e32 v[152:153], v[128:129], v[124:125]
	scratch_load_b128 v[122:125], off, off offset:328
	s_wait_dscnt 0x0
	v_fmac_f64_e32 v[152:153], v[130:131], v[140:141]
	s_wait_loadcnt 0x5
	v_fmac_f64_e32 v[152:153], v[132:133], v[142:143]
	ds_load_b128 v[126:129], v2 offset:704
	ds_load_b128 v[130:133], v2 offset:720
	scratch_load_b128 v[140:143], off, off offset:344
	s_wait_dscnt 0x1
	v_fmac_f64_e32 v[152:153], v[134:135], v[126:127]
	s_wait_loadcnt 0x5
	s_delay_alu instid0(VALU_DEP_1) | instskip(SKIP_4) | instid1(VALU_DEP_1)
	v_fmac_f64_e32 v[152:153], v[136:137], v[128:129]
	scratch_load_b128 v[126:129], off, off offset:360
	s_wait_dscnt 0x0
	v_fmac_f64_e32 v[152:153], v[138:139], v[130:131]
	s_wait_loadcnt 0x5
	v_fmac_f64_e32 v[152:153], v[148:149], v[132:133]
	ds_load_b128 v[130:133], v2 offset:736
	ds_load_b128 v[134:137], v2 offset:752
	s_wait_dscnt 0x1
	v_fmac_f64_e32 v[152:153], v[150:151], v[130:131]
	s_wait_loadcnt 0x4
	s_delay_alu instid0(VALU_DEP_1)
	v_fmac_f64_e32 v[152:153], v[118:119], v[132:133]
	scratch_load_b128 v[130:133], off, off offset:376
	s_wait_dscnt 0x0
	v_fmac_f64_e32 v[152:153], v[120:121], v[134:135]
	scratch_load_b128 v[118:121], off, off offset:392
	s_wait_loadcnt 0x5
	v_fmac_f64_e32 v[152:153], v[144:145], v[136:137]
	ds_load_b128 v[134:137], v2 offset:768
	ds_load_b128 v[148:151], v2 offset:784
	s_wait_dscnt 0x1
	v_fmac_f64_e32 v[152:153], v[146:147], v[134:135]
	s_wait_loadcnt 0x4
	s_delay_alu instid0(VALU_DEP_1)
	v_fmac_f64_e32 v[152:153], v[122:123], v[136:137]
	scratch_load_b128 v[134:137], off, off offset:408
	s_wait_dscnt 0x0
	v_fmac_f64_e32 v[152:153], v[124:125], v[148:149]
	scratch_load_b128 v[122:125], off, off offset:424
	s_wait_loadcnt 0x5
	v_fmac_f64_e32 v[152:153], v[140:141], v[150:151]
	ds_load_b128 v[138:141], v2 offset:800
	ds_load_b128 v[144:147], v2 offset:816
	s_wait_dscnt 0x1
	v_fmac_f64_e32 v[152:153], v[142:143], v[138:139]
	scratch_load_b64 v[142:143], off, off offset:440
	s_wait_loadcnt 0x5
	v_fmac_f64_e32 v[152:153], v[126:127], v[140:141]
	s_wait_dscnt 0x0
	s_delay_alu instid0(VALU_DEP_1)
	v_fmac_f64_e32 v[152:153], v[128:129], v[144:145]
	ds_load_b128 v[126:129], v2 offset:832
	ds_load_b128 v[138:141], v2 offset:848
	s_wait_loadcnt 0x4
	v_fmac_f64_e32 v[152:153], v[130:131], v[146:147]
	s_wait_dscnt 0x1
	s_delay_alu instid0(VALU_DEP_1) | instskip(SKIP_1) | instid1(VALU_DEP_1)
	v_fmac_f64_e32 v[152:153], v[132:133], v[126:127]
	s_wait_loadcnt 0x3
	v_fmac_f64_e32 v[152:153], v[118:119], v[128:129]
	s_wait_dscnt 0x0
	s_delay_alu instid0(VALU_DEP_1)
	v_fmac_f64_e32 v[152:153], v[120:121], v[138:139]
	ds_load_b128 v[118:121], v2 offset:864
	ds_load_b128 v[126:129], v2 offset:880
	s_wait_loadcnt 0x2
	v_fmac_f64_e32 v[152:153], v[134:135], v[140:141]
	s_wait_dscnt 0x1
	s_delay_alu instid0(VALU_DEP_1) | instskip(SKIP_1) | instid1(VALU_DEP_1)
	v_fmac_f64_e32 v[152:153], v[136:137], v[118:119]
	s_wait_loadcnt 0x1
	v_fmac_f64_e32 v[152:153], v[122:123], v[120:121]
	s_wait_dscnt 0x0
	s_delay_alu instid0(VALU_DEP_1) | instskip(SKIP_1) | instid1(VALU_DEP_1)
	v_fmac_f64_e32 v[152:153], v[124:125], v[126:127]
	s_wait_loadcnt 0x0
	v_fmac_f64_e32 v[152:153], v[142:143], v[128:129]
	s_delay_alu instid0(VALU_DEP_1)
	v_add_f64_e64 v[2:3], v[116:117], -v[152:153]
	scratch_store_b64 off, v[2:3], off offset:184
	s_wait_xcnt 0x0
	v_cmpx_lt_u32_e32 22, v0
	s_cbranch_execz .LBB119_301
; %bb.300:
	scratch_load_b64 v[2:3], off, off offset:176
	v_mov_b64_e32 v[116:117], 0
	scratch_store_b64 off, v[116:117], off offset:176
	s_wait_loadcnt 0x0
	ds_store_b64 v1, v[2:3]
.LBB119_301:
	s_wait_xcnt 0x0
	s_or_b32 exec_lo, exec_lo, s0
	s_wait_storecnt_dscnt 0x0
	s_barrier_signal -1
	s_barrier_wait -1
	s_clause 0x5
	scratch_load_b128 v[116:119], off, off offset:176
	scratch_load_b128 v[120:123], off, off offset:192
	;; [unrolled: 1-line block ×6, first 2 shown]
	v_mov_b32_e32 v2, 0
	ds_load_2addr_b64 v[140:143], v2 offset0:79 offset1:80
	ds_load_2addr_b64 v[144:147], v2 offset0:81 offset1:82
	scratch_load_b128 v[148:151], off, off offset:272
	s_mov_b32 s0, exec_lo
	s_wait_loadcnt_dscnt 0x601
	v_fma_f64 v[152:153], v[118:119], v[140:141], 0
	s_wait_loadcnt 0x5
	s_delay_alu instid0(VALU_DEP_1) | instskip(SKIP_4) | instid1(VALU_DEP_1)
	v_fmac_f64_e32 v[152:153], v[120:121], v[142:143]
	scratch_load_b128 v[118:121], off, off offset:288
	s_wait_dscnt 0x0
	v_fmac_f64_e32 v[152:153], v[122:123], v[144:145]
	s_wait_loadcnt 0x5
	v_fmac_f64_e32 v[152:153], v[124:125], v[146:147]
	ds_load_2addr_b64 v[122:125], v2 offset0:83 offset1:84
	ds_load_2addr_b64 v[140:143], v2 offset0:85 offset1:86
	scratch_load_b128 v[144:147], off, off offset:304
	s_wait_dscnt 0x1
	v_fmac_f64_e32 v[152:153], v[126:127], v[122:123]
	s_wait_loadcnt 0x5
	s_delay_alu instid0(VALU_DEP_1) | instskip(SKIP_4) | instid1(VALU_DEP_1)
	v_fmac_f64_e32 v[152:153], v[128:129], v[124:125]
	scratch_load_b128 v[122:125], off, off offset:320
	s_wait_dscnt 0x0
	v_fmac_f64_e32 v[152:153], v[130:131], v[140:141]
	s_wait_loadcnt 0x5
	v_fmac_f64_e32 v[152:153], v[132:133], v[142:143]
	ds_load_2addr_b64 v[126:129], v2 offset0:87 offset1:88
	ds_load_2addr_b64 v[130:133], v2 offset0:89 offset1:90
	scratch_load_b128 v[140:143], off, off offset:336
	s_wait_dscnt 0x1
	v_fmac_f64_e32 v[152:153], v[134:135], v[126:127]
	s_wait_loadcnt 0x5
	s_delay_alu instid0(VALU_DEP_1) | instskip(SKIP_4) | instid1(VALU_DEP_1)
	v_fmac_f64_e32 v[152:153], v[136:137], v[128:129]
	scratch_load_b128 v[126:129], off, off offset:352
	s_wait_dscnt 0x0
	v_fmac_f64_e32 v[152:153], v[138:139], v[130:131]
	s_wait_loadcnt 0x5
	v_fmac_f64_e32 v[152:153], v[148:149], v[132:133]
	ds_load_2addr_b64 v[130:133], v2 offset0:91 offset1:92
	ds_load_2addr_b64 v[134:137], v2 offset0:93 offset1:94
	s_wait_dscnt 0x1
	v_fmac_f64_e32 v[152:153], v[150:151], v[130:131]
	s_wait_loadcnt 0x4
	s_delay_alu instid0(VALU_DEP_1)
	v_fmac_f64_e32 v[152:153], v[118:119], v[132:133]
	scratch_load_b128 v[130:133], off, off offset:368
	s_wait_dscnt 0x0
	v_fmac_f64_e32 v[152:153], v[120:121], v[134:135]
	scratch_load_b128 v[118:121], off, off offset:384
	s_wait_loadcnt 0x5
	v_fmac_f64_e32 v[152:153], v[144:145], v[136:137]
	ds_load_2addr_b64 v[134:137], v2 offset0:95 offset1:96
	ds_load_2addr_b64 v[148:151], v2 offset0:97 offset1:98
	s_wait_dscnt 0x1
	v_fmac_f64_e32 v[152:153], v[146:147], v[134:135]
	s_wait_loadcnt 0x4
	s_delay_alu instid0(VALU_DEP_1)
	v_fmac_f64_e32 v[152:153], v[122:123], v[136:137]
	scratch_load_b128 v[134:137], off, off offset:400
	s_wait_dscnt 0x0
	v_fmac_f64_e32 v[152:153], v[124:125], v[148:149]
	scratch_load_b128 v[122:125], off, off offset:416
	s_wait_loadcnt 0x5
	v_fmac_f64_e32 v[152:153], v[140:141], v[150:151]
	ds_load_2addr_b64 v[138:141], v2 offset0:99 offset1:100
	ds_load_2addr_b64 v[144:147], v2 offset0:101 offset1:102
	s_wait_dscnt 0x1
	v_fmac_f64_e32 v[152:153], v[142:143], v[138:139]
	s_wait_loadcnt 0x4
	s_delay_alu instid0(VALU_DEP_1)
	v_fmac_f64_e32 v[152:153], v[126:127], v[140:141]
	scratch_load_b128 v[138:141], off, off offset:432
	s_wait_dscnt 0x0
	v_fmac_f64_e32 v[152:153], v[128:129], v[144:145]
	ds_load_2addr_b64 v[126:129], v2 offset0:103 offset1:104
	ds_load_2addr_b64 v[142:145], v2 offset0:105 offset1:106
	s_wait_loadcnt 0x4
	v_fmac_f64_e32 v[152:153], v[130:131], v[146:147]
	s_wait_dscnt 0x1
	s_delay_alu instid0(VALU_DEP_1) | instskip(SKIP_1) | instid1(VALU_DEP_1)
	v_fmac_f64_e32 v[152:153], v[132:133], v[126:127]
	s_wait_loadcnt 0x3
	v_fmac_f64_e32 v[152:153], v[118:119], v[128:129]
	s_wait_dscnt 0x0
	s_delay_alu instid0(VALU_DEP_1)
	v_fmac_f64_e32 v[152:153], v[120:121], v[142:143]
	ds_load_2addr_b64 v[118:121], v2 offset0:107 offset1:108
	ds_load_2addr_b64 v[126:129], v2 offset0:109 offset1:110
	s_wait_loadcnt 0x2
	v_fmac_f64_e32 v[152:153], v[134:135], v[144:145]
	s_wait_dscnt 0x1
	s_delay_alu instid0(VALU_DEP_1) | instskip(SKIP_4) | instid1(VALU_DEP_1)
	v_fmac_f64_e32 v[152:153], v[136:137], v[118:119]
	ds_load_b64 v[118:119], v2 offset:888
	s_wait_loadcnt 0x1
	v_fmac_f64_e32 v[152:153], v[122:123], v[120:121]
	s_wait_dscnt 0x1
	v_fmac_f64_e32 v[152:153], v[124:125], v[126:127]
	s_wait_loadcnt 0x0
	s_delay_alu instid0(VALU_DEP_1) | instskip(SKIP_1) | instid1(VALU_DEP_1)
	v_fmac_f64_e32 v[152:153], v[138:139], v[128:129]
	s_wait_dscnt 0x0
	v_fmac_f64_e32 v[152:153], v[140:141], v[118:119]
	s_delay_alu instid0(VALU_DEP_1)
	v_add_f64_e64 v[116:117], v[116:117], -v[152:153]
	scratch_store_b64 off, v[116:117], off offset:176
	s_wait_xcnt 0x0
	v_cmpx_lt_u32_e32 21, v0
	s_cbranch_execz .LBB119_303
; %bb.302:
	scratch_load_b64 v[116:117], off, off offset:168
	v_mov_b64_e32 v[118:119], 0
	scratch_store_b64 off, v[118:119], off offset:168
	s_wait_loadcnt 0x0
	ds_store_b64 v1, v[116:117]
.LBB119_303:
	s_wait_xcnt 0x0
	s_or_b32 exec_lo, exec_lo, s0
	s_wait_storecnt_dscnt 0x0
	s_barrier_signal -1
	s_barrier_wait -1
	s_clause 0x5
	scratch_load_b128 v[116:119], off, off offset:168
	scratch_load_b128 v[120:123], off, off offset:184
	;; [unrolled: 1-line block ×6, first 2 shown]
	ds_load_b128 v[140:143], v2 offset:624
	ds_load_b128 v[144:147], v2 offset:640
	scratch_load_b128 v[148:151], off, off offset:264
	s_mov_b32 s0, exec_lo
	s_wait_loadcnt_dscnt 0x601
	v_fma_f64 v[152:153], v[118:119], v[140:141], 0
	s_wait_loadcnt 0x5
	s_delay_alu instid0(VALU_DEP_1) | instskip(SKIP_4) | instid1(VALU_DEP_1)
	v_fmac_f64_e32 v[152:153], v[120:121], v[142:143]
	scratch_load_b128 v[118:121], off, off offset:280
	s_wait_dscnt 0x0
	v_fmac_f64_e32 v[152:153], v[122:123], v[144:145]
	s_wait_loadcnt 0x5
	v_fmac_f64_e32 v[152:153], v[124:125], v[146:147]
	ds_load_b128 v[122:125], v2 offset:656
	ds_load_b128 v[140:143], v2 offset:672
	scratch_load_b128 v[144:147], off, off offset:296
	s_wait_dscnt 0x1
	v_fmac_f64_e32 v[152:153], v[126:127], v[122:123]
	s_wait_loadcnt 0x5
	s_delay_alu instid0(VALU_DEP_1) | instskip(SKIP_4) | instid1(VALU_DEP_1)
	v_fmac_f64_e32 v[152:153], v[128:129], v[124:125]
	scratch_load_b128 v[122:125], off, off offset:312
	s_wait_dscnt 0x0
	v_fmac_f64_e32 v[152:153], v[130:131], v[140:141]
	s_wait_loadcnt 0x5
	v_fmac_f64_e32 v[152:153], v[132:133], v[142:143]
	ds_load_b128 v[126:129], v2 offset:688
	ds_load_b128 v[130:133], v2 offset:704
	scratch_load_b128 v[140:143], off, off offset:328
	s_wait_dscnt 0x1
	v_fmac_f64_e32 v[152:153], v[134:135], v[126:127]
	s_wait_loadcnt 0x5
	s_delay_alu instid0(VALU_DEP_1) | instskip(SKIP_4) | instid1(VALU_DEP_1)
	v_fmac_f64_e32 v[152:153], v[136:137], v[128:129]
	scratch_load_b128 v[126:129], off, off offset:344
	s_wait_dscnt 0x0
	v_fmac_f64_e32 v[152:153], v[138:139], v[130:131]
	s_wait_loadcnt 0x5
	v_fmac_f64_e32 v[152:153], v[148:149], v[132:133]
	ds_load_b128 v[130:133], v2 offset:720
	ds_load_b128 v[134:137], v2 offset:736
	s_wait_dscnt 0x1
	v_fmac_f64_e32 v[152:153], v[150:151], v[130:131]
	scratch_load_b128 v[148:151], off, off offset:360
	s_wait_loadcnt 0x5
	v_fmac_f64_e32 v[152:153], v[118:119], v[132:133]
	s_wait_dscnt 0x0
	s_delay_alu instid0(VALU_DEP_1)
	v_fmac_f64_e32 v[152:153], v[120:121], v[134:135]
	scratch_load_b128 v[118:121], off, off offset:376
	s_wait_loadcnt 0x5
	v_fmac_f64_e32 v[152:153], v[144:145], v[136:137]
	ds_load_b128 v[130:133], v2 offset:752
	ds_load_b128 v[134:137], v2 offset:768
	s_wait_dscnt 0x1
	v_fmac_f64_e32 v[152:153], v[146:147], v[130:131]
	s_wait_loadcnt 0x4
	s_delay_alu instid0(VALU_DEP_1)
	v_fmac_f64_e32 v[152:153], v[122:123], v[132:133]
	scratch_load_b128 v[130:133], off, off offset:392
	s_wait_dscnt 0x0
	v_fmac_f64_e32 v[152:153], v[124:125], v[134:135]
	scratch_load_b128 v[122:125], off, off offset:408
	s_wait_loadcnt 0x5
	v_fmac_f64_e32 v[152:153], v[140:141], v[136:137]
	ds_load_b128 v[134:137], v2 offset:784
	ds_load_b128 v[138:141], v2 offset:800
	s_wait_dscnt 0x1
	v_fmac_f64_e32 v[152:153], v[142:143], v[134:135]
	scratch_load_b64 v[142:143], off, off offset:440
	s_wait_loadcnt 0x5
	v_fmac_f64_e32 v[152:153], v[126:127], v[136:137]
	scratch_load_b128 v[134:137], off, off offset:424
	s_wait_dscnt 0x0
	v_fmac_f64_e32 v[152:153], v[128:129], v[138:139]
	s_wait_loadcnt 0x5
	s_delay_alu instid0(VALU_DEP_1)
	v_fmac_f64_e32 v[152:153], v[148:149], v[140:141]
	ds_load_b128 v[126:129], v2 offset:816
	ds_load_b128 v[138:141], v2 offset:832
	s_wait_dscnt 0x1
	v_fmac_f64_e32 v[152:153], v[150:151], v[126:127]
	s_wait_loadcnt 0x4
	s_delay_alu instid0(VALU_DEP_1) | instskip(SKIP_1) | instid1(VALU_DEP_1)
	v_fmac_f64_e32 v[152:153], v[118:119], v[128:129]
	s_wait_dscnt 0x0
	v_fmac_f64_e32 v[152:153], v[120:121], v[138:139]
	ds_load_b128 v[118:121], v2 offset:848
	ds_load_b128 v[126:129], v2 offset:864
	s_wait_loadcnt 0x3
	v_fmac_f64_e32 v[152:153], v[130:131], v[140:141]
	s_wait_dscnt 0x1
	s_delay_alu instid0(VALU_DEP_1) | instskip(SKIP_1) | instid1(VALU_DEP_1)
	v_fmac_f64_e32 v[152:153], v[132:133], v[118:119]
	s_wait_loadcnt 0x2
	v_fmac_f64_e32 v[152:153], v[122:123], v[120:121]
	ds_load_b128 v[118:121], v2 offset:880
	s_wait_dscnt 0x1
	v_fmac_f64_e32 v[152:153], v[124:125], v[126:127]
	s_wait_loadcnt 0x0
	s_delay_alu instid0(VALU_DEP_1) | instskip(SKIP_1) | instid1(VALU_DEP_1)
	v_fmac_f64_e32 v[152:153], v[134:135], v[128:129]
	s_wait_dscnt 0x0
	v_fmac_f64_e32 v[152:153], v[136:137], v[118:119]
	s_delay_alu instid0(VALU_DEP_1) | instskip(NEXT) | instid1(VALU_DEP_1)
	v_fmac_f64_e32 v[152:153], v[142:143], v[120:121]
	v_add_f64_e64 v[2:3], v[116:117], -v[152:153]
	scratch_store_b64 off, v[2:3], off offset:168
	s_wait_xcnt 0x0
	v_cmpx_lt_u32_e32 20, v0
	s_cbranch_execz .LBB119_305
; %bb.304:
	scratch_load_b64 v[2:3], off, off offset:160
	v_mov_b64_e32 v[116:117], 0
	scratch_store_b64 off, v[116:117], off offset:160
	s_wait_loadcnt 0x0
	ds_store_b64 v1, v[2:3]
.LBB119_305:
	s_wait_xcnt 0x0
	s_or_b32 exec_lo, exec_lo, s0
	s_wait_storecnt_dscnt 0x0
	s_barrier_signal -1
	s_barrier_wait -1
	s_clause 0x5
	scratch_load_b128 v[116:119], off, off offset:160
	scratch_load_b128 v[120:123], off, off offset:176
	;; [unrolled: 1-line block ×6, first 2 shown]
	v_mov_b32_e32 v2, 0
	ds_load_2addr_b64 v[140:143], v2 offset0:77 offset1:78
	ds_load_2addr_b64 v[144:147], v2 offset0:79 offset1:80
	scratch_load_b128 v[148:151], off, off offset:256
	s_mov_b32 s0, exec_lo
	s_wait_loadcnt_dscnt 0x601
	v_fma_f64 v[152:153], v[118:119], v[140:141], 0
	s_wait_loadcnt 0x5
	s_delay_alu instid0(VALU_DEP_1) | instskip(SKIP_4) | instid1(VALU_DEP_1)
	v_fmac_f64_e32 v[152:153], v[120:121], v[142:143]
	scratch_load_b128 v[118:121], off, off offset:272
	s_wait_dscnt 0x0
	v_fmac_f64_e32 v[152:153], v[122:123], v[144:145]
	s_wait_loadcnt 0x5
	v_fmac_f64_e32 v[152:153], v[124:125], v[146:147]
	ds_load_2addr_b64 v[122:125], v2 offset0:81 offset1:82
	ds_load_2addr_b64 v[140:143], v2 offset0:83 offset1:84
	scratch_load_b128 v[144:147], off, off offset:288
	s_wait_dscnt 0x1
	v_fmac_f64_e32 v[152:153], v[126:127], v[122:123]
	s_wait_loadcnt 0x5
	s_delay_alu instid0(VALU_DEP_1) | instskip(SKIP_4) | instid1(VALU_DEP_1)
	v_fmac_f64_e32 v[152:153], v[128:129], v[124:125]
	scratch_load_b128 v[122:125], off, off offset:304
	s_wait_dscnt 0x0
	v_fmac_f64_e32 v[152:153], v[130:131], v[140:141]
	s_wait_loadcnt 0x5
	v_fmac_f64_e32 v[152:153], v[132:133], v[142:143]
	ds_load_2addr_b64 v[126:129], v2 offset0:85 offset1:86
	ds_load_2addr_b64 v[130:133], v2 offset0:87 offset1:88
	scratch_load_b128 v[140:143], off, off offset:320
	s_wait_dscnt 0x1
	v_fmac_f64_e32 v[152:153], v[134:135], v[126:127]
	s_wait_loadcnt 0x5
	s_delay_alu instid0(VALU_DEP_1) | instskip(SKIP_4) | instid1(VALU_DEP_1)
	v_fmac_f64_e32 v[152:153], v[136:137], v[128:129]
	scratch_load_b128 v[126:129], off, off offset:336
	s_wait_dscnt 0x0
	v_fmac_f64_e32 v[152:153], v[138:139], v[130:131]
	s_wait_loadcnt 0x5
	v_fmac_f64_e32 v[152:153], v[148:149], v[132:133]
	ds_load_2addr_b64 v[130:133], v2 offset0:89 offset1:90
	ds_load_2addr_b64 v[134:137], v2 offset0:91 offset1:92
	s_wait_dscnt 0x1
	v_fmac_f64_e32 v[152:153], v[150:151], v[130:131]
	scratch_load_b128 v[148:151], off, off offset:352
	s_wait_loadcnt 0x5
	v_fmac_f64_e32 v[152:153], v[118:119], v[132:133]
	s_wait_dscnt 0x0
	s_delay_alu instid0(VALU_DEP_1)
	v_fmac_f64_e32 v[152:153], v[120:121], v[134:135]
	scratch_load_b128 v[118:121], off, off offset:368
	s_wait_loadcnt 0x5
	v_fmac_f64_e32 v[152:153], v[144:145], v[136:137]
	ds_load_2addr_b64 v[130:133], v2 offset0:93 offset1:94
	ds_load_2addr_b64 v[134:137], v2 offset0:95 offset1:96
	s_wait_dscnt 0x1
	v_fmac_f64_e32 v[152:153], v[146:147], v[130:131]
	s_wait_loadcnt 0x4
	s_delay_alu instid0(VALU_DEP_1)
	v_fmac_f64_e32 v[152:153], v[122:123], v[132:133]
	scratch_load_b128 v[130:133], off, off offset:384
	s_wait_dscnt 0x0
	v_fmac_f64_e32 v[152:153], v[124:125], v[134:135]
	scratch_load_b128 v[122:125], off, off offset:400
	s_wait_loadcnt 0x5
	v_fmac_f64_e32 v[152:153], v[140:141], v[136:137]
	ds_load_2addr_b64 v[134:137], v2 offset0:97 offset1:98
	ds_load_2addr_b64 v[138:141], v2 offset0:99 offset1:100
	s_wait_dscnt 0x1
	v_fmac_f64_e32 v[152:153], v[142:143], v[134:135]
	s_wait_loadcnt 0x4
	s_delay_alu instid0(VALU_DEP_1)
	v_fmac_f64_e32 v[152:153], v[126:127], v[136:137]
	scratch_load_b128 v[134:137], off, off offset:416
	s_wait_dscnt 0x0
	v_fmac_f64_e32 v[152:153], v[128:129], v[138:139]
	scratch_load_b128 v[126:129], off, off offset:432
	s_wait_loadcnt 0x5
	v_fmac_f64_e32 v[152:153], v[148:149], v[140:141]
	ds_load_2addr_b64 v[138:141], v2 offset0:101 offset1:102
	ds_load_2addr_b64 v[142:145], v2 offset0:103 offset1:104
	s_wait_dscnt 0x1
	v_fmac_f64_e32 v[152:153], v[150:151], v[138:139]
	s_wait_loadcnt 0x4
	s_delay_alu instid0(VALU_DEP_1) | instskip(SKIP_1) | instid1(VALU_DEP_1)
	v_fmac_f64_e32 v[152:153], v[118:119], v[140:141]
	s_wait_dscnt 0x0
	v_fmac_f64_e32 v[152:153], v[120:121], v[142:143]
	ds_load_2addr_b64 v[118:121], v2 offset0:105 offset1:106
	ds_load_2addr_b64 v[138:141], v2 offset0:107 offset1:108
	s_wait_loadcnt 0x3
	v_fmac_f64_e32 v[152:153], v[130:131], v[144:145]
	s_wait_dscnt 0x1
	s_delay_alu instid0(VALU_DEP_1) | instskip(SKIP_1) | instid1(VALU_DEP_1)
	v_fmac_f64_e32 v[152:153], v[132:133], v[118:119]
	s_wait_loadcnt 0x2
	v_fmac_f64_e32 v[152:153], v[122:123], v[120:121]
	ds_load_2addr_b64 v[118:121], v2 offset0:109 offset1:110
	ds_load_b64 v[122:123], v2 offset:888
	s_wait_dscnt 0x2
	v_fmac_f64_e32 v[152:153], v[124:125], v[138:139]
	s_wait_loadcnt 0x1
	s_delay_alu instid0(VALU_DEP_1) | instskip(SKIP_1) | instid1(VALU_DEP_1)
	v_fmac_f64_e32 v[152:153], v[134:135], v[140:141]
	s_wait_dscnt 0x1
	v_fmac_f64_e32 v[152:153], v[136:137], v[118:119]
	s_wait_loadcnt 0x0
	s_delay_alu instid0(VALU_DEP_1) | instskip(SKIP_1) | instid1(VALU_DEP_1)
	v_fmac_f64_e32 v[152:153], v[126:127], v[120:121]
	s_wait_dscnt 0x0
	v_fmac_f64_e32 v[152:153], v[128:129], v[122:123]
	s_delay_alu instid0(VALU_DEP_1)
	v_add_f64_e64 v[116:117], v[116:117], -v[152:153]
	scratch_store_b64 off, v[116:117], off offset:160
	s_wait_xcnt 0x0
	v_cmpx_lt_u32_e32 19, v0
	s_cbranch_execz .LBB119_307
; %bb.306:
	scratch_load_b64 v[116:117], off, off offset:152
	v_mov_b64_e32 v[118:119], 0
	scratch_store_b64 off, v[118:119], off offset:152
	s_wait_loadcnt 0x0
	ds_store_b64 v1, v[116:117]
.LBB119_307:
	s_wait_xcnt 0x0
	s_or_b32 exec_lo, exec_lo, s0
	s_wait_storecnt_dscnt 0x0
	s_barrier_signal -1
	s_barrier_wait -1
	s_clause 0x5
	scratch_load_b128 v[116:119], off, off offset:152
	scratch_load_b128 v[120:123], off, off offset:168
	;; [unrolled: 1-line block ×6, first 2 shown]
	ds_load_b128 v[140:143], v2 offset:608
	ds_load_b128 v[144:147], v2 offset:624
	scratch_load_b128 v[148:151], off, off offset:248
	s_mov_b32 s0, exec_lo
	s_wait_loadcnt_dscnt 0x601
	v_fma_f64 v[152:153], v[118:119], v[140:141], 0
	s_wait_loadcnt 0x5
	s_delay_alu instid0(VALU_DEP_1) | instskip(SKIP_4) | instid1(VALU_DEP_1)
	v_fmac_f64_e32 v[152:153], v[120:121], v[142:143]
	scratch_load_b128 v[118:121], off, off offset:264
	s_wait_dscnt 0x0
	v_fmac_f64_e32 v[152:153], v[122:123], v[144:145]
	s_wait_loadcnt 0x5
	v_fmac_f64_e32 v[152:153], v[124:125], v[146:147]
	ds_load_b128 v[122:125], v2 offset:640
	ds_load_b128 v[140:143], v2 offset:656
	scratch_load_b128 v[144:147], off, off offset:280
	s_wait_dscnt 0x1
	v_fmac_f64_e32 v[152:153], v[126:127], v[122:123]
	s_wait_loadcnt 0x5
	s_delay_alu instid0(VALU_DEP_1) | instskip(SKIP_4) | instid1(VALU_DEP_1)
	v_fmac_f64_e32 v[152:153], v[128:129], v[124:125]
	scratch_load_b128 v[122:125], off, off offset:296
	s_wait_dscnt 0x0
	v_fmac_f64_e32 v[152:153], v[130:131], v[140:141]
	s_wait_loadcnt 0x5
	v_fmac_f64_e32 v[152:153], v[132:133], v[142:143]
	ds_load_b128 v[126:129], v2 offset:672
	ds_load_b128 v[130:133], v2 offset:688
	scratch_load_b128 v[140:143], off, off offset:312
	s_wait_dscnt 0x1
	v_fmac_f64_e32 v[152:153], v[134:135], v[126:127]
	s_wait_loadcnt 0x5
	s_delay_alu instid0(VALU_DEP_1) | instskip(SKIP_4) | instid1(VALU_DEP_1)
	v_fmac_f64_e32 v[152:153], v[136:137], v[128:129]
	scratch_load_b128 v[126:129], off, off offset:328
	s_wait_dscnt 0x0
	v_fmac_f64_e32 v[152:153], v[138:139], v[130:131]
	s_wait_loadcnt 0x5
	v_fmac_f64_e32 v[152:153], v[148:149], v[132:133]
	ds_load_b128 v[130:133], v2 offset:704
	ds_load_b128 v[134:137], v2 offset:720
	s_wait_dscnt 0x1
	v_fmac_f64_e32 v[152:153], v[150:151], v[130:131]
	scratch_load_b128 v[148:151], off, off offset:344
	s_wait_loadcnt 0x5
	v_fmac_f64_e32 v[152:153], v[118:119], v[132:133]
	s_wait_dscnt 0x0
	s_delay_alu instid0(VALU_DEP_1)
	v_fmac_f64_e32 v[152:153], v[120:121], v[134:135]
	scratch_load_b128 v[118:121], off, off offset:360
	s_wait_loadcnt 0x5
	v_fmac_f64_e32 v[152:153], v[144:145], v[136:137]
	ds_load_b128 v[130:133], v2 offset:736
	ds_load_b128 v[134:137], v2 offset:752
	s_wait_dscnt 0x1
	v_fmac_f64_e32 v[152:153], v[146:147], v[130:131]
	s_wait_loadcnt 0x4
	s_delay_alu instid0(VALU_DEP_1)
	v_fmac_f64_e32 v[152:153], v[122:123], v[132:133]
	scratch_load_b128 v[130:133], off, off offset:376
	s_wait_dscnt 0x0
	v_fmac_f64_e32 v[152:153], v[124:125], v[134:135]
	scratch_load_b128 v[122:125], off, off offset:392
	s_wait_loadcnt 0x5
	v_fmac_f64_e32 v[152:153], v[140:141], v[136:137]
	ds_load_b128 v[134:137], v2 offset:768
	ds_load_b128 v[138:141], v2 offset:784
	s_wait_dscnt 0x1
	v_fmac_f64_e32 v[152:153], v[142:143], v[134:135]
	s_wait_loadcnt 0x4
	s_delay_alu instid0(VALU_DEP_1)
	v_fmac_f64_e32 v[152:153], v[126:127], v[136:137]
	scratch_load_b128 v[134:137], off, off offset:408
	s_wait_dscnt 0x0
	v_fmac_f64_e32 v[152:153], v[128:129], v[138:139]
	scratch_load_b128 v[126:129], off, off offset:424
	s_wait_loadcnt 0x5
	v_fmac_f64_e32 v[152:153], v[148:149], v[140:141]
	ds_load_b128 v[138:141], v2 offset:800
	ds_load_b128 v[142:145], v2 offset:816
	scratch_load_b64 v[146:147], off, off offset:440
	s_wait_dscnt 0x1
	v_fmac_f64_e32 v[152:153], v[150:151], v[138:139]
	s_wait_loadcnt 0x5
	s_delay_alu instid0(VALU_DEP_1) | instskip(SKIP_1) | instid1(VALU_DEP_1)
	v_fmac_f64_e32 v[152:153], v[118:119], v[140:141]
	s_wait_dscnt 0x0
	v_fmac_f64_e32 v[152:153], v[120:121], v[142:143]
	ds_load_b128 v[118:121], v2 offset:832
	ds_load_b128 v[138:141], v2 offset:848
	s_wait_loadcnt 0x4
	v_fmac_f64_e32 v[152:153], v[130:131], v[144:145]
	s_wait_dscnt 0x1
	s_delay_alu instid0(VALU_DEP_1) | instskip(SKIP_1) | instid1(VALU_DEP_1)
	v_fmac_f64_e32 v[152:153], v[132:133], v[118:119]
	s_wait_loadcnt 0x3
	v_fmac_f64_e32 v[152:153], v[122:123], v[120:121]
	s_wait_dscnt 0x0
	s_delay_alu instid0(VALU_DEP_1)
	v_fmac_f64_e32 v[152:153], v[124:125], v[138:139]
	ds_load_b128 v[118:121], v2 offset:864
	ds_load_b128 v[122:125], v2 offset:880
	s_wait_loadcnt 0x2
	v_fmac_f64_e32 v[152:153], v[134:135], v[140:141]
	s_wait_dscnt 0x1
	s_delay_alu instid0(VALU_DEP_1) | instskip(SKIP_1) | instid1(VALU_DEP_1)
	v_fmac_f64_e32 v[152:153], v[136:137], v[118:119]
	s_wait_loadcnt 0x1
	v_fmac_f64_e32 v[152:153], v[126:127], v[120:121]
	s_wait_dscnt 0x0
	s_delay_alu instid0(VALU_DEP_1) | instskip(SKIP_1) | instid1(VALU_DEP_1)
	v_fmac_f64_e32 v[152:153], v[128:129], v[122:123]
	s_wait_loadcnt 0x0
	v_fmac_f64_e32 v[152:153], v[146:147], v[124:125]
	s_delay_alu instid0(VALU_DEP_1)
	v_add_f64_e64 v[2:3], v[116:117], -v[152:153]
	scratch_store_b64 off, v[2:3], off offset:152
	s_wait_xcnt 0x0
	v_cmpx_lt_u32_e32 18, v0
	s_cbranch_execz .LBB119_309
; %bb.308:
	scratch_load_b64 v[2:3], off, off offset:144
	v_mov_b64_e32 v[116:117], 0
	scratch_store_b64 off, v[116:117], off offset:144
	s_wait_loadcnt 0x0
	ds_store_b64 v1, v[2:3]
.LBB119_309:
	s_wait_xcnt 0x0
	s_or_b32 exec_lo, exec_lo, s0
	s_wait_storecnt_dscnt 0x0
	s_barrier_signal -1
	s_barrier_wait -1
	s_clause 0x5
	scratch_load_b128 v[116:119], off, off offset:144
	scratch_load_b128 v[120:123], off, off offset:160
	;; [unrolled: 1-line block ×6, first 2 shown]
	v_mov_b32_e32 v2, 0
	ds_load_2addr_b64 v[140:143], v2 offset0:75 offset1:76
	ds_load_2addr_b64 v[144:147], v2 offset0:77 offset1:78
	scratch_load_b128 v[148:151], off, off offset:240
	s_mov_b32 s0, exec_lo
	s_wait_loadcnt_dscnt 0x601
	v_fma_f64 v[152:153], v[118:119], v[140:141], 0
	s_wait_loadcnt 0x5
	s_delay_alu instid0(VALU_DEP_1) | instskip(SKIP_4) | instid1(VALU_DEP_1)
	v_fmac_f64_e32 v[152:153], v[120:121], v[142:143]
	scratch_load_b128 v[118:121], off, off offset:256
	s_wait_dscnt 0x0
	v_fmac_f64_e32 v[152:153], v[122:123], v[144:145]
	s_wait_loadcnt 0x5
	v_fmac_f64_e32 v[152:153], v[124:125], v[146:147]
	ds_load_2addr_b64 v[122:125], v2 offset0:79 offset1:80
	ds_load_2addr_b64 v[140:143], v2 offset0:81 offset1:82
	scratch_load_b128 v[144:147], off, off offset:272
	s_wait_dscnt 0x1
	v_fmac_f64_e32 v[152:153], v[126:127], v[122:123]
	s_wait_loadcnt 0x5
	s_delay_alu instid0(VALU_DEP_1) | instskip(SKIP_4) | instid1(VALU_DEP_1)
	v_fmac_f64_e32 v[152:153], v[128:129], v[124:125]
	scratch_load_b128 v[122:125], off, off offset:288
	s_wait_dscnt 0x0
	v_fmac_f64_e32 v[152:153], v[130:131], v[140:141]
	s_wait_loadcnt 0x5
	v_fmac_f64_e32 v[152:153], v[132:133], v[142:143]
	ds_load_2addr_b64 v[126:129], v2 offset0:83 offset1:84
	ds_load_2addr_b64 v[130:133], v2 offset0:85 offset1:86
	scratch_load_b128 v[140:143], off, off offset:304
	s_wait_dscnt 0x1
	v_fmac_f64_e32 v[152:153], v[134:135], v[126:127]
	s_wait_loadcnt 0x5
	s_delay_alu instid0(VALU_DEP_1) | instskip(SKIP_4) | instid1(VALU_DEP_1)
	v_fmac_f64_e32 v[152:153], v[136:137], v[128:129]
	scratch_load_b128 v[126:129], off, off offset:320
	s_wait_dscnt 0x0
	v_fmac_f64_e32 v[152:153], v[138:139], v[130:131]
	s_wait_loadcnt 0x5
	v_fmac_f64_e32 v[152:153], v[148:149], v[132:133]
	ds_load_2addr_b64 v[130:133], v2 offset0:87 offset1:88
	ds_load_2addr_b64 v[134:137], v2 offset0:89 offset1:90
	s_wait_dscnt 0x1
	v_fmac_f64_e32 v[152:153], v[150:151], v[130:131]
	scratch_load_b128 v[148:151], off, off offset:336
	s_wait_loadcnt 0x5
	v_fmac_f64_e32 v[152:153], v[118:119], v[132:133]
	s_wait_dscnt 0x0
	s_delay_alu instid0(VALU_DEP_1)
	v_fmac_f64_e32 v[152:153], v[120:121], v[134:135]
	scratch_load_b128 v[118:121], off, off offset:352
	s_wait_loadcnt 0x5
	v_fmac_f64_e32 v[152:153], v[144:145], v[136:137]
	ds_load_2addr_b64 v[130:133], v2 offset0:91 offset1:92
	ds_load_2addr_b64 v[134:137], v2 offset0:93 offset1:94
	s_wait_dscnt 0x1
	v_fmac_f64_e32 v[152:153], v[146:147], v[130:131]
	s_wait_loadcnt 0x4
	s_delay_alu instid0(VALU_DEP_1)
	v_fmac_f64_e32 v[152:153], v[122:123], v[132:133]
	scratch_load_b128 v[130:133], off, off offset:368
	s_wait_dscnt 0x0
	v_fmac_f64_e32 v[152:153], v[124:125], v[134:135]
	scratch_load_b128 v[122:125], off, off offset:384
	s_wait_loadcnt 0x5
	v_fmac_f64_e32 v[152:153], v[140:141], v[136:137]
	ds_load_2addr_b64 v[134:137], v2 offset0:95 offset1:96
	ds_load_2addr_b64 v[138:141], v2 offset0:97 offset1:98
	s_wait_dscnt 0x1
	v_fmac_f64_e32 v[152:153], v[142:143], v[134:135]
	s_wait_loadcnt 0x4
	s_delay_alu instid0(VALU_DEP_1)
	v_fmac_f64_e32 v[152:153], v[126:127], v[136:137]
	scratch_load_b128 v[134:137], off, off offset:400
	s_wait_dscnt 0x0
	v_fmac_f64_e32 v[152:153], v[128:129], v[138:139]
	scratch_load_b128 v[126:129], off, off offset:416
	s_wait_loadcnt 0x5
	v_fmac_f64_e32 v[152:153], v[148:149], v[140:141]
	ds_load_2addr_b64 v[138:141], v2 offset0:99 offset1:100
	ds_load_2addr_b64 v[142:145], v2 offset0:101 offset1:102
	s_wait_dscnt 0x1
	v_fmac_f64_e32 v[152:153], v[150:151], v[138:139]
	s_wait_loadcnt 0x4
	s_delay_alu instid0(VALU_DEP_1) | instskip(SKIP_4) | instid1(VALU_DEP_1)
	v_fmac_f64_e32 v[152:153], v[118:119], v[140:141]
	scratch_load_b128 v[138:141], off, off offset:432
	s_wait_dscnt 0x0
	v_fmac_f64_e32 v[152:153], v[120:121], v[142:143]
	s_wait_loadcnt 0x4
	v_fmac_f64_e32 v[152:153], v[130:131], v[144:145]
	ds_load_2addr_b64 v[118:121], v2 offset0:103 offset1:104
	ds_load_2addr_b64 v[142:145], v2 offset0:105 offset1:106
	s_wait_dscnt 0x1
	v_fmac_f64_e32 v[152:153], v[132:133], v[118:119]
	s_wait_loadcnt 0x3
	s_delay_alu instid0(VALU_DEP_1) | instskip(SKIP_1) | instid1(VALU_DEP_1)
	v_fmac_f64_e32 v[152:153], v[122:123], v[120:121]
	s_wait_dscnt 0x0
	v_fmac_f64_e32 v[152:153], v[124:125], v[142:143]
	ds_load_2addr_b64 v[118:121], v2 offset0:107 offset1:108
	ds_load_2addr_b64 v[122:125], v2 offset0:109 offset1:110
	s_wait_loadcnt 0x2
	v_fmac_f64_e32 v[152:153], v[134:135], v[144:145]
	s_wait_dscnt 0x1
	s_delay_alu instid0(VALU_DEP_1) | instskip(SKIP_4) | instid1(VALU_DEP_1)
	v_fmac_f64_e32 v[152:153], v[136:137], v[118:119]
	ds_load_b64 v[118:119], v2 offset:888
	s_wait_loadcnt 0x1
	v_fmac_f64_e32 v[152:153], v[126:127], v[120:121]
	s_wait_dscnt 0x1
	v_fmac_f64_e32 v[152:153], v[128:129], v[122:123]
	s_wait_loadcnt 0x0
	s_delay_alu instid0(VALU_DEP_1) | instskip(SKIP_1) | instid1(VALU_DEP_1)
	v_fmac_f64_e32 v[152:153], v[138:139], v[124:125]
	s_wait_dscnt 0x0
	v_fmac_f64_e32 v[152:153], v[140:141], v[118:119]
	s_delay_alu instid0(VALU_DEP_1)
	v_add_f64_e64 v[116:117], v[116:117], -v[152:153]
	scratch_store_b64 off, v[116:117], off offset:144
	s_wait_xcnt 0x0
	v_cmpx_lt_u32_e32 17, v0
	s_cbranch_execz .LBB119_311
; %bb.310:
	scratch_load_b64 v[116:117], off, off offset:136
	v_mov_b64_e32 v[118:119], 0
	scratch_store_b64 off, v[118:119], off offset:136
	s_wait_loadcnt 0x0
	ds_store_b64 v1, v[116:117]
.LBB119_311:
	s_wait_xcnt 0x0
	s_or_b32 exec_lo, exec_lo, s0
	s_wait_storecnt_dscnt 0x0
	s_barrier_signal -1
	s_barrier_wait -1
	s_clause 0x5
	scratch_load_b128 v[116:119], off, off offset:136
	scratch_load_b128 v[120:123], off, off offset:152
	;; [unrolled: 1-line block ×6, first 2 shown]
	ds_load_b128 v[140:143], v2 offset:592
	ds_load_b128 v[144:147], v2 offset:608
	scratch_load_b128 v[148:151], off, off offset:232
	s_mov_b32 s0, exec_lo
	s_wait_loadcnt_dscnt 0x601
	v_fma_f64 v[152:153], v[118:119], v[140:141], 0
	s_wait_loadcnt 0x5
	s_delay_alu instid0(VALU_DEP_1) | instskip(SKIP_4) | instid1(VALU_DEP_1)
	v_fmac_f64_e32 v[152:153], v[120:121], v[142:143]
	scratch_load_b128 v[118:121], off, off offset:248
	s_wait_dscnt 0x0
	v_fmac_f64_e32 v[152:153], v[122:123], v[144:145]
	s_wait_loadcnt 0x5
	v_fmac_f64_e32 v[152:153], v[124:125], v[146:147]
	ds_load_b128 v[122:125], v2 offset:624
	ds_load_b128 v[140:143], v2 offset:640
	scratch_load_b128 v[144:147], off, off offset:264
	s_wait_dscnt 0x1
	v_fmac_f64_e32 v[152:153], v[126:127], v[122:123]
	s_wait_loadcnt 0x5
	s_delay_alu instid0(VALU_DEP_1) | instskip(SKIP_4) | instid1(VALU_DEP_1)
	v_fmac_f64_e32 v[152:153], v[128:129], v[124:125]
	scratch_load_b128 v[122:125], off, off offset:280
	s_wait_dscnt 0x0
	v_fmac_f64_e32 v[152:153], v[130:131], v[140:141]
	s_wait_loadcnt 0x5
	v_fmac_f64_e32 v[152:153], v[132:133], v[142:143]
	ds_load_b128 v[126:129], v2 offset:656
	ds_load_b128 v[130:133], v2 offset:672
	scratch_load_b128 v[140:143], off, off offset:296
	s_wait_dscnt 0x1
	v_fmac_f64_e32 v[152:153], v[134:135], v[126:127]
	s_wait_loadcnt 0x5
	s_delay_alu instid0(VALU_DEP_1) | instskip(SKIP_4) | instid1(VALU_DEP_1)
	v_fmac_f64_e32 v[152:153], v[136:137], v[128:129]
	scratch_load_b128 v[126:129], off, off offset:312
	s_wait_dscnt 0x0
	v_fmac_f64_e32 v[152:153], v[138:139], v[130:131]
	s_wait_loadcnt 0x5
	v_fmac_f64_e32 v[152:153], v[148:149], v[132:133]
	ds_load_b128 v[130:133], v2 offset:688
	ds_load_b128 v[134:137], v2 offset:704
	s_wait_dscnt 0x1
	v_fmac_f64_e32 v[152:153], v[150:151], v[130:131]
	scratch_load_b128 v[148:151], off, off offset:328
	s_wait_loadcnt 0x5
	v_fmac_f64_e32 v[152:153], v[118:119], v[132:133]
	s_wait_dscnt 0x0
	s_delay_alu instid0(VALU_DEP_1)
	v_fmac_f64_e32 v[152:153], v[120:121], v[134:135]
	scratch_load_b128 v[118:121], off, off offset:344
	s_wait_loadcnt 0x5
	v_fmac_f64_e32 v[152:153], v[144:145], v[136:137]
	ds_load_b128 v[130:133], v2 offset:720
	ds_load_b128 v[134:137], v2 offset:736
	s_wait_dscnt 0x1
	v_fmac_f64_e32 v[152:153], v[146:147], v[130:131]
	scratch_load_b128 v[144:147], off, off offset:360
	s_wait_loadcnt 0x5
	v_fmac_f64_e32 v[152:153], v[122:123], v[132:133]
	s_wait_dscnt 0x0
	s_delay_alu instid0(VALU_DEP_1)
	v_fmac_f64_e32 v[152:153], v[124:125], v[134:135]
	scratch_load_b128 v[122:125], off, off offset:376
	s_wait_loadcnt 0x5
	v_fmac_f64_e32 v[152:153], v[140:141], v[136:137]
	ds_load_b128 v[130:133], v2 offset:752
	ds_load_b128 v[134:137], v2 offset:768
	s_wait_dscnt 0x1
	v_fmac_f64_e32 v[152:153], v[142:143], v[130:131]
	s_wait_loadcnt 0x4
	s_delay_alu instid0(VALU_DEP_1)
	v_fmac_f64_e32 v[152:153], v[126:127], v[132:133]
	scratch_load_b128 v[130:133], off, off offset:392
	s_wait_dscnt 0x0
	v_fmac_f64_e32 v[152:153], v[128:129], v[134:135]
	scratch_load_b128 v[126:129], off, off offset:408
	s_wait_loadcnt 0x5
	v_fmac_f64_e32 v[152:153], v[148:149], v[136:137]
	ds_load_b128 v[134:137], v2 offset:784
	ds_load_b128 v[138:141], v2 offset:800
	scratch_load_b64 v[142:143], off, off offset:440
	s_wait_dscnt 0x1
	v_fmac_f64_e32 v[152:153], v[150:151], v[134:135]
	s_wait_loadcnt 0x5
	s_delay_alu instid0(VALU_DEP_1) | instskip(SKIP_4) | instid1(VALU_DEP_1)
	v_fmac_f64_e32 v[152:153], v[118:119], v[136:137]
	scratch_load_b128 v[134:137], off, off offset:424
	s_wait_dscnt 0x0
	v_fmac_f64_e32 v[152:153], v[120:121], v[138:139]
	s_wait_loadcnt 0x5
	v_fmac_f64_e32 v[152:153], v[144:145], v[140:141]
	ds_load_b128 v[118:121], v2 offset:816
	ds_load_b128 v[138:141], v2 offset:832
	s_wait_dscnt 0x1
	v_fmac_f64_e32 v[152:153], v[146:147], v[118:119]
	s_wait_loadcnt 0x4
	s_delay_alu instid0(VALU_DEP_1) | instskip(SKIP_1) | instid1(VALU_DEP_1)
	v_fmac_f64_e32 v[152:153], v[122:123], v[120:121]
	s_wait_dscnt 0x0
	v_fmac_f64_e32 v[152:153], v[124:125], v[138:139]
	ds_load_b128 v[118:121], v2 offset:848
	ds_load_b128 v[122:125], v2 offset:864
	s_wait_loadcnt 0x3
	v_fmac_f64_e32 v[152:153], v[130:131], v[140:141]
	s_wait_dscnt 0x1
	s_delay_alu instid0(VALU_DEP_1) | instskip(SKIP_1) | instid1(VALU_DEP_1)
	v_fmac_f64_e32 v[152:153], v[132:133], v[118:119]
	s_wait_loadcnt 0x2
	v_fmac_f64_e32 v[152:153], v[126:127], v[120:121]
	ds_load_b128 v[118:121], v2 offset:880
	s_wait_dscnt 0x1
	v_fmac_f64_e32 v[152:153], v[128:129], v[122:123]
	s_wait_loadcnt 0x0
	s_delay_alu instid0(VALU_DEP_1) | instskip(SKIP_1) | instid1(VALU_DEP_1)
	v_fmac_f64_e32 v[152:153], v[134:135], v[124:125]
	s_wait_dscnt 0x0
	v_fmac_f64_e32 v[152:153], v[136:137], v[118:119]
	s_delay_alu instid0(VALU_DEP_1) | instskip(NEXT) | instid1(VALU_DEP_1)
	v_fmac_f64_e32 v[152:153], v[142:143], v[120:121]
	v_add_f64_e64 v[2:3], v[116:117], -v[152:153]
	scratch_store_b64 off, v[2:3], off offset:136
	s_wait_xcnt 0x0
	v_cmpx_lt_u32_e32 16, v0
	s_cbranch_execz .LBB119_313
; %bb.312:
	scratch_load_b64 v[2:3], off, off offset:128
	v_mov_b64_e32 v[116:117], 0
	scratch_store_b64 off, v[116:117], off offset:128
	s_wait_loadcnt 0x0
	ds_store_b64 v1, v[2:3]
.LBB119_313:
	s_wait_xcnt 0x0
	s_or_b32 exec_lo, exec_lo, s0
	s_wait_storecnt_dscnt 0x0
	s_barrier_signal -1
	s_barrier_wait -1
	s_clause 0x5
	scratch_load_b128 v[116:119], off, off offset:128
	scratch_load_b128 v[120:123], off, off offset:144
	scratch_load_b128 v[124:127], off, off offset:160
	scratch_load_b128 v[128:131], off, off offset:176
	scratch_load_b128 v[132:135], off, off offset:192
	scratch_load_b128 v[136:139], off, off offset:208
	v_mov_b32_e32 v2, 0
	ds_load_2addr_b64 v[140:143], v2 offset0:73 offset1:74
	ds_load_2addr_b64 v[144:147], v2 offset0:75 offset1:76
	scratch_load_b128 v[148:151], off, off offset:224
	s_mov_b32 s0, exec_lo
	s_wait_loadcnt_dscnt 0x601
	v_fma_f64 v[152:153], v[118:119], v[140:141], 0
	s_wait_loadcnt 0x5
	s_delay_alu instid0(VALU_DEP_1) | instskip(SKIP_4) | instid1(VALU_DEP_1)
	v_fmac_f64_e32 v[152:153], v[120:121], v[142:143]
	scratch_load_b128 v[118:121], off, off offset:240
	s_wait_dscnt 0x0
	v_fmac_f64_e32 v[152:153], v[122:123], v[144:145]
	s_wait_loadcnt 0x5
	v_fmac_f64_e32 v[152:153], v[124:125], v[146:147]
	ds_load_2addr_b64 v[122:125], v2 offset0:77 offset1:78
	ds_load_2addr_b64 v[140:143], v2 offset0:79 offset1:80
	scratch_load_b128 v[144:147], off, off offset:256
	s_wait_dscnt 0x1
	v_fmac_f64_e32 v[152:153], v[126:127], v[122:123]
	s_wait_loadcnt 0x5
	s_delay_alu instid0(VALU_DEP_1) | instskip(SKIP_4) | instid1(VALU_DEP_1)
	v_fmac_f64_e32 v[152:153], v[128:129], v[124:125]
	scratch_load_b128 v[122:125], off, off offset:272
	s_wait_dscnt 0x0
	v_fmac_f64_e32 v[152:153], v[130:131], v[140:141]
	s_wait_loadcnt 0x5
	v_fmac_f64_e32 v[152:153], v[132:133], v[142:143]
	ds_load_2addr_b64 v[126:129], v2 offset0:81 offset1:82
	ds_load_2addr_b64 v[130:133], v2 offset0:83 offset1:84
	scratch_load_b128 v[140:143], off, off offset:288
	s_wait_dscnt 0x1
	v_fmac_f64_e32 v[152:153], v[134:135], v[126:127]
	s_wait_loadcnt 0x5
	s_delay_alu instid0(VALU_DEP_1) | instskip(SKIP_4) | instid1(VALU_DEP_1)
	v_fmac_f64_e32 v[152:153], v[136:137], v[128:129]
	scratch_load_b128 v[126:129], off, off offset:304
	s_wait_dscnt 0x0
	v_fmac_f64_e32 v[152:153], v[138:139], v[130:131]
	s_wait_loadcnt 0x5
	v_fmac_f64_e32 v[152:153], v[148:149], v[132:133]
	ds_load_2addr_b64 v[130:133], v2 offset0:85 offset1:86
	ds_load_2addr_b64 v[134:137], v2 offset0:87 offset1:88
	s_wait_dscnt 0x1
	v_fmac_f64_e32 v[152:153], v[150:151], v[130:131]
	scratch_load_b128 v[148:151], off, off offset:320
	s_wait_loadcnt 0x5
	v_fmac_f64_e32 v[152:153], v[118:119], v[132:133]
	s_wait_dscnt 0x0
	s_delay_alu instid0(VALU_DEP_1)
	v_fmac_f64_e32 v[152:153], v[120:121], v[134:135]
	scratch_load_b128 v[118:121], off, off offset:336
	s_wait_loadcnt 0x5
	v_fmac_f64_e32 v[152:153], v[144:145], v[136:137]
	ds_load_2addr_b64 v[130:133], v2 offset0:89 offset1:90
	ds_load_2addr_b64 v[134:137], v2 offset0:91 offset1:92
	s_wait_dscnt 0x1
	v_fmac_f64_e32 v[152:153], v[146:147], v[130:131]
	scratch_load_b128 v[144:147], off, off offset:352
	s_wait_loadcnt 0x5
	v_fmac_f64_e32 v[152:153], v[122:123], v[132:133]
	s_wait_dscnt 0x0
	s_delay_alu instid0(VALU_DEP_1)
	v_fmac_f64_e32 v[152:153], v[124:125], v[134:135]
	scratch_load_b128 v[122:125], off, off offset:368
	s_wait_loadcnt 0x5
	v_fmac_f64_e32 v[152:153], v[140:141], v[136:137]
	ds_load_2addr_b64 v[130:133], v2 offset0:93 offset1:94
	ds_load_2addr_b64 v[134:137], v2 offset0:95 offset1:96
	s_wait_dscnt 0x1
	v_fmac_f64_e32 v[152:153], v[142:143], v[130:131]
	s_wait_loadcnt 0x4
	s_delay_alu instid0(VALU_DEP_1)
	v_fmac_f64_e32 v[152:153], v[126:127], v[132:133]
	scratch_load_b128 v[130:133], off, off offset:384
	s_wait_dscnt 0x0
	v_fmac_f64_e32 v[152:153], v[128:129], v[134:135]
	scratch_load_b128 v[126:129], off, off offset:400
	s_wait_loadcnt 0x5
	v_fmac_f64_e32 v[152:153], v[148:149], v[136:137]
	ds_load_2addr_b64 v[134:137], v2 offset0:97 offset1:98
	ds_load_2addr_b64 v[138:141], v2 offset0:99 offset1:100
	s_wait_dscnt 0x1
	v_fmac_f64_e32 v[152:153], v[150:151], v[134:135]
	s_wait_loadcnt 0x4
	s_delay_alu instid0(VALU_DEP_1)
	v_fmac_f64_e32 v[152:153], v[118:119], v[136:137]
	scratch_load_b128 v[134:137], off, off offset:416
	s_wait_dscnt 0x0
	v_fmac_f64_e32 v[152:153], v[120:121], v[138:139]
	scratch_load_b128 v[118:121], off, off offset:432
	s_wait_loadcnt 0x5
	v_fmac_f64_e32 v[152:153], v[144:145], v[140:141]
	ds_load_2addr_b64 v[138:141], v2 offset0:101 offset1:102
	ds_load_2addr_b64 v[142:145], v2 offset0:103 offset1:104
	s_wait_dscnt 0x1
	v_fmac_f64_e32 v[152:153], v[146:147], v[138:139]
	s_wait_loadcnt 0x4
	s_delay_alu instid0(VALU_DEP_1) | instskip(SKIP_1) | instid1(VALU_DEP_1)
	v_fmac_f64_e32 v[152:153], v[122:123], v[140:141]
	s_wait_dscnt 0x0
	v_fmac_f64_e32 v[152:153], v[124:125], v[142:143]
	ds_load_2addr_b64 v[122:125], v2 offset0:105 offset1:106
	ds_load_2addr_b64 v[138:141], v2 offset0:107 offset1:108
	s_wait_loadcnt 0x3
	v_fmac_f64_e32 v[152:153], v[130:131], v[144:145]
	s_wait_dscnt 0x1
	s_delay_alu instid0(VALU_DEP_1) | instskip(SKIP_1) | instid1(VALU_DEP_1)
	v_fmac_f64_e32 v[152:153], v[132:133], v[122:123]
	s_wait_loadcnt 0x2
	v_fmac_f64_e32 v[152:153], v[126:127], v[124:125]
	ds_load_2addr_b64 v[122:125], v2 offset0:109 offset1:110
	ds_load_b64 v[126:127], v2 offset:888
	s_wait_dscnt 0x2
	v_fmac_f64_e32 v[152:153], v[128:129], v[138:139]
	s_wait_loadcnt 0x1
	s_delay_alu instid0(VALU_DEP_1) | instskip(SKIP_1) | instid1(VALU_DEP_1)
	v_fmac_f64_e32 v[152:153], v[134:135], v[140:141]
	s_wait_dscnt 0x1
	v_fmac_f64_e32 v[152:153], v[136:137], v[122:123]
	s_wait_loadcnt 0x0
	s_delay_alu instid0(VALU_DEP_1) | instskip(SKIP_1) | instid1(VALU_DEP_1)
	v_fmac_f64_e32 v[152:153], v[118:119], v[124:125]
	s_wait_dscnt 0x0
	v_fmac_f64_e32 v[152:153], v[120:121], v[126:127]
	s_delay_alu instid0(VALU_DEP_1)
	v_add_f64_e64 v[116:117], v[116:117], -v[152:153]
	scratch_store_b64 off, v[116:117], off offset:128
	s_wait_xcnt 0x0
	v_cmpx_lt_u32_e32 15, v0
	s_cbranch_execz .LBB119_315
; %bb.314:
	scratch_load_b64 v[116:117], off, off offset:120
	v_mov_b64_e32 v[118:119], 0
	scratch_store_b64 off, v[118:119], off offset:120
	s_wait_loadcnt 0x0
	ds_store_b64 v1, v[116:117]
.LBB119_315:
	s_wait_xcnt 0x0
	s_or_b32 exec_lo, exec_lo, s0
	s_wait_storecnt_dscnt 0x0
	s_barrier_signal -1
	s_barrier_wait -1
	s_clause 0x5
	scratch_load_b128 v[116:119], off, off offset:120
	scratch_load_b128 v[120:123], off, off offset:136
	scratch_load_b128 v[124:127], off, off offset:152
	scratch_load_b128 v[128:131], off, off offset:168
	scratch_load_b128 v[132:135], off, off offset:184
	scratch_load_b128 v[136:139], off, off offset:200
	ds_load_b128 v[140:143], v2 offset:576
	ds_load_b128 v[144:147], v2 offset:592
	scratch_load_b128 v[148:151], off, off offset:216
	s_mov_b32 s0, exec_lo
	s_wait_loadcnt_dscnt 0x601
	v_fma_f64 v[152:153], v[118:119], v[140:141], 0
	s_wait_loadcnt 0x5
	s_delay_alu instid0(VALU_DEP_1) | instskip(SKIP_4) | instid1(VALU_DEP_1)
	v_fmac_f64_e32 v[152:153], v[120:121], v[142:143]
	scratch_load_b128 v[118:121], off, off offset:232
	s_wait_dscnt 0x0
	v_fmac_f64_e32 v[152:153], v[122:123], v[144:145]
	s_wait_loadcnt 0x5
	v_fmac_f64_e32 v[152:153], v[124:125], v[146:147]
	ds_load_b128 v[122:125], v2 offset:608
	ds_load_b128 v[140:143], v2 offset:624
	scratch_load_b128 v[144:147], off, off offset:248
	s_wait_dscnt 0x1
	v_fmac_f64_e32 v[152:153], v[126:127], v[122:123]
	s_wait_loadcnt 0x5
	s_delay_alu instid0(VALU_DEP_1) | instskip(SKIP_4) | instid1(VALU_DEP_1)
	v_fmac_f64_e32 v[152:153], v[128:129], v[124:125]
	scratch_load_b128 v[122:125], off, off offset:264
	s_wait_dscnt 0x0
	v_fmac_f64_e32 v[152:153], v[130:131], v[140:141]
	s_wait_loadcnt 0x5
	v_fmac_f64_e32 v[152:153], v[132:133], v[142:143]
	ds_load_b128 v[126:129], v2 offset:640
	ds_load_b128 v[130:133], v2 offset:656
	scratch_load_b128 v[140:143], off, off offset:280
	s_wait_dscnt 0x1
	v_fmac_f64_e32 v[152:153], v[134:135], v[126:127]
	s_wait_loadcnt 0x5
	s_delay_alu instid0(VALU_DEP_1) | instskip(SKIP_4) | instid1(VALU_DEP_1)
	v_fmac_f64_e32 v[152:153], v[136:137], v[128:129]
	scratch_load_b128 v[126:129], off, off offset:296
	s_wait_dscnt 0x0
	v_fmac_f64_e32 v[152:153], v[138:139], v[130:131]
	s_wait_loadcnt 0x5
	v_fmac_f64_e32 v[152:153], v[148:149], v[132:133]
	ds_load_b128 v[130:133], v2 offset:672
	ds_load_b128 v[134:137], v2 offset:688
	s_wait_dscnt 0x1
	v_fmac_f64_e32 v[152:153], v[150:151], v[130:131]
	scratch_load_b128 v[148:151], off, off offset:312
	s_wait_loadcnt 0x5
	v_fmac_f64_e32 v[152:153], v[118:119], v[132:133]
	s_wait_dscnt 0x0
	s_delay_alu instid0(VALU_DEP_1)
	v_fmac_f64_e32 v[152:153], v[120:121], v[134:135]
	scratch_load_b128 v[118:121], off, off offset:328
	s_wait_loadcnt 0x5
	v_fmac_f64_e32 v[152:153], v[144:145], v[136:137]
	ds_load_b128 v[130:133], v2 offset:704
	ds_load_b128 v[134:137], v2 offset:720
	s_wait_dscnt 0x1
	v_fmac_f64_e32 v[152:153], v[146:147], v[130:131]
	scratch_load_b128 v[144:147], off, off offset:344
	s_wait_loadcnt 0x5
	v_fmac_f64_e32 v[152:153], v[122:123], v[132:133]
	s_wait_dscnt 0x0
	s_delay_alu instid0(VALU_DEP_1)
	v_fmac_f64_e32 v[152:153], v[124:125], v[134:135]
	scratch_load_b128 v[122:125], off, off offset:360
	s_wait_loadcnt 0x5
	v_fmac_f64_e32 v[152:153], v[140:141], v[136:137]
	ds_load_b128 v[130:133], v2 offset:736
	ds_load_b128 v[134:137], v2 offset:752
	s_wait_dscnt 0x1
	v_fmac_f64_e32 v[152:153], v[142:143], v[130:131]
	s_wait_loadcnt 0x4
	s_delay_alu instid0(VALU_DEP_1)
	v_fmac_f64_e32 v[152:153], v[126:127], v[132:133]
	scratch_load_b128 v[130:133], off, off offset:376
	s_wait_dscnt 0x0
	v_fmac_f64_e32 v[152:153], v[128:129], v[134:135]
	scratch_load_b128 v[126:129], off, off offset:392
	s_wait_loadcnt 0x5
	v_fmac_f64_e32 v[152:153], v[148:149], v[136:137]
	ds_load_b128 v[134:137], v2 offset:768
	ds_load_b128 v[138:141], v2 offset:784
	s_wait_dscnt 0x1
	v_fmac_f64_e32 v[152:153], v[150:151], v[134:135]
	s_wait_loadcnt 0x4
	s_delay_alu instid0(VALU_DEP_1)
	v_fmac_f64_e32 v[152:153], v[118:119], v[136:137]
	scratch_load_b128 v[134:137], off, off offset:408
	s_wait_dscnt 0x0
	v_fmac_f64_e32 v[152:153], v[120:121], v[138:139]
	scratch_load_b128 v[118:121], off, off offset:424
	s_wait_loadcnt 0x5
	v_fmac_f64_e32 v[152:153], v[144:145], v[140:141]
	ds_load_b128 v[138:141], v2 offset:800
	ds_load_b128 v[142:145], v2 offset:816
	s_wait_dscnt 0x1
	v_fmac_f64_e32 v[152:153], v[146:147], v[138:139]
	scratch_load_b64 v[146:147], off, off offset:440
	s_wait_loadcnt 0x5
	v_fmac_f64_e32 v[152:153], v[122:123], v[140:141]
	s_wait_dscnt 0x0
	s_delay_alu instid0(VALU_DEP_1)
	v_fmac_f64_e32 v[152:153], v[124:125], v[142:143]
	ds_load_b128 v[122:125], v2 offset:832
	ds_load_b128 v[138:141], v2 offset:848
	s_wait_loadcnt 0x4
	v_fmac_f64_e32 v[152:153], v[130:131], v[144:145]
	s_wait_dscnt 0x1
	s_delay_alu instid0(VALU_DEP_1) | instskip(SKIP_1) | instid1(VALU_DEP_1)
	v_fmac_f64_e32 v[152:153], v[132:133], v[122:123]
	s_wait_loadcnt 0x3
	v_fmac_f64_e32 v[152:153], v[126:127], v[124:125]
	s_wait_dscnt 0x0
	s_delay_alu instid0(VALU_DEP_1)
	v_fmac_f64_e32 v[152:153], v[128:129], v[138:139]
	ds_load_b128 v[122:125], v2 offset:864
	ds_load_b128 v[126:129], v2 offset:880
	s_wait_loadcnt 0x2
	v_fmac_f64_e32 v[152:153], v[134:135], v[140:141]
	s_wait_dscnt 0x1
	s_delay_alu instid0(VALU_DEP_1) | instskip(SKIP_1) | instid1(VALU_DEP_1)
	v_fmac_f64_e32 v[152:153], v[136:137], v[122:123]
	s_wait_loadcnt 0x1
	v_fmac_f64_e32 v[152:153], v[118:119], v[124:125]
	s_wait_dscnt 0x0
	s_delay_alu instid0(VALU_DEP_1) | instskip(SKIP_1) | instid1(VALU_DEP_1)
	v_fmac_f64_e32 v[152:153], v[120:121], v[126:127]
	s_wait_loadcnt 0x0
	v_fmac_f64_e32 v[152:153], v[146:147], v[128:129]
	s_delay_alu instid0(VALU_DEP_1)
	v_add_f64_e64 v[2:3], v[116:117], -v[152:153]
	scratch_store_b64 off, v[2:3], off offset:120
	s_wait_xcnt 0x0
	v_cmpx_lt_u32_e32 14, v0
	s_cbranch_execz .LBB119_317
; %bb.316:
	scratch_load_b64 v[2:3], off, off offset:112
	v_mov_b64_e32 v[116:117], 0
	scratch_store_b64 off, v[116:117], off offset:112
	s_wait_loadcnt 0x0
	ds_store_b64 v1, v[2:3]
.LBB119_317:
	s_wait_xcnt 0x0
	s_or_b32 exec_lo, exec_lo, s0
	s_wait_storecnt_dscnt 0x0
	s_barrier_signal -1
	s_barrier_wait -1
	s_clause 0x5
	scratch_load_b128 v[116:119], off, off offset:112
	scratch_load_b128 v[120:123], off, off offset:128
	;; [unrolled: 1-line block ×6, first 2 shown]
	v_mov_b32_e32 v2, 0
	ds_load_2addr_b64 v[140:143], v2 offset0:71 offset1:72
	ds_load_2addr_b64 v[144:147], v2 offset0:73 offset1:74
	scratch_load_b128 v[148:151], off, off offset:208
	s_mov_b32 s0, exec_lo
	s_wait_loadcnt_dscnt 0x601
	v_fma_f64 v[152:153], v[118:119], v[140:141], 0
	s_wait_loadcnt 0x5
	s_delay_alu instid0(VALU_DEP_1) | instskip(SKIP_4) | instid1(VALU_DEP_1)
	v_fmac_f64_e32 v[152:153], v[120:121], v[142:143]
	scratch_load_b128 v[118:121], off, off offset:224
	s_wait_dscnt 0x0
	v_fmac_f64_e32 v[152:153], v[122:123], v[144:145]
	s_wait_loadcnt 0x5
	v_fmac_f64_e32 v[152:153], v[124:125], v[146:147]
	ds_load_2addr_b64 v[122:125], v2 offset0:75 offset1:76
	ds_load_2addr_b64 v[140:143], v2 offset0:77 offset1:78
	scratch_load_b128 v[144:147], off, off offset:240
	s_wait_dscnt 0x1
	v_fmac_f64_e32 v[152:153], v[126:127], v[122:123]
	s_wait_loadcnt 0x5
	s_delay_alu instid0(VALU_DEP_1) | instskip(SKIP_4) | instid1(VALU_DEP_1)
	v_fmac_f64_e32 v[152:153], v[128:129], v[124:125]
	scratch_load_b128 v[122:125], off, off offset:256
	s_wait_dscnt 0x0
	v_fmac_f64_e32 v[152:153], v[130:131], v[140:141]
	s_wait_loadcnt 0x5
	v_fmac_f64_e32 v[152:153], v[132:133], v[142:143]
	ds_load_2addr_b64 v[126:129], v2 offset0:79 offset1:80
	ds_load_2addr_b64 v[130:133], v2 offset0:81 offset1:82
	scratch_load_b128 v[140:143], off, off offset:272
	s_wait_dscnt 0x1
	v_fmac_f64_e32 v[152:153], v[134:135], v[126:127]
	s_wait_loadcnt 0x5
	s_delay_alu instid0(VALU_DEP_1) | instskip(SKIP_4) | instid1(VALU_DEP_1)
	v_fmac_f64_e32 v[152:153], v[136:137], v[128:129]
	scratch_load_b128 v[126:129], off, off offset:288
	s_wait_dscnt 0x0
	v_fmac_f64_e32 v[152:153], v[138:139], v[130:131]
	s_wait_loadcnt 0x5
	v_fmac_f64_e32 v[152:153], v[148:149], v[132:133]
	ds_load_2addr_b64 v[130:133], v2 offset0:83 offset1:84
	ds_load_2addr_b64 v[134:137], v2 offset0:85 offset1:86
	s_wait_dscnt 0x1
	v_fmac_f64_e32 v[152:153], v[150:151], v[130:131]
	scratch_load_b128 v[148:151], off, off offset:304
	s_wait_loadcnt 0x5
	v_fmac_f64_e32 v[152:153], v[118:119], v[132:133]
	s_wait_dscnt 0x0
	s_delay_alu instid0(VALU_DEP_1)
	v_fmac_f64_e32 v[152:153], v[120:121], v[134:135]
	scratch_load_b128 v[118:121], off, off offset:320
	s_wait_loadcnt 0x5
	v_fmac_f64_e32 v[152:153], v[144:145], v[136:137]
	ds_load_2addr_b64 v[130:133], v2 offset0:87 offset1:88
	ds_load_2addr_b64 v[134:137], v2 offset0:89 offset1:90
	s_wait_dscnt 0x1
	v_fmac_f64_e32 v[152:153], v[146:147], v[130:131]
	scratch_load_b128 v[144:147], off, off offset:336
	s_wait_loadcnt 0x5
	v_fmac_f64_e32 v[152:153], v[122:123], v[132:133]
	s_wait_dscnt 0x0
	s_delay_alu instid0(VALU_DEP_1)
	v_fmac_f64_e32 v[152:153], v[124:125], v[134:135]
	scratch_load_b128 v[122:125], off, off offset:352
	s_wait_loadcnt 0x5
	v_fmac_f64_e32 v[152:153], v[140:141], v[136:137]
	ds_load_2addr_b64 v[130:133], v2 offset0:91 offset1:92
	ds_load_2addr_b64 v[134:137], v2 offset0:93 offset1:94
	s_wait_dscnt 0x1
	v_fmac_f64_e32 v[152:153], v[142:143], v[130:131]
	s_wait_loadcnt 0x4
	s_delay_alu instid0(VALU_DEP_1)
	v_fmac_f64_e32 v[152:153], v[126:127], v[132:133]
	scratch_load_b128 v[130:133], off, off offset:368
	s_wait_dscnt 0x0
	v_fmac_f64_e32 v[152:153], v[128:129], v[134:135]
	scratch_load_b128 v[126:129], off, off offset:384
	s_wait_loadcnt 0x5
	v_fmac_f64_e32 v[152:153], v[148:149], v[136:137]
	ds_load_2addr_b64 v[134:137], v2 offset0:95 offset1:96
	ds_load_2addr_b64 v[138:141], v2 offset0:97 offset1:98
	s_wait_dscnt 0x1
	v_fmac_f64_e32 v[152:153], v[150:151], v[134:135]
	s_wait_loadcnt 0x4
	s_delay_alu instid0(VALU_DEP_1)
	v_fmac_f64_e32 v[152:153], v[118:119], v[136:137]
	scratch_load_b128 v[134:137], off, off offset:400
	s_wait_dscnt 0x0
	v_fmac_f64_e32 v[152:153], v[120:121], v[138:139]
	scratch_load_b128 v[118:121], off, off offset:416
	s_wait_loadcnt 0x5
	v_fmac_f64_e32 v[152:153], v[144:145], v[140:141]
	ds_load_2addr_b64 v[138:141], v2 offset0:99 offset1:100
	ds_load_2addr_b64 v[142:145], v2 offset0:101 offset1:102
	s_wait_dscnt 0x1
	v_fmac_f64_e32 v[152:153], v[146:147], v[138:139]
	s_wait_loadcnt 0x4
	s_delay_alu instid0(VALU_DEP_1) | instskip(SKIP_4) | instid1(VALU_DEP_1)
	v_fmac_f64_e32 v[152:153], v[122:123], v[140:141]
	scratch_load_b128 v[138:141], off, off offset:432
	s_wait_dscnt 0x0
	v_fmac_f64_e32 v[152:153], v[124:125], v[142:143]
	s_wait_loadcnt 0x4
	v_fmac_f64_e32 v[152:153], v[130:131], v[144:145]
	ds_load_2addr_b64 v[122:125], v2 offset0:103 offset1:104
	ds_load_2addr_b64 v[142:145], v2 offset0:105 offset1:106
	s_wait_dscnt 0x1
	v_fmac_f64_e32 v[152:153], v[132:133], v[122:123]
	s_wait_loadcnt 0x3
	s_delay_alu instid0(VALU_DEP_1) | instskip(SKIP_1) | instid1(VALU_DEP_1)
	v_fmac_f64_e32 v[152:153], v[126:127], v[124:125]
	s_wait_dscnt 0x0
	v_fmac_f64_e32 v[152:153], v[128:129], v[142:143]
	ds_load_2addr_b64 v[122:125], v2 offset0:107 offset1:108
	ds_load_2addr_b64 v[126:129], v2 offset0:109 offset1:110
	s_wait_loadcnt 0x2
	v_fmac_f64_e32 v[152:153], v[134:135], v[144:145]
	s_wait_dscnt 0x1
	s_delay_alu instid0(VALU_DEP_1) | instskip(SKIP_1) | instid1(VALU_DEP_1)
	v_fmac_f64_e32 v[152:153], v[136:137], v[122:123]
	s_wait_loadcnt 0x1
	v_fmac_f64_e32 v[152:153], v[118:119], v[124:125]
	ds_load_b64 v[118:119], v2 offset:888
	s_wait_dscnt 0x1
	v_fmac_f64_e32 v[152:153], v[120:121], v[126:127]
	s_wait_loadcnt 0x0
	s_delay_alu instid0(VALU_DEP_1) | instskip(SKIP_1) | instid1(VALU_DEP_1)
	v_fmac_f64_e32 v[152:153], v[138:139], v[128:129]
	s_wait_dscnt 0x0
	v_fmac_f64_e32 v[152:153], v[140:141], v[118:119]
	s_delay_alu instid0(VALU_DEP_1)
	v_add_f64_e64 v[116:117], v[116:117], -v[152:153]
	scratch_store_b64 off, v[116:117], off offset:112
	s_wait_xcnt 0x0
	v_cmpx_lt_u32_e32 13, v0
	s_cbranch_execz .LBB119_319
; %bb.318:
	scratch_load_b64 v[116:117], off, off offset:104
	v_mov_b64_e32 v[118:119], 0
	scratch_store_b64 off, v[118:119], off offset:104
	s_wait_loadcnt 0x0
	ds_store_b64 v1, v[116:117]
.LBB119_319:
	s_wait_xcnt 0x0
	s_or_b32 exec_lo, exec_lo, s0
	s_wait_storecnt_dscnt 0x0
	s_barrier_signal -1
	s_barrier_wait -1
	s_clause 0x5
	scratch_load_b128 v[116:119], off, off offset:104
	scratch_load_b128 v[120:123], off, off offset:120
	;; [unrolled: 1-line block ×6, first 2 shown]
	ds_load_b128 v[140:143], v2 offset:560
	ds_load_b128 v[144:147], v2 offset:576
	scratch_load_b128 v[148:151], off, off offset:200
	s_mov_b32 s0, exec_lo
	s_wait_loadcnt_dscnt 0x601
	v_fma_f64 v[152:153], v[118:119], v[140:141], 0
	s_wait_loadcnt 0x5
	s_delay_alu instid0(VALU_DEP_1) | instskip(SKIP_4) | instid1(VALU_DEP_1)
	v_fmac_f64_e32 v[152:153], v[120:121], v[142:143]
	scratch_load_b128 v[118:121], off, off offset:216
	s_wait_dscnt 0x0
	v_fmac_f64_e32 v[152:153], v[122:123], v[144:145]
	s_wait_loadcnt 0x5
	v_fmac_f64_e32 v[152:153], v[124:125], v[146:147]
	ds_load_b128 v[122:125], v2 offset:592
	ds_load_b128 v[140:143], v2 offset:608
	scratch_load_b128 v[144:147], off, off offset:232
	s_wait_dscnt 0x1
	v_fmac_f64_e32 v[152:153], v[126:127], v[122:123]
	s_wait_loadcnt 0x5
	s_delay_alu instid0(VALU_DEP_1) | instskip(SKIP_4) | instid1(VALU_DEP_1)
	v_fmac_f64_e32 v[152:153], v[128:129], v[124:125]
	scratch_load_b128 v[122:125], off, off offset:248
	s_wait_dscnt 0x0
	v_fmac_f64_e32 v[152:153], v[130:131], v[140:141]
	s_wait_loadcnt 0x5
	v_fmac_f64_e32 v[152:153], v[132:133], v[142:143]
	ds_load_b128 v[126:129], v2 offset:624
	ds_load_b128 v[130:133], v2 offset:640
	scratch_load_b128 v[140:143], off, off offset:264
	s_wait_dscnt 0x1
	v_fmac_f64_e32 v[152:153], v[134:135], v[126:127]
	s_wait_loadcnt 0x5
	s_delay_alu instid0(VALU_DEP_1) | instskip(SKIP_4) | instid1(VALU_DEP_1)
	v_fmac_f64_e32 v[152:153], v[136:137], v[128:129]
	scratch_load_b128 v[126:129], off, off offset:280
	s_wait_dscnt 0x0
	v_fmac_f64_e32 v[152:153], v[138:139], v[130:131]
	s_wait_loadcnt 0x5
	v_fmac_f64_e32 v[152:153], v[148:149], v[132:133]
	ds_load_b128 v[130:133], v2 offset:656
	ds_load_b128 v[134:137], v2 offset:672
	s_wait_dscnt 0x1
	v_fmac_f64_e32 v[152:153], v[150:151], v[130:131]
	scratch_load_b128 v[148:151], off, off offset:296
	s_wait_loadcnt 0x5
	v_fmac_f64_e32 v[152:153], v[118:119], v[132:133]
	s_wait_dscnt 0x0
	s_delay_alu instid0(VALU_DEP_1)
	v_fmac_f64_e32 v[152:153], v[120:121], v[134:135]
	scratch_load_b128 v[118:121], off, off offset:312
	s_wait_loadcnt 0x5
	v_fmac_f64_e32 v[152:153], v[144:145], v[136:137]
	ds_load_b128 v[130:133], v2 offset:688
	ds_load_b128 v[134:137], v2 offset:704
	s_wait_dscnt 0x1
	v_fmac_f64_e32 v[152:153], v[146:147], v[130:131]
	scratch_load_b128 v[144:147], off, off offset:328
	s_wait_loadcnt 0x5
	v_fmac_f64_e32 v[152:153], v[122:123], v[132:133]
	s_wait_dscnt 0x0
	s_delay_alu instid0(VALU_DEP_1)
	v_fmac_f64_e32 v[152:153], v[124:125], v[134:135]
	scratch_load_b128 v[122:125], off, off offset:344
	s_wait_loadcnt 0x5
	v_fmac_f64_e32 v[152:153], v[140:141], v[136:137]
	ds_load_b128 v[130:133], v2 offset:720
	ds_load_b128 v[134:137], v2 offset:736
	scratch_load_b128 v[138:141], off, off offset:360
	s_wait_dscnt 0x1
	v_fmac_f64_e32 v[152:153], v[142:143], v[130:131]
	s_wait_loadcnt 0x5
	s_delay_alu instid0(VALU_DEP_1) | instskip(SKIP_1) | instid1(VALU_DEP_1)
	v_fmac_f64_e32 v[152:153], v[126:127], v[132:133]
	s_wait_dscnt 0x0
	v_fmac_f64_e32 v[152:153], v[128:129], v[134:135]
	scratch_load_b128 v[126:129], off, off offset:376
	s_wait_loadcnt 0x5
	v_fmac_f64_e32 v[152:153], v[148:149], v[136:137]
	ds_load_b128 v[130:133], v2 offset:752
	ds_load_b128 v[134:137], v2 offset:768
	s_wait_dscnt 0x1
	v_fmac_f64_e32 v[152:153], v[150:151], v[130:131]
	s_wait_loadcnt 0x4
	s_delay_alu instid0(VALU_DEP_1)
	v_fmac_f64_e32 v[152:153], v[118:119], v[132:133]
	scratch_load_b128 v[130:133], off, off offset:392
	s_wait_dscnt 0x0
	v_fmac_f64_e32 v[152:153], v[120:121], v[134:135]
	scratch_load_b128 v[118:121], off, off offset:408
	s_wait_loadcnt 0x5
	v_fmac_f64_e32 v[152:153], v[144:145], v[136:137]
	ds_load_b128 v[134:137], v2 offset:784
	ds_load_b128 v[142:145], v2 offset:800
	s_wait_dscnt 0x1
	v_fmac_f64_e32 v[152:153], v[146:147], v[134:135]
	s_wait_loadcnt 0x4
	s_delay_alu instid0(VALU_DEP_1) | instskip(SKIP_4) | instid1(VALU_DEP_1)
	v_fmac_f64_e32 v[152:153], v[122:123], v[136:137]
	scratch_load_b128 v[134:137], off, off offset:424
	s_wait_dscnt 0x0
	v_fmac_f64_e32 v[152:153], v[124:125], v[142:143]
	s_wait_loadcnt 0x4
	v_fmac_f64_e32 v[152:153], v[138:139], v[144:145]
	scratch_load_b64 v[138:139], off, off offset:440
	ds_load_b128 v[122:125], v2 offset:816
	ds_load_b128 v[142:145], v2 offset:832
	s_wait_dscnt 0x1
	v_fmac_f64_e32 v[152:153], v[140:141], v[122:123]
	s_wait_loadcnt 0x4
	s_delay_alu instid0(VALU_DEP_1) | instskip(SKIP_1) | instid1(VALU_DEP_1)
	v_fmac_f64_e32 v[152:153], v[126:127], v[124:125]
	s_wait_dscnt 0x0
	v_fmac_f64_e32 v[152:153], v[128:129], v[142:143]
	ds_load_b128 v[122:125], v2 offset:848
	ds_load_b128 v[126:129], v2 offset:864
	s_wait_loadcnt 0x3
	v_fmac_f64_e32 v[152:153], v[130:131], v[144:145]
	s_wait_dscnt 0x1
	s_delay_alu instid0(VALU_DEP_1) | instskip(SKIP_1) | instid1(VALU_DEP_1)
	v_fmac_f64_e32 v[152:153], v[132:133], v[122:123]
	s_wait_loadcnt 0x2
	v_fmac_f64_e32 v[152:153], v[118:119], v[124:125]
	s_wait_dscnt 0x0
	s_delay_alu instid0(VALU_DEP_1) | instskip(SKIP_4) | instid1(VALU_DEP_1)
	v_fmac_f64_e32 v[152:153], v[120:121], v[126:127]
	ds_load_b128 v[118:121], v2 offset:880
	s_wait_loadcnt 0x1
	v_fmac_f64_e32 v[152:153], v[134:135], v[128:129]
	s_wait_dscnt 0x0
	v_fmac_f64_e32 v[152:153], v[136:137], v[118:119]
	s_wait_loadcnt 0x0
	s_delay_alu instid0(VALU_DEP_1) | instskip(NEXT) | instid1(VALU_DEP_1)
	v_fmac_f64_e32 v[152:153], v[138:139], v[120:121]
	v_add_f64_e64 v[2:3], v[116:117], -v[152:153]
	scratch_store_b64 off, v[2:3], off offset:104
	s_wait_xcnt 0x0
	v_cmpx_lt_u32_e32 12, v0
	s_cbranch_execz .LBB119_321
; %bb.320:
	scratch_load_b64 v[2:3], off, off offset:96
	v_mov_b64_e32 v[116:117], 0
	scratch_store_b64 off, v[116:117], off offset:96
	s_wait_loadcnt 0x0
	ds_store_b64 v1, v[2:3]
.LBB119_321:
	s_wait_xcnt 0x0
	s_or_b32 exec_lo, exec_lo, s0
	s_wait_storecnt_dscnt 0x0
	s_barrier_signal -1
	s_barrier_wait -1
	s_clause 0x5
	scratch_load_b128 v[116:119], off, off offset:96
	scratch_load_b128 v[120:123], off, off offset:112
	;; [unrolled: 1-line block ×6, first 2 shown]
	v_mov_b32_e32 v2, 0
	ds_load_2addr_b64 v[140:143], v2 offset0:69 offset1:70
	ds_load_2addr_b64 v[144:147], v2 offset0:71 offset1:72
	scratch_load_b128 v[148:151], off, off offset:192
	s_mov_b32 s0, exec_lo
	s_wait_loadcnt_dscnt 0x601
	v_fma_f64 v[152:153], v[118:119], v[140:141], 0
	s_wait_loadcnt 0x5
	s_delay_alu instid0(VALU_DEP_1) | instskip(SKIP_4) | instid1(VALU_DEP_1)
	v_fmac_f64_e32 v[152:153], v[120:121], v[142:143]
	scratch_load_b128 v[118:121], off, off offset:208
	s_wait_dscnt 0x0
	v_fmac_f64_e32 v[152:153], v[122:123], v[144:145]
	s_wait_loadcnt 0x5
	v_fmac_f64_e32 v[152:153], v[124:125], v[146:147]
	ds_load_2addr_b64 v[122:125], v2 offset0:73 offset1:74
	ds_load_2addr_b64 v[140:143], v2 offset0:75 offset1:76
	scratch_load_b128 v[144:147], off, off offset:224
	s_wait_dscnt 0x1
	v_fmac_f64_e32 v[152:153], v[126:127], v[122:123]
	s_wait_loadcnt 0x5
	s_delay_alu instid0(VALU_DEP_1) | instskip(SKIP_4) | instid1(VALU_DEP_1)
	v_fmac_f64_e32 v[152:153], v[128:129], v[124:125]
	scratch_load_b128 v[122:125], off, off offset:240
	s_wait_dscnt 0x0
	v_fmac_f64_e32 v[152:153], v[130:131], v[140:141]
	s_wait_loadcnt 0x5
	v_fmac_f64_e32 v[152:153], v[132:133], v[142:143]
	ds_load_2addr_b64 v[126:129], v2 offset0:77 offset1:78
	ds_load_2addr_b64 v[130:133], v2 offset0:79 offset1:80
	scratch_load_b128 v[140:143], off, off offset:256
	s_wait_dscnt 0x1
	v_fmac_f64_e32 v[152:153], v[134:135], v[126:127]
	s_wait_loadcnt 0x5
	s_delay_alu instid0(VALU_DEP_1) | instskip(SKIP_4) | instid1(VALU_DEP_1)
	v_fmac_f64_e32 v[152:153], v[136:137], v[128:129]
	scratch_load_b128 v[126:129], off, off offset:272
	s_wait_dscnt 0x0
	v_fmac_f64_e32 v[152:153], v[138:139], v[130:131]
	s_wait_loadcnt 0x5
	v_fmac_f64_e32 v[152:153], v[148:149], v[132:133]
	ds_load_2addr_b64 v[130:133], v2 offset0:81 offset1:82
	ds_load_2addr_b64 v[134:137], v2 offset0:83 offset1:84
	s_wait_dscnt 0x1
	v_fmac_f64_e32 v[152:153], v[150:151], v[130:131]
	scratch_load_b128 v[148:151], off, off offset:288
	s_wait_loadcnt 0x5
	v_fmac_f64_e32 v[152:153], v[118:119], v[132:133]
	s_wait_dscnt 0x0
	s_delay_alu instid0(VALU_DEP_1)
	v_fmac_f64_e32 v[152:153], v[120:121], v[134:135]
	scratch_load_b128 v[118:121], off, off offset:304
	s_wait_loadcnt 0x5
	v_fmac_f64_e32 v[152:153], v[144:145], v[136:137]
	ds_load_2addr_b64 v[130:133], v2 offset0:85 offset1:86
	ds_load_2addr_b64 v[134:137], v2 offset0:87 offset1:88
	s_wait_dscnt 0x1
	v_fmac_f64_e32 v[152:153], v[146:147], v[130:131]
	scratch_load_b128 v[144:147], off, off offset:320
	s_wait_loadcnt 0x5
	v_fmac_f64_e32 v[152:153], v[122:123], v[132:133]
	s_wait_dscnt 0x0
	s_delay_alu instid0(VALU_DEP_1)
	v_fmac_f64_e32 v[152:153], v[124:125], v[134:135]
	scratch_load_b128 v[122:125], off, off offset:336
	s_wait_loadcnt 0x5
	v_fmac_f64_e32 v[152:153], v[140:141], v[136:137]
	ds_load_2addr_b64 v[130:133], v2 offset0:89 offset1:90
	ds_load_2addr_b64 v[134:137], v2 offset0:91 offset1:92
	scratch_load_b128 v[138:141], off, off offset:352
	s_wait_dscnt 0x1
	v_fmac_f64_e32 v[152:153], v[142:143], v[130:131]
	s_wait_loadcnt 0x5
	s_delay_alu instid0(VALU_DEP_1) | instskip(SKIP_1) | instid1(VALU_DEP_1)
	v_fmac_f64_e32 v[152:153], v[126:127], v[132:133]
	s_wait_dscnt 0x0
	v_fmac_f64_e32 v[152:153], v[128:129], v[134:135]
	scratch_load_b128 v[126:129], off, off offset:368
	s_wait_loadcnt 0x5
	v_fmac_f64_e32 v[152:153], v[148:149], v[136:137]
	ds_load_2addr_b64 v[130:133], v2 offset0:93 offset1:94
	ds_load_2addr_b64 v[134:137], v2 offset0:95 offset1:96
	s_wait_dscnt 0x1
	v_fmac_f64_e32 v[152:153], v[150:151], v[130:131]
	s_wait_loadcnt 0x4
	s_delay_alu instid0(VALU_DEP_1)
	v_fmac_f64_e32 v[152:153], v[118:119], v[132:133]
	scratch_load_b128 v[130:133], off, off offset:384
	s_wait_dscnt 0x0
	v_fmac_f64_e32 v[152:153], v[120:121], v[134:135]
	scratch_load_b128 v[118:121], off, off offset:400
	s_wait_loadcnt 0x5
	v_fmac_f64_e32 v[152:153], v[144:145], v[136:137]
	ds_load_2addr_b64 v[134:137], v2 offset0:97 offset1:98
	ds_load_2addr_b64 v[142:145], v2 offset0:99 offset1:100
	s_wait_dscnt 0x1
	v_fmac_f64_e32 v[152:153], v[146:147], v[134:135]
	s_wait_loadcnt 0x4
	s_delay_alu instid0(VALU_DEP_1)
	v_fmac_f64_e32 v[152:153], v[122:123], v[136:137]
	scratch_load_b128 v[134:137], off, off offset:416
	s_wait_dscnt 0x0
	v_fmac_f64_e32 v[152:153], v[124:125], v[142:143]
	scratch_load_b128 v[122:125], off, off offset:432
	s_wait_loadcnt 0x5
	v_fmac_f64_e32 v[152:153], v[138:139], v[144:145]
	ds_load_2addr_b64 v[142:145], v2 offset0:101 offset1:102
	ds_load_2addr_b64 v[146:149], v2 offset0:103 offset1:104
	s_wait_dscnt 0x1
	v_fmac_f64_e32 v[152:153], v[140:141], v[142:143]
	s_wait_loadcnt 0x4
	s_delay_alu instid0(VALU_DEP_1) | instskip(SKIP_1) | instid1(VALU_DEP_1)
	v_fmac_f64_e32 v[152:153], v[126:127], v[144:145]
	s_wait_dscnt 0x0
	v_fmac_f64_e32 v[152:153], v[128:129], v[146:147]
	ds_load_2addr_b64 v[126:129], v2 offset0:105 offset1:106
	ds_load_2addr_b64 v[138:141], v2 offset0:107 offset1:108
	s_wait_loadcnt 0x3
	v_fmac_f64_e32 v[152:153], v[130:131], v[148:149]
	s_wait_dscnt 0x1
	s_delay_alu instid0(VALU_DEP_1) | instskip(SKIP_1) | instid1(VALU_DEP_1)
	v_fmac_f64_e32 v[152:153], v[132:133], v[126:127]
	s_wait_loadcnt 0x2
	v_fmac_f64_e32 v[152:153], v[118:119], v[128:129]
	s_wait_dscnt 0x0
	s_delay_alu instid0(VALU_DEP_1)
	v_fmac_f64_e32 v[152:153], v[120:121], v[138:139]
	ds_load_2addr_b64 v[118:121], v2 offset0:109 offset1:110
	ds_load_b64 v[126:127], v2 offset:888
	s_wait_loadcnt 0x1
	v_fmac_f64_e32 v[152:153], v[134:135], v[140:141]
	s_wait_dscnt 0x1
	s_delay_alu instid0(VALU_DEP_1) | instskip(SKIP_1) | instid1(VALU_DEP_1)
	v_fmac_f64_e32 v[152:153], v[136:137], v[118:119]
	s_wait_loadcnt 0x0
	v_fmac_f64_e32 v[152:153], v[122:123], v[120:121]
	s_wait_dscnt 0x0
	s_delay_alu instid0(VALU_DEP_1) | instskip(NEXT) | instid1(VALU_DEP_1)
	v_fmac_f64_e32 v[152:153], v[124:125], v[126:127]
	v_add_f64_e64 v[116:117], v[116:117], -v[152:153]
	scratch_store_b64 off, v[116:117], off offset:96
	s_wait_xcnt 0x0
	v_cmpx_lt_u32_e32 11, v0
	s_cbranch_execz .LBB119_323
; %bb.322:
	scratch_load_b64 v[116:117], off, off offset:88
	v_mov_b64_e32 v[118:119], 0
	scratch_store_b64 off, v[118:119], off offset:88
	s_wait_loadcnt 0x0
	ds_store_b64 v1, v[116:117]
.LBB119_323:
	s_wait_xcnt 0x0
	s_or_b32 exec_lo, exec_lo, s0
	s_wait_storecnt_dscnt 0x0
	s_barrier_signal -1
	s_barrier_wait -1
	s_clause 0x5
	scratch_load_b128 v[116:119], off, off offset:88
	scratch_load_b128 v[120:123], off, off offset:104
	;; [unrolled: 1-line block ×6, first 2 shown]
	ds_load_b128 v[140:143], v2 offset:544
	ds_load_b128 v[144:147], v2 offset:560
	scratch_load_b128 v[148:151], off, off offset:184
	s_mov_b32 s0, exec_lo
	s_wait_loadcnt_dscnt 0x601
	v_fma_f64 v[152:153], v[118:119], v[140:141], 0
	s_wait_loadcnt 0x5
	s_delay_alu instid0(VALU_DEP_1) | instskip(SKIP_4) | instid1(VALU_DEP_1)
	v_fmac_f64_e32 v[152:153], v[120:121], v[142:143]
	scratch_load_b128 v[118:121], off, off offset:200
	s_wait_dscnt 0x0
	v_fmac_f64_e32 v[152:153], v[122:123], v[144:145]
	s_wait_loadcnt 0x5
	v_fmac_f64_e32 v[152:153], v[124:125], v[146:147]
	ds_load_b128 v[122:125], v2 offset:576
	ds_load_b128 v[140:143], v2 offset:592
	scratch_load_b128 v[144:147], off, off offset:216
	s_wait_dscnt 0x1
	v_fmac_f64_e32 v[152:153], v[126:127], v[122:123]
	s_wait_loadcnt 0x5
	s_delay_alu instid0(VALU_DEP_1) | instskip(SKIP_4) | instid1(VALU_DEP_1)
	v_fmac_f64_e32 v[152:153], v[128:129], v[124:125]
	scratch_load_b128 v[122:125], off, off offset:232
	s_wait_dscnt 0x0
	v_fmac_f64_e32 v[152:153], v[130:131], v[140:141]
	s_wait_loadcnt 0x5
	v_fmac_f64_e32 v[152:153], v[132:133], v[142:143]
	ds_load_b128 v[126:129], v2 offset:608
	ds_load_b128 v[130:133], v2 offset:624
	scratch_load_b128 v[140:143], off, off offset:248
	s_wait_dscnt 0x1
	v_fmac_f64_e32 v[152:153], v[134:135], v[126:127]
	s_wait_loadcnt 0x5
	s_delay_alu instid0(VALU_DEP_1) | instskip(SKIP_4) | instid1(VALU_DEP_1)
	v_fmac_f64_e32 v[152:153], v[136:137], v[128:129]
	scratch_load_b128 v[126:129], off, off offset:264
	s_wait_dscnt 0x0
	v_fmac_f64_e32 v[152:153], v[138:139], v[130:131]
	s_wait_loadcnt 0x5
	v_fmac_f64_e32 v[152:153], v[148:149], v[132:133]
	ds_load_b128 v[130:133], v2 offset:640
	ds_load_b128 v[134:137], v2 offset:656
	s_wait_dscnt 0x1
	v_fmac_f64_e32 v[152:153], v[150:151], v[130:131]
	scratch_load_b128 v[148:151], off, off offset:280
	s_wait_loadcnt 0x5
	v_fmac_f64_e32 v[152:153], v[118:119], v[132:133]
	s_wait_dscnt 0x0
	s_delay_alu instid0(VALU_DEP_1)
	v_fmac_f64_e32 v[152:153], v[120:121], v[134:135]
	scratch_load_b128 v[118:121], off, off offset:296
	s_wait_loadcnt 0x5
	v_fmac_f64_e32 v[152:153], v[144:145], v[136:137]
	ds_load_b128 v[130:133], v2 offset:672
	ds_load_b128 v[134:137], v2 offset:688
	s_wait_dscnt 0x1
	v_fmac_f64_e32 v[152:153], v[146:147], v[130:131]
	scratch_load_b128 v[144:147], off, off offset:312
	s_wait_loadcnt 0x5
	v_fmac_f64_e32 v[152:153], v[122:123], v[132:133]
	s_wait_dscnt 0x0
	s_delay_alu instid0(VALU_DEP_1)
	v_fmac_f64_e32 v[152:153], v[124:125], v[134:135]
	scratch_load_b128 v[122:125], off, off offset:328
	s_wait_loadcnt 0x5
	v_fmac_f64_e32 v[152:153], v[140:141], v[136:137]
	ds_load_b128 v[130:133], v2 offset:704
	ds_load_b128 v[134:137], v2 offset:720
	scratch_load_b128 v[138:141], off, off offset:344
	s_wait_dscnt 0x1
	v_fmac_f64_e32 v[152:153], v[142:143], v[130:131]
	s_wait_loadcnt 0x5
	s_delay_alu instid0(VALU_DEP_1) | instskip(SKIP_1) | instid1(VALU_DEP_1)
	v_fmac_f64_e32 v[152:153], v[126:127], v[132:133]
	s_wait_dscnt 0x0
	v_fmac_f64_e32 v[152:153], v[128:129], v[134:135]
	scratch_load_b128 v[126:129], off, off offset:360
	s_wait_loadcnt 0x5
	v_fmac_f64_e32 v[152:153], v[148:149], v[136:137]
	ds_load_b128 v[130:133], v2 offset:736
	ds_load_b128 v[134:137], v2 offset:752
	s_wait_dscnt 0x1
	v_fmac_f64_e32 v[152:153], v[150:151], v[130:131]
	s_wait_loadcnt 0x4
	s_delay_alu instid0(VALU_DEP_1)
	v_fmac_f64_e32 v[152:153], v[118:119], v[132:133]
	scratch_load_b128 v[130:133], off, off offset:376
	s_wait_dscnt 0x0
	v_fmac_f64_e32 v[152:153], v[120:121], v[134:135]
	scratch_load_b128 v[118:121], off, off offset:392
	s_wait_loadcnt 0x5
	v_fmac_f64_e32 v[152:153], v[144:145], v[136:137]
	ds_load_b128 v[134:137], v2 offset:768
	ds_load_b128 v[142:145], v2 offset:784
	s_wait_dscnt 0x1
	v_fmac_f64_e32 v[152:153], v[146:147], v[134:135]
	s_wait_loadcnt 0x4
	s_delay_alu instid0(VALU_DEP_1)
	v_fmac_f64_e32 v[152:153], v[122:123], v[136:137]
	scratch_load_b128 v[134:137], off, off offset:408
	s_wait_dscnt 0x0
	v_fmac_f64_e32 v[152:153], v[124:125], v[142:143]
	scratch_load_b128 v[122:125], off, off offset:424
	s_wait_loadcnt 0x5
	v_fmac_f64_e32 v[152:153], v[138:139], v[144:145]
	ds_load_b128 v[142:145], v2 offset:800
	ds_load_b128 v[146:149], v2 offset:816
	s_wait_dscnt 0x1
	v_fmac_f64_e32 v[152:153], v[140:141], v[142:143]
	scratch_load_b64 v[142:143], off, off offset:440
	s_wait_loadcnt 0x5
	v_fmac_f64_e32 v[152:153], v[126:127], v[144:145]
	s_wait_dscnt 0x0
	s_delay_alu instid0(VALU_DEP_1)
	v_fmac_f64_e32 v[152:153], v[128:129], v[146:147]
	ds_load_b128 v[126:129], v2 offset:832
	ds_load_b128 v[138:141], v2 offset:848
	s_wait_loadcnt 0x4
	v_fmac_f64_e32 v[152:153], v[130:131], v[148:149]
	s_wait_dscnt 0x1
	s_delay_alu instid0(VALU_DEP_1) | instskip(SKIP_1) | instid1(VALU_DEP_1)
	v_fmac_f64_e32 v[152:153], v[132:133], v[126:127]
	s_wait_loadcnt 0x3
	v_fmac_f64_e32 v[152:153], v[118:119], v[128:129]
	s_wait_dscnt 0x0
	s_delay_alu instid0(VALU_DEP_1)
	v_fmac_f64_e32 v[152:153], v[120:121], v[138:139]
	ds_load_b128 v[118:121], v2 offset:864
	ds_load_b128 v[126:129], v2 offset:880
	s_wait_loadcnt 0x2
	v_fmac_f64_e32 v[152:153], v[134:135], v[140:141]
	s_wait_dscnt 0x1
	s_delay_alu instid0(VALU_DEP_1) | instskip(SKIP_1) | instid1(VALU_DEP_1)
	v_fmac_f64_e32 v[152:153], v[136:137], v[118:119]
	s_wait_loadcnt 0x1
	v_fmac_f64_e32 v[152:153], v[122:123], v[120:121]
	s_wait_dscnt 0x0
	s_delay_alu instid0(VALU_DEP_1) | instskip(SKIP_1) | instid1(VALU_DEP_1)
	v_fmac_f64_e32 v[152:153], v[124:125], v[126:127]
	s_wait_loadcnt 0x0
	v_fmac_f64_e32 v[152:153], v[142:143], v[128:129]
	s_delay_alu instid0(VALU_DEP_1)
	v_add_f64_e64 v[2:3], v[116:117], -v[152:153]
	scratch_store_b64 off, v[2:3], off offset:88
	s_wait_xcnt 0x0
	v_cmpx_lt_u32_e32 10, v0
	s_cbranch_execz .LBB119_325
; %bb.324:
	scratch_load_b64 v[2:3], off, off offset:80
	v_mov_b64_e32 v[116:117], 0
	scratch_store_b64 off, v[116:117], off offset:80
	s_wait_loadcnt 0x0
	ds_store_b64 v1, v[2:3]
.LBB119_325:
	s_wait_xcnt 0x0
	s_or_b32 exec_lo, exec_lo, s0
	s_wait_storecnt_dscnt 0x0
	s_barrier_signal -1
	s_barrier_wait -1
	s_clause 0x5
	scratch_load_b128 v[116:119], off, off offset:80
	scratch_load_b128 v[120:123], off, off offset:96
	scratch_load_b128 v[124:127], off, off offset:112
	scratch_load_b128 v[128:131], off, off offset:128
	scratch_load_b128 v[132:135], off, off offset:144
	scratch_load_b128 v[136:139], off, off offset:160
	v_mov_b32_e32 v2, 0
	ds_load_2addr_b64 v[140:143], v2 offset0:67 offset1:68
	ds_load_2addr_b64 v[144:147], v2 offset0:69 offset1:70
	scratch_load_b128 v[148:151], off, off offset:176
	s_mov_b32 s0, exec_lo
	s_wait_loadcnt_dscnt 0x601
	v_fma_f64 v[152:153], v[118:119], v[140:141], 0
	s_wait_loadcnt 0x5
	s_delay_alu instid0(VALU_DEP_1) | instskip(SKIP_4) | instid1(VALU_DEP_1)
	v_fmac_f64_e32 v[152:153], v[120:121], v[142:143]
	scratch_load_b128 v[118:121], off, off offset:192
	s_wait_dscnt 0x0
	v_fmac_f64_e32 v[152:153], v[122:123], v[144:145]
	s_wait_loadcnt 0x5
	v_fmac_f64_e32 v[152:153], v[124:125], v[146:147]
	ds_load_2addr_b64 v[122:125], v2 offset0:71 offset1:72
	ds_load_2addr_b64 v[140:143], v2 offset0:73 offset1:74
	scratch_load_b128 v[144:147], off, off offset:208
	s_wait_dscnt 0x1
	v_fmac_f64_e32 v[152:153], v[126:127], v[122:123]
	s_wait_loadcnt 0x5
	s_delay_alu instid0(VALU_DEP_1) | instskip(SKIP_4) | instid1(VALU_DEP_1)
	v_fmac_f64_e32 v[152:153], v[128:129], v[124:125]
	scratch_load_b128 v[122:125], off, off offset:224
	s_wait_dscnt 0x0
	v_fmac_f64_e32 v[152:153], v[130:131], v[140:141]
	s_wait_loadcnt 0x5
	v_fmac_f64_e32 v[152:153], v[132:133], v[142:143]
	ds_load_2addr_b64 v[126:129], v2 offset0:75 offset1:76
	ds_load_2addr_b64 v[130:133], v2 offset0:77 offset1:78
	scratch_load_b128 v[140:143], off, off offset:240
	s_wait_dscnt 0x1
	v_fmac_f64_e32 v[152:153], v[134:135], v[126:127]
	s_wait_loadcnt 0x5
	s_delay_alu instid0(VALU_DEP_1) | instskip(SKIP_4) | instid1(VALU_DEP_1)
	v_fmac_f64_e32 v[152:153], v[136:137], v[128:129]
	scratch_load_b128 v[126:129], off, off offset:256
	s_wait_dscnt 0x0
	v_fmac_f64_e32 v[152:153], v[138:139], v[130:131]
	s_wait_loadcnt 0x5
	v_fmac_f64_e32 v[152:153], v[148:149], v[132:133]
	ds_load_2addr_b64 v[130:133], v2 offset0:79 offset1:80
	ds_load_2addr_b64 v[134:137], v2 offset0:81 offset1:82
	s_wait_dscnt 0x1
	v_fmac_f64_e32 v[152:153], v[150:151], v[130:131]
	scratch_load_b128 v[148:151], off, off offset:272
	s_wait_loadcnt 0x5
	v_fmac_f64_e32 v[152:153], v[118:119], v[132:133]
	s_wait_dscnt 0x0
	s_delay_alu instid0(VALU_DEP_1)
	v_fmac_f64_e32 v[152:153], v[120:121], v[134:135]
	scratch_load_b128 v[118:121], off, off offset:288
	s_wait_loadcnt 0x5
	v_fmac_f64_e32 v[152:153], v[144:145], v[136:137]
	ds_load_2addr_b64 v[130:133], v2 offset0:83 offset1:84
	ds_load_2addr_b64 v[134:137], v2 offset0:85 offset1:86
	s_wait_dscnt 0x1
	v_fmac_f64_e32 v[152:153], v[146:147], v[130:131]
	scratch_load_b128 v[144:147], off, off offset:304
	s_wait_loadcnt 0x5
	v_fmac_f64_e32 v[152:153], v[122:123], v[132:133]
	s_wait_dscnt 0x0
	s_delay_alu instid0(VALU_DEP_1)
	v_fmac_f64_e32 v[152:153], v[124:125], v[134:135]
	scratch_load_b128 v[122:125], off, off offset:320
	s_wait_loadcnt 0x5
	v_fmac_f64_e32 v[152:153], v[140:141], v[136:137]
	ds_load_2addr_b64 v[130:133], v2 offset0:87 offset1:88
	ds_load_2addr_b64 v[134:137], v2 offset0:89 offset1:90
	scratch_load_b128 v[138:141], off, off offset:336
	s_wait_dscnt 0x1
	v_fmac_f64_e32 v[152:153], v[142:143], v[130:131]
	s_wait_loadcnt 0x5
	s_delay_alu instid0(VALU_DEP_1) | instskip(SKIP_1) | instid1(VALU_DEP_1)
	v_fmac_f64_e32 v[152:153], v[126:127], v[132:133]
	s_wait_dscnt 0x0
	v_fmac_f64_e32 v[152:153], v[128:129], v[134:135]
	scratch_load_b128 v[126:129], off, off offset:352
	s_wait_loadcnt 0x5
	v_fmac_f64_e32 v[152:153], v[148:149], v[136:137]
	ds_load_2addr_b64 v[130:133], v2 offset0:91 offset1:92
	ds_load_2addr_b64 v[134:137], v2 offset0:93 offset1:94
	s_wait_dscnt 0x1
	v_fmac_f64_e32 v[152:153], v[150:151], v[130:131]
	s_wait_loadcnt 0x4
	s_delay_alu instid0(VALU_DEP_1)
	v_fmac_f64_e32 v[152:153], v[118:119], v[132:133]
	scratch_load_b128 v[130:133], off, off offset:368
	s_wait_dscnt 0x0
	v_fmac_f64_e32 v[152:153], v[120:121], v[134:135]
	scratch_load_b128 v[118:121], off, off offset:384
	s_wait_loadcnt 0x5
	v_fmac_f64_e32 v[152:153], v[144:145], v[136:137]
	ds_load_2addr_b64 v[134:137], v2 offset0:95 offset1:96
	ds_load_2addr_b64 v[142:145], v2 offset0:97 offset1:98
	s_wait_dscnt 0x1
	v_fmac_f64_e32 v[152:153], v[146:147], v[134:135]
	s_wait_loadcnt 0x4
	s_delay_alu instid0(VALU_DEP_1)
	v_fmac_f64_e32 v[152:153], v[122:123], v[136:137]
	scratch_load_b128 v[134:137], off, off offset:400
	s_wait_dscnt 0x0
	v_fmac_f64_e32 v[152:153], v[124:125], v[142:143]
	scratch_load_b128 v[122:125], off, off offset:416
	s_wait_loadcnt 0x5
	v_fmac_f64_e32 v[152:153], v[138:139], v[144:145]
	ds_load_2addr_b64 v[142:145], v2 offset0:99 offset1:100
	ds_load_2addr_b64 v[146:149], v2 offset0:101 offset1:102
	s_wait_dscnt 0x1
	v_fmac_f64_e32 v[152:153], v[140:141], v[142:143]
	scratch_load_b128 v[138:141], off, off offset:432
	s_wait_loadcnt 0x5
	v_fmac_f64_e32 v[152:153], v[126:127], v[144:145]
	s_wait_dscnt 0x0
	s_delay_alu instid0(VALU_DEP_1)
	v_fmac_f64_e32 v[152:153], v[128:129], v[146:147]
	ds_load_2addr_b64 v[126:129], v2 offset0:103 offset1:104
	ds_load_2addr_b64 v[142:145], v2 offset0:105 offset1:106
	s_wait_loadcnt 0x4
	v_fmac_f64_e32 v[152:153], v[130:131], v[148:149]
	s_wait_dscnt 0x1
	s_delay_alu instid0(VALU_DEP_1) | instskip(SKIP_1) | instid1(VALU_DEP_1)
	v_fmac_f64_e32 v[152:153], v[132:133], v[126:127]
	s_wait_loadcnt 0x3
	v_fmac_f64_e32 v[152:153], v[118:119], v[128:129]
	s_wait_dscnt 0x0
	s_delay_alu instid0(VALU_DEP_1)
	v_fmac_f64_e32 v[152:153], v[120:121], v[142:143]
	ds_load_2addr_b64 v[118:121], v2 offset0:107 offset1:108
	ds_load_2addr_b64 v[126:129], v2 offset0:109 offset1:110
	s_wait_loadcnt 0x2
	v_fmac_f64_e32 v[152:153], v[134:135], v[144:145]
	s_wait_dscnt 0x1
	s_delay_alu instid0(VALU_DEP_1) | instskip(SKIP_4) | instid1(VALU_DEP_1)
	v_fmac_f64_e32 v[152:153], v[136:137], v[118:119]
	ds_load_b64 v[118:119], v2 offset:888
	s_wait_loadcnt 0x1
	v_fmac_f64_e32 v[152:153], v[122:123], v[120:121]
	s_wait_dscnt 0x1
	v_fmac_f64_e32 v[152:153], v[124:125], v[126:127]
	s_wait_loadcnt 0x0
	s_delay_alu instid0(VALU_DEP_1) | instskip(SKIP_1) | instid1(VALU_DEP_1)
	v_fmac_f64_e32 v[152:153], v[138:139], v[128:129]
	s_wait_dscnt 0x0
	v_fmac_f64_e32 v[152:153], v[140:141], v[118:119]
	s_delay_alu instid0(VALU_DEP_1)
	v_add_f64_e64 v[116:117], v[116:117], -v[152:153]
	scratch_store_b64 off, v[116:117], off offset:80
	s_wait_xcnt 0x0
	v_cmpx_lt_u32_e32 9, v0
	s_cbranch_execz .LBB119_327
; %bb.326:
	scratch_load_b64 v[116:117], off, off offset:72
	v_mov_b64_e32 v[118:119], 0
	scratch_store_b64 off, v[118:119], off offset:72
	s_wait_loadcnt 0x0
	ds_store_b64 v1, v[116:117]
.LBB119_327:
	s_wait_xcnt 0x0
	s_or_b32 exec_lo, exec_lo, s0
	s_wait_storecnt_dscnt 0x0
	s_barrier_signal -1
	s_barrier_wait -1
	s_clause 0x5
	scratch_load_b128 v[116:119], off, off offset:72
	scratch_load_b128 v[120:123], off, off offset:88
	;; [unrolled: 1-line block ×6, first 2 shown]
	ds_load_b128 v[140:143], v2 offset:528
	ds_load_b128 v[144:147], v2 offset:544
	scratch_load_b128 v[148:151], off, off offset:168
	s_mov_b32 s0, exec_lo
	s_wait_loadcnt_dscnt 0x601
	v_fma_f64 v[152:153], v[118:119], v[140:141], 0
	s_wait_loadcnt 0x5
	s_delay_alu instid0(VALU_DEP_1) | instskip(SKIP_4) | instid1(VALU_DEP_1)
	v_fmac_f64_e32 v[152:153], v[120:121], v[142:143]
	scratch_load_b128 v[118:121], off, off offset:184
	s_wait_dscnt 0x0
	v_fmac_f64_e32 v[152:153], v[122:123], v[144:145]
	s_wait_loadcnt 0x5
	v_fmac_f64_e32 v[152:153], v[124:125], v[146:147]
	ds_load_b128 v[122:125], v2 offset:560
	ds_load_b128 v[140:143], v2 offset:576
	scratch_load_b128 v[144:147], off, off offset:200
	s_wait_dscnt 0x1
	v_fmac_f64_e32 v[152:153], v[126:127], v[122:123]
	s_wait_loadcnt 0x5
	s_delay_alu instid0(VALU_DEP_1) | instskip(SKIP_4) | instid1(VALU_DEP_1)
	v_fmac_f64_e32 v[152:153], v[128:129], v[124:125]
	scratch_load_b128 v[122:125], off, off offset:216
	s_wait_dscnt 0x0
	v_fmac_f64_e32 v[152:153], v[130:131], v[140:141]
	s_wait_loadcnt 0x5
	v_fmac_f64_e32 v[152:153], v[132:133], v[142:143]
	ds_load_b128 v[126:129], v2 offset:592
	ds_load_b128 v[130:133], v2 offset:608
	scratch_load_b128 v[140:143], off, off offset:232
	s_wait_dscnt 0x1
	v_fmac_f64_e32 v[152:153], v[134:135], v[126:127]
	s_wait_loadcnt 0x5
	s_delay_alu instid0(VALU_DEP_1) | instskip(SKIP_4) | instid1(VALU_DEP_1)
	v_fmac_f64_e32 v[152:153], v[136:137], v[128:129]
	scratch_load_b128 v[126:129], off, off offset:248
	s_wait_dscnt 0x0
	v_fmac_f64_e32 v[152:153], v[138:139], v[130:131]
	s_wait_loadcnt 0x5
	v_fmac_f64_e32 v[152:153], v[148:149], v[132:133]
	ds_load_b128 v[130:133], v2 offset:624
	ds_load_b128 v[134:137], v2 offset:640
	s_wait_dscnt 0x1
	v_fmac_f64_e32 v[152:153], v[150:151], v[130:131]
	scratch_load_b128 v[148:151], off, off offset:264
	s_wait_loadcnt 0x5
	v_fmac_f64_e32 v[152:153], v[118:119], v[132:133]
	s_wait_dscnt 0x0
	s_delay_alu instid0(VALU_DEP_1)
	v_fmac_f64_e32 v[152:153], v[120:121], v[134:135]
	scratch_load_b128 v[118:121], off, off offset:280
	s_wait_loadcnt 0x5
	v_fmac_f64_e32 v[152:153], v[144:145], v[136:137]
	ds_load_b128 v[130:133], v2 offset:656
	ds_load_b128 v[134:137], v2 offset:672
	s_wait_dscnt 0x1
	v_fmac_f64_e32 v[152:153], v[146:147], v[130:131]
	scratch_load_b128 v[144:147], off, off offset:296
	s_wait_loadcnt 0x5
	v_fmac_f64_e32 v[152:153], v[122:123], v[132:133]
	s_wait_dscnt 0x0
	s_delay_alu instid0(VALU_DEP_1)
	v_fmac_f64_e32 v[152:153], v[124:125], v[134:135]
	scratch_load_b128 v[122:125], off, off offset:312
	s_wait_loadcnt 0x5
	v_fmac_f64_e32 v[152:153], v[140:141], v[136:137]
	ds_load_b128 v[130:133], v2 offset:688
	ds_load_b128 v[134:137], v2 offset:704
	scratch_load_b128 v[138:141], off, off offset:328
	s_wait_dscnt 0x1
	v_fmac_f64_e32 v[152:153], v[142:143], v[130:131]
	s_wait_loadcnt 0x5
	s_delay_alu instid0(VALU_DEP_1) | instskip(SKIP_1) | instid1(VALU_DEP_1)
	v_fmac_f64_e32 v[152:153], v[126:127], v[132:133]
	s_wait_dscnt 0x0
	v_fmac_f64_e32 v[152:153], v[128:129], v[134:135]
	scratch_load_b128 v[126:129], off, off offset:344
	s_wait_loadcnt 0x5
	v_fmac_f64_e32 v[152:153], v[148:149], v[136:137]
	ds_load_b128 v[130:133], v2 offset:720
	ds_load_b128 v[134:137], v2 offset:736
	s_wait_dscnt 0x1
	v_fmac_f64_e32 v[152:153], v[150:151], v[130:131]
	scratch_load_b128 v[148:151], off, off offset:360
	s_wait_loadcnt 0x5
	v_fmac_f64_e32 v[152:153], v[118:119], v[132:133]
	s_wait_dscnt 0x0
	s_delay_alu instid0(VALU_DEP_1)
	v_fmac_f64_e32 v[152:153], v[120:121], v[134:135]
	scratch_load_b128 v[118:121], off, off offset:376
	s_wait_loadcnt 0x5
	v_fmac_f64_e32 v[152:153], v[144:145], v[136:137]
	ds_load_b128 v[130:133], v2 offset:752
	ds_load_b128 v[134:137], v2 offset:768
	s_wait_dscnt 0x1
	v_fmac_f64_e32 v[152:153], v[146:147], v[130:131]
	s_wait_loadcnt 0x4
	s_delay_alu instid0(VALU_DEP_1)
	v_fmac_f64_e32 v[152:153], v[122:123], v[132:133]
	scratch_load_b128 v[130:133], off, off offset:392
	s_wait_dscnt 0x0
	v_fmac_f64_e32 v[152:153], v[124:125], v[134:135]
	scratch_load_b128 v[122:125], off, off offset:408
	s_wait_loadcnt 0x5
	v_fmac_f64_e32 v[152:153], v[138:139], v[136:137]
	ds_load_b128 v[134:137], v2 offset:784
	ds_load_b128 v[142:145], v2 offset:800
	s_wait_dscnt 0x1
	v_fmac_f64_e32 v[152:153], v[140:141], v[134:135]
	s_wait_loadcnt 0x4
	s_delay_alu instid0(VALU_DEP_1)
	v_fmac_f64_e32 v[152:153], v[126:127], v[136:137]
	scratch_load_b128 v[134:137], off, off offset:424
	s_wait_dscnt 0x0
	v_fmac_f64_e32 v[152:153], v[128:129], v[142:143]
	scratch_load_b64 v[142:143], off, off offset:440
	ds_load_b128 v[126:129], v2 offset:816
	ds_load_b128 v[138:141], v2 offset:832
	s_wait_loadcnt 0x5
	v_fmac_f64_e32 v[152:153], v[148:149], v[144:145]
	s_wait_dscnt 0x1
	s_delay_alu instid0(VALU_DEP_1) | instskip(SKIP_1) | instid1(VALU_DEP_1)
	v_fmac_f64_e32 v[152:153], v[150:151], v[126:127]
	s_wait_loadcnt 0x4
	v_fmac_f64_e32 v[152:153], v[118:119], v[128:129]
	s_wait_dscnt 0x0
	s_delay_alu instid0(VALU_DEP_1)
	v_fmac_f64_e32 v[152:153], v[120:121], v[138:139]
	ds_load_b128 v[118:121], v2 offset:848
	ds_load_b128 v[126:129], v2 offset:864
	s_wait_loadcnt 0x3
	v_fmac_f64_e32 v[152:153], v[130:131], v[140:141]
	s_wait_dscnt 0x1
	s_delay_alu instid0(VALU_DEP_1) | instskip(SKIP_1) | instid1(VALU_DEP_1)
	v_fmac_f64_e32 v[152:153], v[132:133], v[118:119]
	s_wait_loadcnt 0x2
	v_fmac_f64_e32 v[152:153], v[122:123], v[120:121]
	ds_load_b128 v[118:121], v2 offset:880
	s_wait_dscnt 0x1
	v_fmac_f64_e32 v[152:153], v[124:125], v[126:127]
	s_wait_loadcnt 0x1
	s_delay_alu instid0(VALU_DEP_1) | instskip(SKIP_1) | instid1(VALU_DEP_1)
	v_fmac_f64_e32 v[152:153], v[134:135], v[128:129]
	s_wait_dscnt 0x0
	v_fmac_f64_e32 v[152:153], v[136:137], v[118:119]
	s_wait_loadcnt 0x0
	s_delay_alu instid0(VALU_DEP_1) | instskip(NEXT) | instid1(VALU_DEP_1)
	v_fmac_f64_e32 v[152:153], v[142:143], v[120:121]
	v_add_f64_e64 v[2:3], v[116:117], -v[152:153]
	scratch_store_b64 off, v[2:3], off offset:72
	s_wait_xcnt 0x0
	v_cmpx_lt_u32_e32 8, v0
	s_cbranch_execz .LBB119_329
; %bb.328:
	scratch_load_b64 v[2:3], off, off offset:64
	v_mov_b64_e32 v[116:117], 0
	scratch_store_b64 off, v[116:117], off offset:64
	s_wait_loadcnt 0x0
	ds_store_b64 v1, v[2:3]
.LBB119_329:
	s_wait_xcnt 0x0
	s_or_b32 exec_lo, exec_lo, s0
	s_wait_storecnt_dscnt 0x0
	s_barrier_signal -1
	s_barrier_wait -1
	s_clause 0x5
	scratch_load_b128 v[116:119], off, off offset:64
	scratch_load_b128 v[120:123], off, off offset:80
	;; [unrolled: 1-line block ×6, first 2 shown]
	v_mov_b32_e32 v2, 0
	ds_load_2addr_b64 v[140:143], v2 offset0:65 offset1:66
	ds_load_2addr_b64 v[144:147], v2 offset0:67 offset1:68
	scratch_load_b128 v[148:151], off, off offset:160
	s_mov_b32 s0, exec_lo
	s_wait_loadcnt_dscnt 0x601
	v_fma_f64 v[152:153], v[118:119], v[140:141], 0
	s_wait_loadcnt 0x5
	s_delay_alu instid0(VALU_DEP_1) | instskip(SKIP_4) | instid1(VALU_DEP_1)
	v_fmac_f64_e32 v[152:153], v[120:121], v[142:143]
	scratch_load_b128 v[118:121], off, off offset:176
	s_wait_dscnt 0x0
	v_fmac_f64_e32 v[152:153], v[122:123], v[144:145]
	s_wait_loadcnt 0x5
	v_fmac_f64_e32 v[152:153], v[124:125], v[146:147]
	ds_load_2addr_b64 v[122:125], v2 offset0:69 offset1:70
	ds_load_2addr_b64 v[140:143], v2 offset0:71 offset1:72
	scratch_load_b128 v[144:147], off, off offset:192
	s_wait_dscnt 0x1
	v_fmac_f64_e32 v[152:153], v[126:127], v[122:123]
	s_wait_loadcnt 0x5
	s_delay_alu instid0(VALU_DEP_1) | instskip(SKIP_4) | instid1(VALU_DEP_1)
	v_fmac_f64_e32 v[152:153], v[128:129], v[124:125]
	scratch_load_b128 v[122:125], off, off offset:208
	s_wait_dscnt 0x0
	v_fmac_f64_e32 v[152:153], v[130:131], v[140:141]
	s_wait_loadcnt 0x5
	v_fmac_f64_e32 v[152:153], v[132:133], v[142:143]
	ds_load_2addr_b64 v[126:129], v2 offset0:73 offset1:74
	ds_load_2addr_b64 v[130:133], v2 offset0:75 offset1:76
	scratch_load_b128 v[140:143], off, off offset:224
	s_wait_dscnt 0x1
	v_fmac_f64_e32 v[152:153], v[134:135], v[126:127]
	s_wait_loadcnt 0x5
	s_delay_alu instid0(VALU_DEP_1) | instskip(SKIP_4) | instid1(VALU_DEP_1)
	v_fmac_f64_e32 v[152:153], v[136:137], v[128:129]
	scratch_load_b128 v[126:129], off, off offset:240
	s_wait_dscnt 0x0
	v_fmac_f64_e32 v[152:153], v[138:139], v[130:131]
	s_wait_loadcnt 0x5
	v_fmac_f64_e32 v[152:153], v[148:149], v[132:133]
	ds_load_2addr_b64 v[130:133], v2 offset0:77 offset1:78
	ds_load_2addr_b64 v[134:137], v2 offset0:79 offset1:80
	s_wait_dscnt 0x1
	v_fmac_f64_e32 v[152:153], v[150:151], v[130:131]
	scratch_load_b128 v[148:151], off, off offset:256
	s_wait_loadcnt 0x5
	v_fmac_f64_e32 v[152:153], v[118:119], v[132:133]
	s_wait_dscnt 0x0
	s_delay_alu instid0(VALU_DEP_1)
	v_fmac_f64_e32 v[152:153], v[120:121], v[134:135]
	scratch_load_b128 v[118:121], off, off offset:272
	s_wait_loadcnt 0x5
	v_fmac_f64_e32 v[152:153], v[144:145], v[136:137]
	ds_load_2addr_b64 v[130:133], v2 offset0:81 offset1:82
	ds_load_2addr_b64 v[134:137], v2 offset0:83 offset1:84
	s_wait_dscnt 0x1
	v_fmac_f64_e32 v[152:153], v[146:147], v[130:131]
	scratch_load_b128 v[144:147], off, off offset:288
	s_wait_loadcnt 0x5
	v_fmac_f64_e32 v[152:153], v[122:123], v[132:133]
	s_wait_dscnt 0x0
	s_delay_alu instid0(VALU_DEP_1)
	v_fmac_f64_e32 v[152:153], v[124:125], v[134:135]
	scratch_load_b128 v[122:125], off, off offset:304
	s_wait_loadcnt 0x5
	v_fmac_f64_e32 v[152:153], v[140:141], v[136:137]
	ds_load_2addr_b64 v[130:133], v2 offset0:85 offset1:86
	ds_load_2addr_b64 v[134:137], v2 offset0:87 offset1:88
	scratch_load_b128 v[138:141], off, off offset:320
	s_wait_dscnt 0x1
	v_fmac_f64_e32 v[152:153], v[142:143], v[130:131]
	s_wait_loadcnt 0x5
	s_delay_alu instid0(VALU_DEP_1) | instskip(SKIP_1) | instid1(VALU_DEP_1)
	v_fmac_f64_e32 v[152:153], v[126:127], v[132:133]
	s_wait_dscnt 0x0
	v_fmac_f64_e32 v[152:153], v[128:129], v[134:135]
	scratch_load_b128 v[126:129], off, off offset:336
	s_wait_loadcnt 0x5
	v_fmac_f64_e32 v[152:153], v[148:149], v[136:137]
	ds_load_2addr_b64 v[130:133], v2 offset0:89 offset1:90
	ds_load_2addr_b64 v[134:137], v2 offset0:91 offset1:92
	s_wait_dscnt 0x1
	v_fmac_f64_e32 v[152:153], v[150:151], v[130:131]
	scratch_load_b128 v[148:151], off, off offset:352
	s_wait_loadcnt 0x5
	v_fmac_f64_e32 v[152:153], v[118:119], v[132:133]
	s_wait_dscnt 0x0
	s_delay_alu instid0(VALU_DEP_1)
	v_fmac_f64_e32 v[152:153], v[120:121], v[134:135]
	scratch_load_b128 v[118:121], off, off offset:368
	s_wait_loadcnt 0x5
	v_fmac_f64_e32 v[152:153], v[144:145], v[136:137]
	ds_load_2addr_b64 v[130:133], v2 offset0:93 offset1:94
	ds_load_2addr_b64 v[134:137], v2 offset0:95 offset1:96
	s_wait_dscnt 0x1
	v_fmac_f64_e32 v[152:153], v[146:147], v[130:131]
	s_wait_loadcnt 0x4
	s_delay_alu instid0(VALU_DEP_1)
	v_fmac_f64_e32 v[152:153], v[122:123], v[132:133]
	scratch_load_b128 v[130:133], off, off offset:384
	s_wait_dscnt 0x0
	v_fmac_f64_e32 v[152:153], v[124:125], v[134:135]
	scratch_load_b128 v[122:125], off, off offset:400
	s_wait_loadcnt 0x5
	v_fmac_f64_e32 v[152:153], v[138:139], v[136:137]
	ds_load_2addr_b64 v[134:137], v2 offset0:97 offset1:98
	ds_load_2addr_b64 v[142:145], v2 offset0:99 offset1:100
	s_wait_dscnt 0x1
	v_fmac_f64_e32 v[152:153], v[140:141], v[134:135]
	s_wait_loadcnt 0x4
	s_delay_alu instid0(VALU_DEP_1)
	v_fmac_f64_e32 v[152:153], v[126:127], v[136:137]
	scratch_load_b128 v[134:137], off, off offset:416
	s_wait_dscnt 0x0
	v_fmac_f64_e32 v[152:153], v[128:129], v[142:143]
	scratch_load_b128 v[126:129], off, off offset:432
	s_wait_loadcnt 0x5
	v_fmac_f64_e32 v[152:153], v[148:149], v[144:145]
	ds_load_2addr_b64 v[138:141], v2 offset0:101 offset1:102
	ds_load_2addr_b64 v[142:145], v2 offset0:103 offset1:104
	s_wait_dscnt 0x1
	v_fmac_f64_e32 v[152:153], v[150:151], v[138:139]
	s_wait_loadcnt 0x4
	s_delay_alu instid0(VALU_DEP_1) | instskip(SKIP_1) | instid1(VALU_DEP_1)
	v_fmac_f64_e32 v[152:153], v[118:119], v[140:141]
	s_wait_dscnt 0x0
	v_fmac_f64_e32 v[152:153], v[120:121], v[142:143]
	ds_load_2addr_b64 v[118:121], v2 offset0:105 offset1:106
	ds_load_2addr_b64 v[138:141], v2 offset0:107 offset1:108
	s_wait_loadcnt 0x3
	v_fmac_f64_e32 v[152:153], v[130:131], v[144:145]
	s_wait_dscnt 0x1
	s_delay_alu instid0(VALU_DEP_1) | instskip(SKIP_1) | instid1(VALU_DEP_1)
	v_fmac_f64_e32 v[152:153], v[132:133], v[118:119]
	s_wait_loadcnt 0x2
	v_fmac_f64_e32 v[152:153], v[122:123], v[120:121]
	ds_load_2addr_b64 v[118:121], v2 offset0:109 offset1:110
	ds_load_b64 v[122:123], v2 offset:888
	s_wait_dscnt 0x2
	v_fmac_f64_e32 v[152:153], v[124:125], v[138:139]
	s_wait_loadcnt 0x1
	s_delay_alu instid0(VALU_DEP_1) | instskip(SKIP_1) | instid1(VALU_DEP_1)
	v_fmac_f64_e32 v[152:153], v[134:135], v[140:141]
	s_wait_dscnt 0x1
	v_fmac_f64_e32 v[152:153], v[136:137], v[118:119]
	s_wait_loadcnt 0x0
	s_delay_alu instid0(VALU_DEP_1) | instskip(SKIP_1) | instid1(VALU_DEP_1)
	v_fmac_f64_e32 v[152:153], v[126:127], v[120:121]
	s_wait_dscnt 0x0
	v_fmac_f64_e32 v[152:153], v[128:129], v[122:123]
	s_delay_alu instid0(VALU_DEP_1)
	v_add_f64_e64 v[116:117], v[116:117], -v[152:153]
	scratch_store_b64 off, v[116:117], off offset:64
	s_wait_xcnt 0x0
	v_cmpx_lt_u32_e32 7, v0
	s_cbranch_execz .LBB119_331
; %bb.330:
	scratch_load_b64 v[116:117], off, off offset:56
	v_mov_b64_e32 v[118:119], 0
	scratch_store_b64 off, v[118:119], off offset:56
	s_wait_loadcnt 0x0
	ds_store_b64 v1, v[116:117]
.LBB119_331:
	s_wait_xcnt 0x0
	s_or_b32 exec_lo, exec_lo, s0
	s_wait_storecnt_dscnt 0x0
	s_barrier_signal -1
	s_barrier_wait -1
	s_clause 0x5
	scratch_load_b128 v[116:119], off, off offset:56
	scratch_load_b128 v[120:123], off, off offset:72
	;; [unrolled: 1-line block ×6, first 2 shown]
	ds_load_b128 v[140:143], v2 offset:512
	ds_load_b128 v[144:147], v2 offset:528
	scratch_load_b128 v[148:151], off, off offset:152
	s_mov_b32 s0, exec_lo
	s_wait_loadcnt_dscnt 0x601
	v_fma_f64 v[152:153], v[118:119], v[140:141], 0
	s_wait_loadcnt 0x5
	s_delay_alu instid0(VALU_DEP_1) | instskip(SKIP_4) | instid1(VALU_DEP_1)
	v_fmac_f64_e32 v[152:153], v[120:121], v[142:143]
	scratch_load_b128 v[118:121], off, off offset:168
	s_wait_dscnt 0x0
	v_fmac_f64_e32 v[152:153], v[122:123], v[144:145]
	s_wait_loadcnt 0x5
	v_fmac_f64_e32 v[152:153], v[124:125], v[146:147]
	ds_load_b128 v[122:125], v2 offset:544
	ds_load_b128 v[140:143], v2 offset:560
	scratch_load_b128 v[144:147], off, off offset:184
	s_wait_dscnt 0x1
	v_fmac_f64_e32 v[152:153], v[126:127], v[122:123]
	s_wait_loadcnt 0x5
	s_delay_alu instid0(VALU_DEP_1) | instskip(SKIP_4) | instid1(VALU_DEP_1)
	v_fmac_f64_e32 v[152:153], v[128:129], v[124:125]
	scratch_load_b128 v[122:125], off, off offset:200
	s_wait_dscnt 0x0
	v_fmac_f64_e32 v[152:153], v[130:131], v[140:141]
	s_wait_loadcnt 0x5
	v_fmac_f64_e32 v[152:153], v[132:133], v[142:143]
	ds_load_b128 v[126:129], v2 offset:576
	ds_load_b128 v[130:133], v2 offset:592
	scratch_load_b128 v[140:143], off, off offset:216
	s_wait_dscnt 0x1
	v_fmac_f64_e32 v[152:153], v[134:135], v[126:127]
	s_wait_loadcnt 0x5
	s_delay_alu instid0(VALU_DEP_1) | instskip(SKIP_4) | instid1(VALU_DEP_1)
	v_fmac_f64_e32 v[152:153], v[136:137], v[128:129]
	scratch_load_b128 v[126:129], off, off offset:232
	s_wait_dscnt 0x0
	v_fmac_f64_e32 v[152:153], v[138:139], v[130:131]
	s_wait_loadcnt 0x5
	v_fmac_f64_e32 v[152:153], v[148:149], v[132:133]
	ds_load_b128 v[130:133], v2 offset:608
	ds_load_b128 v[134:137], v2 offset:624
	s_wait_dscnt 0x1
	v_fmac_f64_e32 v[152:153], v[150:151], v[130:131]
	scratch_load_b128 v[148:151], off, off offset:248
	s_wait_loadcnt 0x5
	v_fmac_f64_e32 v[152:153], v[118:119], v[132:133]
	s_wait_dscnt 0x0
	s_delay_alu instid0(VALU_DEP_1)
	v_fmac_f64_e32 v[152:153], v[120:121], v[134:135]
	scratch_load_b128 v[118:121], off, off offset:264
	s_wait_loadcnt 0x5
	v_fmac_f64_e32 v[152:153], v[144:145], v[136:137]
	ds_load_b128 v[130:133], v2 offset:640
	ds_load_b128 v[134:137], v2 offset:656
	s_wait_dscnt 0x1
	v_fmac_f64_e32 v[152:153], v[146:147], v[130:131]
	scratch_load_b128 v[144:147], off, off offset:280
	s_wait_loadcnt 0x5
	v_fmac_f64_e32 v[152:153], v[122:123], v[132:133]
	s_wait_dscnt 0x0
	s_delay_alu instid0(VALU_DEP_1)
	v_fmac_f64_e32 v[152:153], v[124:125], v[134:135]
	scratch_load_b128 v[122:125], off, off offset:296
	s_wait_loadcnt 0x5
	v_fmac_f64_e32 v[152:153], v[140:141], v[136:137]
	ds_load_b128 v[130:133], v2 offset:672
	ds_load_b128 v[134:137], v2 offset:688
	scratch_load_b128 v[138:141], off, off offset:312
	s_wait_dscnt 0x1
	v_fmac_f64_e32 v[152:153], v[142:143], v[130:131]
	s_wait_loadcnt 0x5
	s_delay_alu instid0(VALU_DEP_1) | instskip(SKIP_1) | instid1(VALU_DEP_1)
	v_fmac_f64_e32 v[152:153], v[126:127], v[132:133]
	s_wait_dscnt 0x0
	v_fmac_f64_e32 v[152:153], v[128:129], v[134:135]
	scratch_load_b128 v[126:129], off, off offset:328
	s_wait_loadcnt 0x5
	v_fmac_f64_e32 v[152:153], v[148:149], v[136:137]
	ds_load_b128 v[130:133], v2 offset:704
	ds_load_b128 v[134:137], v2 offset:720
	s_wait_dscnt 0x1
	v_fmac_f64_e32 v[152:153], v[150:151], v[130:131]
	scratch_load_b128 v[148:151], off, off offset:344
	s_wait_loadcnt 0x5
	v_fmac_f64_e32 v[152:153], v[118:119], v[132:133]
	s_wait_dscnt 0x0
	s_delay_alu instid0(VALU_DEP_1)
	v_fmac_f64_e32 v[152:153], v[120:121], v[134:135]
	scratch_load_b128 v[118:121], off, off offset:360
	s_wait_loadcnt 0x5
	v_fmac_f64_e32 v[152:153], v[144:145], v[136:137]
	ds_load_b128 v[130:133], v2 offset:736
	ds_load_b128 v[134:137], v2 offset:752
	s_wait_dscnt 0x1
	v_fmac_f64_e32 v[152:153], v[146:147], v[130:131]
	s_wait_loadcnt 0x4
	s_delay_alu instid0(VALU_DEP_1)
	v_fmac_f64_e32 v[152:153], v[122:123], v[132:133]
	scratch_load_b128 v[130:133], off, off offset:376
	s_wait_dscnt 0x0
	v_fmac_f64_e32 v[152:153], v[124:125], v[134:135]
	scratch_load_b128 v[122:125], off, off offset:392
	s_wait_loadcnt 0x5
	v_fmac_f64_e32 v[152:153], v[138:139], v[136:137]
	ds_load_b128 v[134:137], v2 offset:768
	ds_load_b128 v[142:145], v2 offset:784
	s_wait_dscnt 0x1
	v_fmac_f64_e32 v[152:153], v[140:141], v[134:135]
	s_wait_loadcnt 0x4
	s_delay_alu instid0(VALU_DEP_1)
	v_fmac_f64_e32 v[152:153], v[126:127], v[136:137]
	scratch_load_b128 v[134:137], off, off offset:408
	s_wait_dscnt 0x0
	v_fmac_f64_e32 v[152:153], v[128:129], v[142:143]
	scratch_load_b128 v[126:129], off, off offset:424
	s_wait_loadcnt 0x5
	v_fmac_f64_e32 v[152:153], v[148:149], v[144:145]
	ds_load_b128 v[138:141], v2 offset:800
	ds_load_b128 v[142:145], v2 offset:816
	scratch_load_b64 v[146:147], off, off offset:440
	s_wait_dscnt 0x1
	v_fmac_f64_e32 v[152:153], v[150:151], v[138:139]
	s_wait_loadcnt 0x5
	s_delay_alu instid0(VALU_DEP_1) | instskip(SKIP_1) | instid1(VALU_DEP_1)
	v_fmac_f64_e32 v[152:153], v[118:119], v[140:141]
	s_wait_dscnt 0x0
	v_fmac_f64_e32 v[152:153], v[120:121], v[142:143]
	ds_load_b128 v[118:121], v2 offset:832
	ds_load_b128 v[138:141], v2 offset:848
	s_wait_loadcnt 0x4
	v_fmac_f64_e32 v[152:153], v[130:131], v[144:145]
	s_wait_dscnt 0x1
	s_delay_alu instid0(VALU_DEP_1) | instskip(SKIP_1) | instid1(VALU_DEP_1)
	v_fmac_f64_e32 v[152:153], v[132:133], v[118:119]
	s_wait_loadcnt 0x3
	v_fmac_f64_e32 v[152:153], v[122:123], v[120:121]
	s_wait_dscnt 0x0
	s_delay_alu instid0(VALU_DEP_1)
	v_fmac_f64_e32 v[152:153], v[124:125], v[138:139]
	ds_load_b128 v[118:121], v2 offset:864
	ds_load_b128 v[122:125], v2 offset:880
	s_wait_loadcnt 0x2
	v_fmac_f64_e32 v[152:153], v[134:135], v[140:141]
	s_wait_dscnt 0x1
	s_delay_alu instid0(VALU_DEP_1) | instskip(SKIP_1) | instid1(VALU_DEP_1)
	v_fmac_f64_e32 v[152:153], v[136:137], v[118:119]
	s_wait_loadcnt 0x1
	v_fmac_f64_e32 v[152:153], v[126:127], v[120:121]
	s_wait_dscnt 0x0
	s_delay_alu instid0(VALU_DEP_1) | instskip(SKIP_1) | instid1(VALU_DEP_1)
	v_fmac_f64_e32 v[152:153], v[128:129], v[122:123]
	s_wait_loadcnt 0x0
	v_fmac_f64_e32 v[152:153], v[146:147], v[124:125]
	s_delay_alu instid0(VALU_DEP_1)
	v_add_f64_e64 v[2:3], v[116:117], -v[152:153]
	scratch_store_b64 off, v[2:3], off offset:56
	s_wait_xcnt 0x0
	v_cmpx_lt_u32_e32 6, v0
	s_cbranch_execz .LBB119_333
; %bb.332:
	scratch_load_b64 v[2:3], off, off offset:48
	v_mov_b64_e32 v[116:117], 0
	scratch_store_b64 off, v[116:117], off offset:48
	s_wait_loadcnt 0x0
	ds_store_b64 v1, v[2:3]
.LBB119_333:
	s_wait_xcnt 0x0
	s_or_b32 exec_lo, exec_lo, s0
	s_wait_storecnt_dscnt 0x0
	s_barrier_signal -1
	s_barrier_wait -1
	s_clause 0x5
	scratch_load_b128 v[116:119], off, off offset:48
	scratch_load_b128 v[120:123], off, off offset:64
	;; [unrolled: 1-line block ×6, first 2 shown]
	v_mov_b32_e32 v2, 0
	ds_load_2addr_b64 v[140:143], v2 offset0:63 offset1:64
	ds_load_2addr_b64 v[144:147], v2 offset0:65 offset1:66
	scratch_load_b128 v[148:151], off, off offset:144
	s_mov_b32 s0, exec_lo
	s_wait_loadcnt_dscnt 0x601
	v_fma_f64 v[152:153], v[118:119], v[140:141], 0
	s_wait_loadcnt 0x5
	s_delay_alu instid0(VALU_DEP_1) | instskip(SKIP_4) | instid1(VALU_DEP_1)
	v_fmac_f64_e32 v[152:153], v[120:121], v[142:143]
	scratch_load_b128 v[118:121], off, off offset:160
	s_wait_dscnt 0x0
	v_fmac_f64_e32 v[152:153], v[122:123], v[144:145]
	s_wait_loadcnt 0x5
	v_fmac_f64_e32 v[152:153], v[124:125], v[146:147]
	ds_load_2addr_b64 v[122:125], v2 offset0:67 offset1:68
	ds_load_2addr_b64 v[140:143], v2 offset0:69 offset1:70
	scratch_load_b128 v[144:147], off, off offset:176
	s_wait_dscnt 0x1
	v_fmac_f64_e32 v[152:153], v[126:127], v[122:123]
	s_wait_loadcnt 0x5
	s_delay_alu instid0(VALU_DEP_1) | instskip(SKIP_4) | instid1(VALU_DEP_1)
	v_fmac_f64_e32 v[152:153], v[128:129], v[124:125]
	scratch_load_b128 v[122:125], off, off offset:192
	s_wait_dscnt 0x0
	v_fmac_f64_e32 v[152:153], v[130:131], v[140:141]
	s_wait_loadcnt 0x5
	v_fmac_f64_e32 v[152:153], v[132:133], v[142:143]
	ds_load_2addr_b64 v[126:129], v2 offset0:71 offset1:72
	ds_load_2addr_b64 v[130:133], v2 offset0:73 offset1:74
	scratch_load_b128 v[140:143], off, off offset:208
	s_wait_dscnt 0x1
	v_fmac_f64_e32 v[152:153], v[134:135], v[126:127]
	s_wait_loadcnt 0x5
	s_delay_alu instid0(VALU_DEP_1) | instskip(SKIP_4) | instid1(VALU_DEP_1)
	v_fmac_f64_e32 v[152:153], v[136:137], v[128:129]
	scratch_load_b128 v[126:129], off, off offset:224
	s_wait_dscnt 0x0
	v_fmac_f64_e32 v[152:153], v[138:139], v[130:131]
	s_wait_loadcnt 0x5
	v_fmac_f64_e32 v[152:153], v[148:149], v[132:133]
	ds_load_2addr_b64 v[130:133], v2 offset0:75 offset1:76
	ds_load_2addr_b64 v[134:137], v2 offset0:77 offset1:78
	s_wait_dscnt 0x1
	v_fmac_f64_e32 v[152:153], v[150:151], v[130:131]
	scratch_load_b128 v[148:151], off, off offset:240
	s_wait_loadcnt 0x5
	v_fmac_f64_e32 v[152:153], v[118:119], v[132:133]
	s_wait_dscnt 0x0
	s_delay_alu instid0(VALU_DEP_1)
	v_fmac_f64_e32 v[152:153], v[120:121], v[134:135]
	scratch_load_b128 v[118:121], off, off offset:256
	s_wait_loadcnt 0x5
	v_fmac_f64_e32 v[152:153], v[144:145], v[136:137]
	ds_load_2addr_b64 v[130:133], v2 offset0:79 offset1:80
	ds_load_2addr_b64 v[134:137], v2 offset0:81 offset1:82
	s_wait_dscnt 0x1
	v_fmac_f64_e32 v[152:153], v[146:147], v[130:131]
	scratch_load_b128 v[144:147], off, off offset:272
	s_wait_loadcnt 0x5
	v_fmac_f64_e32 v[152:153], v[122:123], v[132:133]
	s_wait_dscnt 0x0
	s_delay_alu instid0(VALU_DEP_1)
	v_fmac_f64_e32 v[152:153], v[124:125], v[134:135]
	scratch_load_b128 v[122:125], off, off offset:288
	s_wait_loadcnt 0x5
	v_fmac_f64_e32 v[152:153], v[140:141], v[136:137]
	ds_load_2addr_b64 v[130:133], v2 offset0:83 offset1:84
	ds_load_2addr_b64 v[134:137], v2 offset0:85 offset1:86
	scratch_load_b128 v[138:141], off, off offset:304
	s_wait_dscnt 0x1
	v_fmac_f64_e32 v[152:153], v[142:143], v[130:131]
	s_wait_loadcnt 0x5
	s_delay_alu instid0(VALU_DEP_1) | instskip(SKIP_1) | instid1(VALU_DEP_1)
	v_fmac_f64_e32 v[152:153], v[126:127], v[132:133]
	s_wait_dscnt 0x0
	v_fmac_f64_e32 v[152:153], v[128:129], v[134:135]
	scratch_load_b128 v[126:129], off, off offset:320
	s_wait_loadcnt 0x5
	v_fmac_f64_e32 v[152:153], v[148:149], v[136:137]
	ds_load_2addr_b64 v[130:133], v2 offset0:87 offset1:88
	ds_load_2addr_b64 v[134:137], v2 offset0:89 offset1:90
	s_wait_dscnt 0x1
	v_fmac_f64_e32 v[152:153], v[150:151], v[130:131]
	scratch_load_b128 v[148:151], off, off offset:336
	s_wait_loadcnt 0x5
	v_fmac_f64_e32 v[152:153], v[118:119], v[132:133]
	s_wait_dscnt 0x0
	s_delay_alu instid0(VALU_DEP_1)
	v_fmac_f64_e32 v[152:153], v[120:121], v[134:135]
	scratch_load_b128 v[118:121], off, off offset:352
	s_wait_loadcnt 0x5
	v_fmac_f64_e32 v[152:153], v[144:145], v[136:137]
	ds_load_2addr_b64 v[130:133], v2 offset0:91 offset1:92
	ds_load_2addr_b64 v[134:137], v2 offset0:93 offset1:94
	s_wait_dscnt 0x1
	v_fmac_f64_e32 v[152:153], v[146:147], v[130:131]
	s_wait_loadcnt 0x4
	s_delay_alu instid0(VALU_DEP_1)
	v_fmac_f64_e32 v[152:153], v[122:123], v[132:133]
	scratch_load_b128 v[130:133], off, off offset:368
	s_wait_dscnt 0x0
	v_fmac_f64_e32 v[152:153], v[124:125], v[134:135]
	scratch_load_b128 v[122:125], off, off offset:384
	s_wait_loadcnt 0x5
	v_fmac_f64_e32 v[152:153], v[138:139], v[136:137]
	ds_load_2addr_b64 v[134:137], v2 offset0:95 offset1:96
	ds_load_2addr_b64 v[142:145], v2 offset0:97 offset1:98
	s_wait_dscnt 0x1
	v_fmac_f64_e32 v[152:153], v[140:141], v[134:135]
	s_wait_loadcnt 0x4
	s_delay_alu instid0(VALU_DEP_1)
	v_fmac_f64_e32 v[152:153], v[126:127], v[136:137]
	scratch_load_b128 v[134:137], off, off offset:400
	s_wait_dscnt 0x0
	v_fmac_f64_e32 v[152:153], v[128:129], v[142:143]
	scratch_load_b128 v[126:129], off, off offset:416
	s_wait_loadcnt 0x5
	v_fmac_f64_e32 v[152:153], v[148:149], v[144:145]
	ds_load_2addr_b64 v[138:141], v2 offset0:99 offset1:100
	ds_load_2addr_b64 v[142:145], v2 offset0:101 offset1:102
	s_wait_dscnt 0x1
	v_fmac_f64_e32 v[152:153], v[150:151], v[138:139]
	s_wait_loadcnt 0x4
	s_delay_alu instid0(VALU_DEP_1) | instskip(SKIP_4) | instid1(VALU_DEP_1)
	v_fmac_f64_e32 v[152:153], v[118:119], v[140:141]
	scratch_load_b128 v[138:141], off, off offset:432
	s_wait_dscnt 0x0
	v_fmac_f64_e32 v[152:153], v[120:121], v[142:143]
	s_wait_loadcnt 0x4
	v_fmac_f64_e32 v[152:153], v[130:131], v[144:145]
	ds_load_2addr_b64 v[118:121], v2 offset0:103 offset1:104
	ds_load_2addr_b64 v[142:145], v2 offset0:105 offset1:106
	s_wait_dscnt 0x1
	v_fmac_f64_e32 v[152:153], v[132:133], v[118:119]
	s_wait_loadcnt 0x3
	s_delay_alu instid0(VALU_DEP_1) | instskip(SKIP_1) | instid1(VALU_DEP_1)
	v_fmac_f64_e32 v[152:153], v[122:123], v[120:121]
	s_wait_dscnt 0x0
	v_fmac_f64_e32 v[152:153], v[124:125], v[142:143]
	ds_load_2addr_b64 v[118:121], v2 offset0:107 offset1:108
	ds_load_2addr_b64 v[122:125], v2 offset0:109 offset1:110
	s_wait_loadcnt 0x2
	v_fmac_f64_e32 v[152:153], v[134:135], v[144:145]
	s_wait_dscnt 0x1
	s_delay_alu instid0(VALU_DEP_1) | instskip(SKIP_4) | instid1(VALU_DEP_1)
	v_fmac_f64_e32 v[152:153], v[136:137], v[118:119]
	ds_load_b64 v[118:119], v2 offset:888
	s_wait_loadcnt 0x1
	v_fmac_f64_e32 v[152:153], v[126:127], v[120:121]
	s_wait_dscnt 0x1
	v_fmac_f64_e32 v[152:153], v[128:129], v[122:123]
	s_wait_loadcnt 0x0
	s_delay_alu instid0(VALU_DEP_1) | instskip(SKIP_1) | instid1(VALU_DEP_1)
	v_fmac_f64_e32 v[152:153], v[138:139], v[124:125]
	s_wait_dscnt 0x0
	v_fmac_f64_e32 v[152:153], v[140:141], v[118:119]
	s_delay_alu instid0(VALU_DEP_1)
	v_add_f64_e64 v[116:117], v[116:117], -v[152:153]
	scratch_store_b64 off, v[116:117], off offset:48
	s_wait_xcnt 0x0
	v_cmpx_lt_u32_e32 5, v0
	s_cbranch_execz .LBB119_335
; %bb.334:
	scratch_load_b64 v[116:117], off, off offset:40
	v_mov_b64_e32 v[118:119], 0
	scratch_store_b64 off, v[118:119], off offset:40
	s_wait_loadcnt 0x0
	ds_store_b64 v1, v[116:117]
.LBB119_335:
	s_wait_xcnt 0x0
	s_or_b32 exec_lo, exec_lo, s0
	s_wait_storecnt_dscnt 0x0
	s_barrier_signal -1
	s_barrier_wait -1
	s_clause 0x5
	scratch_load_b128 v[116:119], off, off offset:40
	scratch_load_b128 v[120:123], off, off offset:56
	;; [unrolled: 1-line block ×6, first 2 shown]
	ds_load_b128 v[140:143], v2 offset:496
	ds_load_b128 v[144:147], v2 offset:512
	scratch_load_b128 v[148:151], off, off offset:136
	s_mov_b32 s0, exec_lo
	s_wait_loadcnt_dscnt 0x601
	v_fma_f64 v[152:153], v[118:119], v[140:141], 0
	s_wait_loadcnt 0x5
	s_delay_alu instid0(VALU_DEP_1) | instskip(SKIP_4) | instid1(VALU_DEP_1)
	v_fmac_f64_e32 v[152:153], v[120:121], v[142:143]
	scratch_load_b128 v[118:121], off, off offset:152
	s_wait_dscnt 0x0
	v_fmac_f64_e32 v[152:153], v[122:123], v[144:145]
	s_wait_loadcnt 0x5
	v_fmac_f64_e32 v[152:153], v[124:125], v[146:147]
	ds_load_b128 v[122:125], v2 offset:528
	ds_load_b128 v[140:143], v2 offset:544
	scratch_load_b128 v[144:147], off, off offset:168
	s_wait_dscnt 0x1
	v_fmac_f64_e32 v[152:153], v[126:127], v[122:123]
	s_wait_loadcnt 0x5
	s_delay_alu instid0(VALU_DEP_1) | instskip(SKIP_4) | instid1(VALU_DEP_1)
	v_fmac_f64_e32 v[152:153], v[128:129], v[124:125]
	scratch_load_b128 v[122:125], off, off offset:184
	s_wait_dscnt 0x0
	v_fmac_f64_e32 v[152:153], v[130:131], v[140:141]
	s_wait_loadcnt 0x5
	v_fmac_f64_e32 v[152:153], v[132:133], v[142:143]
	ds_load_b128 v[126:129], v2 offset:560
	ds_load_b128 v[130:133], v2 offset:576
	scratch_load_b128 v[140:143], off, off offset:200
	s_wait_dscnt 0x1
	v_fmac_f64_e32 v[152:153], v[134:135], v[126:127]
	s_wait_loadcnt 0x5
	s_delay_alu instid0(VALU_DEP_1) | instskip(SKIP_4) | instid1(VALU_DEP_1)
	v_fmac_f64_e32 v[152:153], v[136:137], v[128:129]
	scratch_load_b128 v[126:129], off, off offset:216
	s_wait_dscnt 0x0
	v_fmac_f64_e32 v[152:153], v[138:139], v[130:131]
	s_wait_loadcnt 0x5
	v_fmac_f64_e32 v[152:153], v[148:149], v[132:133]
	ds_load_b128 v[130:133], v2 offset:592
	ds_load_b128 v[134:137], v2 offset:608
	s_wait_dscnt 0x1
	v_fmac_f64_e32 v[152:153], v[150:151], v[130:131]
	scratch_load_b128 v[148:151], off, off offset:232
	s_wait_loadcnt 0x5
	v_fmac_f64_e32 v[152:153], v[118:119], v[132:133]
	s_wait_dscnt 0x0
	s_delay_alu instid0(VALU_DEP_1)
	v_fmac_f64_e32 v[152:153], v[120:121], v[134:135]
	scratch_load_b128 v[118:121], off, off offset:248
	s_wait_loadcnt 0x5
	v_fmac_f64_e32 v[152:153], v[144:145], v[136:137]
	ds_load_b128 v[130:133], v2 offset:624
	ds_load_b128 v[134:137], v2 offset:640
	s_wait_dscnt 0x1
	v_fmac_f64_e32 v[152:153], v[146:147], v[130:131]
	scratch_load_b128 v[144:147], off, off offset:264
	s_wait_loadcnt 0x5
	v_fmac_f64_e32 v[152:153], v[122:123], v[132:133]
	s_wait_dscnt 0x0
	s_delay_alu instid0(VALU_DEP_1)
	v_fmac_f64_e32 v[152:153], v[124:125], v[134:135]
	scratch_load_b128 v[122:125], off, off offset:280
	s_wait_loadcnt 0x5
	v_fmac_f64_e32 v[152:153], v[140:141], v[136:137]
	ds_load_b128 v[130:133], v2 offset:656
	ds_load_b128 v[134:137], v2 offset:672
	scratch_load_b128 v[138:141], off, off offset:296
	s_wait_dscnt 0x1
	v_fmac_f64_e32 v[152:153], v[142:143], v[130:131]
	s_wait_loadcnt 0x5
	s_delay_alu instid0(VALU_DEP_1) | instskip(SKIP_1) | instid1(VALU_DEP_1)
	v_fmac_f64_e32 v[152:153], v[126:127], v[132:133]
	s_wait_dscnt 0x0
	v_fmac_f64_e32 v[152:153], v[128:129], v[134:135]
	scratch_load_b128 v[126:129], off, off offset:312
	s_wait_loadcnt 0x5
	v_fmac_f64_e32 v[152:153], v[148:149], v[136:137]
	ds_load_b128 v[130:133], v2 offset:688
	ds_load_b128 v[134:137], v2 offset:704
	s_wait_dscnt 0x1
	v_fmac_f64_e32 v[152:153], v[150:151], v[130:131]
	scratch_load_b128 v[148:151], off, off offset:328
	s_wait_loadcnt 0x5
	v_fmac_f64_e32 v[152:153], v[118:119], v[132:133]
	s_wait_dscnt 0x0
	s_delay_alu instid0(VALU_DEP_1)
	v_fmac_f64_e32 v[152:153], v[120:121], v[134:135]
	scratch_load_b128 v[118:121], off, off offset:344
	s_wait_loadcnt 0x5
	v_fmac_f64_e32 v[152:153], v[144:145], v[136:137]
	ds_load_b128 v[130:133], v2 offset:720
	ds_load_b128 v[134:137], v2 offset:736
	scratch_load_b128 v[142:145], off, off offset:360
	s_wait_dscnt 0x1
	v_fmac_f64_e32 v[152:153], v[146:147], v[130:131]
	s_wait_loadcnt 0x5
	s_delay_alu instid0(VALU_DEP_1) | instskip(SKIP_1) | instid1(VALU_DEP_1)
	v_fmac_f64_e32 v[152:153], v[122:123], v[132:133]
	s_wait_dscnt 0x0
	v_fmac_f64_e32 v[152:153], v[124:125], v[134:135]
	scratch_load_b128 v[122:125], off, off offset:376
	s_wait_loadcnt 0x5
	v_fmac_f64_e32 v[152:153], v[138:139], v[136:137]
	ds_load_b128 v[130:133], v2 offset:752
	ds_load_b128 v[134:137], v2 offset:768
	s_wait_dscnt 0x1
	v_fmac_f64_e32 v[152:153], v[140:141], v[130:131]
	s_wait_loadcnt 0x4
	s_delay_alu instid0(VALU_DEP_1)
	v_fmac_f64_e32 v[152:153], v[126:127], v[132:133]
	scratch_load_b128 v[130:133], off, off offset:392
	s_wait_dscnt 0x0
	v_fmac_f64_e32 v[152:153], v[128:129], v[134:135]
	scratch_load_b128 v[126:129], off, off offset:408
	s_wait_loadcnt 0x5
	v_fmac_f64_e32 v[152:153], v[148:149], v[136:137]
	ds_load_b128 v[134:137], v2 offset:784
	ds_load_b128 v[138:141], v2 offset:800
	s_wait_dscnt 0x1
	v_fmac_f64_e32 v[152:153], v[150:151], v[134:135]
	s_wait_loadcnt 0x4
	s_delay_alu instid0(VALU_DEP_1) | instskip(SKIP_4) | instid1(VALU_DEP_1)
	v_fmac_f64_e32 v[152:153], v[118:119], v[136:137]
	scratch_load_b128 v[134:137], off, off offset:424
	s_wait_dscnt 0x0
	v_fmac_f64_e32 v[152:153], v[120:121], v[138:139]
	s_wait_loadcnt 0x4
	v_fmac_f64_e32 v[152:153], v[142:143], v[140:141]
	scratch_load_b64 v[142:143], off, off offset:440
	ds_load_b128 v[118:121], v2 offset:816
	ds_load_b128 v[138:141], v2 offset:832
	s_wait_dscnt 0x1
	v_fmac_f64_e32 v[152:153], v[144:145], v[118:119]
	s_wait_loadcnt 0x4
	s_delay_alu instid0(VALU_DEP_1) | instskip(SKIP_1) | instid1(VALU_DEP_1)
	v_fmac_f64_e32 v[152:153], v[122:123], v[120:121]
	s_wait_dscnt 0x0
	v_fmac_f64_e32 v[152:153], v[124:125], v[138:139]
	ds_load_b128 v[118:121], v2 offset:848
	ds_load_b128 v[122:125], v2 offset:864
	s_wait_loadcnt 0x3
	v_fmac_f64_e32 v[152:153], v[130:131], v[140:141]
	s_wait_dscnt 0x1
	s_delay_alu instid0(VALU_DEP_1) | instskip(SKIP_1) | instid1(VALU_DEP_1)
	v_fmac_f64_e32 v[152:153], v[132:133], v[118:119]
	s_wait_loadcnt 0x2
	v_fmac_f64_e32 v[152:153], v[126:127], v[120:121]
	ds_load_b128 v[118:121], v2 offset:880
	s_wait_dscnt 0x1
	v_fmac_f64_e32 v[152:153], v[128:129], v[122:123]
	s_wait_loadcnt 0x1
	s_delay_alu instid0(VALU_DEP_1) | instskip(SKIP_1) | instid1(VALU_DEP_1)
	v_fmac_f64_e32 v[152:153], v[134:135], v[124:125]
	s_wait_dscnt 0x0
	v_fmac_f64_e32 v[152:153], v[136:137], v[118:119]
	s_wait_loadcnt 0x0
	s_delay_alu instid0(VALU_DEP_1) | instskip(NEXT) | instid1(VALU_DEP_1)
	v_fmac_f64_e32 v[152:153], v[142:143], v[120:121]
	v_add_f64_e64 v[2:3], v[116:117], -v[152:153]
	scratch_store_b64 off, v[2:3], off offset:40
	s_wait_xcnt 0x0
	v_cmpx_lt_u32_e32 4, v0
	s_cbranch_execz .LBB119_337
; %bb.336:
	scratch_load_b64 v[2:3], off, off offset:32
	v_mov_b64_e32 v[116:117], 0
	scratch_store_b64 off, v[116:117], off offset:32
	s_wait_loadcnt 0x0
	ds_store_b64 v1, v[2:3]
.LBB119_337:
	s_wait_xcnt 0x0
	s_or_b32 exec_lo, exec_lo, s0
	s_wait_storecnt_dscnt 0x0
	s_barrier_signal -1
	s_barrier_wait -1
	s_clause 0x5
	scratch_load_b128 v[116:119], off, off offset:32
	scratch_load_b128 v[120:123], off, off offset:48
	;; [unrolled: 1-line block ×6, first 2 shown]
	v_mov_b32_e32 v2, 0
	ds_load_2addr_b64 v[140:143], v2 offset0:61 offset1:62
	ds_load_2addr_b64 v[144:147], v2 offset0:63 offset1:64
	scratch_load_b128 v[148:151], off, off offset:128
	s_mov_b32 s0, exec_lo
	s_wait_loadcnt_dscnt 0x601
	v_fma_f64 v[152:153], v[118:119], v[140:141], 0
	s_wait_loadcnt 0x5
	s_delay_alu instid0(VALU_DEP_1) | instskip(SKIP_4) | instid1(VALU_DEP_1)
	v_fmac_f64_e32 v[152:153], v[120:121], v[142:143]
	scratch_load_b128 v[118:121], off, off offset:144
	s_wait_dscnt 0x0
	v_fmac_f64_e32 v[152:153], v[122:123], v[144:145]
	s_wait_loadcnt 0x5
	v_fmac_f64_e32 v[152:153], v[124:125], v[146:147]
	ds_load_2addr_b64 v[122:125], v2 offset0:65 offset1:66
	ds_load_2addr_b64 v[140:143], v2 offset0:67 offset1:68
	scratch_load_b128 v[144:147], off, off offset:160
	s_wait_dscnt 0x1
	v_fmac_f64_e32 v[152:153], v[126:127], v[122:123]
	s_wait_loadcnt 0x5
	s_delay_alu instid0(VALU_DEP_1) | instskip(SKIP_4) | instid1(VALU_DEP_1)
	v_fmac_f64_e32 v[152:153], v[128:129], v[124:125]
	scratch_load_b128 v[122:125], off, off offset:176
	s_wait_dscnt 0x0
	v_fmac_f64_e32 v[152:153], v[130:131], v[140:141]
	s_wait_loadcnt 0x5
	v_fmac_f64_e32 v[152:153], v[132:133], v[142:143]
	ds_load_2addr_b64 v[126:129], v2 offset0:69 offset1:70
	ds_load_2addr_b64 v[130:133], v2 offset0:71 offset1:72
	scratch_load_b128 v[140:143], off, off offset:192
	s_wait_dscnt 0x1
	v_fmac_f64_e32 v[152:153], v[134:135], v[126:127]
	s_wait_loadcnt 0x5
	s_delay_alu instid0(VALU_DEP_1) | instskip(SKIP_4) | instid1(VALU_DEP_1)
	v_fmac_f64_e32 v[152:153], v[136:137], v[128:129]
	scratch_load_b128 v[126:129], off, off offset:208
	s_wait_dscnt 0x0
	v_fmac_f64_e32 v[152:153], v[138:139], v[130:131]
	s_wait_loadcnt 0x5
	v_fmac_f64_e32 v[152:153], v[148:149], v[132:133]
	ds_load_2addr_b64 v[130:133], v2 offset0:73 offset1:74
	ds_load_2addr_b64 v[134:137], v2 offset0:75 offset1:76
	s_wait_dscnt 0x1
	v_fmac_f64_e32 v[152:153], v[150:151], v[130:131]
	scratch_load_b128 v[148:151], off, off offset:224
	s_wait_loadcnt 0x5
	v_fmac_f64_e32 v[152:153], v[118:119], v[132:133]
	s_wait_dscnt 0x0
	s_delay_alu instid0(VALU_DEP_1)
	v_fmac_f64_e32 v[152:153], v[120:121], v[134:135]
	scratch_load_b128 v[118:121], off, off offset:240
	s_wait_loadcnt 0x5
	v_fmac_f64_e32 v[152:153], v[144:145], v[136:137]
	ds_load_2addr_b64 v[130:133], v2 offset0:77 offset1:78
	ds_load_2addr_b64 v[134:137], v2 offset0:79 offset1:80
	s_wait_dscnt 0x1
	v_fmac_f64_e32 v[152:153], v[146:147], v[130:131]
	scratch_load_b128 v[144:147], off, off offset:256
	s_wait_loadcnt 0x5
	v_fmac_f64_e32 v[152:153], v[122:123], v[132:133]
	s_wait_dscnt 0x0
	s_delay_alu instid0(VALU_DEP_1)
	v_fmac_f64_e32 v[152:153], v[124:125], v[134:135]
	scratch_load_b128 v[122:125], off, off offset:272
	s_wait_loadcnt 0x5
	v_fmac_f64_e32 v[152:153], v[140:141], v[136:137]
	ds_load_2addr_b64 v[130:133], v2 offset0:81 offset1:82
	ds_load_2addr_b64 v[134:137], v2 offset0:83 offset1:84
	scratch_load_b128 v[138:141], off, off offset:288
	s_wait_dscnt 0x1
	v_fmac_f64_e32 v[152:153], v[142:143], v[130:131]
	s_wait_loadcnt 0x5
	s_delay_alu instid0(VALU_DEP_1) | instskip(SKIP_1) | instid1(VALU_DEP_1)
	v_fmac_f64_e32 v[152:153], v[126:127], v[132:133]
	s_wait_dscnt 0x0
	v_fmac_f64_e32 v[152:153], v[128:129], v[134:135]
	scratch_load_b128 v[126:129], off, off offset:304
	s_wait_loadcnt 0x5
	v_fmac_f64_e32 v[152:153], v[148:149], v[136:137]
	ds_load_2addr_b64 v[130:133], v2 offset0:85 offset1:86
	ds_load_2addr_b64 v[134:137], v2 offset0:87 offset1:88
	s_wait_dscnt 0x1
	v_fmac_f64_e32 v[152:153], v[150:151], v[130:131]
	scratch_load_b128 v[148:151], off, off offset:320
	s_wait_loadcnt 0x5
	v_fmac_f64_e32 v[152:153], v[118:119], v[132:133]
	s_wait_dscnt 0x0
	s_delay_alu instid0(VALU_DEP_1)
	v_fmac_f64_e32 v[152:153], v[120:121], v[134:135]
	scratch_load_b128 v[118:121], off, off offset:336
	s_wait_loadcnt 0x5
	v_fmac_f64_e32 v[152:153], v[144:145], v[136:137]
	ds_load_2addr_b64 v[130:133], v2 offset0:89 offset1:90
	ds_load_2addr_b64 v[134:137], v2 offset0:91 offset1:92
	scratch_load_b128 v[142:145], off, off offset:352
	s_wait_dscnt 0x1
	v_fmac_f64_e32 v[152:153], v[146:147], v[130:131]
	s_wait_loadcnt 0x5
	s_delay_alu instid0(VALU_DEP_1) | instskip(SKIP_1) | instid1(VALU_DEP_1)
	v_fmac_f64_e32 v[152:153], v[122:123], v[132:133]
	s_wait_dscnt 0x0
	v_fmac_f64_e32 v[152:153], v[124:125], v[134:135]
	scratch_load_b128 v[122:125], off, off offset:368
	s_wait_loadcnt 0x5
	v_fmac_f64_e32 v[152:153], v[138:139], v[136:137]
	ds_load_2addr_b64 v[130:133], v2 offset0:93 offset1:94
	ds_load_2addr_b64 v[134:137], v2 offset0:95 offset1:96
	s_wait_dscnt 0x1
	v_fmac_f64_e32 v[152:153], v[140:141], v[130:131]
	s_wait_loadcnt 0x4
	s_delay_alu instid0(VALU_DEP_1)
	v_fmac_f64_e32 v[152:153], v[126:127], v[132:133]
	scratch_load_b128 v[130:133], off, off offset:384
	s_wait_dscnt 0x0
	v_fmac_f64_e32 v[152:153], v[128:129], v[134:135]
	scratch_load_b128 v[126:129], off, off offset:400
	s_wait_loadcnt 0x5
	v_fmac_f64_e32 v[152:153], v[148:149], v[136:137]
	ds_load_2addr_b64 v[134:137], v2 offset0:97 offset1:98
	ds_load_2addr_b64 v[138:141], v2 offset0:99 offset1:100
	s_wait_dscnt 0x1
	v_fmac_f64_e32 v[152:153], v[150:151], v[134:135]
	s_wait_loadcnt 0x4
	s_delay_alu instid0(VALU_DEP_1)
	v_fmac_f64_e32 v[152:153], v[118:119], v[136:137]
	scratch_load_b128 v[134:137], off, off offset:416
	s_wait_dscnt 0x0
	v_fmac_f64_e32 v[152:153], v[120:121], v[138:139]
	scratch_load_b128 v[118:121], off, off offset:432
	s_wait_loadcnt 0x5
	v_fmac_f64_e32 v[152:153], v[142:143], v[140:141]
	ds_load_2addr_b64 v[138:141], v2 offset0:101 offset1:102
	ds_load_2addr_b64 v[146:149], v2 offset0:103 offset1:104
	s_wait_dscnt 0x1
	v_fmac_f64_e32 v[152:153], v[144:145], v[138:139]
	s_wait_loadcnt 0x4
	s_delay_alu instid0(VALU_DEP_1) | instskip(SKIP_1) | instid1(VALU_DEP_1)
	v_fmac_f64_e32 v[152:153], v[122:123], v[140:141]
	s_wait_dscnt 0x0
	v_fmac_f64_e32 v[152:153], v[124:125], v[146:147]
	ds_load_2addr_b64 v[122:125], v2 offset0:105 offset1:106
	ds_load_2addr_b64 v[138:141], v2 offset0:107 offset1:108
	s_wait_loadcnt 0x3
	v_fmac_f64_e32 v[152:153], v[130:131], v[148:149]
	s_wait_dscnt 0x1
	s_delay_alu instid0(VALU_DEP_1) | instskip(SKIP_1) | instid1(VALU_DEP_1)
	v_fmac_f64_e32 v[152:153], v[132:133], v[122:123]
	s_wait_loadcnt 0x2
	v_fmac_f64_e32 v[152:153], v[126:127], v[124:125]
	ds_load_2addr_b64 v[122:125], v2 offset0:109 offset1:110
	ds_load_b64 v[126:127], v2 offset:888
	s_wait_dscnt 0x2
	v_fmac_f64_e32 v[152:153], v[128:129], v[138:139]
	s_wait_loadcnt 0x1
	s_delay_alu instid0(VALU_DEP_1) | instskip(SKIP_1) | instid1(VALU_DEP_1)
	v_fmac_f64_e32 v[152:153], v[134:135], v[140:141]
	s_wait_dscnt 0x1
	v_fmac_f64_e32 v[152:153], v[136:137], v[122:123]
	s_wait_loadcnt 0x0
	s_delay_alu instid0(VALU_DEP_1) | instskip(SKIP_1) | instid1(VALU_DEP_1)
	v_fmac_f64_e32 v[152:153], v[118:119], v[124:125]
	s_wait_dscnt 0x0
	v_fmac_f64_e32 v[152:153], v[120:121], v[126:127]
	s_delay_alu instid0(VALU_DEP_1)
	v_add_f64_e64 v[116:117], v[116:117], -v[152:153]
	scratch_store_b64 off, v[116:117], off offset:32
	s_wait_xcnt 0x0
	v_cmpx_lt_u32_e32 3, v0
	s_cbranch_execz .LBB119_339
; %bb.338:
	scratch_load_b64 v[116:117], off, off offset:24
	v_mov_b64_e32 v[118:119], 0
	scratch_store_b64 off, v[118:119], off offset:24
	s_wait_loadcnt 0x0
	ds_store_b64 v1, v[116:117]
.LBB119_339:
	s_wait_xcnt 0x0
	s_or_b32 exec_lo, exec_lo, s0
	s_wait_storecnt_dscnt 0x0
	s_barrier_signal -1
	s_barrier_wait -1
	s_clause 0x5
	scratch_load_b128 v[116:119], off, off offset:24
	scratch_load_b128 v[120:123], off, off offset:40
	;; [unrolled: 1-line block ×6, first 2 shown]
	ds_load_b128 v[140:143], v2 offset:480
	ds_load_b128 v[144:147], v2 offset:496
	scratch_load_b128 v[148:151], off, off offset:120
	s_mov_b32 s0, exec_lo
	s_wait_loadcnt_dscnt 0x601
	v_fma_f64 v[152:153], v[118:119], v[140:141], 0
	s_wait_loadcnt 0x5
	s_delay_alu instid0(VALU_DEP_1) | instskip(SKIP_4) | instid1(VALU_DEP_1)
	v_fmac_f64_e32 v[152:153], v[120:121], v[142:143]
	scratch_load_b128 v[118:121], off, off offset:136
	s_wait_dscnt 0x0
	v_fmac_f64_e32 v[152:153], v[122:123], v[144:145]
	s_wait_loadcnt 0x5
	v_fmac_f64_e32 v[152:153], v[124:125], v[146:147]
	ds_load_b128 v[122:125], v2 offset:512
	ds_load_b128 v[140:143], v2 offset:528
	scratch_load_b128 v[144:147], off, off offset:152
	s_wait_dscnt 0x1
	v_fmac_f64_e32 v[152:153], v[126:127], v[122:123]
	s_wait_loadcnt 0x5
	s_delay_alu instid0(VALU_DEP_1) | instskip(SKIP_4) | instid1(VALU_DEP_1)
	v_fmac_f64_e32 v[152:153], v[128:129], v[124:125]
	scratch_load_b128 v[122:125], off, off offset:168
	s_wait_dscnt 0x0
	v_fmac_f64_e32 v[152:153], v[130:131], v[140:141]
	s_wait_loadcnt 0x5
	v_fmac_f64_e32 v[152:153], v[132:133], v[142:143]
	ds_load_b128 v[126:129], v2 offset:544
	ds_load_b128 v[130:133], v2 offset:560
	scratch_load_b128 v[140:143], off, off offset:184
	s_wait_dscnt 0x1
	v_fmac_f64_e32 v[152:153], v[134:135], v[126:127]
	s_wait_loadcnt 0x5
	s_delay_alu instid0(VALU_DEP_1) | instskip(SKIP_4) | instid1(VALU_DEP_1)
	v_fmac_f64_e32 v[152:153], v[136:137], v[128:129]
	scratch_load_b128 v[126:129], off, off offset:200
	s_wait_dscnt 0x0
	v_fmac_f64_e32 v[152:153], v[138:139], v[130:131]
	s_wait_loadcnt 0x5
	v_fmac_f64_e32 v[152:153], v[148:149], v[132:133]
	ds_load_b128 v[130:133], v2 offset:576
	ds_load_b128 v[134:137], v2 offset:592
	s_wait_dscnt 0x1
	v_fmac_f64_e32 v[152:153], v[150:151], v[130:131]
	scratch_load_b128 v[148:151], off, off offset:216
	s_wait_loadcnt 0x5
	v_fmac_f64_e32 v[152:153], v[118:119], v[132:133]
	s_wait_dscnt 0x0
	s_delay_alu instid0(VALU_DEP_1)
	v_fmac_f64_e32 v[152:153], v[120:121], v[134:135]
	scratch_load_b128 v[118:121], off, off offset:232
	s_wait_loadcnt 0x5
	v_fmac_f64_e32 v[152:153], v[144:145], v[136:137]
	ds_load_b128 v[130:133], v2 offset:608
	ds_load_b128 v[134:137], v2 offset:624
	s_wait_dscnt 0x1
	v_fmac_f64_e32 v[152:153], v[146:147], v[130:131]
	scratch_load_b128 v[144:147], off, off offset:248
	s_wait_loadcnt 0x5
	v_fmac_f64_e32 v[152:153], v[122:123], v[132:133]
	s_wait_dscnt 0x0
	s_delay_alu instid0(VALU_DEP_1)
	v_fmac_f64_e32 v[152:153], v[124:125], v[134:135]
	scratch_load_b128 v[122:125], off, off offset:264
	s_wait_loadcnt 0x5
	v_fmac_f64_e32 v[152:153], v[140:141], v[136:137]
	ds_load_b128 v[130:133], v2 offset:640
	ds_load_b128 v[134:137], v2 offset:656
	scratch_load_b128 v[138:141], off, off offset:280
	s_wait_dscnt 0x1
	v_fmac_f64_e32 v[152:153], v[142:143], v[130:131]
	s_wait_loadcnt 0x5
	s_delay_alu instid0(VALU_DEP_1) | instskip(SKIP_1) | instid1(VALU_DEP_1)
	v_fmac_f64_e32 v[152:153], v[126:127], v[132:133]
	s_wait_dscnt 0x0
	v_fmac_f64_e32 v[152:153], v[128:129], v[134:135]
	scratch_load_b128 v[126:129], off, off offset:296
	s_wait_loadcnt 0x5
	v_fmac_f64_e32 v[152:153], v[148:149], v[136:137]
	ds_load_b128 v[130:133], v2 offset:672
	ds_load_b128 v[134:137], v2 offset:688
	s_wait_dscnt 0x1
	v_fmac_f64_e32 v[152:153], v[150:151], v[130:131]
	scratch_load_b128 v[148:151], off, off offset:312
	s_wait_loadcnt 0x5
	v_fmac_f64_e32 v[152:153], v[118:119], v[132:133]
	s_wait_dscnt 0x0
	s_delay_alu instid0(VALU_DEP_1)
	v_fmac_f64_e32 v[152:153], v[120:121], v[134:135]
	scratch_load_b128 v[118:121], off, off offset:328
	s_wait_loadcnt 0x5
	v_fmac_f64_e32 v[152:153], v[144:145], v[136:137]
	ds_load_b128 v[130:133], v2 offset:704
	ds_load_b128 v[134:137], v2 offset:720
	scratch_load_b128 v[142:145], off, off offset:344
	s_wait_dscnt 0x1
	v_fmac_f64_e32 v[152:153], v[146:147], v[130:131]
	s_wait_loadcnt 0x5
	s_delay_alu instid0(VALU_DEP_1) | instskip(SKIP_1) | instid1(VALU_DEP_1)
	v_fmac_f64_e32 v[152:153], v[122:123], v[132:133]
	s_wait_dscnt 0x0
	v_fmac_f64_e32 v[152:153], v[124:125], v[134:135]
	scratch_load_b128 v[122:125], off, off offset:360
	s_wait_loadcnt 0x5
	v_fmac_f64_e32 v[152:153], v[138:139], v[136:137]
	ds_load_b128 v[130:133], v2 offset:736
	ds_load_b128 v[134:137], v2 offset:752
	s_wait_dscnt 0x1
	v_fmac_f64_e32 v[152:153], v[140:141], v[130:131]
	s_wait_loadcnt 0x4
	s_delay_alu instid0(VALU_DEP_1)
	v_fmac_f64_e32 v[152:153], v[126:127], v[132:133]
	scratch_load_b128 v[130:133], off, off offset:376
	s_wait_dscnt 0x0
	v_fmac_f64_e32 v[152:153], v[128:129], v[134:135]
	scratch_load_b128 v[126:129], off, off offset:392
	s_wait_loadcnt 0x5
	v_fmac_f64_e32 v[152:153], v[148:149], v[136:137]
	ds_load_b128 v[134:137], v2 offset:768
	ds_load_b128 v[138:141], v2 offset:784
	s_wait_dscnt 0x1
	v_fmac_f64_e32 v[152:153], v[150:151], v[134:135]
	s_wait_loadcnt 0x4
	s_delay_alu instid0(VALU_DEP_1)
	v_fmac_f64_e32 v[152:153], v[118:119], v[136:137]
	scratch_load_b128 v[134:137], off, off offset:408
	s_wait_dscnt 0x0
	v_fmac_f64_e32 v[152:153], v[120:121], v[138:139]
	scratch_load_b128 v[118:121], off, off offset:424
	s_wait_loadcnt 0x5
	v_fmac_f64_e32 v[152:153], v[142:143], v[140:141]
	ds_load_b128 v[138:141], v2 offset:800
	ds_load_b128 v[146:149], v2 offset:816
	scratch_load_b64 v[142:143], off, off offset:440
	s_wait_dscnt 0x1
	v_fmac_f64_e32 v[152:153], v[144:145], v[138:139]
	s_wait_loadcnt 0x5
	s_delay_alu instid0(VALU_DEP_1) | instskip(SKIP_1) | instid1(VALU_DEP_1)
	v_fmac_f64_e32 v[152:153], v[122:123], v[140:141]
	s_wait_dscnt 0x0
	v_fmac_f64_e32 v[152:153], v[124:125], v[146:147]
	ds_load_b128 v[122:125], v2 offset:832
	ds_load_b128 v[138:141], v2 offset:848
	s_wait_loadcnt 0x4
	v_fmac_f64_e32 v[152:153], v[130:131], v[148:149]
	s_wait_dscnt 0x1
	s_delay_alu instid0(VALU_DEP_1) | instskip(SKIP_1) | instid1(VALU_DEP_1)
	v_fmac_f64_e32 v[152:153], v[132:133], v[122:123]
	s_wait_loadcnt 0x3
	v_fmac_f64_e32 v[152:153], v[126:127], v[124:125]
	s_wait_dscnt 0x0
	s_delay_alu instid0(VALU_DEP_1)
	v_fmac_f64_e32 v[152:153], v[128:129], v[138:139]
	ds_load_b128 v[122:125], v2 offset:864
	ds_load_b128 v[126:129], v2 offset:880
	s_wait_loadcnt 0x2
	v_fmac_f64_e32 v[152:153], v[134:135], v[140:141]
	s_wait_dscnt 0x1
	s_delay_alu instid0(VALU_DEP_1) | instskip(SKIP_1) | instid1(VALU_DEP_1)
	v_fmac_f64_e32 v[152:153], v[136:137], v[122:123]
	s_wait_loadcnt 0x1
	v_fmac_f64_e32 v[152:153], v[118:119], v[124:125]
	s_wait_dscnt 0x0
	s_delay_alu instid0(VALU_DEP_1) | instskip(SKIP_1) | instid1(VALU_DEP_1)
	v_fmac_f64_e32 v[152:153], v[120:121], v[126:127]
	s_wait_loadcnt 0x0
	v_fmac_f64_e32 v[152:153], v[142:143], v[128:129]
	s_delay_alu instid0(VALU_DEP_1)
	v_add_f64_e64 v[2:3], v[116:117], -v[152:153]
	scratch_store_b64 off, v[2:3], off offset:24
	s_wait_xcnt 0x0
	v_cmpx_lt_u32_e32 2, v0
	s_cbranch_execz .LBB119_341
; %bb.340:
	scratch_load_b64 v[2:3], off, off offset:16
	v_mov_b64_e32 v[116:117], 0
	scratch_store_b64 off, v[116:117], off offset:16
	s_wait_loadcnt 0x0
	ds_store_b64 v1, v[2:3]
.LBB119_341:
	s_wait_xcnt 0x0
	s_or_b32 exec_lo, exec_lo, s0
	s_wait_storecnt_dscnt 0x0
	s_barrier_signal -1
	s_barrier_wait -1
	s_clause 0x5
	scratch_load_b128 v[116:119], off, off offset:16
	scratch_load_b128 v[120:123], off, off offset:32
	;; [unrolled: 1-line block ×6, first 2 shown]
	v_mov_b32_e32 v2, 0
	ds_load_2addr_b64 v[140:143], v2 offset0:59 offset1:60
	ds_load_2addr_b64 v[144:147], v2 offset0:61 offset1:62
	scratch_load_b128 v[148:151], off, off offset:112
	s_mov_b32 s0, exec_lo
	s_wait_loadcnt_dscnt 0x601
	v_fma_f64 v[152:153], v[118:119], v[140:141], 0
	s_wait_loadcnt 0x5
	s_delay_alu instid0(VALU_DEP_1) | instskip(SKIP_4) | instid1(VALU_DEP_1)
	v_fmac_f64_e32 v[152:153], v[120:121], v[142:143]
	scratch_load_b128 v[118:121], off, off offset:128
	s_wait_dscnt 0x0
	v_fmac_f64_e32 v[152:153], v[122:123], v[144:145]
	s_wait_loadcnt 0x5
	v_fmac_f64_e32 v[152:153], v[124:125], v[146:147]
	ds_load_2addr_b64 v[122:125], v2 offset0:63 offset1:64
	ds_load_2addr_b64 v[140:143], v2 offset0:65 offset1:66
	scratch_load_b128 v[144:147], off, off offset:144
	s_wait_dscnt 0x1
	v_fmac_f64_e32 v[152:153], v[126:127], v[122:123]
	s_wait_loadcnt 0x5
	s_delay_alu instid0(VALU_DEP_1) | instskip(SKIP_4) | instid1(VALU_DEP_1)
	v_fmac_f64_e32 v[152:153], v[128:129], v[124:125]
	scratch_load_b128 v[122:125], off, off offset:160
	s_wait_dscnt 0x0
	v_fmac_f64_e32 v[152:153], v[130:131], v[140:141]
	s_wait_loadcnt 0x5
	v_fmac_f64_e32 v[152:153], v[132:133], v[142:143]
	ds_load_2addr_b64 v[126:129], v2 offset0:67 offset1:68
	ds_load_2addr_b64 v[130:133], v2 offset0:69 offset1:70
	scratch_load_b128 v[140:143], off, off offset:176
	s_wait_dscnt 0x1
	v_fmac_f64_e32 v[152:153], v[134:135], v[126:127]
	s_wait_loadcnt 0x5
	s_delay_alu instid0(VALU_DEP_1) | instskip(SKIP_4) | instid1(VALU_DEP_1)
	v_fmac_f64_e32 v[152:153], v[136:137], v[128:129]
	scratch_load_b128 v[126:129], off, off offset:192
	s_wait_dscnt 0x0
	v_fmac_f64_e32 v[152:153], v[138:139], v[130:131]
	s_wait_loadcnt 0x5
	v_fmac_f64_e32 v[152:153], v[148:149], v[132:133]
	ds_load_2addr_b64 v[130:133], v2 offset0:71 offset1:72
	ds_load_2addr_b64 v[134:137], v2 offset0:73 offset1:74
	s_wait_dscnt 0x1
	v_fmac_f64_e32 v[152:153], v[150:151], v[130:131]
	scratch_load_b128 v[148:151], off, off offset:208
	s_wait_loadcnt 0x5
	v_fmac_f64_e32 v[152:153], v[118:119], v[132:133]
	s_wait_dscnt 0x0
	s_delay_alu instid0(VALU_DEP_1)
	v_fmac_f64_e32 v[152:153], v[120:121], v[134:135]
	scratch_load_b128 v[118:121], off, off offset:224
	s_wait_loadcnt 0x5
	v_fmac_f64_e32 v[152:153], v[144:145], v[136:137]
	ds_load_2addr_b64 v[130:133], v2 offset0:75 offset1:76
	ds_load_2addr_b64 v[134:137], v2 offset0:77 offset1:78
	s_wait_dscnt 0x1
	v_fmac_f64_e32 v[152:153], v[146:147], v[130:131]
	scratch_load_b128 v[144:147], off, off offset:240
	s_wait_loadcnt 0x5
	v_fmac_f64_e32 v[152:153], v[122:123], v[132:133]
	s_wait_dscnt 0x0
	s_delay_alu instid0(VALU_DEP_1)
	v_fmac_f64_e32 v[152:153], v[124:125], v[134:135]
	scratch_load_b128 v[122:125], off, off offset:256
	s_wait_loadcnt 0x5
	v_fmac_f64_e32 v[152:153], v[140:141], v[136:137]
	ds_load_2addr_b64 v[130:133], v2 offset0:79 offset1:80
	ds_load_2addr_b64 v[134:137], v2 offset0:81 offset1:82
	scratch_load_b128 v[138:141], off, off offset:272
	s_wait_dscnt 0x1
	v_fmac_f64_e32 v[152:153], v[142:143], v[130:131]
	s_wait_loadcnt 0x5
	s_delay_alu instid0(VALU_DEP_1) | instskip(SKIP_1) | instid1(VALU_DEP_1)
	v_fmac_f64_e32 v[152:153], v[126:127], v[132:133]
	s_wait_dscnt 0x0
	v_fmac_f64_e32 v[152:153], v[128:129], v[134:135]
	scratch_load_b128 v[126:129], off, off offset:288
	s_wait_loadcnt 0x5
	v_fmac_f64_e32 v[152:153], v[148:149], v[136:137]
	ds_load_2addr_b64 v[130:133], v2 offset0:83 offset1:84
	ds_load_2addr_b64 v[134:137], v2 offset0:85 offset1:86
	s_wait_dscnt 0x1
	v_fmac_f64_e32 v[152:153], v[150:151], v[130:131]
	scratch_load_b128 v[148:151], off, off offset:304
	s_wait_loadcnt 0x5
	v_fmac_f64_e32 v[152:153], v[118:119], v[132:133]
	s_wait_dscnt 0x0
	s_delay_alu instid0(VALU_DEP_1)
	v_fmac_f64_e32 v[152:153], v[120:121], v[134:135]
	scratch_load_b128 v[118:121], off, off offset:320
	s_wait_loadcnt 0x5
	v_fmac_f64_e32 v[152:153], v[144:145], v[136:137]
	ds_load_2addr_b64 v[130:133], v2 offset0:87 offset1:88
	ds_load_2addr_b64 v[134:137], v2 offset0:89 offset1:90
	scratch_load_b128 v[142:145], off, off offset:336
	s_wait_dscnt 0x1
	v_fmac_f64_e32 v[152:153], v[146:147], v[130:131]
	s_wait_loadcnt 0x5
	s_delay_alu instid0(VALU_DEP_1) | instskip(SKIP_1) | instid1(VALU_DEP_1)
	v_fmac_f64_e32 v[152:153], v[122:123], v[132:133]
	s_wait_dscnt 0x0
	v_fmac_f64_e32 v[152:153], v[124:125], v[134:135]
	scratch_load_b128 v[122:125], off, off offset:352
	s_wait_loadcnt 0x5
	v_fmac_f64_e32 v[152:153], v[138:139], v[136:137]
	ds_load_2addr_b64 v[130:133], v2 offset0:91 offset1:92
	ds_load_2addr_b64 v[134:137], v2 offset0:93 offset1:94
	s_wait_dscnt 0x1
	v_fmac_f64_e32 v[152:153], v[140:141], v[130:131]
	s_wait_loadcnt 0x4
	s_delay_alu instid0(VALU_DEP_1)
	v_fmac_f64_e32 v[152:153], v[126:127], v[132:133]
	scratch_load_b128 v[130:133], off, off offset:368
	s_wait_dscnt 0x0
	v_fmac_f64_e32 v[152:153], v[128:129], v[134:135]
	scratch_load_b128 v[126:129], off, off offset:384
	s_wait_loadcnt 0x5
	v_fmac_f64_e32 v[152:153], v[148:149], v[136:137]
	ds_load_2addr_b64 v[134:137], v2 offset0:95 offset1:96
	ds_load_2addr_b64 v[138:141], v2 offset0:97 offset1:98
	s_wait_dscnt 0x1
	v_fmac_f64_e32 v[152:153], v[150:151], v[134:135]
	s_wait_loadcnt 0x4
	s_delay_alu instid0(VALU_DEP_1)
	v_fmac_f64_e32 v[152:153], v[118:119], v[136:137]
	scratch_load_b128 v[134:137], off, off offset:400
	;; [unrolled: 13-line block ×3, first 2 shown]
	s_wait_dscnt 0x0
	v_fmac_f64_e32 v[152:153], v[124:125], v[146:147]
	ds_load_2addr_b64 v[122:125], v2 offset0:103 offset1:104
	ds_load_2addr_b64 v[142:145], v2 offset0:105 offset1:106
	s_wait_loadcnt 0x4
	v_fmac_f64_e32 v[152:153], v[130:131], v[148:149]
	s_wait_dscnt 0x1
	s_delay_alu instid0(VALU_DEP_1) | instskip(SKIP_1) | instid1(VALU_DEP_1)
	v_fmac_f64_e32 v[152:153], v[132:133], v[122:123]
	s_wait_loadcnt 0x3
	v_fmac_f64_e32 v[152:153], v[126:127], v[124:125]
	s_wait_dscnt 0x0
	s_delay_alu instid0(VALU_DEP_1)
	v_fmac_f64_e32 v[152:153], v[128:129], v[142:143]
	ds_load_2addr_b64 v[122:125], v2 offset0:107 offset1:108
	ds_load_2addr_b64 v[126:129], v2 offset0:109 offset1:110
	s_wait_loadcnt 0x2
	v_fmac_f64_e32 v[152:153], v[134:135], v[144:145]
	s_wait_dscnt 0x1
	s_delay_alu instid0(VALU_DEP_1) | instskip(SKIP_1) | instid1(VALU_DEP_1)
	v_fmac_f64_e32 v[152:153], v[136:137], v[122:123]
	s_wait_loadcnt 0x1
	v_fmac_f64_e32 v[152:153], v[118:119], v[124:125]
	ds_load_b64 v[118:119], v2 offset:888
	s_wait_dscnt 0x1
	v_fmac_f64_e32 v[152:153], v[120:121], v[126:127]
	s_wait_loadcnt 0x0
	s_delay_alu instid0(VALU_DEP_1) | instskip(SKIP_1) | instid1(VALU_DEP_1)
	v_fmac_f64_e32 v[152:153], v[138:139], v[128:129]
	s_wait_dscnt 0x0
	v_fmac_f64_e32 v[152:153], v[140:141], v[118:119]
	s_delay_alu instid0(VALU_DEP_1)
	v_add_f64_e64 v[116:117], v[116:117], -v[152:153]
	scratch_store_b64 off, v[116:117], off offset:16
	s_wait_xcnt 0x0
	v_cmpx_lt_u32_e32 1, v0
	s_cbranch_execz .LBB119_343
; %bb.342:
	scratch_load_b64 v[116:117], off, off offset:8
	v_mov_b64_e32 v[118:119], 0
	scratch_store_b64 off, v[118:119], off offset:8
	s_wait_loadcnt 0x0
	ds_store_b64 v1, v[116:117]
.LBB119_343:
	s_wait_xcnt 0x0
	s_or_b32 exec_lo, exec_lo, s0
	s_wait_storecnt_dscnt 0x0
	s_barrier_signal -1
	s_barrier_wait -1
	s_clause 0x3
	scratch_load_b128 v[116:119], off, off offset:8
	scratch_load_b128 v[120:123], off, off offset:24
	;; [unrolled: 1-line block ×4, first 2 shown]
	ds_load_b128 v[132:135], v2 offset:464
	ds_load_b128 v[136:139], v2 offset:480
	scratch_load_b128 v[140:143], off, off offset:72
	v_dual_ashrrev_i32 v9, 31, v8 :: v_dual_ashrrev_i32 v11, 31, v10
	v_dual_ashrrev_i32 v13, 31, v12 :: v_dual_ashrrev_i32 v15, 31, v14
	;; [unrolled: 1-line block ×26, first 2 shown]
	v_ashrrev_i32_e32 v113, 31, v112
	s_mov_b32 s0, exec_lo
	v_ashrrev_i32_e32 v67, 31, v66
	s_wait_loadcnt_dscnt 0x401
	v_fma_f64 v[144:145], v[118:119], v[132:133], 0
	s_wait_loadcnt 0x3
	s_delay_alu instid0(VALU_DEP_1) | instskip(SKIP_4) | instid1(VALU_DEP_1)
	v_fmac_f64_e32 v[144:145], v[120:121], v[134:135]
	scratch_load_b128 v[118:121], off, off offset:88
	s_wait_dscnt 0x0
	v_fmac_f64_e32 v[144:145], v[122:123], v[136:137]
	s_wait_loadcnt 0x3
	v_fmac_f64_e32 v[144:145], v[124:125], v[138:139]
	ds_load_b128 v[122:125], v2 offset:496
	ds_load_b128 v[132:135], v2 offset:512
	scratch_load_b128 v[136:139], off, off offset:104
	s_wait_dscnt 0x1
	v_fmac_f64_e32 v[144:145], v[126:127], v[122:123]
	s_wait_loadcnt 0x3
	s_delay_alu instid0(VALU_DEP_1)
	v_fmac_f64_e32 v[144:145], v[128:129], v[124:125]
	scratch_load_b128 v[122:125], off, off offset:120
	s_wait_dscnt 0x0
	v_fmac_f64_e32 v[144:145], v[130:131], v[132:133]
	ds_load_b128 v[126:129], v2 offset:528
	ds_load_b128 v[130:133], v2 offset:544
	s_wait_loadcnt 0x3
	v_fmac_f64_e32 v[144:145], v[140:141], v[134:135]
	s_wait_dscnt 0x1
	s_delay_alu instid0(VALU_DEP_1) | instskip(SKIP_4) | instid1(VALU_DEP_1)
	v_fmac_f64_e32 v[144:145], v[142:143], v[126:127]
	scratch_load_b128 v[140:143], off, off offset:136
	s_wait_loadcnt 0x3
	v_fmac_f64_e32 v[144:145], v[118:119], v[128:129]
	s_wait_dscnt 0x0
	v_fmac_f64_e32 v[144:145], v[120:121], v[130:131]
	scratch_load_b128 v[118:121], off, off offset:152
	s_wait_loadcnt 0x3
	v_fmac_f64_e32 v[144:145], v[136:137], v[132:133]
	ds_load_b128 v[126:129], v2 offset:560
	ds_load_b128 v[130:133], v2 offset:576
	scratch_load_b128 v[134:137], off, off offset:168
	s_wait_dscnt 0x1
	v_fmac_f64_e32 v[144:145], v[138:139], v[126:127]
	s_wait_loadcnt 0x3
	s_delay_alu instid0(VALU_DEP_1) | instskip(SKIP_1) | instid1(VALU_DEP_1)
	v_fmac_f64_e32 v[144:145], v[122:123], v[128:129]
	s_wait_dscnt 0x0
	v_fmac_f64_e32 v[144:145], v[124:125], v[130:131]
	scratch_load_b128 v[122:125], off, off offset:184
	s_wait_loadcnt 0x3
	v_fmac_f64_e32 v[144:145], v[140:141], v[132:133]
	ds_load_b128 v[126:129], v2 offset:592
	ds_load_b128 v[130:133], v2 offset:608
	scratch_load_b128 v[138:141], off, off offset:200
	s_wait_dscnt 0x1
	v_fmac_f64_e32 v[144:145], v[142:143], v[126:127]
	s_wait_loadcnt 0x3
	s_delay_alu instid0(VALU_DEP_1) | instskip(SKIP_1) | instid1(VALU_DEP_1)
	v_fmac_f64_e32 v[144:145], v[118:119], v[128:129]
	s_wait_dscnt 0x0
	v_fmac_f64_e32 v[144:145], v[120:121], v[130:131]
	scratch_load_b128 v[118:121], off, off offset:216
	s_wait_loadcnt 0x3
	v_fmac_f64_e32 v[144:145], v[134:135], v[132:133]
	ds_load_b128 v[126:129], v2 offset:624
	ds_load_b128 v[130:133], v2 offset:640
	s_wait_dscnt 0x1
	v_fmac_f64_e32 v[144:145], v[136:137], v[126:127]
	scratch_load_b128 v[134:137], off, off offset:232
	s_wait_loadcnt 0x3
	v_fmac_f64_e32 v[144:145], v[122:123], v[128:129]
	scratch_load_b128 v[126:129], off, off offset:248
	s_wait_dscnt 0x0
	v_fmac_f64_e32 v[144:145], v[124:125], v[130:131]
	s_wait_loadcnt 0x3
	s_delay_alu instid0(VALU_DEP_1)
	v_fmac_f64_e32 v[144:145], v[138:139], v[132:133]
	ds_load_b128 v[122:125], v2 offset:656
	ds_load_b128 v[130:133], v2 offset:672
	s_wait_dscnt 0x1
	v_fmac_f64_e32 v[144:145], v[140:141], v[122:123]
	scratch_load_b128 v[138:141], off, off offset:264
	s_wait_loadcnt 0x3
	v_fmac_f64_e32 v[144:145], v[118:119], v[124:125]
	s_wait_dscnt 0x0
	s_delay_alu instid0(VALU_DEP_1)
	v_fmac_f64_e32 v[144:145], v[120:121], v[130:131]
	scratch_load_b128 v[118:121], off, off offset:280
	s_wait_loadcnt 0x3
	v_fmac_f64_e32 v[144:145], v[134:135], v[132:133]
	ds_load_b128 v[122:125], v2 offset:688
	ds_load_b128 v[130:133], v2 offset:704
	s_wait_dscnt 0x1
	v_fmac_f64_e32 v[144:145], v[136:137], v[122:123]
	scratch_load_b128 v[134:137], off, off offset:296
	s_wait_loadcnt 0x3
	v_fmac_f64_e32 v[144:145], v[126:127], v[124:125]
	scratch_load_b128 v[122:125], off, off offset:312
	s_wait_dscnt 0x0
	v_fmac_f64_e32 v[144:145], v[128:129], v[130:131]
	s_wait_loadcnt 0x3
	s_delay_alu instid0(VALU_DEP_1)
	v_fmac_f64_e32 v[144:145], v[138:139], v[132:133]
	ds_load_b128 v[126:129], v2 offset:720
	ds_load_b128 v[130:133], v2 offset:736
	s_wait_dscnt 0x1
	v_fmac_f64_e32 v[144:145], v[140:141], v[126:127]
	scratch_load_b128 v[138:141], off, off offset:328
	s_wait_loadcnt 0x3
	v_fmac_f64_e32 v[144:145], v[118:119], v[128:129]
	s_wait_dscnt 0x0
	s_delay_alu instid0(VALU_DEP_1)
	;; [unrolled: 26-line block ×3, first 2 shown]
	v_fmac_f64_e32 v[144:145], v[120:121], v[130:131]
	scratch_load_b128 v[118:121], off, off offset:408
	s_wait_loadcnt 0x3
	v_fmac_f64_e32 v[144:145], v[134:135], v[132:133]
	ds_load_b128 v[122:125], v2 offset:816
	ds_load_b128 v[130:133], v2 offset:832
	scratch_load_b64 v[142:143], off, off offset:440
	s_wait_dscnt 0x1
	v_fmac_f64_e32 v[144:145], v[136:137], v[122:123]
	scratch_load_b128 v[134:137], off, off offset:424
	s_wait_loadcnt 0x4
	v_fmac_f64_e32 v[144:145], v[126:127], v[124:125]
	s_wait_dscnt 0x0
	s_delay_alu instid0(VALU_DEP_1)
	v_fmac_f64_e32 v[144:145], v[128:129], v[130:131]
	ds_load_b128 v[122:125], v2 offset:848
	ds_load_b128 v[126:129], v2 offset:864
	s_wait_loadcnt 0x3
	v_fmac_f64_e32 v[144:145], v[138:139], v[132:133]
	s_wait_dscnt 0x1
	s_delay_alu instid0(VALU_DEP_1) | instskip(SKIP_1) | instid1(VALU_DEP_1)
	v_fmac_f64_e32 v[144:145], v[140:141], v[122:123]
	s_wait_loadcnt 0x2
	v_fmac_f64_e32 v[144:145], v[118:119], v[124:125]
	s_wait_dscnt 0x0
	s_delay_alu instid0(VALU_DEP_1) | instskip(SKIP_4) | instid1(VALU_DEP_1)
	v_fmac_f64_e32 v[144:145], v[120:121], v[126:127]
	ds_load_b128 v[118:121], v2 offset:880
	s_wait_loadcnt 0x0
	v_fmac_f64_e32 v[144:145], v[134:135], v[128:129]
	s_wait_dscnt 0x0
	v_fmac_f64_e32 v[144:145], v[136:137], v[118:119]
	s_delay_alu instid0(VALU_DEP_1) | instskip(NEXT) | instid1(VALU_DEP_1)
	v_fmac_f64_e32 v[144:145], v[142:143], v[120:121]
	v_add_f64_e64 v[2:3], v[116:117], -v[144:145]
	scratch_store_b64 off, v[2:3], off offset:8
	s_wait_xcnt 0x0
	v_cmpx_ne_u32_e32 0, v0
	s_cbranch_execz .LBB119_345
; %bb.344:
	scratch_load_b64 v[2:3], off, off
	v_mov_b64_e32 v[116:117], 0
	scratch_store_b64 off, v[116:117], off
	s_wait_loadcnt 0x0
	ds_store_b64 v1, v[2:3]
.LBB119_345:
	s_wait_xcnt 0x0
	s_or_b32 exec_lo, exec_lo, s0
	s_wait_storecnt_dscnt 0x0
	s_barrier_signal -1
	s_barrier_wait -1
	s_clause 0x5
	scratch_load_b128 v[118:121], off, off
	scratch_load_b128 v[0:3], off, off offset:16
	scratch_load_b128 v[122:125], off, off offset:32
	;; [unrolled: 1-line block ×5, first 2 shown]
	v_mov_b32_e32 v116, 0
	scratch_load_b128 v[142:145], off, off offset:96
	s_and_b32 vcc_lo, exec_lo, s12
	ds_load_2addr_b64 v[138:141], v116 offset0:57 offset1:58
	s_wait_loadcnt_dscnt 0x600
	v_fma_f64 v[148:149], v[120:121], v[138:139], 0
	s_wait_loadcnt 0x5
	s_delay_alu instid0(VALU_DEP_1)
	v_fmac_f64_e32 v[148:149], v[0:1], v[140:141]
	ds_load_2addr_b64 v[138:141], v116 offset0:59 offset1:60
	s_wait_dscnt 0x0
	v_fmac_f64_e32 v[148:149], v[2:3], v[138:139]
	scratch_load_b128 v[0:3], off, off offset:112
	s_wait_loadcnt 0x5
	v_fmac_f64_e32 v[148:149], v[122:123], v[140:141]
	ds_load_2addr_b64 v[120:123], v116 offset0:61 offset1:62
	scratch_load_b128 v[138:141], off, off offset:128
	s_wait_dscnt 0x0
	v_fmac_f64_e32 v[148:149], v[124:125], v[120:121]
	s_wait_loadcnt 0x5
	s_delay_alu instid0(VALU_DEP_1)
	v_fmac_f64_e32 v[148:149], v[126:127], v[122:123]
	ds_load_2addr_b64 v[120:123], v116 offset0:63 offset1:64
	scratch_load_b128 v[124:127], off, off offset:144
	s_wait_dscnt 0x0
	v_fmac_f64_e32 v[148:149], v[128:129], v[120:121]
	s_wait_loadcnt 0x5
	s_delay_alu instid0(VALU_DEP_1)
	;; [unrolled: 7-line block ×4, first 2 shown]
	v_fmac_f64_e32 v[148:149], v[142:143], v[122:123]
	ds_load_2addr_b64 v[120:123], v116 offset0:69 offset1:70
	s_wait_dscnt 0x0
	v_fmac_f64_e32 v[148:149], v[144:145], v[120:121]
	scratch_load_b128 v[142:145], off, off offset:192
	s_wait_loadcnt 0x5
	v_fmac_f64_e32 v[148:149], v[0:1], v[122:123]
	ds_load_2addr_b64 v[120:123], v116 offset0:71 offset1:72
	s_wait_dscnt 0x0
	v_fmac_f64_e32 v[148:149], v[2:3], v[120:121]
	scratch_load_b128 v[0:3], off, off offset:208
	s_wait_loadcnt 0x5
	v_fmac_f64_e32 v[148:149], v[138:139], v[122:123]
	ds_load_2addr_b64 v[120:123], v116 offset0:73 offset1:74
	scratch_load_b128 v[136:139], off, off offset:224
	s_wait_dscnt 0x0
	v_fmac_f64_e32 v[148:149], v[140:141], v[120:121]
	s_wait_loadcnt 0x5
	s_delay_alu instid0(VALU_DEP_1)
	v_fmac_f64_e32 v[148:149], v[124:125], v[122:123]
	ds_load_2addr_b64 v[120:123], v116 offset0:75 offset1:76
	s_wait_dscnt 0x0
	v_fmac_f64_e32 v[148:149], v[126:127], v[120:121]
	scratch_load_b128 v[124:127], off, off offset:240
	s_wait_loadcnt 0x5
	v_fmac_f64_e32 v[148:149], v[128:129], v[122:123]
	ds_load_2addr_b64 v[120:123], v116 offset0:77 offset1:78
	s_wait_dscnt 0x0
	v_fmac_f64_e32 v[148:149], v[130:131], v[120:121]
	scratch_load_b128 v[128:131], off, off offset:256
	s_wait_loadcnt 0x5
	;; [unrolled: 6-line block ×3, first 2 shown]
	v_fmac_f64_e32 v[148:149], v[142:143], v[122:123]
	ds_load_2addr_b64 v[120:123], v116 offset0:81 offset1:82
	scratch_load_b128 v[140:143], off, off offset:288
	s_wait_dscnt 0x0
	v_fmac_f64_e32 v[148:149], v[144:145], v[120:121]
	scratch_load_b128 v[144:147], off, off offset:400
	s_wait_loadcnt 0x6
	v_fmac_f64_e32 v[148:149], v[0:1], v[122:123]
	ds_load_2addr_b64 v[120:123], v116 offset0:83 offset1:84
	s_wait_dscnt 0x0
	v_fmac_f64_e32 v[148:149], v[2:3], v[120:121]
	scratch_load_b128 v[0:3], off, off offset:304
	s_wait_loadcnt 0x6
	v_fmac_f64_e32 v[148:149], v[136:137], v[122:123]
	ds_load_2addr_b64 v[120:123], v116 offset0:85 offset1:86
	;; [unrolled: 6-line block ×7, first 2 shown]
	s_wait_dscnt 0x0
	v_fmac_f64_e32 v[148:149], v[2:3], v[120:121]
	ds_load_2addr_b64 v[0:3], v116 offset0:97 offset1:98
	s_wait_loadcnt 0x4
	v_fmac_f64_e32 v[148:149], v[136:137], v[122:123]
	scratch_load_b128 v[120:123], off, off offset:416
	s_wait_dscnt 0x0
	v_fmac_f64_e32 v[148:149], v[138:139], v[0:1]
	ds_load_2addr_b64 v[136:139], v116 offset0:99 offset1:100
	s_wait_loadcnt 0x4
	v_fmac_f64_e32 v[148:149], v[124:125], v[2:3]
	scratch_load_b128 v[0:3], off, off offset:432
	s_wait_dscnt 0x0
	v_fmac_f64_e32 v[148:149], v[126:127], v[136:137]
	ds_load_2addr_b64 v[124:127], v116 offset0:101 offset1:102
	s_wait_loadcnt 0x4
	v_fmac_f64_e32 v[148:149], v[128:129], v[138:139]
	s_wait_dscnt 0x0
	s_delay_alu instid0(VALU_DEP_1) | instskip(SKIP_1) | instid1(VALU_DEP_1)
	v_fmac_f64_e32 v[148:149], v[130:131], v[124:125]
	s_wait_loadcnt 0x3
	v_fmac_f64_e32 v[148:149], v[132:133], v[126:127]
	ds_load_2addr_b64 v[124:127], v116 offset0:103 offset1:104
	s_wait_dscnt 0x0
	v_fmac_f64_e32 v[148:149], v[134:135], v[124:125]
	s_wait_loadcnt 0x2
	s_delay_alu instid0(VALU_DEP_1) | instskip(SKIP_3) | instid1(VALU_DEP_1)
	v_fmac_f64_e32 v[148:149], v[140:141], v[126:127]
	ds_load_2addr_b64 v[124:127], v116 offset0:105 offset1:106
	s_wait_dscnt 0x0
	v_fmac_f64_e32 v[148:149], v[142:143], v[124:125]
	v_fmac_f64_e32 v[148:149], v[144:145], v[126:127]
	ds_load_2addr_b64 v[124:127], v116 offset0:107 offset1:108
	s_wait_dscnt 0x0
	v_fmac_f64_e32 v[148:149], v[146:147], v[124:125]
	s_wait_loadcnt 0x1
	s_delay_alu instid0(VALU_DEP_1)
	v_fmac_f64_e32 v[148:149], v[120:121], v[126:127]
	ds_load_2addr_b64 v[124:127], v116 offset0:109 offset1:110
	ds_load_b64 v[120:121], v116 offset:888
	s_wait_dscnt 0x1
	v_fmac_f64_e32 v[148:149], v[122:123], v[124:125]
	s_wait_loadcnt 0x0
	s_delay_alu instid0(VALU_DEP_1) | instskip(SKIP_1) | instid1(VALU_DEP_1)
	v_fmac_f64_e32 v[148:149], v[0:1], v[126:127]
	s_wait_dscnt 0x0
	v_fmac_f64_e32 v[148:149], v[2:3], v[120:121]
	s_delay_alu instid0(VALU_DEP_1)
	v_add_f64_e64 v[120:121], v[118:119], -v[148:149]
	scratch_store_b64 off, v[120:121], off
	s_cbranch_vccz .LBB119_456
; %bb.346:
	global_load_b32 v2, v116, s[8:9] offset:216
	s_wait_loadcnt 0x0
	v_cmp_ne_u32_e32 vcc_lo, 55, v2
	s_cbranch_vccz .LBB119_348
; %bb.347:
	v_lshlrev_b32_e32 v2, 3, v2
	s_wait_xcnt 0x0
	s_delay_alu instid0(VALU_DEP_1)
	v_mov_b32_e32 v116, v2
	scratch_load_b64 v[2:3], v116, off offset:-8
	s_wait_loadcnt 0x0
	scratch_store_b64 off, v[2:3], off offset:432
	scratch_store_b64 v116, v[0:1], off offset:-8
.LBB119_348:
	s_wait_xcnt 0x0
	v_mov_b32_e32 v0, 0
	global_load_b32 v1, v0, s[8:9] offset:212
	s_wait_loadcnt 0x0
	v_cmp_eq_u32_e32 vcc_lo, 54, v1
	s_cbranch_vccnz .LBB119_350
; %bb.349:
	v_lshlrev_b32_e32 v1, 3, v1
	scratch_load_b64 v[2:3], v1, off offset:-8
	scratch_load_b64 v[116:117], off, off offset:424
	s_wait_loadcnt 0x1
	scratch_store_b64 off, v[2:3], off offset:424
	s_wait_loadcnt 0x0
	scratch_store_b64 v1, v[116:117], off offset:-8
.LBB119_350:
	global_load_b32 v0, v0, s[8:9] offset:208
	s_wait_loadcnt 0x0
	v_cmp_eq_u32_e32 vcc_lo, 53, v0
	s_cbranch_vccnz .LBB119_352
; %bb.351:
	s_wait_xcnt 0x0
	v_lshlrev_b32_e32 v0, 3, v0
	s_delay_alu instid0(VALU_DEP_1)
	v_mov_b32_e32 v116, v0
	scratch_load_b64 v[0:1], v116, off offset:-8
	scratch_load_b64 v[2:3], off, off offset:416
	s_wait_loadcnt 0x1
	scratch_store_b64 off, v[0:1], off offset:416
	s_wait_loadcnt 0x0
	scratch_store_b64 v116, v[2:3], off offset:-8
.LBB119_352:
	s_wait_xcnt 0x0
	v_mov_b32_e32 v0, 0
	global_load_b32 v1, v0, s[8:9] offset:204
	s_wait_loadcnt 0x0
	v_cmp_eq_u32_e32 vcc_lo, 52, v1
	s_cbranch_vccnz .LBB119_354
; %bb.353:
	v_lshlrev_b32_e32 v1, 3, v1
	scratch_load_b64 v[2:3], v1, off offset:-8
	scratch_load_b64 v[116:117], off, off offset:408
	s_wait_loadcnt 0x1
	scratch_store_b64 off, v[2:3], off offset:408
	s_wait_loadcnt 0x0
	scratch_store_b64 v1, v[116:117], off offset:-8
.LBB119_354:
	global_load_b32 v0, v0, s[8:9] offset:200
	s_wait_loadcnt 0x0
	v_cmp_eq_u32_e32 vcc_lo, 51, v0
	s_cbranch_vccnz .LBB119_356
; %bb.355:
	s_wait_xcnt 0x0
	v_lshlrev_b32_e32 v0, 3, v0
	s_delay_alu instid0(VALU_DEP_1)
	v_mov_b32_e32 v116, v0
	scratch_load_b64 v[0:1], v116, off offset:-8
	scratch_load_b64 v[2:3], off, off offset:400
	s_wait_loadcnt 0x1
	scratch_store_b64 off, v[0:1], off offset:400
	s_wait_loadcnt 0x0
	scratch_store_b64 v116, v[2:3], off offset:-8
.LBB119_356:
	;; [unrolled: 31-line block ×26, first 2 shown]
	s_wait_xcnt 0x0
	v_mov_b32_e32 v0, 0
	global_load_b32 v1, v0, s[8:9] offset:4
	s_wait_loadcnt 0x0
	v_cmp_eq_u32_e32 vcc_lo, 2, v1
	s_cbranch_vccnz .LBB119_454
; %bb.453:
	v_lshlrev_b32_e32 v1, 3, v1
	scratch_load_b64 v[2:3], v1, off offset:-8
	scratch_load_b64 v[116:117], off, off offset:8
	s_wait_loadcnt 0x1
	scratch_store_b64 off, v[2:3], off offset:8
	s_wait_loadcnt 0x0
	scratch_store_b64 v1, v[116:117], off offset:-8
.LBB119_454:
	global_load_b32 v0, v0, s[8:9]
	scratch_load_b64 v[120:121], off, off
	s_wait_loadcnt 0x1
	v_cmp_eq_u32_e32 vcc_lo, 1, v0
	s_cbranch_vccnz .LBB119_456
; %bb.455:
	s_wait_xcnt 0x1
	v_lshlrev_b32_e32 v0, 3, v0
	s_delay_alu instid0(VALU_DEP_1)
	v_mov_b32_e32 v2, v0
	scratch_load_b64 v[0:1], v2, off offset:-8
	s_wait_loadcnt 0x0
	scratch_store_b64 off, v[0:1], off
	scratch_store_b64 v2, v[120:121], off offset:-8
	scratch_load_b64 v[120:121], off, off
.LBB119_456:
	s_wait_loadcnt 0x0
	flat_store_b64 v[4:5], v[120:121]
	scratch_load_b64 v[4:5], off, off offset:8
	v_lshl_add_u64 v[168:169], v[8:9], 3, s[2:3]
	v_lshl_add_u64 v[166:167], v[10:11], 3, s[2:3]
	;; [unrolled: 1-line block ×54, first 2 shown]
	s_wait_loadcnt 0x0
	flat_store_b64 v[6:7], v[4:5]
	scratch_load_b64 v[4:5], off, off offset:16
	s_wait_loadcnt 0x0
	flat_store_b64 v[168:169], v[4:5]
	scratch_load_b64 v[4:5], off, off offset:24
	;; [unrolled: 3-line block ×54, first 2 shown]
	s_wait_loadcnt 0x0
	flat_store_b64 v[0:1], v[2:3]
	s_sendmsg sendmsg(MSG_DEALLOC_VGPRS)
	s_endpgm
	.section	.rodata,"a",@progbits
	.p2align	6, 0x0
	.amdhsa_kernel _ZN9rocsolver6v33100L18getri_kernel_smallILi56EdPKPdEEvT1_iilPiilS6_bb
		.amdhsa_group_segment_fixed_size 904
		.amdhsa_private_segment_fixed_size 464
		.amdhsa_kernarg_size 60
		.amdhsa_user_sgpr_count 2
		.amdhsa_user_sgpr_dispatch_ptr 0
		.amdhsa_user_sgpr_queue_ptr 0
		.amdhsa_user_sgpr_kernarg_segment_ptr 1
		.amdhsa_user_sgpr_dispatch_id 0
		.amdhsa_user_sgpr_kernarg_preload_length 0
		.amdhsa_user_sgpr_kernarg_preload_offset 0
		.amdhsa_user_sgpr_private_segment_size 0
		.amdhsa_wavefront_size32 1
		.amdhsa_uses_dynamic_stack 0
		.amdhsa_enable_private_segment 1
		.amdhsa_system_sgpr_workgroup_id_x 1
		.amdhsa_system_sgpr_workgroup_id_y 0
		.amdhsa_system_sgpr_workgroup_id_z 0
		.amdhsa_system_sgpr_workgroup_info 0
		.amdhsa_system_vgpr_workitem_id 0
		.amdhsa_next_free_vgpr 170
		.amdhsa_next_free_sgpr 19
		.amdhsa_named_barrier_count 0
		.amdhsa_reserve_vcc 1
		.amdhsa_float_round_mode_32 0
		.amdhsa_float_round_mode_16_64 0
		.amdhsa_float_denorm_mode_32 3
		.amdhsa_float_denorm_mode_16_64 3
		.amdhsa_fp16_overflow 0
		.amdhsa_memory_ordered 1
		.amdhsa_forward_progress 1
		.amdhsa_inst_pref_size 255
		.amdhsa_round_robin_scheduling 0
		.amdhsa_exception_fp_ieee_invalid_op 0
		.amdhsa_exception_fp_denorm_src 0
		.amdhsa_exception_fp_ieee_div_zero 0
		.amdhsa_exception_fp_ieee_overflow 0
		.amdhsa_exception_fp_ieee_underflow 0
		.amdhsa_exception_fp_ieee_inexact 0
		.amdhsa_exception_int_div_zero 0
	.end_amdhsa_kernel
	.section	.text._ZN9rocsolver6v33100L18getri_kernel_smallILi56EdPKPdEEvT1_iilPiilS6_bb,"axG",@progbits,_ZN9rocsolver6v33100L18getri_kernel_smallILi56EdPKPdEEvT1_iilPiilS6_bb,comdat
.Lfunc_end119:
	.size	_ZN9rocsolver6v33100L18getri_kernel_smallILi56EdPKPdEEvT1_iilPiilS6_bb, .Lfunc_end119-_ZN9rocsolver6v33100L18getri_kernel_smallILi56EdPKPdEEvT1_iilPiilS6_bb
                                        ; -- End function
	.set _ZN9rocsolver6v33100L18getri_kernel_smallILi56EdPKPdEEvT1_iilPiilS6_bb.num_vgpr, 170
	.set _ZN9rocsolver6v33100L18getri_kernel_smallILi56EdPKPdEEvT1_iilPiilS6_bb.num_agpr, 0
	.set _ZN9rocsolver6v33100L18getri_kernel_smallILi56EdPKPdEEvT1_iilPiilS6_bb.numbered_sgpr, 19
	.set _ZN9rocsolver6v33100L18getri_kernel_smallILi56EdPKPdEEvT1_iilPiilS6_bb.num_named_barrier, 0
	.set _ZN9rocsolver6v33100L18getri_kernel_smallILi56EdPKPdEEvT1_iilPiilS6_bb.private_seg_size, 464
	.set _ZN9rocsolver6v33100L18getri_kernel_smallILi56EdPKPdEEvT1_iilPiilS6_bb.uses_vcc, 1
	.set _ZN9rocsolver6v33100L18getri_kernel_smallILi56EdPKPdEEvT1_iilPiilS6_bb.uses_flat_scratch, 1
	.set _ZN9rocsolver6v33100L18getri_kernel_smallILi56EdPKPdEEvT1_iilPiilS6_bb.has_dyn_sized_stack, 0
	.set _ZN9rocsolver6v33100L18getri_kernel_smallILi56EdPKPdEEvT1_iilPiilS6_bb.has_recursion, 0
	.set _ZN9rocsolver6v33100L18getri_kernel_smallILi56EdPKPdEEvT1_iilPiilS6_bb.has_indirect_call, 0
	.section	.AMDGPU.csdata,"",@progbits
; Kernel info:
; codeLenInByte = 57304
; TotalNumSgprs: 21
; NumVgprs: 170
; ScratchSize: 464
; MemoryBound: 0
; FloatMode: 240
; IeeeMode: 1
; LDSByteSize: 904 bytes/workgroup (compile time only)
; SGPRBlocks: 0
; VGPRBlocks: 10
; NumSGPRsForWavesPerEU: 21
; NumVGPRsForWavesPerEU: 170
; NamedBarCnt: 0
; Occupancy: 5
; WaveLimiterHint : 1
; COMPUTE_PGM_RSRC2:SCRATCH_EN: 1
; COMPUTE_PGM_RSRC2:USER_SGPR: 2
; COMPUTE_PGM_RSRC2:TRAP_HANDLER: 0
; COMPUTE_PGM_RSRC2:TGID_X_EN: 1
; COMPUTE_PGM_RSRC2:TGID_Y_EN: 0
; COMPUTE_PGM_RSRC2:TGID_Z_EN: 0
; COMPUTE_PGM_RSRC2:TIDIG_COMP_CNT: 0
	.section	.text._ZN9rocsolver6v33100L18getri_kernel_smallILi57EdPKPdEEvT1_iilPiilS6_bb,"axG",@progbits,_ZN9rocsolver6v33100L18getri_kernel_smallILi57EdPKPdEEvT1_iilPiilS6_bb,comdat
	.globl	_ZN9rocsolver6v33100L18getri_kernel_smallILi57EdPKPdEEvT1_iilPiilS6_bb ; -- Begin function _ZN9rocsolver6v33100L18getri_kernel_smallILi57EdPKPdEEvT1_iilPiilS6_bb
	.p2align	8
	.type	_ZN9rocsolver6v33100L18getri_kernel_smallILi57EdPKPdEEvT1_iilPiilS6_bb,@function
_ZN9rocsolver6v33100L18getri_kernel_smallILi57EdPKPdEEvT1_iilPiilS6_bb: ; @_ZN9rocsolver6v33100L18getri_kernel_smallILi57EdPKPdEEvT1_iilPiilS6_bb
; %bb.0:
	s_mov_b32 s2, exec_lo
	v_cmpx_gt_u32_e32 57, v0
	s_cbranch_execz .LBB120_238
; %bb.1:
	s_clause 0x1
	s_load_b32 s13, s[0:1], 0x38
	s_load_b64 s[2:3], s[0:1], 0x0
	s_getreg_b32 s6, hwreg(HW_REG_IB_STS2, 6, 4)
	s_wait_kmcnt 0x0
	s_bitcmp1_b32 s13, 8
	s_cselect_b32 s12, -1, 0
	s_bfe_u32 s4, ttmp6, 0x4000c
	s_and_b32 s5, ttmp6, 15
	s_add_co_i32 s4, s4, 1
	s_delay_alu instid0(SALU_CYCLE_1) | instskip(NEXT) | instid1(SALU_CYCLE_1)
	s_mul_i32 s4, ttmp9, s4
	s_add_co_i32 s5, s5, s4
	s_cmp_eq_u32 s6, 0
	s_cselect_b32 s10, ttmp9, s5
	s_load_b128 s[4:7], s[0:1], 0x28
	s_ashr_i32 s11, s10, 31
	s_delay_alu instid0(SALU_CYCLE_1) | instskip(NEXT) | instid1(SALU_CYCLE_1)
	s_lshl_b64 s[8:9], s[10:11], 3
	s_add_nc_u64 s[2:3], s[2:3], s[8:9]
	s_bfe_u32 s8, s13, 0x10008
	s_load_b64 s[2:3], s[2:3], 0x0
	s_cmp_eq_u32 s8, 0
                                        ; implicit-def: $sgpr8_sgpr9
	s_cbranch_scc1 .LBB120_3
; %bb.2:
	s_load_b96 s[16:18], s[0:1], 0x18
	s_wait_kmcnt 0x0
	s_mul_u64 s[4:5], s[4:5], s[10:11]
	s_delay_alu instid0(SALU_CYCLE_1) | instskip(SKIP_4) | instid1(SALU_CYCLE_1)
	s_lshl_b64 s[4:5], s[4:5], 2
	s_ashr_i32 s9, s18, 31
	s_mov_b32 s8, s18
	s_add_nc_u64 s[4:5], s[16:17], s[4:5]
	s_lshl_b64 s[8:9], s[8:9], 2
	s_add_nc_u64 s[8:9], s[4:5], s[8:9]
.LBB120_3:
	s_wait_kmcnt 0x0
	s_clause 0x1
	s_load_b64 s[4:5], s[0:1], 0x8
	s_load_b32 s13, s[0:1], 0x38
	v_dual_mov_b32 v3, 0 :: v_dual_lshlrev_b32 v2, 3, v0
	s_wait_kmcnt 0x0
	s_ashr_i32 s1, s4, 31
	s_mov_b32 s0, s4
	s_delay_alu instid0(SALU_CYCLE_1) | instskip(NEXT) | instid1(SALU_CYCLE_1)
	s_lshl_b64 s[0:1], s[0:1], 3
	s_add_nc_u64 s[2:3], s[2:3], s[0:1]
	s_ashr_i32 s1, s5, 31
	flat_load_b64 v[8:9], v0, s[2:3] scale_offset
	v_add_nc_u64_e32 v[4:5], s[2:3], v[2:3]
	s_mov_b32 s0, s5
	s_bitcmp0_b32 s13, 0
	s_delay_alu instid0(VALU_DEP_1)
	v_lshl_add_u64 v[6:7], s[0:1], 3, v[4:5]
	s_mov_b32 s1, -1
	s_wait_loadcnt_dscnt 0x0
	scratch_store_b64 off, v[8:9], off
	flat_load_b64 v[10:11], v[6:7]
	s_wait_xcnt 0x1
	v_add3_u32 v8, s5, s5, v0
	s_wait_loadcnt_dscnt 0x0
	scratch_store_b64 off, v[10:11], off offset:8
	flat_load_b64 v[12:13], v8, s[2:3] scale_offset
	s_wait_xcnt 0x1
	v_add_nc_u32_e32 v10, s5, v8
	s_wait_loadcnt_dscnt 0x0
	scratch_store_b64 off, v[12:13], off offset:16
	flat_load_b64 v[14:15], v10, s[2:3] scale_offset
	s_wait_xcnt 0x1
	v_add_nc_u32_e32 v12, s5, v10
	;; [unrolled: 5-line block ×54, first 2 shown]
	s_wait_loadcnt_dscnt 0x0
	scratch_store_b64 off, v[118:119], off offset:440
	flat_load_b64 v[118:119], v116, s[2:3] scale_offset
	s_wait_loadcnt_dscnt 0x0
	scratch_store_b64 off, v[118:119], off offset:448
	s_cbranch_scc1 .LBB120_236
; %bb.4:
	v_cmp_eq_u32_e64 s0, 0, v0
	s_wait_xcnt 0x0
	s_and_saveexec_b32 s1, s0
; %bb.5:
	v_mov_b32_e32 v1, 0
	ds_store_b32 v1, v1 offset:456
; %bb.6:
	s_or_b32 exec_lo, exec_lo, s1
	s_wait_storecnt_dscnt 0x0
	s_barrier_signal -1
	s_barrier_wait -1
	scratch_load_b64 v[118:119], v0, off scale_offset
	s_mov_b32 s4, exec_lo
	s_wait_loadcnt 0x0
	v_cmpx_eq_f64_e32 0, v[118:119]
	s_cbranch_execz .LBB120_10
; %bb.7:
	v_mov_b32_e32 v1, 0
	s_mov_b32 s5, 0
	ds_load_b32 v3, v1 offset:456
	s_wait_dscnt 0x0
	v_readfirstlane_b32 s1, v3
	v_add_nc_u32_e32 v3, 1, v0
	s_cmp_eq_u32 s1, 0
	s_delay_alu instid0(VALU_DEP_1) | instskip(SKIP_1) | instid1(SALU_CYCLE_1)
	v_cmp_gt_i32_e32 vcc_lo, s1, v3
	s_cselect_b32 s13, -1, 0
	s_or_b32 s13, s13, vcc_lo
	s_delay_alu instid0(SALU_CYCLE_1)
	s_and_b32 exec_lo, exec_lo, s13
	s_cbranch_execz .LBB120_10
; %bb.8:
	v_mov_b32_e32 v9, s1
.LBB120_9:                              ; =>This Inner Loop Header: Depth=1
	ds_cmpstore_rtn_b32 v9, v1, v3, v9 offset:456
	s_wait_dscnt 0x0
	v_cmp_ne_u32_e32 vcc_lo, 0, v9
	v_cmp_le_i32_e64 s1, v9, v3
	s_and_b32 s1, vcc_lo, s1
	s_delay_alu instid0(SALU_CYCLE_1) | instskip(NEXT) | instid1(SALU_CYCLE_1)
	s_and_b32 s1, exec_lo, s1
	s_or_b32 s5, s1, s5
	s_delay_alu instid0(SALU_CYCLE_1)
	s_and_not1_b32 exec_lo, exec_lo, s5
	s_cbranch_execnz .LBB120_9
.LBB120_10:
	s_or_b32 exec_lo, exec_lo, s4
	v_mov_b32_e32 v1, 0
	s_barrier_signal -1
	s_barrier_wait -1
	ds_load_b32 v3, v1 offset:456
	s_and_saveexec_b32 s1, s0
	s_cbranch_execz .LBB120_12
; %bb.11:
	s_lshl_b64 s[4:5], s[10:11], 2
	s_delay_alu instid0(SALU_CYCLE_1)
	s_add_nc_u64 s[4:5], s[6:7], s[4:5]
	s_wait_dscnt 0x0
	global_store_b32 v1, v3, s[4:5]
.LBB120_12:
	s_wait_xcnt 0x0
	s_or_b32 exec_lo, exec_lo, s1
	s_wait_dscnt 0x0
	v_cmp_ne_u32_e32 vcc_lo, 0, v3
	s_mov_b32 s1, 0
	s_cbranch_vccnz .LBB120_236
; %bb.13:
	v_lshl_add_u32 v3, v0, 3, 0
	v_add_nc_u32_e32 v1, 0x1d0, v2
	scratch_load_b64 v[118:119], v3, off
	s_wait_loadcnt 0x0
	v_div_scale_f64 v[120:121], null, v[118:119], v[118:119], 1.0
	v_div_scale_f64 v[126:127], vcc_lo, 1.0, v[118:119], 1.0
	s_delay_alu instid0(VALU_DEP_2) | instskip(SKIP_1) | instid1(TRANS32_DEP_1)
	v_rcp_f64_e32 v[122:123], v[120:121]
	v_nop
	v_fma_f64 v[124:125], -v[120:121], v[122:123], 1.0
	s_delay_alu instid0(VALU_DEP_1) | instskip(NEXT) | instid1(VALU_DEP_1)
	v_fmac_f64_e32 v[122:123], v[122:123], v[124:125]
	v_fma_f64 v[124:125], -v[120:121], v[122:123], 1.0
	s_delay_alu instid0(VALU_DEP_1) | instskip(NEXT) | instid1(VALU_DEP_1)
	v_fmac_f64_e32 v[122:123], v[122:123], v[124:125]
	v_mul_f64_e32 v[124:125], v[126:127], v[122:123]
	s_delay_alu instid0(VALU_DEP_1) | instskip(NEXT) | instid1(VALU_DEP_1)
	v_fma_f64 v[120:121], -v[120:121], v[124:125], v[126:127]
	v_div_fmas_f64 v[120:121], v[120:121], v[122:123], v[124:125]
	s_delay_alu instid0(VALU_DEP_1)
	v_div_fixup_f64 v[118:119], v[120:121], v[118:119], 1.0
	scratch_store_b64 v3, v[118:119], off
	scratch_load_b64 v[120:121], off, off offset:8
	s_wait_xcnt 0x1
	v_xor_b32_e32 v119, 0x80000000, v119
	s_wait_loadcnt 0x0
	ds_store_2addr_b64 v2, v[118:119], v[120:121] offset1:58
	s_wait_storecnt_dscnt 0x0
	s_barrier_signal -1
	s_barrier_wait -1
	s_wait_xcnt 0x0
	s_and_saveexec_b32 s1, s0
	s_cbranch_execz .LBB120_15
; %bb.14:
	scratch_load_b64 v[118:119], v3, off
	ds_load_b64 v[120:121], v1
	s_wait_loadcnt_dscnt 0x0
	v_fma_f64 v[118:119], v[118:119], v[120:121], 0
	v_mov_b32_e32 v9, 0
	ds_load_b64 v[122:123], v9 offset:8
	s_wait_dscnt 0x0
	v_mul_f64_e32 v[118:119], v[118:119], v[122:123]
	scratch_store_b64 off, v[118:119], off offset:8
.LBB120_15:
	s_wait_xcnt 0x0
	s_or_b32 exec_lo, exec_lo, s1
	s_wait_storecnt 0x0
	s_barrier_signal -1
	s_barrier_wait -1
	scratch_load_b64 v[118:119], off, off offset:16
	s_mov_b32 s1, exec_lo
	s_wait_loadcnt 0x0
	ds_store_b64 v1, v[118:119]
	s_wait_dscnt 0x0
	s_barrier_signal -1
	s_barrier_wait -1
	v_cmpx_gt_u32_e32 2, v0
	s_cbranch_execz .LBB120_19
; %bb.16:
	scratch_load_b64 v[118:119], v3, off
	ds_load_b64 v[120:121], v1
	s_wait_loadcnt_dscnt 0x0
	v_fma_f64 v[118:119], v[118:119], v[120:121], 0
	s_and_saveexec_b32 s4, s0
	s_cbranch_execz .LBB120_18
; %bb.17:
	scratch_load_b64 v[120:121], off, off offset:8
	v_mov_b32_e32 v3, 0
	ds_load_b64 v[122:123], v3 offset:472
	s_wait_loadcnt_dscnt 0x0
	v_fmac_f64_e32 v[118:119], v[120:121], v[122:123]
.LBB120_18:
	s_or_b32 exec_lo, exec_lo, s4
	v_mov_b32_e32 v3, 0
	ds_load_b64 v[120:121], v3 offset:16
	s_wait_dscnt 0x0
	v_mul_f64_e32 v[118:119], v[118:119], v[120:121]
	scratch_store_b64 off, v[118:119], off offset:16
.LBB120_19:
	s_wait_xcnt 0x0
	s_or_b32 exec_lo, exec_lo, s1
	s_wait_storecnt 0x0
	s_barrier_signal -1
	s_barrier_wait -1
	scratch_load_b64 v[118:119], off, off offset:24
	v_add_nc_u32_e32 v3, -1, v0
	s_mov_b32 s0, exec_lo
	s_wait_loadcnt 0x0
	ds_store_b64 v1, v[118:119]
	s_wait_dscnt 0x0
	s_barrier_signal -1
	s_barrier_wait -1
	v_cmpx_gt_u32_e32 3, v0
	s_cbranch_execz .LBB120_23
; %bb.20:
	v_mov_b64_e32 v[118:119], 0
	v_dual_add_nc_u32 v9, -1, v0 :: v_dual_mov_b32 v13, v2
	v_add_nc_u32_e32 v11, 0x1d0, v2
	s_mov_b32 s1, 0
.LBB120_21:                             ; =>This Inner Loop Header: Depth=1
	scratch_load_b64 v[120:121], v13, off
	ds_load_b64 v[122:123], v11
	v_dual_add_nc_u32 v9, 1, v9 :: v_dual_add_nc_u32 v11, 8, v11
	s_wait_xcnt 0x0
	v_add_nc_u32_e32 v13, 8, v13
	s_delay_alu instid0(VALU_DEP_2)
	v_cmp_lt_u32_e32 vcc_lo, 1, v9
	s_or_b32 s1, vcc_lo, s1
	s_wait_loadcnt_dscnt 0x0
	v_fmac_f64_e32 v[118:119], v[120:121], v[122:123]
	s_and_not1_b32 exec_lo, exec_lo, s1
	s_cbranch_execnz .LBB120_21
; %bb.22:
	s_or_b32 exec_lo, exec_lo, s1
	v_mov_b32_e32 v9, 0
	ds_load_b64 v[120:121], v9 offset:24
	s_wait_dscnt 0x0
	v_mul_f64_e32 v[118:119], v[118:119], v[120:121]
	scratch_store_b64 off, v[118:119], off offset:24
.LBB120_23:
	s_wait_xcnt 0x0
	s_or_b32 exec_lo, exec_lo, s0
	s_wait_storecnt 0x0
	s_barrier_signal -1
	s_barrier_wait -1
	scratch_load_b64 v[118:119], off, off offset:32
	s_mov_b32 s0, exec_lo
	s_wait_loadcnt 0x0
	ds_store_b64 v1, v[118:119]
	s_wait_dscnt 0x0
	s_barrier_signal -1
	s_barrier_wait -1
	v_cmpx_gt_u32_e32 4, v0
	s_cbranch_execz .LBB120_27
; %bb.24:
	v_mov_b64_e32 v[118:119], 0
	v_dual_add_nc_u32 v9, -1, v0 :: v_dual_mov_b32 v13, v2
	v_add_nc_u32_e32 v11, 0x1d0, v2
	s_mov_b32 s1, 0
.LBB120_25:                             ; =>This Inner Loop Header: Depth=1
	scratch_load_b64 v[120:121], v13, off
	ds_load_b64 v[122:123], v11
	v_dual_add_nc_u32 v9, 1, v9 :: v_dual_add_nc_u32 v11, 8, v11
	s_wait_xcnt 0x0
	v_add_nc_u32_e32 v13, 8, v13
	s_delay_alu instid0(VALU_DEP_2)
	v_cmp_lt_u32_e32 vcc_lo, 2, v9
	s_or_b32 s1, vcc_lo, s1
	s_wait_loadcnt_dscnt 0x0
	v_fmac_f64_e32 v[118:119], v[120:121], v[122:123]
	s_and_not1_b32 exec_lo, exec_lo, s1
	s_cbranch_execnz .LBB120_25
; %bb.26:
	s_or_b32 exec_lo, exec_lo, s1
	v_mov_b32_e32 v9, 0
	ds_load_b64 v[120:121], v9 offset:32
	s_wait_dscnt 0x0
	v_mul_f64_e32 v[118:119], v[118:119], v[120:121]
	scratch_store_b64 off, v[118:119], off offset:32
.LBB120_27:
	s_wait_xcnt 0x0
	s_or_b32 exec_lo, exec_lo, s0
	s_wait_storecnt 0x0
	s_barrier_signal -1
	s_barrier_wait -1
	scratch_load_b64 v[118:119], off, off offset:40
	;; [unrolled: 40-line block ×20, first 2 shown]
	s_mov_b32 s0, exec_lo
	s_wait_loadcnt 0x0
	ds_store_b64 v1, v[118:119]
	s_wait_dscnt 0x0
	s_barrier_signal -1
	s_barrier_wait -1
	v_cmpx_gt_u32_e32 23, v0
	s_cbranch_execz .LBB120_103
; %bb.100:
	v_mov_b64_e32 v[118:119], 0
	v_dual_add_nc_u32 v9, -1, v0 :: v_dual_mov_b32 v13, v2
	v_add_nc_u32_e32 v11, 0x1d0, v2
	s_mov_b32 s1, 0
.LBB120_101:                            ; =>This Inner Loop Header: Depth=1
	scratch_load_b64 v[120:121], v13, off
	ds_load_b64 v[122:123], v11
	v_dual_add_nc_u32 v9, 1, v9 :: v_dual_add_nc_u32 v11, 8, v11
	s_wait_xcnt 0x0
	v_add_nc_u32_e32 v13, 8, v13
	s_delay_alu instid0(VALU_DEP_2)
	v_cmp_lt_u32_e32 vcc_lo, 21, v9
	s_or_b32 s1, vcc_lo, s1
	s_wait_loadcnt_dscnt 0x0
	v_fmac_f64_e32 v[118:119], v[120:121], v[122:123]
	s_and_not1_b32 exec_lo, exec_lo, s1
	s_cbranch_execnz .LBB120_101
; %bb.102:
	s_or_b32 exec_lo, exec_lo, s1
	v_mov_b32_e32 v9, 0
	ds_load_b64 v[120:121], v9 offset:184
	s_wait_dscnt 0x0
	v_mul_f64_e32 v[118:119], v[118:119], v[120:121]
	scratch_store_b64 off, v[118:119], off offset:184
.LBB120_103:
	s_wait_xcnt 0x0
	s_or_b32 exec_lo, exec_lo, s0
	s_wait_storecnt 0x0
	s_barrier_signal -1
	s_barrier_wait -1
	scratch_load_b64 v[118:119], off, off offset:192
	s_mov_b32 s0, exec_lo
	s_wait_loadcnt 0x0
	ds_store_b64 v1, v[118:119]
	s_wait_dscnt 0x0
	s_barrier_signal -1
	s_barrier_wait -1
	v_cmpx_gt_u32_e32 24, v0
	s_cbranch_execz .LBB120_107
; %bb.104:
	v_mov_b64_e32 v[118:119], 0
	v_dual_add_nc_u32 v9, -1, v0 :: v_dual_mov_b32 v13, v2
	v_add_nc_u32_e32 v11, 0x1d0, v2
	s_mov_b32 s1, 0
.LBB120_105:                            ; =>This Inner Loop Header: Depth=1
	scratch_load_b64 v[120:121], v13, off
	ds_load_b64 v[122:123], v11
	v_dual_add_nc_u32 v9, 1, v9 :: v_dual_add_nc_u32 v11, 8, v11
	s_wait_xcnt 0x0
	v_add_nc_u32_e32 v13, 8, v13
	s_delay_alu instid0(VALU_DEP_2)
	v_cmp_lt_u32_e32 vcc_lo, 22, v9
	s_or_b32 s1, vcc_lo, s1
	s_wait_loadcnt_dscnt 0x0
	v_fmac_f64_e32 v[118:119], v[120:121], v[122:123]
	s_and_not1_b32 exec_lo, exec_lo, s1
	s_cbranch_execnz .LBB120_105
; %bb.106:
	s_or_b32 exec_lo, exec_lo, s1
	v_mov_b32_e32 v9, 0
	ds_load_b64 v[120:121], v9 offset:192
	s_wait_dscnt 0x0
	v_mul_f64_e32 v[118:119], v[118:119], v[120:121]
	scratch_store_b64 off, v[118:119], off offset:192
.LBB120_107:
	s_wait_xcnt 0x0
	s_or_b32 exec_lo, exec_lo, s0
	s_wait_storecnt 0x0
	s_barrier_signal -1
	s_barrier_wait -1
	scratch_load_b64 v[118:119], off, off offset:200
	;; [unrolled: 40-line block ×33, first 2 shown]
	s_mov_b32 s0, exec_lo
	s_wait_loadcnt 0x0
	ds_store_b64 v1, v[118:119]
	s_wait_dscnt 0x0
	s_barrier_signal -1
	s_barrier_wait -1
	v_cmpx_ne_u32_e32 56, v0
	s_cbranch_execz .LBB120_235
; %bb.232:
	v_mov_b64_e32 v[118:119], 0
	s_mov_b32 s1, 0
.LBB120_233:                            ; =>This Inner Loop Header: Depth=1
	scratch_load_b64 v[120:121], v2, off
	ds_load_b64 v[122:123], v1
	v_dual_add_nc_u32 v3, 1, v3 :: v_dual_add_nc_u32 v1, 8, v1
	s_wait_xcnt 0x0
	v_add_nc_u32_e32 v2, 8, v2
	s_delay_alu instid0(VALU_DEP_2)
	v_cmp_lt_u32_e32 vcc_lo, 54, v3
	s_or_b32 s1, vcc_lo, s1
	s_wait_loadcnt_dscnt 0x0
	v_fmac_f64_e32 v[118:119], v[120:121], v[122:123]
	s_and_not1_b32 exec_lo, exec_lo, s1
	s_cbranch_execnz .LBB120_233
; %bb.234:
	s_or_b32 exec_lo, exec_lo, s1
	v_mov_b32_e32 v1, 0
	ds_load_b64 v[2:3], v1 offset:448
	s_wait_dscnt 0x0
	v_mul_f64_e32 v[2:3], v[118:119], v[2:3]
	scratch_store_b64 off, v[2:3], off offset:448
.LBB120_235:
	s_wait_xcnt 0x0
	s_or_b32 exec_lo, exec_lo, s0
	s_mov_b32 s1, -1
	s_wait_storecnt 0x0
	s_barrier_signal -1
	s_barrier_wait -1
.LBB120_236:
	s_and_b32 vcc_lo, exec_lo, s1
	s_cbranch_vccz .LBB120_238
; %bb.237:
	v_mov_b32_e32 v1, 0
	s_lshl_b64 s[0:1], s[10:11], 2
	s_delay_alu instid0(SALU_CYCLE_1)
	s_add_nc_u64 s[0:1], s[6:7], s[0:1]
	global_load_b32 v1, v1, s[0:1]
	s_wait_loadcnt 0x0
	v_cmp_ne_u32_e32 vcc_lo, 0, v1
	s_cbranch_vccz .LBB120_239
.LBB120_238:
	s_sendmsg sendmsg(MSG_DEALLOC_VGPRS)
	s_endpgm
.LBB120_239:
	s_wait_xcnt 0x0
	v_lshl_add_u32 v1, v0, 3, 0x1d0
	s_mov_b32 s0, exec_lo
	v_cmpx_eq_u32_e32 56, v0
	s_cbranch_execz .LBB120_241
; %bb.240:
	scratch_load_b64 v[2:3], off, off offset:440
	v_mov_b64_e32 v[118:119], 0
	scratch_store_b64 off, v[118:119], off offset:440
	s_wait_loadcnt 0x0
	ds_store_b64 v1, v[2:3]
.LBB120_241:
	s_wait_xcnt 0x0
	s_or_b32 exec_lo, exec_lo, s0
	s_wait_storecnt_dscnt 0x0
	s_barrier_signal -1
	s_barrier_wait -1
	scratch_load_b128 v[118:121], off, off offset:440
	v_mov_b32_e32 v2, 0
	s_mov_b32 s0, exec_lo
	ds_load_b64 v[122:123], v2 offset:912
	s_wait_loadcnt_dscnt 0x0
	v_fma_f64 v[120:121], v[120:121], v[122:123], 0
	s_delay_alu instid0(VALU_DEP_1)
	v_add_f64_e64 v[118:119], v[118:119], -v[120:121]
	scratch_store_b64 off, v[118:119], off offset:440
	s_wait_xcnt 0x0
	v_cmpx_lt_u32_e32 54, v0
	s_cbranch_execz .LBB120_243
; %bb.242:
	scratch_load_b64 v[118:119], off, off offset:432
	v_mov_b64_e32 v[120:121], 0
	scratch_store_b64 off, v[120:121], off offset:432
	s_wait_loadcnt 0x0
	ds_store_b64 v1, v[118:119]
.LBB120_243:
	s_wait_xcnt 0x0
	s_or_b32 exec_lo, exec_lo, s0
	s_wait_storecnt_dscnt 0x0
	s_barrier_signal -1
	s_barrier_wait -1
	s_clause 0x1
	scratch_load_b128 v[118:121], off, off offset:432
	scratch_load_b64 v[126:127], off, off offset:448
	ds_load_2addr_b64 v[122:125], v2 offset0:113 offset1:114
	s_mov_b32 s0, exec_lo
	s_wait_loadcnt_dscnt 0x100
	v_fma_f64 v[2:3], v[120:121], v[122:123], 0
	s_wait_loadcnt 0x0
	s_delay_alu instid0(VALU_DEP_1) | instskip(NEXT) | instid1(VALU_DEP_1)
	v_fmac_f64_e32 v[2:3], v[126:127], v[124:125]
	v_add_f64_e64 v[2:3], v[118:119], -v[2:3]
	scratch_store_b64 off, v[2:3], off offset:432
	s_wait_xcnt 0x0
	v_cmpx_lt_u32_e32 53, v0
	s_cbranch_execz .LBB120_245
; %bb.244:
	scratch_load_b64 v[2:3], off, off offset:424
	v_mov_b64_e32 v[118:119], 0
	scratch_store_b64 off, v[118:119], off offset:424
	s_wait_loadcnt 0x0
	ds_store_b64 v1, v[2:3]
.LBB120_245:
	s_wait_xcnt 0x0
	s_or_b32 exec_lo, exec_lo, s0
	s_wait_storecnt_dscnt 0x0
	s_barrier_signal -1
	s_barrier_wait -1
	s_clause 0x1
	scratch_load_b128 v[118:121], off, off offset:424
	scratch_load_b128 v[122:125], off, off offset:440
	v_mov_b32_e32 v2, 0
	ds_load_b128 v[126:129], v2 offset:896
	ds_load_b64 v[130:131], v2 offset:912
	s_mov_b32 s0, exec_lo
	s_wait_loadcnt_dscnt 0x101
	v_fma_f64 v[120:121], v[120:121], v[126:127], 0
	s_wait_loadcnt 0x0
	s_delay_alu instid0(VALU_DEP_1) | instskip(SKIP_1) | instid1(VALU_DEP_1)
	v_fmac_f64_e32 v[120:121], v[122:123], v[128:129]
	s_wait_dscnt 0x0
	v_fmac_f64_e32 v[120:121], v[124:125], v[130:131]
	s_delay_alu instid0(VALU_DEP_1)
	v_add_f64_e64 v[118:119], v[118:119], -v[120:121]
	scratch_store_b64 off, v[118:119], off offset:424
	s_wait_xcnt 0x0
	v_cmpx_lt_u32_e32 52, v0
	s_cbranch_execz .LBB120_247
; %bb.246:
	scratch_load_b64 v[118:119], off, off offset:416
	v_mov_b64_e32 v[120:121], 0
	scratch_store_b64 off, v[120:121], off offset:416
	s_wait_loadcnt 0x0
	ds_store_b64 v1, v[118:119]
.LBB120_247:
	s_wait_xcnt 0x0
	s_or_b32 exec_lo, exec_lo, s0
	s_wait_storecnt_dscnt 0x0
	s_barrier_signal -1
	s_barrier_wait -1
	s_clause 0x2
	scratch_load_b128 v[118:121], off, off offset:416
	scratch_load_b128 v[122:125], off, off offset:432
	scratch_load_b64 v[134:135], off, off offset:448
	ds_load_2addr_b64 v[126:129], v2 offset0:111 offset1:112
	ds_load_2addr_b64 v[130:133], v2 offset0:113 offset1:114
	s_mov_b32 s0, exec_lo
	s_wait_loadcnt_dscnt 0x201
	v_fma_f64 v[2:3], v[120:121], v[126:127], 0
	s_wait_loadcnt 0x1
	s_delay_alu instid0(VALU_DEP_1) | instskip(SKIP_1) | instid1(VALU_DEP_1)
	v_fmac_f64_e32 v[2:3], v[122:123], v[128:129]
	s_wait_dscnt 0x0
	v_fmac_f64_e32 v[2:3], v[124:125], v[130:131]
	s_wait_loadcnt 0x0
	s_delay_alu instid0(VALU_DEP_1) | instskip(NEXT) | instid1(VALU_DEP_1)
	v_fmac_f64_e32 v[2:3], v[134:135], v[132:133]
	v_add_f64_e64 v[2:3], v[118:119], -v[2:3]
	scratch_store_b64 off, v[2:3], off offset:416
	s_wait_xcnt 0x0
	v_cmpx_lt_u32_e32 51, v0
	s_cbranch_execz .LBB120_249
; %bb.248:
	scratch_load_b64 v[2:3], off, off offset:408
	v_mov_b64_e32 v[118:119], 0
	scratch_store_b64 off, v[118:119], off offset:408
	s_wait_loadcnt 0x0
	ds_store_b64 v1, v[2:3]
.LBB120_249:
	s_wait_xcnt 0x0
	s_or_b32 exec_lo, exec_lo, s0
	s_wait_storecnt_dscnt 0x0
	s_barrier_signal -1
	s_barrier_wait -1
	s_clause 0x2
	scratch_load_b128 v[118:121], off, off offset:408
	scratch_load_b128 v[122:125], off, off offset:424
	;; [unrolled: 1-line block ×3, first 2 shown]
	v_mov_b32_e32 v2, 0
	ds_load_b128 v[130:133], v2 offset:880
	ds_load_b128 v[134:137], v2 offset:896
	s_mov_b32 s0, exec_lo
	s_wait_loadcnt_dscnt 0x201
	v_fma_f64 v[120:121], v[120:121], v[130:131], 0
	s_wait_loadcnt 0x1
	s_delay_alu instid0(VALU_DEP_1) | instskip(SKIP_4) | instid1(VALU_DEP_1)
	v_fmac_f64_e32 v[120:121], v[122:123], v[132:133]
	ds_load_b64 v[122:123], v2 offset:912
	s_wait_dscnt 0x1
	v_fmac_f64_e32 v[120:121], v[124:125], v[134:135]
	s_wait_loadcnt 0x0
	v_fmac_f64_e32 v[120:121], v[126:127], v[136:137]
	s_wait_dscnt 0x0
	s_delay_alu instid0(VALU_DEP_1) | instskip(NEXT) | instid1(VALU_DEP_1)
	v_fmac_f64_e32 v[120:121], v[128:129], v[122:123]
	v_add_f64_e64 v[118:119], v[118:119], -v[120:121]
	scratch_store_b64 off, v[118:119], off offset:408
	s_wait_xcnt 0x0
	v_cmpx_lt_u32_e32 50, v0
	s_cbranch_execz .LBB120_251
; %bb.250:
	scratch_load_b64 v[118:119], off, off offset:400
	v_mov_b64_e32 v[120:121], 0
	scratch_store_b64 off, v[120:121], off offset:400
	s_wait_loadcnt 0x0
	ds_store_b64 v1, v[118:119]
.LBB120_251:
	s_wait_xcnt 0x0
	s_or_b32 exec_lo, exec_lo, s0
	s_wait_storecnt_dscnt 0x0
	s_barrier_signal -1
	s_barrier_wait -1
	s_clause 0x3
	scratch_load_b128 v[118:121], off, off offset:400
	scratch_load_b128 v[122:125], off, off offset:416
	;; [unrolled: 1-line block ×3, first 2 shown]
	scratch_load_b64 v[138:139], off, off offset:448
	ds_load_2addr_b64 v[130:133], v2 offset0:109 offset1:110
	ds_load_2addr_b64 v[134:137], v2 offset0:111 offset1:112
	s_mov_b32 s0, exec_lo
	s_wait_loadcnt_dscnt 0x301
	v_fma_f64 v[130:131], v[120:121], v[130:131], 0
	s_wait_loadcnt 0x2
	s_delay_alu instid0(VALU_DEP_1) | instskip(SKIP_4) | instid1(VALU_DEP_1)
	v_fmac_f64_e32 v[130:131], v[122:123], v[132:133]
	ds_load_2addr_b64 v[120:123], v2 offset0:113 offset1:114
	s_wait_dscnt 0x1
	v_fmac_f64_e32 v[130:131], v[124:125], v[134:135]
	s_wait_loadcnt 0x1
	v_fmac_f64_e32 v[130:131], v[126:127], v[136:137]
	s_wait_dscnt 0x0
	s_delay_alu instid0(VALU_DEP_1) | instskip(SKIP_1) | instid1(VALU_DEP_1)
	v_fmac_f64_e32 v[130:131], v[128:129], v[120:121]
	s_wait_loadcnt 0x0
	v_fmac_f64_e32 v[130:131], v[138:139], v[122:123]
	s_delay_alu instid0(VALU_DEP_1)
	v_add_f64_e64 v[2:3], v[118:119], -v[130:131]
	scratch_store_b64 off, v[2:3], off offset:400
	s_wait_xcnt 0x0
	v_cmpx_lt_u32_e32 49, v0
	s_cbranch_execz .LBB120_253
; %bb.252:
	scratch_load_b64 v[2:3], off, off offset:392
	v_mov_b64_e32 v[118:119], 0
	scratch_store_b64 off, v[118:119], off offset:392
	s_wait_loadcnt 0x0
	ds_store_b64 v1, v[2:3]
.LBB120_253:
	s_wait_xcnt 0x0
	s_or_b32 exec_lo, exec_lo, s0
	s_wait_storecnt_dscnt 0x0
	s_barrier_signal -1
	s_barrier_wait -1
	s_clause 0x3
	scratch_load_b128 v[118:121], off, off offset:392
	scratch_load_b128 v[122:125], off, off offset:408
	;; [unrolled: 1-line block ×4, first 2 shown]
	v_mov_b32_e32 v2, 0
	ds_load_b128 v[134:137], v2 offset:864
	ds_load_b128 v[138:141], v2 offset:880
	s_mov_b32 s0, exec_lo
	s_wait_loadcnt_dscnt 0x301
	v_fma_f64 v[134:135], v[120:121], v[134:135], 0
	s_wait_loadcnt 0x2
	s_delay_alu instid0(VALU_DEP_1) | instskip(SKIP_1) | instid1(VALU_DEP_1)
	v_fmac_f64_e32 v[134:135], v[122:123], v[136:137]
	s_wait_dscnt 0x0
	v_fmac_f64_e32 v[134:135], v[124:125], v[138:139]
	ds_load_b128 v[120:123], v2 offset:896
	ds_load_b64 v[124:125], v2 offset:912
	s_wait_loadcnt 0x1
	v_fmac_f64_e32 v[134:135], v[126:127], v[140:141]
	s_wait_dscnt 0x1
	s_delay_alu instid0(VALU_DEP_1) | instskip(SKIP_1) | instid1(VALU_DEP_1)
	v_fmac_f64_e32 v[134:135], v[128:129], v[120:121]
	s_wait_loadcnt 0x0
	v_fmac_f64_e32 v[134:135], v[130:131], v[122:123]
	s_wait_dscnt 0x0
	s_delay_alu instid0(VALU_DEP_1) | instskip(NEXT) | instid1(VALU_DEP_1)
	v_fmac_f64_e32 v[134:135], v[132:133], v[124:125]
	v_add_f64_e64 v[118:119], v[118:119], -v[134:135]
	scratch_store_b64 off, v[118:119], off offset:392
	s_wait_xcnt 0x0
	v_cmpx_lt_u32_e32 48, v0
	s_cbranch_execz .LBB120_255
; %bb.254:
	scratch_load_b64 v[118:119], off, off offset:384
	v_mov_b64_e32 v[120:121], 0
	scratch_store_b64 off, v[120:121], off offset:384
	s_wait_loadcnt 0x0
	ds_store_b64 v1, v[118:119]
.LBB120_255:
	s_wait_xcnt 0x0
	s_or_b32 exec_lo, exec_lo, s0
	s_wait_storecnt_dscnt 0x0
	s_barrier_signal -1
	s_barrier_wait -1
	s_clause 0x4
	scratch_load_b128 v[118:121], off, off offset:384
	scratch_load_b128 v[122:125], off, off offset:400
	scratch_load_b128 v[126:129], off, off offset:416
	scratch_load_b128 v[130:133], off, off offset:432
	scratch_load_b64 v[142:143], off, off offset:448
	ds_load_2addr_b64 v[134:137], v2 offset0:107 offset1:108
	ds_load_2addr_b64 v[138:141], v2 offset0:109 offset1:110
	s_mov_b32 s0, exec_lo
	s_wait_loadcnt_dscnt 0x401
	v_fma_f64 v[134:135], v[120:121], v[134:135], 0
	s_wait_loadcnt 0x3
	s_delay_alu instid0(VALU_DEP_1) | instskip(SKIP_1) | instid1(VALU_DEP_1)
	v_fmac_f64_e32 v[134:135], v[122:123], v[136:137]
	s_wait_dscnt 0x0
	v_fmac_f64_e32 v[134:135], v[124:125], v[138:139]
	s_wait_loadcnt 0x2
	s_delay_alu instid0(VALU_DEP_1)
	v_fmac_f64_e32 v[134:135], v[126:127], v[140:141]
	ds_load_2addr_b64 v[120:123], v2 offset0:111 offset1:112
	ds_load_2addr_b64 v[124:127], v2 offset0:113 offset1:114
	s_wait_dscnt 0x1
	v_fmac_f64_e32 v[134:135], v[128:129], v[120:121]
	s_wait_loadcnt 0x1
	s_delay_alu instid0(VALU_DEP_1) | instskip(SKIP_1) | instid1(VALU_DEP_1)
	v_fmac_f64_e32 v[134:135], v[130:131], v[122:123]
	s_wait_dscnt 0x0
	v_fmac_f64_e32 v[134:135], v[132:133], v[124:125]
	s_wait_loadcnt 0x0
	s_delay_alu instid0(VALU_DEP_1) | instskip(NEXT) | instid1(VALU_DEP_1)
	v_fmac_f64_e32 v[134:135], v[142:143], v[126:127]
	v_add_f64_e64 v[2:3], v[118:119], -v[134:135]
	scratch_store_b64 off, v[2:3], off offset:384
	s_wait_xcnt 0x0
	v_cmpx_lt_u32_e32 47, v0
	s_cbranch_execz .LBB120_257
; %bb.256:
	scratch_load_b64 v[2:3], off, off offset:376
	v_mov_b64_e32 v[118:119], 0
	scratch_store_b64 off, v[118:119], off offset:376
	s_wait_loadcnt 0x0
	ds_store_b64 v1, v[2:3]
.LBB120_257:
	s_wait_xcnt 0x0
	s_or_b32 exec_lo, exec_lo, s0
	s_wait_storecnt_dscnt 0x0
	s_barrier_signal -1
	s_barrier_wait -1
	s_clause 0x4
	scratch_load_b128 v[118:121], off, off offset:376
	scratch_load_b128 v[122:125], off, off offset:392
	scratch_load_b128 v[126:129], off, off offset:408
	scratch_load_b128 v[130:133], off, off offset:424
	scratch_load_b128 v[134:137], off, off offset:440
	v_mov_b32_e32 v2, 0
	ds_load_b128 v[138:141], v2 offset:848
	ds_load_b128 v[142:145], v2 offset:864
	s_mov_b32 s0, exec_lo
	s_wait_loadcnt_dscnt 0x401
	v_fma_f64 v[138:139], v[120:121], v[138:139], 0
	s_wait_loadcnt 0x3
	s_delay_alu instid0(VALU_DEP_1) | instskip(SKIP_1) | instid1(VALU_DEP_1)
	v_fmac_f64_e32 v[138:139], v[122:123], v[140:141]
	s_wait_dscnt 0x0
	v_fmac_f64_e32 v[138:139], v[124:125], v[142:143]
	s_wait_loadcnt 0x2
	s_delay_alu instid0(VALU_DEP_1)
	v_fmac_f64_e32 v[138:139], v[126:127], v[144:145]
	ds_load_b128 v[120:123], v2 offset:880
	ds_load_b128 v[124:127], v2 offset:896
	s_wait_dscnt 0x1
	v_fmac_f64_e32 v[138:139], v[128:129], v[120:121]
	ds_load_b64 v[120:121], v2 offset:912
	s_wait_loadcnt 0x1
	v_fmac_f64_e32 v[138:139], v[130:131], v[122:123]
	s_wait_dscnt 0x1
	s_delay_alu instid0(VALU_DEP_1) | instskip(SKIP_1) | instid1(VALU_DEP_1)
	v_fmac_f64_e32 v[138:139], v[132:133], v[124:125]
	s_wait_loadcnt 0x0
	v_fmac_f64_e32 v[138:139], v[134:135], v[126:127]
	s_wait_dscnt 0x0
	s_delay_alu instid0(VALU_DEP_1) | instskip(NEXT) | instid1(VALU_DEP_1)
	v_fmac_f64_e32 v[138:139], v[136:137], v[120:121]
	v_add_f64_e64 v[118:119], v[118:119], -v[138:139]
	scratch_store_b64 off, v[118:119], off offset:376
	s_wait_xcnt 0x0
	v_cmpx_lt_u32_e32 46, v0
	s_cbranch_execz .LBB120_259
; %bb.258:
	scratch_load_b64 v[118:119], off, off offset:368
	v_mov_b64_e32 v[120:121], 0
	scratch_store_b64 off, v[120:121], off offset:368
	s_wait_loadcnt 0x0
	ds_store_b64 v1, v[118:119]
.LBB120_259:
	s_wait_xcnt 0x0
	s_or_b32 exec_lo, exec_lo, s0
	s_wait_storecnt_dscnt 0x0
	s_barrier_signal -1
	s_barrier_wait -1
	s_clause 0x5
	scratch_load_b128 v[118:121], off, off offset:368
	scratch_load_b128 v[122:125], off, off offset:384
	;; [unrolled: 1-line block ×5, first 2 shown]
	scratch_load_b64 v[146:147], off, off offset:448
	ds_load_2addr_b64 v[138:141], v2 offset0:105 offset1:106
	ds_load_2addr_b64 v[142:145], v2 offset0:107 offset1:108
	s_mov_b32 s0, exec_lo
	s_wait_loadcnt_dscnt 0x501
	v_fma_f64 v[138:139], v[120:121], v[138:139], 0
	s_wait_loadcnt 0x4
	s_delay_alu instid0(VALU_DEP_1) | instskip(SKIP_1) | instid1(VALU_DEP_1)
	v_fmac_f64_e32 v[138:139], v[122:123], v[140:141]
	s_wait_dscnt 0x0
	v_fmac_f64_e32 v[138:139], v[124:125], v[142:143]
	s_wait_loadcnt 0x3
	s_delay_alu instid0(VALU_DEP_1)
	v_fmac_f64_e32 v[138:139], v[126:127], v[144:145]
	ds_load_2addr_b64 v[120:123], v2 offset0:109 offset1:110
	ds_load_2addr_b64 v[124:127], v2 offset0:111 offset1:112
	s_wait_dscnt 0x1
	v_fmac_f64_e32 v[138:139], v[128:129], v[120:121]
	s_wait_loadcnt 0x2
	s_delay_alu instid0(VALU_DEP_1) | instskip(SKIP_4) | instid1(VALU_DEP_1)
	v_fmac_f64_e32 v[138:139], v[130:131], v[122:123]
	ds_load_2addr_b64 v[120:123], v2 offset0:113 offset1:114
	s_wait_dscnt 0x1
	v_fmac_f64_e32 v[138:139], v[132:133], v[124:125]
	s_wait_loadcnt 0x1
	v_fmac_f64_e32 v[138:139], v[134:135], v[126:127]
	s_wait_dscnt 0x0
	s_delay_alu instid0(VALU_DEP_1) | instskip(SKIP_1) | instid1(VALU_DEP_1)
	v_fmac_f64_e32 v[138:139], v[136:137], v[120:121]
	s_wait_loadcnt 0x0
	v_fmac_f64_e32 v[138:139], v[146:147], v[122:123]
	s_delay_alu instid0(VALU_DEP_1)
	v_add_f64_e64 v[2:3], v[118:119], -v[138:139]
	scratch_store_b64 off, v[2:3], off offset:368
	s_wait_xcnt 0x0
	v_cmpx_lt_u32_e32 45, v0
	s_cbranch_execz .LBB120_261
; %bb.260:
	scratch_load_b64 v[2:3], off, off offset:360
	v_mov_b64_e32 v[118:119], 0
	scratch_store_b64 off, v[118:119], off offset:360
	s_wait_loadcnt 0x0
	ds_store_b64 v1, v[2:3]
.LBB120_261:
	s_wait_xcnt 0x0
	s_or_b32 exec_lo, exec_lo, s0
	s_wait_storecnt_dscnt 0x0
	s_barrier_signal -1
	s_barrier_wait -1
	s_clause 0x5
	scratch_load_b128 v[118:121], off, off offset:360
	scratch_load_b128 v[122:125], off, off offset:376
	scratch_load_b128 v[126:129], off, off offset:392
	scratch_load_b128 v[130:133], off, off offset:408
	scratch_load_b128 v[134:137], off, off offset:424
	scratch_load_b128 v[138:141], off, off offset:440
	v_mov_b32_e32 v2, 0
	ds_load_b128 v[142:145], v2 offset:832
	ds_load_b128 v[146:149], v2 offset:848
	s_mov_b32 s0, exec_lo
	s_wait_loadcnt_dscnt 0x501
	v_fma_f64 v[142:143], v[120:121], v[142:143], 0
	s_wait_loadcnt 0x4
	s_delay_alu instid0(VALU_DEP_1) | instskip(SKIP_1) | instid1(VALU_DEP_1)
	v_fmac_f64_e32 v[142:143], v[122:123], v[144:145]
	s_wait_dscnt 0x0
	v_fmac_f64_e32 v[142:143], v[124:125], v[146:147]
	s_wait_loadcnt 0x3
	s_delay_alu instid0(VALU_DEP_1)
	v_fmac_f64_e32 v[142:143], v[126:127], v[148:149]
	ds_load_b128 v[120:123], v2 offset:864
	ds_load_b128 v[124:127], v2 offset:880
	s_wait_dscnt 0x1
	v_fmac_f64_e32 v[142:143], v[128:129], v[120:121]
	s_wait_loadcnt 0x2
	s_delay_alu instid0(VALU_DEP_1) | instskip(SKIP_1) | instid1(VALU_DEP_1)
	v_fmac_f64_e32 v[142:143], v[130:131], v[122:123]
	s_wait_dscnt 0x0
	v_fmac_f64_e32 v[142:143], v[132:133], v[124:125]
	ds_load_b128 v[120:123], v2 offset:896
	ds_load_b64 v[124:125], v2 offset:912
	s_wait_loadcnt 0x1
	v_fmac_f64_e32 v[142:143], v[134:135], v[126:127]
	s_wait_dscnt 0x1
	s_delay_alu instid0(VALU_DEP_1) | instskip(SKIP_1) | instid1(VALU_DEP_1)
	v_fmac_f64_e32 v[142:143], v[136:137], v[120:121]
	s_wait_loadcnt 0x0
	v_fmac_f64_e32 v[142:143], v[138:139], v[122:123]
	s_wait_dscnt 0x0
	s_delay_alu instid0(VALU_DEP_1) | instskip(NEXT) | instid1(VALU_DEP_1)
	v_fmac_f64_e32 v[142:143], v[140:141], v[124:125]
	v_add_f64_e64 v[118:119], v[118:119], -v[142:143]
	scratch_store_b64 off, v[118:119], off offset:360
	s_wait_xcnt 0x0
	v_cmpx_lt_u32_e32 44, v0
	s_cbranch_execz .LBB120_263
; %bb.262:
	scratch_load_b64 v[118:119], off, off offset:352
	v_mov_b64_e32 v[120:121], 0
	scratch_store_b64 off, v[120:121], off offset:352
	s_wait_loadcnt 0x0
	ds_store_b64 v1, v[118:119]
.LBB120_263:
	s_wait_xcnt 0x0
	s_or_b32 exec_lo, exec_lo, s0
	s_wait_storecnt_dscnt 0x0
	s_barrier_signal -1
	s_barrier_wait -1
	s_clause 0x5
	scratch_load_b128 v[118:121], off, off offset:352
	scratch_load_b128 v[122:125], off, off offset:368
	;; [unrolled: 1-line block ×6, first 2 shown]
	ds_load_2addr_b64 v[142:145], v2 offset0:103 offset1:104
	ds_load_2addr_b64 v[146:149], v2 offset0:105 offset1:106
	s_mov_b32 s0, exec_lo
	s_wait_loadcnt_dscnt 0x501
	v_fma_f64 v[142:143], v[120:121], v[142:143], 0
	s_wait_loadcnt 0x4
	s_delay_alu instid0(VALU_DEP_1) | instskip(SKIP_4) | instid1(VALU_DEP_1)
	v_fmac_f64_e32 v[142:143], v[122:123], v[144:145]
	scratch_load_b64 v[144:145], off, off offset:448
	s_wait_dscnt 0x0
	v_fmac_f64_e32 v[142:143], v[124:125], v[146:147]
	s_wait_loadcnt 0x4
	v_fmac_f64_e32 v[142:143], v[126:127], v[148:149]
	ds_load_2addr_b64 v[120:123], v2 offset0:107 offset1:108
	ds_load_2addr_b64 v[124:127], v2 offset0:109 offset1:110
	s_wait_dscnt 0x1
	v_fmac_f64_e32 v[142:143], v[128:129], v[120:121]
	s_wait_loadcnt 0x3
	s_delay_alu instid0(VALU_DEP_1) | instskip(SKIP_1) | instid1(VALU_DEP_1)
	v_fmac_f64_e32 v[142:143], v[130:131], v[122:123]
	s_wait_dscnt 0x0
	v_fmac_f64_e32 v[142:143], v[132:133], v[124:125]
	s_wait_loadcnt 0x2
	s_delay_alu instid0(VALU_DEP_1)
	v_fmac_f64_e32 v[142:143], v[134:135], v[126:127]
	ds_load_2addr_b64 v[120:123], v2 offset0:111 offset1:112
	ds_load_2addr_b64 v[124:127], v2 offset0:113 offset1:114
	s_wait_dscnt 0x1
	v_fmac_f64_e32 v[142:143], v[136:137], v[120:121]
	s_wait_loadcnt 0x1
	s_delay_alu instid0(VALU_DEP_1) | instskip(SKIP_1) | instid1(VALU_DEP_1)
	v_fmac_f64_e32 v[142:143], v[138:139], v[122:123]
	s_wait_dscnt 0x0
	v_fmac_f64_e32 v[142:143], v[140:141], v[124:125]
	s_wait_loadcnt 0x0
	s_delay_alu instid0(VALU_DEP_1) | instskip(NEXT) | instid1(VALU_DEP_1)
	v_fmac_f64_e32 v[142:143], v[144:145], v[126:127]
	v_add_f64_e64 v[2:3], v[118:119], -v[142:143]
	scratch_store_b64 off, v[2:3], off offset:352
	s_wait_xcnt 0x0
	v_cmpx_lt_u32_e32 43, v0
	s_cbranch_execz .LBB120_265
; %bb.264:
	scratch_load_b64 v[2:3], off, off offset:344
	v_mov_b64_e32 v[118:119], 0
	scratch_store_b64 off, v[118:119], off offset:344
	s_wait_loadcnt 0x0
	ds_store_b64 v1, v[2:3]
.LBB120_265:
	s_wait_xcnt 0x0
	s_or_b32 exec_lo, exec_lo, s0
	s_wait_storecnt_dscnt 0x0
	s_barrier_signal -1
	s_barrier_wait -1
	s_clause 0x5
	scratch_load_b128 v[118:121], off, off offset:344
	scratch_load_b128 v[122:125], off, off offset:360
	;; [unrolled: 1-line block ×6, first 2 shown]
	v_mov_b32_e32 v2, 0
	ds_load_b128 v[142:145], v2 offset:816
	ds_load_b128 v[146:149], v2 offset:832
	s_mov_b32 s0, exec_lo
	s_wait_loadcnt_dscnt 0x501
	v_fma_f64 v[150:151], v[120:121], v[142:143], 0
	s_wait_loadcnt 0x4
	s_delay_alu instid0(VALU_DEP_1) | instskip(SKIP_4) | instid1(VALU_DEP_1)
	v_fmac_f64_e32 v[150:151], v[122:123], v[144:145]
	scratch_load_b128 v[120:123], off, off offset:440
	s_wait_dscnt 0x0
	v_fmac_f64_e32 v[150:151], v[124:125], v[146:147]
	s_wait_loadcnt 0x4
	v_fmac_f64_e32 v[150:151], v[126:127], v[148:149]
	ds_load_b128 v[124:127], v2 offset:848
	ds_load_b128 v[142:145], v2 offset:864
	s_wait_dscnt 0x1
	v_fmac_f64_e32 v[150:151], v[128:129], v[124:125]
	s_wait_loadcnt 0x3
	s_delay_alu instid0(VALU_DEP_1)
	v_fmac_f64_e32 v[150:151], v[130:131], v[126:127]
	ds_load_b128 v[124:127], v2 offset:880
	ds_load_b128 v[128:131], v2 offset:896
	s_wait_dscnt 0x2
	v_fmac_f64_e32 v[150:151], v[132:133], v[142:143]
	s_wait_loadcnt 0x2
	s_delay_alu instid0(VALU_DEP_1) | instskip(SKIP_1) | instid1(VALU_DEP_1)
	v_fmac_f64_e32 v[150:151], v[134:135], v[144:145]
	s_wait_dscnt 0x1
	v_fmac_f64_e32 v[150:151], v[136:137], v[124:125]
	s_wait_loadcnt 0x1
	s_delay_alu instid0(VALU_DEP_1) | instskip(SKIP_1) | instid1(VALU_DEP_1)
	v_fmac_f64_e32 v[150:151], v[138:139], v[126:127]
	s_wait_dscnt 0x0
	v_fmac_f64_e32 v[150:151], v[140:141], v[128:129]
	s_wait_loadcnt 0x0
	s_delay_alu instid0(VALU_DEP_1) | instskip(SKIP_3) | instid1(VALU_DEP_1)
	v_fmac_f64_e32 v[150:151], v[120:121], v[130:131]
	ds_load_b64 v[120:121], v2 offset:912
	s_wait_dscnt 0x0
	v_fmac_f64_e32 v[150:151], v[122:123], v[120:121]
	v_add_f64_e64 v[118:119], v[118:119], -v[150:151]
	scratch_store_b64 off, v[118:119], off offset:344
	s_wait_xcnt 0x0
	v_cmpx_lt_u32_e32 42, v0
	s_cbranch_execz .LBB120_267
; %bb.266:
	scratch_load_b64 v[118:119], off, off offset:336
	v_mov_b64_e32 v[120:121], 0
	scratch_store_b64 off, v[120:121], off offset:336
	s_wait_loadcnt 0x0
	ds_store_b64 v1, v[118:119]
.LBB120_267:
	s_wait_xcnt 0x0
	s_or_b32 exec_lo, exec_lo, s0
	s_wait_storecnt_dscnt 0x0
	s_barrier_signal -1
	s_barrier_wait -1
	s_clause 0x5
	scratch_load_b128 v[118:121], off, off offset:336
	scratch_load_b128 v[122:125], off, off offset:352
	;; [unrolled: 1-line block ×6, first 2 shown]
	ds_load_2addr_b64 v[142:145], v2 offset0:101 offset1:102
	ds_load_2addr_b64 v[146:149], v2 offset0:103 offset1:104
	s_mov_b32 s0, exec_lo
	s_wait_loadcnt_dscnt 0x501
	v_fma_f64 v[150:151], v[120:121], v[142:143], 0
	s_wait_loadcnt 0x4
	s_delay_alu instid0(VALU_DEP_1)
	v_fmac_f64_e32 v[150:151], v[122:123], v[144:145]
	scratch_load_b128 v[120:123], off, off offset:432
	s_wait_dscnt 0x0
	v_fmac_f64_e32 v[150:151], v[124:125], v[146:147]
	scratch_load_b64 v[146:147], off, off offset:448
	s_wait_loadcnt 0x5
	v_fmac_f64_e32 v[150:151], v[126:127], v[148:149]
	ds_load_2addr_b64 v[124:127], v2 offset0:105 offset1:106
	ds_load_2addr_b64 v[142:145], v2 offset0:107 offset1:108
	s_wait_dscnt 0x1
	v_fmac_f64_e32 v[150:151], v[128:129], v[124:125]
	s_wait_loadcnt 0x4
	s_delay_alu instid0(VALU_DEP_1)
	v_fmac_f64_e32 v[150:151], v[130:131], v[126:127]
	ds_load_2addr_b64 v[124:127], v2 offset0:109 offset1:110
	ds_load_2addr_b64 v[128:131], v2 offset0:111 offset1:112
	s_wait_dscnt 0x2
	v_fmac_f64_e32 v[150:151], v[132:133], v[142:143]
	s_wait_loadcnt 0x3
	s_delay_alu instid0(VALU_DEP_1) | instskip(SKIP_1) | instid1(VALU_DEP_1)
	v_fmac_f64_e32 v[150:151], v[134:135], v[144:145]
	s_wait_dscnt 0x1
	v_fmac_f64_e32 v[150:151], v[136:137], v[124:125]
	s_wait_loadcnt 0x2
	s_delay_alu instid0(VALU_DEP_1) | instskip(SKIP_4) | instid1(VALU_DEP_1)
	v_fmac_f64_e32 v[150:151], v[138:139], v[126:127]
	ds_load_2addr_b64 v[124:127], v2 offset0:113 offset1:114
	s_wait_dscnt 0x1
	v_fmac_f64_e32 v[150:151], v[140:141], v[128:129]
	s_wait_loadcnt 0x1
	v_fmac_f64_e32 v[150:151], v[120:121], v[130:131]
	s_wait_dscnt 0x0
	s_delay_alu instid0(VALU_DEP_1) | instskip(SKIP_1) | instid1(VALU_DEP_1)
	v_fmac_f64_e32 v[150:151], v[122:123], v[124:125]
	s_wait_loadcnt 0x0
	v_fmac_f64_e32 v[150:151], v[146:147], v[126:127]
	s_delay_alu instid0(VALU_DEP_1)
	v_add_f64_e64 v[2:3], v[118:119], -v[150:151]
	scratch_store_b64 off, v[2:3], off offset:336
	s_wait_xcnt 0x0
	v_cmpx_lt_u32_e32 41, v0
	s_cbranch_execz .LBB120_269
; %bb.268:
	scratch_load_b64 v[2:3], off, off offset:328
	v_mov_b64_e32 v[118:119], 0
	scratch_store_b64 off, v[118:119], off offset:328
	s_wait_loadcnt 0x0
	ds_store_b64 v1, v[2:3]
.LBB120_269:
	s_wait_xcnt 0x0
	s_or_b32 exec_lo, exec_lo, s0
	s_wait_storecnt_dscnt 0x0
	s_barrier_signal -1
	s_barrier_wait -1
	s_clause 0x5
	scratch_load_b128 v[118:121], off, off offset:328
	scratch_load_b128 v[122:125], off, off offset:344
	;; [unrolled: 1-line block ×6, first 2 shown]
	v_mov_b32_e32 v2, 0
	ds_load_b128 v[142:145], v2 offset:800
	ds_load_b128 v[146:149], v2 offset:816
	s_mov_b32 s0, exec_lo
	s_wait_loadcnt_dscnt 0x501
	v_fma_f64 v[150:151], v[120:121], v[142:143], 0
	s_wait_loadcnt 0x4
	s_delay_alu instid0(VALU_DEP_1) | instskip(SKIP_4) | instid1(VALU_DEP_1)
	v_fmac_f64_e32 v[150:151], v[122:123], v[144:145]
	scratch_load_b128 v[120:123], off, off offset:424
	s_wait_dscnt 0x0
	v_fmac_f64_e32 v[150:151], v[124:125], v[146:147]
	s_wait_loadcnt 0x4
	v_fmac_f64_e32 v[150:151], v[126:127], v[148:149]
	scratch_load_b128 v[124:127], off, off offset:440
	ds_load_b128 v[142:145], v2 offset:832
	ds_load_b128 v[146:149], v2 offset:848
	s_wait_dscnt 0x1
	v_fmac_f64_e32 v[150:151], v[128:129], v[142:143]
	s_wait_loadcnt 0x4
	s_delay_alu instid0(VALU_DEP_1) | instskip(SKIP_1) | instid1(VALU_DEP_1)
	v_fmac_f64_e32 v[150:151], v[130:131], v[144:145]
	s_wait_dscnt 0x0
	v_fmac_f64_e32 v[150:151], v[132:133], v[146:147]
	s_wait_loadcnt 0x3
	s_delay_alu instid0(VALU_DEP_1)
	v_fmac_f64_e32 v[150:151], v[134:135], v[148:149]
	ds_load_b128 v[128:131], v2 offset:864
	ds_load_b128 v[132:135], v2 offset:880
	s_wait_dscnt 0x1
	v_fmac_f64_e32 v[150:151], v[136:137], v[128:129]
	s_wait_loadcnt 0x2
	s_delay_alu instid0(VALU_DEP_1) | instskip(SKIP_1) | instid1(VALU_DEP_1)
	v_fmac_f64_e32 v[150:151], v[138:139], v[130:131]
	s_wait_dscnt 0x0
	v_fmac_f64_e32 v[150:151], v[140:141], v[132:133]
	s_wait_loadcnt 0x1
	s_delay_alu instid0(VALU_DEP_1)
	v_fmac_f64_e32 v[150:151], v[120:121], v[134:135]
	ds_load_b128 v[128:131], v2 offset:896
	ds_load_b64 v[120:121], v2 offset:912
	s_wait_dscnt 0x1
	v_fmac_f64_e32 v[150:151], v[122:123], v[128:129]
	s_wait_loadcnt 0x0
	s_delay_alu instid0(VALU_DEP_1) | instskip(SKIP_1) | instid1(VALU_DEP_1)
	v_fmac_f64_e32 v[150:151], v[124:125], v[130:131]
	s_wait_dscnt 0x0
	v_fmac_f64_e32 v[150:151], v[126:127], v[120:121]
	s_delay_alu instid0(VALU_DEP_1)
	v_add_f64_e64 v[118:119], v[118:119], -v[150:151]
	scratch_store_b64 off, v[118:119], off offset:328
	s_wait_xcnt 0x0
	v_cmpx_lt_u32_e32 40, v0
	s_cbranch_execz .LBB120_271
; %bb.270:
	scratch_load_b64 v[118:119], off, off offset:320
	v_mov_b64_e32 v[120:121], 0
	scratch_store_b64 off, v[120:121], off offset:320
	s_wait_loadcnt 0x0
	ds_store_b64 v1, v[118:119]
.LBB120_271:
	s_wait_xcnt 0x0
	s_or_b32 exec_lo, exec_lo, s0
	s_wait_storecnt_dscnt 0x0
	s_barrier_signal -1
	s_barrier_wait -1
	s_clause 0x5
	scratch_load_b128 v[118:121], off, off offset:320
	scratch_load_b128 v[122:125], off, off offset:336
	;; [unrolled: 1-line block ×6, first 2 shown]
	ds_load_2addr_b64 v[142:145], v2 offset0:99 offset1:100
	ds_load_2addr_b64 v[146:149], v2 offset0:101 offset1:102
	s_mov_b32 s0, exec_lo
	s_wait_loadcnt_dscnt 0x501
	v_fma_f64 v[150:151], v[120:121], v[142:143], 0
	s_wait_loadcnt 0x4
	s_delay_alu instid0(VALU_DEP_1) | instskip(SKIP_4) | instid1(VALU_DEP_1)
	v_fmac_f64_e32 v[150:151], v[122:123], v[144:145]
	scratch_load_b128 v[120:123], off, off offset:416
	s_wait_dscnt 0x0
	v_fmac_f64_e32 v[150:151], v[124:125], v[146:147]
	s_wait_loadcnt 0x4
	v_fmac_f64_e32 v[150:151], v[126:127], v[148:149]
	scratch_load_b128 v[124:127], off, off offset:432
	ds_load_2addr_b64 v[142:145], v2 offset0:103 offset1:104
	ds_load_2addr_b64 v[146:149], v2 offset0:105 offset1:106
	s_wait_dscnt 0x1
	v_fmac_f64_e32 v[150:151], v[128:129], v[142:143]
	scratch_load_b64 v[142:143], off, off offset:448
	s_wait_loadcnt 0x5
	v_fmac_f64_e32 v[150:151], v[130:131], v[144:145]
	s_wait_dscnt 0x0
	s_delay_alu instid0(VALU_DEP_1) | instskip(SKIP_1) | instid1(VALU_DEP_1)
	v_fmac_f64_e32 v[150:151], v[132:133], v[146:147]
	s_wait_loadcnt 0x4
	v_fmac_f64_e32 v[150:151], v[134:135], v[148:149]
	ds_load_2addr_b64 v[128:131], v2 offset0:107 offset1:108
	ds_load_2addr_b64 v[132:135], v2 offset0:109 offset1:110
	s_wait_dscnt 0x1
	v_fmac_f64_e32 v[150:151], v[136:137], v[128:129]
	s_wait_loadcnt 0x3
	s_delay_alu instid0(VALU_DEP_1) | instskip(SKIP_1) | instid1(VALU_DEP_1)
	v_fmac_f64_e32 v[150:151], v[138:139], v[130:131]
	s_wait_dscnt 0x0
	v_fmac_f64_e32 v[150:151], v[140:141], v[132:133]
	s_wait_loadcnt 0x2
	s_delay_alu instid0(VALU_DEP_1)
	v_fmac_f64_e32 v[150:151], v[120:121], v[134:135]
	ds_load_2addr_b64 v[128:131], v2 offset0:111 offset1:112
	ds_load_2addr_b64 v[132:135], v2 offset0:113 offset1:114
	s_wait_dscnt 0x1
	v_fmac_f64_e32 v[150:151], v[122:123], v[128:129]
	s_wait_loadcnt 0x1
	s_delay_alu instid0(VALU_DEP_1) | instskip(SKIP_1) | instid1(VALU_DEP_1)
	v_fmac_f64_e32 v[150:151], v[124:125], v[130:131]
	s_wait_dscnt 0x0
	v_fmac_f64_e32 v[150:151], v[126:127], v[132:133]
	s_wait_loadcnt 0x0
	s_delay_alu instid0(VALU_DEP_1) | instskip(NEXT) | instid1(VALU_DEP_1)
	v_fmac_f64_e32 v[150:151], v[142:143], v[134:135]
	v_add_f64_e64 v[2:3], v[118:119], -v[150:151]
	scratch_store_b64 off, v[2:3], off offset:320
	s_wait_xcnt 0x0
	v_cmpx_lt_u32_e32 39, v0
	s_cbranch_execz .LBB120_273
; %bb.272:
	scratch_load_b64 v[2:3], off, off offset:312
	v_mov_b64_e32 v[118:119], 0
	scratch_store_b64 off, v[118:119], off offset:312
	s_wait_loadcnt 0x0
	ds_store_b64 v1, v[2:3]
.LBB120_273:
	s_wait_xcnt 0x0
	s_or_b32 exec_lo, exec_lo, s0
	s_wait_storecnt_dscnt 0x0
	s_barrier_signal -1
	s_barrier_wait -1
	s_clause 0x5
	scratch_load_b128 v[118:121], off, off offset:312
	scratch_load_b128 v[122:125], off, off offset:328
	scratch_load_b128 v[126:129], off, off offset:344
	scratch_load_b128 v[130:133], off, off offset:360
	scratch_load_b128 v[134:137], off, off offset:376
	scratch_load_b128 v[138:141], off, off offset:392
	v_mov_b32_e32 v2, 0
	ds_load_b128 v[142:145], v2 offset:784
	ds_load_b128 v[146:149], v2 offset:800
	s_mov_b32 s0, exec_lo
	s_wait_loadcnt_dscnt 0x501
	v_fma_f64 v[150:151], v[120:121], v[142:143], 0
	s_wait_loadcnt 0x4
	s_delay_alu instid0(VALU_DEP_1) | instskip(SKIP_4) | instid1(VALU_DEP_1)
	v_fmac_f64_e32 v[150:151], v[122:123], v[144:145]
	scratch_load_b128 v[120:123], off, off offset:408
	s_wait_dscnt 0x0
	v_fmac_f64_e32 v[150:151], v[124:125], v[146:147]
	s_wait_loadcnt 0x4
	v_fmac_f64_e32 v[150:151], v[126:127], v[148:149]
	scratch_load_b128 v[124:127], off, off offset:424
	ds_load_b128 v[142:145], v2 offset:816
	ds_load_b128 v[146:149], v2 offset:832
	s_wait_dscnt 0x1
	v_fmac_f64_e32 v[150:151], v[128:129], v[142:143]
	s_wait_loadcnt 0x4
	s_delay_alu instid0(VALU_DEP_1) | instskip(SKIP_4) | instid1(VALU_DEP_1)
	v_fmac_f64_e32 v[150:151], v[130:131], v[144:145]
	scratch_load_b128 v[128:131], off, off offset:440
	s_wait_dscnt 0x0
	v_fmac_f64_e32 v[150:151], v[132:133], v[146:147]
	s_wait_loadcnt 0x4
	v_fmac_f64_e32 v[150:151], v[134:135], v[148:149]
	ds_load_b128 v[132:135], v2 offset:848
	ds_load_b128 v[142:145], v2 offset:864
	s_wait_dscnt 0x1
	v_fmac_f64_e32 v[150:151], v[136:137], v[132:133]
	s_wait_loadcnt 0x3
	s_delay_alu instid0(VALU_DEP_1)
	v_fmac_f64_e32 v[150:151], v[138:139], v[134:135]
	ds_load_b128 v[132:135], v2 offset:880
	ds_load_b128 v[136:139], v2 offset:896
	s_wait_dscnt 0x2
	v_fmac_f64_e32 v[150:151], v[140:141], v[142:143]
	s_wait_loadcnt 0x2
	s_delay_alu instid0(VALU_DEP_1) | instskip(SKIP_4) | instid1(VALU_DEP_1)
	v_fmac_f64_e32 v[150:151], v[120:121], v[144:145]
	ds_load_b64 v[120:121], v2 offset:912
	s_wait_dscnt 0x2
	v_fmac_f64_e32 v[150:151], v[122:123], v[132:133]
	s_wait_loadcnt 0x1
	v_fmac_f64_e32 v[150:151], v[124:125], v[134:135]
	s_wait_dscnt 0x1
	s_delay_alu instid0(VALU_DEP_1) | instskip(SKIP_1) | instid1(VALU_DEP_1)
	v_fmac_f64_e32 v[150:151], v[126:127], v[136:137]
	s_wait_loadcnt 0x0
	v_fmac_f64_e32 v[150:151], v[128:129], v[138:139]
	s_wait_dscnt 0x0
	s_delay_alu instid0(VALU_DEP_1) | instskip(NEXT) | instid1(VALU_DEP_1)
	v_fmac_f64_e32 v[150:151], v[130:131], v[120:121]
	v_add_f64_e64 v[118:119], v[118:119], -v[150:151]
	scratch_store_b64 off, v[118:119], off offset:312
	s_wait_xcnt 0x0
	v_cmpx_lt_u32_e32 38, v0
	s_cbranch_execz .LBB120_275
; %bb.274:
	scratch_load_b64 v[118:119], off, off offset:304
	v_mov_b64_e32 v[120:121], 0
	scratch_store_b64 off, v[120:121], off offset:304
	s_wait_loadcnt 0x0
	ds_store_b64 v1, v[118:119]
.LBB120_275:
	s_wait_xcnt 0x0
	s_or_b32 exec_lo, exec_lo, s0
	s_wait_storecnt_dscnt 0x0
	s_barrier_signal -1
	s_barrier_wait -1
	s_clause 0x5
	scratch_load_b128 v[118:121], off, off offset:304
	scratch_load_b128 v[122:125], off, off offset:320
	scratch_load_b128 v[126:129], off, off offset:336
	scratch_load_b128 v[130:133], off, off offset:352
	scratch_load_b128 v[134:137], off, off offset:368
	scratch_load_b128 v[138:141], off, off offset:384
	ds_load_2addr_b64 v[142:145], v2 offset0:97 offset1:98
	ds_load_2addr_b64 v[146:149], v2 offset0:99 offset1:100
	s_mov_b32 s0, exec_lo
	s_wait_loadcnt_dscnt 0x501
	v_fma_f64 v[150:151], v[120:121], v[142:143], 0
	s_wait_loadcnt 0x4
	s_delay_alu instid0(VALU_DEP_1) | instskip(SKIP_4) | instid1(VALU_DEP_1)
	v_fmac_f64_e32 v[150:151], v[122:123], v[144:145]
	scratch_load_b128 v[120:123], off, off offset:400
	s_wait_dscnt 0x0
	v_fmac_f64_e32 v[150:151], v[124:125], v[146:147]
	s_wait_loadcnt 0x4
	v_fmac_f64_e32 v[150:151], v[126:127], v[148:149]
	scratch_load_b128 v[124:127], off, off offset:416
	ds_load_2addr_b64 v[142:145], v2 offset0:101 offset1:102
	ds_load_2addr_b64 v[146:149], v2 offset0:103 offset1:104
	s_wait_dscnt 0x1
	v_fmac_f64_e32 v[150:151], v[128:129], v[142:143]
	s_wait_loadcnt 0x4
	s_delay_alu instid0(VALU_DEP_1)
	v_fmac_f64_e32 v[150:151], v[130:131], v[144:145]
	scratch_load_b128 v[128:131], off, off offset:432
	s_wait_dscnt 0x0
	v_fmac_f64_e32 v[150:151], v[132:133], v[146:147]
	scratch_load_b64 v[146:147], off, off offset:448
	s_wait_loadcnt 0x5
	v_fmac_f64_e32 v[150:151], v[134:135], v[148:149]
	ds_load_2addr_b64 v[132:135], v2 offset0:105 offset1:106
	ds_load_2addr_b64 v[142:145], v2 offset0:107 offset1:108
	s_wait_dscnt 0x1
	v_fmac_f64_e32 v[150:151], v[136:137], v[132:133]
	s_wait_loadcnt 0x4
	s_delay_alu instid0(VALU_DEP_1)
	v_fmac_f64_e32 v[150:151], v[138:139], v[134:135]
	ds_load_2addr_b64 v[132:135], v2 offset0:109 offset1:110
	ds_load_2addr_b64 v[136:139], v2 offset0:111 offset1:112
	s_wait_dscnt 0x2
	v_fmac_f64_e32 v[150:151], v[140:141], v[142:143]
	s_wait_loadcnt 0x3
	s_delay_alu instid0(VALU_DEP_1) | instskip(SKIP_1) | instid1(VALU_DEP_1)
	v_fmac_f64_e32 v[150:151], v[120:121], v[144:145]
	s_wait_dscnt 0x1
	v_fmac_f64_e32 v[150:151], v[122:123], v[132:133]
	ds_load_2addr_b64 v[120:123], v2 offset0:113 offset1:114
	s_wait_loadcnt 0x2
	v_fmac_f64_e32 v[150:151], v[124:125], v[134:135]
	s_wait_dscnt 0x1
	s_delay_alu instid0(VALU_DEP_1) | instskip(SKIP_1) | instid1(VALU_DEP_1)
	v_fmac_f64_e32 v[150:151], v[126:127], v[136:137]
	s_wait_loadcnt 0x1
	v_fmac_f64_e32 v[150:151], v[128:129], v[138:139]
	s_wait_dscnt 0x0
	s_delay_alu instid0(VALU_DEP_1) | instskip(SKIP_1) | instid1(VALU_DEP_1)
	v_fmac_f64_e32 v[150:151], v[130:131], v[120:121]
	s_wait_loadcnt 0x0
	v_fmac_f64_e32 v[150:151], v[146:147], v[122:123]
	s_delay_alu instid0(VALU_DEP_1)
	v_add_f64_e64 v[2:3], v[118:119], -v[150:151]
	scratch_store_b64 off, v[2:3], off offset:304
	s_wait_xcnt 0x0
	v_cmpx_lt_u32_e32 37, v0
	s_cbranch_execz .LBB120_277
; %bb.276:
	scratch_load_b64 v[2:3], off, off offset:296
	v_mov_b64_e32 v[118:119], 0
	scratch_store_b64 off, v[118:119], off offset:296
	s_wait_loadcnt 0x0
	ds_store_b64 v1, v[2:3]
.LBB120_277:
	s_wait_xcnt 0x0
	s_or_b32 exec_lo, exec_lo, s0
	s_wait_storecnt_dscnt 0x0
	s_barrier_signal -1
	s_barrier_wait -1
	s_clause 0x5
	scratch_load_b128 v[118:121], off, off offset:296
	scratch_load_b128 v[122:125], off, off offset:312
	;; [unrolled: 1-line block ×6, first 2 shown]
	v_mov_b32_e32 v2, 0
	ds_load_b128 v[142:145], v2 offset:768
	ds_load_b128 v[146:149], v2 offset:784
	s_mov_b32 s0, exec_lo
	s_wait_loadcnt_dscnt 0x501
	v_fma_f64 v[150:151], v[120:121], v[142:143], 0
	s_wait_loadcnt 0x4
	s_delay_alu instid0(VALU_DEP_1) | instskip(SKIP_4) | instid1(VALU_DEP_1)
	v_fmac_f64_e32 v[150:151], v[122:123], v[144:145]
	scratch_load_b128 v[120:123], off, off offset:392
	s_wait_dscnt 0x0
	v_fmac_f64_e32 v[150:151], v[124:125], v[146:147]
	s_wait_loadcnt 0x4
	v_fmac_f64_e32 v[150:151], v[126:127], v[148:149]
	scratch_load_b128 v[124:127], off, off offset:408
	ds_load_b128 v[142:145], v2 offset:800
	ds_load_b128 v[146:149], v2 offset:816
	s_wait_dscnt 0x1
	v_fmac_f64_e32 v[150:151], v[128:129], v[142:143]
	s_wait_loadcnt 0x4
	s_delay_alu instid0(VALU_DEP_1) | instskip(SKIP_4) | instid1(VALU_DEP_1)
	v_fmac_f64_e32 v[150:151], v[130:131], v[144:145]
	scratch_load_b128 v[128:131], off, off offset:424
	s_wait_dscnt 0x0
	v_fmac_f64_e32 v[150:151], v[132:133], v[146:147]
	s_wait_loadcnt 0x4
	v_fmac_f64_e32 v[150:151], v[134:135], v[148:149]
	scratch_load_b128 v[132:135], off, off offset:440
	ds_load_b128 v[142:145], v2 offset:832
	ds_load_b128 v[146:149], v2 offset:848
	s_wait_dscnt 0x1
	v_fmac_f64_e32 v[150:151], v[136:137], v[142:143]
	s_wait_loadcnt 0x4
	s_delay_alu instid0(VALU_DEP_1) | instskip(SKIP_1) | instid1(VALU_DEP_1)
	v_fmac_f64_e32 v[150:151], v[138:139], v[144:145]
	s_wait_dscnt 0x0
	v_fmac_f64_e32 v[150:151], v[140:141], v[146:147]
	ds_load_b128 v[136:139], v2 offset:864
	ds_load_b128 v[140:143], v2 offset:880
	s_wait_loadcnt 0x3
	v_fmac_f64_e32 v[150:151], v[120:121], v[148:149]
	s_wait_dscnt 0x1
	s_delay_alu instid0(VALU_DEP_1) | instskip(SKIP_1) | instid1(VALU_DEP_1)
	v_fmac_f64_e32 v[150:151], v[122:123], v[136:137]
	s_wait_loadcnt 0x2
	v_fmac_f64_e32 v[150:151], v[124:125], v[138:139]
	ds_load_b128 v[120:123], v2 offset:896
	ds_load_b64 v[124:125], v2 offset:912
	s_wait_dscnt 0x2
	v_fmac_f64_e32 v[150:151], v[126:127], v[140:141]
	s_wait_loadcnt 0x1
	s_delay_alu instid0(VALU_DEP_1) | instskip(SKIP_1) | instid1(VALU_DEP_1)
	v_fmac_f64_e32 v[150:151], v[128:129], v[142:143]
	s_wait_dscnt 0x1
	v_fmac_f64_e32 v[150:151], v[130:131], v[120:121]
	s_wait_loadcnt 0x0
	s_delay_alu instid0(VALU_DEP_1) | instskip(SKIP_1) | instid1(VALU_DEP_1)
	v_fmac_f64_e32 v[150:151], v[132:133], v[122:123]
	s_wait_dscnt 0x0
	v_fmac_f64_e32 v[150:151], v[134:135], v[124:125]
	s_delay_alu instid0(VALU_DEP_1)
	v_add_f64_e64 v[118:119], v[118:119], -v[150:151]
	scratch_store_b64 off, v[118:119], off offset:296
	s_wait_xcnt 0x0
	v_cmpx_lt_u32_e32 36, v0
	s_cbranch_execz .LBB120_279
; %bb.278:
	scratch_load_b64 v[118:119], off, off offset:288
	v_mov_b64_e32 v[120:121], 0
	scratch_store_b64 off, v[120:121], off offset:288
	s_wait_loadcnt 0x0
	ds_store_b64 v1, v[118:119]
.LBB120_279:
	s_wait_xcnt 0x0
	s_or_b32 exec_lo, exec_lo, s0
	s_wait_storecnt_dscnt 0x0
	s_barrier_signal -1
	s_barrier_wait -1
	s_clause 0x5
	scratch_load_b128 v[118:121], off, off offset:288
	scratch_load_b128 v[122:125], off, off offset:304
	;; [unrolled: 1-line block ×6, first 2 shown]
	ds_load_2addr_b64 v[142:145], v2 offset0:95 offset1:96
	ds_load_2addr_b64 v[146:149], v2 offset0:97 offset1:98
	s_mov_b32 s0, exec_lo
	s_wait_loadcnt_dscnt 0x501
	v_fma_f64 v[150:151], v[120:121], v[142:143], 0
	s_wait_loadcnt 0x4
	s_delay_alu instid0(VALU_DEP_1) | instskip(SKIP_4) | instid1(VALU_DEP_1)
	v_fmac_f64_e32 v[150:151], v[122:123], v[144:145]
	scratch_load_b128 v[120:123], off, off offset:384
	s_wait_dscnt 0x0
	v_fmac_f64_e32 v[150:151], v[124:125], v[146:147]
	s_wait_loadcnt 0x4
	v_fmac_f64_e32 v[150:151], v[126:127], v[148:149]
	scratch_load_b128 v[124:127], off, off offset:400
	ds_load_2addr_b64 v[142:145], v2 offset0:99 offset1:100
	ds_load_2addr_b64 v[146:149], v2 offset0:101 offset1:102
	s_wait_dscnt 0x1
	v_fmac_f64_e32 v[150:151], v[128:129], v[142:143]
	s_wait_loadcnt 0x4
	s_delay_alu instid0(VALU_DEP_1) | instskip(SKIP_4) | instid1(VALU_DEP_1)
	v_fmac_f64_e32 v[150:151], v[130:131], v[144:145]
	scratch_load_b128 v[128:131], off, off offset:416
	s_wait_dscnt 0x0
	v_fmac_f64_e32 v[150:151], v[132:133], v[146:147]
	s_wait_loadcnt 0x4
	v_fmac_f64_e32 v[150:151], v[134:135], v[148:149]
	scratch_load_b128 v[132:135], off, off offset:432
	ds_load_2addr_b64 v[142:145], v2 offset0:103 offset1:104
	ds_load_2addr_b64 v[146:149], v2 offset0:105 offset1:106
	s_wait_dscnt 0x1
	v_fmac_f64_e32 v[150:151], v[136:137], v[142:143]
	s_wait_loadcnt 0x4
	s_delay_alu instid0(VALU_DEP_1)
	v_fmac_f64_e32 v[150:151], v[138:139], v[144:145]
	scratch_load_b64 v[144:145], off, off offset:448
	s_wait_dscnt 0x0
	v_fmac_f64_e32 v[150:151], v[140:141], v[146:147]
	ds_load_2addr_b64 v[136:139], v2 offset0:107 offset1:108
	ds_load_2addr_b64 v[140:143], v2 offset0:109 offset1:110
	s_wait_loadcnt 0x4
	v_fmac_f64_e32 v[150:151], v[120:121], v[148:149]
	s_wait_dscnt 0x1
	s_delay_alu instid0(VALU_DEP_1) | instskip(SKIP_1) | instid1(VALU_DEP_1)
	v_fmac_f64_e32 v[150:151], v[122:123], v[136:137]
	s_wait_loadcnt 0x3
	v_fmac_f64_e32 v[150:151], v[124:125], v[138:139]
	s_wait_dscnt 0x0
	s_delay_alu instid0(VALU_DEP_1)
	v_fmac_f64_e32 v[150:151], v[126:127], v[140:141]
	ds_load_2addr_b64 v[120:123], v2 offset0:111 offset1:112
	ds_load_2addr_b64 v[124:127], v2 offset0:113 offset1:114
	s_wait_loadcnt 0x2
	v_fmac_f64_e32 v[150:151], v[128:129], v[142:143]
	s_wait_dscnt 0x1
	s_delay_alu instid0(VALU_DEP_1) | instskip(SKIP_1) | instid1(VALU_DEP_1)
	v_fmac_f64_e32 v[150:151], v[130:131], v[120:121]
	s_wait_loadcnt 0x1
	v_fmac_f64_e32 v[150:151], v[132:133], v[122:123]
	s_wait_dscnt 0x0
	s_delay_alu instid0(VALU_DEP_1) | instskip(SKIP_1) | instid1(VALU_DEP_1)
	v_fmac_f64_e32 v[150:151], v[134:135], v[124:125]
	s_wait_loadcnt 0x0
	v_fmac_f64_e32 v[150:151], v[144:145], v[126:127]
	s_delay_alu instid0(VALU_DEP_1)
	v_add_f64_e64 v[2:3], v[118:119], -v[150:151]
	scratch_store_b64 off, v[2:3], off offset:288
	s_wait_xcnt 0x0
	v_cmpx_lt_u32_e32 35, v0
	s_cbranch_execz .LBB120_281
; %bb.280:
	scratch_load_b64 v[2:3], off, off offset:280
	v_mov_b64_e32 v[118:119], 0
	scratch_store_b64 off, v[118:119], off offset:280
	s_wait_loadcnt 0x0
	ds_store_b64 v1, v[2:3]
.LBB120_281:
	s_wait_xcnt 0x0
	s_or_b32 exec_lo, exec_lo, s0
	s_wait_storecnt_dscnt 0x0
	s_barrier_signal -1
	s_barrier_wait -1
	s_clause 0x5
	scratch_load_b128 v[118:121], off, off offset:280
	scratch_load_b128 v[122:125], off, off offset:296
	;; [unrolled: 1-line block ×6, first 2 shown]
	v_mov_b32_e32 v2, 0
	ds_load_b128 v[142:145], v2 offset:752
	ds_load_b128 v[146:149], v2 offset:768
	s_mov_b32 s0, exec_lo
	s_wait_loadcnt_dscnt 0x501
	v_fma_f64 v[150:151], v[120:121], v[142:143], 0
	s_wait_loadcnt 0x4
	s_delay_alu instid0(VALU_DEP_1) | instskip(SKIP_4) | instid1(VALU_DEP_1)
	v_fmac_f64_e32 v[150:151], v[122:123], v[144:145]
	scratch_load_b128 v[120:123], off, off offset:376
	s_wait_dscnt 0x0
	v_fmac_f64_e32 v[150:151], v[124:125], v[146:147]
	s_wait_loadcnt 0x4
	v_fmac_f64_e32 v[150:151], v[126:127], v[148:149]
	scratch_load_b128 v[124:127], off, off offset:392
	ds_load_b128 v[142:145], v2 offset:784
	ds_load_b128 v[146:149], v2 offset:800
	s_wait_dscnt 0x1
	v_fmac_f64_e32 v[150:151], v[128:129], v[142:143]
	s_wait_loadcnt 0x4
	s_delay_alu instid0(VALU_DEP_1) | instskip(SKIP_4) | instid1(VALU_DEP_1)
	v_fmac_f64_e32 v[150:151], v[130:131], v[144:145]
	scratch_load_b128 v[128:131], off, off offset:408
	s_wait_dscnt 0x0
	v_fmac_f64_e32 v[150:151], v[132:133], v[146:147]
	s_wait_loadcnt 0x4
	v_fmac_f64_e32 v[150:151], v[134:135], v[148:149]
	scratch_load_b128 v[132:135], off, off offset:424
	ds_load_b128 v[142:145], v2 offset:816
	ds_load_b128 v[146:149], v2 offset:832
	s_wait_dscnt 0x1
	v_fmac_f64_e32 v[150:151], v[136:137], v[142:143]
	s_wait_loadcnt 0x4
	s_delay_alu instid0(VALU_DEP_1)
	v_fmac_f64_e32 v[150:151], v[138:139], v[144:145]
	scratch_load_b128 v[136:139], off, off offset:440
	s_wait_dscnt 0x0
	v_fmac_f64_e32 v[150:151], v[140:141], v[146:147]
	ds_load_b128 v[140:143], v2 offset:848
	ds_load_b128 v[144:147], v2 offset:864
	s_wait_loadcnt 0x4
	v_fmac_f64_e32 v[150:151], v[120:121], v[148:149]
	s_wait_dscnt 0x1
	s_delay_alu instid0(VALU_DEP_1) | instskip(SKIP_1) | instid1(VALU_DEP_1)
	v_fmac_f64_e32 v[150:151], v[122:123], v[140:141]
	s_wait_loadcnt 0x3
	v_fmac_f64_e32 v[150:151], v[124:125], v[142:143]
	s_wait_dscnt 0x0
	s_delay_alu instid0(VALU_DEP_1)
	v_fmac_f64_e32 v[150:151], v[126:127], v[144:145]
	ds_load_b128 v[120:123], v2 offset:880
	ds_load_b128 v[124:127], v2 offset:896
	s_wait_loadcnt 0x2
	v_fmac_f64_e32 v[150:151], v[128:129], v[146:147]
	s_wait_dscnt 0x1
	s_delay_alu instid0(VALU_DEP_1) | instskip(SKIP_4) | instid1(VALU_DEP_1)
	v_fmac_f64_e32 v[150:151], v[130:131], v[120:121]
	ds_load_b64 v[120:121], v2 offset:912
	s_wait_loadcnt 0x1
	v_fmac_f64_e32 v[150:151], v[132:133], v[122:123]
	s_wait_dscnt 0x1
	v_fmac_f64_e32 v[150:151], v[134:135], v[124:125]
	s_wait_loadcnt 0x0
	s_delay_alu instid0(VALU_DEP_1) | instskip(SKIP_1) | instid1(VALU_DEP_1)
	v_fmac_f64_e32 v[150:151], v[136:137], v[126:127]
	s_wait_dscnt 0x0
	v_fmac_f64_e32 v[150:151], v[138:139], v[120:121]
	s_delay_alu instid0(VALU_DEP_1)
	v_add_f64_e64 v[118:119], v[118:119], -v[150:151]
	scratch_store_b64 off, v[118:119], off offset:280
	s_wait_xcnt 0x0
	v_cmpx_lt_u32_e32 34, v0
	s_cbranch_execz .LBB120_283
; %bb.282:
	scratch_load_b64 v[118:119], off, off offset:272
	v_mov_b64_e32 v[120:121], 0
	scratch_store_b64 off, v[120:121], off offset:272
	s_wait_loadcnt 0x0
	ds_store_b64 v1, v[118:119]
.LBB120_283:
	s_wait_xcnt 0x0
	s_or_b32 exec_lo, exec_lo, s0
	s_wait_storecnt_dscnt 0x0
	s_barrier_signal -1
	s_barrier_wait -1
	s_clause 0x5
	scratch_load_b128 v[118:121], off, off offset:272
	scratch_load_b128 v[122:125], off, off offset:288
	scratch_load_b128 v[126:129], off, off offset:304
	scratch_load_b128 v[130:133], off, off offset:320
	scratch_load_b128 v[134:137], off, off offset:336
	scratch_load_b128 v[138:141], off, off offset:352
	ds_load_2addr_b64 v[142:145], v2 offset0:93 offset1:94
	ds_load_2addr_b64 v[146:149], v2 offset0:95 offset1:96
	scratch_load_b128 v[150:153], off, off offset:368
	s_mov_b32 s0, exec_lo
	s_wait_loadcnt_dscnt 0x601
	v_fma_f64 v[154:155], v[120:121], v[142:143], 0
	s_wait_loadcnt 0x5
	s_delay_alu instid0(VALU_DEP_1) | instskip(SKIP_4) | instid1(VALU_DEP_1)
	v_fmac_f64_e32 v[154:155], v[122:123], v[144:145]
	scratch_load_b128 v[120:123], off, off offset:384
	s_wait_dscnt 0x0
	v_fmac_f64_e32 v[154:155], v[124:125], v[146:147]
	s_wait_loadcnt 0x5
	v_fmac_f64_e32 v[154:155], v[126:127], v[148:149]
	ds_load_2addr_b64 v[124:127], v2 offset0:97 offset1:98
	ds_load_2addr_b64 v[142:145], v2 offset0:99 offset1:100
	s_wait_dscnt 0x1
	v_fmac_f64_e32 v[154:155], v[128:129], v[124:125]
	s_wait_loadcnt 0x4
	s_delay_alu instid0(VALU_DEP_1)
	v_fmac_f64_e32 v[154:155], v[130:131], v[126:127]
	s_clause 0x1
	scratch_load_b128 v[124:127], off, off offset:400
	scratch_load_b128 v[128:131], off, off offset:416
	s_wait_dscnt 0x0
	v_fmac_f64_e32 v[154:155], v[132:133], v[142:143]
	s_wait_loadcnt 0x5
	s_delay_alu instid0(VALU_DEP_1)
	v_fmac_f64_e32 v[154:155], v[134:135], v[144:145]
	ds_load_2addr_b64 v[132:135], v2 offset0:101 offset1:102
	ds_load_2addr_b64 v[142:145], v2 offset0:103 offset1:104
	s_wait_dscnt 0x1
	v_fmac_f64_e32 v[154:155], v[136:137], v[132:133]
	s_wait_loadcnt 0x4
	s_delay_alu instid0(VALU_DEP_1) | instskip(SKIP_4) | instid1(VALU_DEP_1)
	v_fmac_f64_e32 v[154:155], v[138:139], v[134:135]
	scratch_load_b128 v[132:135], off, off offset:432
	s_wait_dscnt 0x0
	v_fmac_f64_e32 v[154:155], v[140:141], v[142:143]
	s_wait_loadcnt 0x4
	v_fmac_f64_e32 v[154:155], v[150:151], v[144:145]
	scratch_load_b64 v[144:145], off, off offset:448
	ds_load_2addr_b64 v[136:139], v2 offset0:105 offset1:106
	ds_load_2addr_b64 v[140:143], v2 offset0:107 offset1:108
	s_wait_dscnt 0x1
	v_fmac_f64_e32 v[154:155], v[152:153], v[136:137]
	s_wait_loadcnt 0x4
	s_delay_alu instid0(VALU_DEP_1) | instskip(SKIP_1) | instid1(VALU_DEP_1)
	v_fmac_f64_e32 v[154:155], v[120:121], v[138:139]
	s_wait_dscnt 0x0
	v_fmac_f64_e32 v[154:155], v[122:123], v[140:141]
	ds_load_2addr_b64 v[120:123], v2 offset0:109 offset1:110
	ds_load_2addr_b64 v[136:139], v2 offset0:111 offset1:112
	s_wait_loadcnt 0x3
	v_fmac_f64_e32 v[154:155], v[124:125], v[142:143]
	s_wait_dscnt 0x1
	s_delay_alu instid0(VALU_DEP_1) | instskip(SKIP_1) | instid1(VALU_DEP_1)
	v_fmac_f64_e32 v[154:155], v[126:127], v[120:121]
	s_wait_loadcnt 0x2
	v_fmac_f64_e32 v[154:155], v[128:129], v[122:123]
	ds_load_2addr_b64 v[120:123], v2 offset0:113 offset1:114
	s_wait_dscnt 0x1
	v_fmac_f64_e32 v[154:155], v[130:131], v[136:137]
	s_wait_loadcnt 0x1
	s_delay_alu instid0(VALU_DEP_1) | instskip(SKIP_1) | instid1(VALU_DEP_1)
	v_fmac_f64_e32 v[154:155], v[132:133], v[138:139]
	s_wait_dscnt 0x0
	v_fmac_f64_e32 v[154:155], v[134:135], v[120:121]
	s_wait_loadcnt 0x0
	s_delay_alu instid0(VALU_DEP_1) | instskip(NEXT) | instid1(VALU_DEP_1)
	v_fmac_f64_e32 v[154:155], v[144:145], v[122:123]
	v_add_f64_e64 v[2:3], v[118:119], -v[154:155]
	scratch_store_b64 off, v[2:3], off offset:272
	s_wait_xcnt 0x0
	v_cmpx_lt_u32_e32 33, v0
	s_cbranch_execz .LBB120_285
; %bb.284:
	scratch_load_b64 v[2:3], off, off offset:264
	v_mov_b64_e32 v[118:119], 0
	scratch_store_b64 off, v[118:119], off offset:264
	s_wait_loadcnt 0x0
	ds_store_b64 v1, v[2:3]
.LBB120_285:
	s_wait_xcnt 0x0
	s_or_b32 exec_lo, exec_lo, s0
	s_wait_storecnt_dscnt 0x0
	s_barrier_signal -1
	s_barrier_wait -1
	s_clause 0x5
	scratch_load_b128 v[118:121], off, off offset:264
	scratch_load_b128 v[122:125], off, off offset:280
	;; [unrolled: 1-line block ×6, first 2 shown]
	v_mov_b32_e32 v2, 0
	ds_load_b128 v[142:145], v2 offset:736
	ds_load_b128 v[146:149], v2 offset:752
	scratch_load_b128 v[150:153], off, off offset:360
	s_mov_b32 s0, exec_lo
	s_wait_loadcnt_dscnt 0x601
	v_fma_f64 v[154:155], v[120:121], v[142:143], 0
	s_wait_loadcnt 0x5
	s_delay_alu instid0(VALU_DEP_1) | instskip(SKIP_4) | instid1(VALU_DEP_1)
	v_fmac_f64_e32 v[154:155], v[122:123], v[144:145]
	scratch_load_b128 v[120:123], off, off offset:376
	s_wait_dscnt 0x0
	v_fmac_f64_e32 v[154:155], v[124:125], v[146:147]
	s_wait_loadcnt 0x5
	v_fmac_f64_e32 v[154:155], v[126:127], v[148:149]
	ds_load_b128 v[124:127], v2 offset:768
	ds_load_b128 v[142:145], v2 offset:784
	s_wait_dscnt 0x1
	v_fmac_f64_e32 v[154:155], v[128:129], v[124:125]
	s_wait_loadcnt 0x4
	s_delay_alu instid0(VALU_DEP_1)
	v_fmac_f64_e32 v[154:155], v[130:131], v[126:127]
	s_clause 0x1
	scratch_load_b128 v[124:127], off, off offset:392
	scratch_load_b128 v[128:131], off, off offset:408
	s_wait_dscnt 0x0
	v_fmac_f64_e32 v[154:155], v[132:133], v[142:143]
	s_wait_loadcnt 0x5
	s_delay_alu instid0(VALU_DEP_1)
	v_fmac_f64_e32 v[154:155], v[134:135], v[144:145]
	ds_load_b128 v[132:135], v2 offset:800
	ds_load_b128 v[142:145], v2 offset:816
	s_wait_dscnt 0x1
	v_fmac_f64_e32 v[154:155], v[136:137], v[132:133]
	s_wait_loadcnt 0x4
	s_delay_alu instid0(VALU_DEP_1)
	v_fmac_f64_e32 v[154:155], v[138:139], v[134:135]
	s_clause 0x1
	scratch_load_b128 v[132:135], off, off offset:424
	scratch_load_b128 v[136:139], off, off offset:440
	s_wait_dscnt 0x0
	v_fmac_f64_e32 v[154:155], v[140:141], v[142:143]
	s_wait_loadcnt 0x5
	s_delay_alu instid0(VALU_DEP_1)
	v_fmac_f64_e32 v[154:155], v[150:151], v[144:145]
	ds_load_b128 v[140:143], v2 offset:832
	ds_load_b128 v[144:147], v2 offset:848
	s_wait_dscnt 0x1
	v_fmac_f64_e32 v[154:155], v[152:153], v[140:141]
	s_wait_loadcnt 0x4
	s_delay_alu instid0(VALU_DEP_1) | instskip(SKIP_1) | instid1(VALU_DEP_1)
	v_fmac_f64_e32 v[154:155], v[120:121], v[142:143]
	s_wait_dscnt 0x0
	v_fmac_f64_e32 v[154:155], v[122:123], v[144:145]
	ds_load_b128 v[120:123], v2 offset:864
	ds_load_b128 v[140:143], v2 offset:880
	s_wait_loadcnt 0x3
	v_fmac_f64_e32 v[154:155], v[124:125], v[146:147]
	s_wait_dscnt 0x1
	s_delay_alu instid0(VALU_DEP_1) | instskip(SKIP_1) | instid1(VALU_DEP_1)
	v_fmac_f64_e32 v[154:155], v[126:127], v[120:121]
	s_wait_loadcnt 0x2
	v_fmac_f64_e32 v[154:155], v[128:129], v[122:123]
	ds_load_b128 v[120:123], v2 offset:896
	ds_load_b64 v[124:125], v2 offset:912
	s_wait_dscnt 0x2
	v_fmac_f64_e32 v[154:155], v[130:131], v[140:141]
	s_wait_loadcnt 0x1
	s_delay_alu instid0(VALU_DEP_1) | instskip(SKIP_1) | instid1(VALU_DEP_1)
	v_fmac_f64_e32 v[154:155], v[132:133], v[142:143]
	s_wait_dscnt 0x1
	v_fmac_f64_e32 v[154:155], v[134:135], v[120:121]
	s_wait_loadcnt 0x0
	s_delay_alu instid0(VALU_DEP_1) | instskip(SKIP_1) | instid1(VALU_DEP_1)
	v_fmac_f64_e32 v[154:155], v[136:137], v[122:123]
	s_wait_dscnt 0x0
	v_fmac_f64_e32 v[154:155], v[138:139], v[124:125]
	s_delay_alu instid0(VALU_DEP_1)
	v_add_f64_e64 v[118:119], v[118:119], -v[154:155]
	scratch_store_b64 off, v[118:119], off offset:264
	s_wait_xcnt 0x0
	v_cmpx_lt_u32_e32 32, v0
	s_cbranch_execz .LBB120_287
; %bb.286:
	scratch_load_b64 v[118:119], off, off offset:256
	v_mov_b64_e32 v[120:121], 0
	scratch_store_b64 off, v[120:121], off offset:256
	s_wait_loadcnt 0x0
	ds_store_b64 v1, v[118:119]
.LBB120_287:
	s_wait_xcnt 0x0
	s_or_b32 exec_lo, exec_lo, s0
	s_wait_storecnt_dscnt 0x0
	s_barrier_signal -1
	s_barrier_wait -1
	s_clause 0x5
	scratch_load_b128 v[118:121], off, off offset:256
	scratch_load_b128 v[122:125], off, off offset:272
	;; [unrolled: 1-line block ×6, first 2 shown]
	ds_load_2addr_b64 v[142:145], v2 offset0:91 offset1:92
	ds_load_2addr_b64 v[146:149], v2 offset0:93 offset1:94
	scratch_load_b128 v[150:153], off, off offset:352
	s_mov_b32 s0, exec_lo
	s_wait_loadcnt_dscnt 0x601
	v_fma_f64 v[154:155], v[120:121], v[142:143], 0
	s_wait_loadcnt 0x5
	s_delay_alu instid0(VALU_DEP_1) | instskip(SKIP_4) | instid1(VALU_DEP_1)
	v_fmac_f64_e32 v[154:155], v[122:123], v[144:145]
	scratch_load_b128 v[120:123], off, off offset:368
	s_wait_dscnt 0x0
	v_fmac_f64_e32 v[154:155], v[124:125], v[146:147]
	s_wait_loadcnt 0x5
	v_fmac_f64_e32 v[154:155], v[126:127], v[148:149]
	ds_load_2addr_b64 v[124:127], v2 offset0:95 offset1:96
	ds_load_2addr_b64 v[142:145], v2 offset0:97 offset1:98
	s_wait_dscnt 0x1
	v_fmac_f64_e32 v[154:155], v[128:129], v[124:125]
	s_wait_loadcnt 0x4
	s_delay_alu instid0(VALU_DEP_1)
	v_fmac_f64_e32 v[154:155], v[130:131], v[126:127]
	s_clause 0x1
	scratch_load_b128 v[124:127], off, off offset:384
	scratch_load_b128 v[128:131], off, off offset:400
	s_wait_dscnt 0x0
	v_fmac_f64_e32 v[154:155], v[132:133], v[142:143]
	s_wait_loadcnt 0x5
	s_delay_alu instid0(VALU_DEP_1)
	v_fmac_f64_e32 v[154:155], v[134:135], v[144:145]
	ds_load_2addr_b64 v[132:135], v2 offset0:99 offset1:100
	ds_load_2addr_b64 v[142:145], v2 offset0:101 offset1:102
	s_wait_dscnt 0x1
	v_fmac_f64_e32 v[154:155], v[136:137], v[132:133]
	s_wait_loadcnt 0x4
	s_delay_alu instid0(VALU_DEP_1)
	v_fmac_f64_e32 v[154:155], v[138:139], v[134:135]
	s_clause 0x1
	scratch_load_b128 v[132:135], off, off offset:416
	scratch_load_b128 v[136:139], off, off offset:432
	s_wait_dscnt 0x0
	v_fmac_f64_e32 v[154:155], v[140:141], v[142:143]
	s_wait_loadcnt 0x5
	s_delay_alu instid0(VALU_DEP_1)
	v_fmac_f64_e32 v[154:155], v[150:151], v[144:145]
	ds_load_2addr_b64 v[140:143], v2 offset0:103 offset1:104
	ds_load_2addr_b64 v[144:147], v2 offset0:105 offset1:106
	scratch_load_b64 v[148:149], off, off offset:448
	s_wait_dscnt 0x1
	v_fmac_f64_e32 v[154:155], v[152:153], v[140:141]
	s_wait_loadcnt 0x5
	s_delay_alu instid0(VALU_DEP_1) | instskip(SKIP_1) | instid1(VALU_DEP_1)
	v_fmac_f64_e32 v[154:155], v[120:121], v[142:143]
	s_wait_dscnt 0x0
	v_fmac_f64_e32 v[154:155], v[122:123], v[144:145]
	ds_load_2addr_b64 v[120:123], v2 offset0:107 offset1:108
	ds_load_2addr_b64 v[140:143], v2 offset0:109 offset1:110
	s_wait_loadcnt 0x4
	v_fmac_f64_e32 v[154:155], v[124:125], v[146:147]
	s_wait_dscnt 0x1
	s_delay_alu instid0(VALU_DEP_1) | instskip(SKIP_1) | instid1(VALU_DEP_1)
	v_fmac_f64_e32 v[154:155], v[126:127], v[120:121]
	s_wait_loadcnt 0x3
	v_fmac_f64_e32 v[154:155], v[128:129], v[122:123]
	ds_load_2addr_b64 v[120:123], v2 offset0:111 offset1:112
	ds_load_2addr_b64 v[124:127], v2 offset0:113 offset1:114
	s_wait_dscnt 0x2
	v_fmac_f64_e32 v[154:155], v[130:131], v[140:141]
	s_wait_loadcnt 0x2
	s_delay_alu instid0(VALU_DEP_1) | instskip(SKIP_1) | instid1(VALU_DEP_1)
	v_fmac_f64_e32 v[154:155], v[132:133], v[142:143]
	s_wait_dscnt 0x1
	v_fmac_f64_e32 v[154:155], v[134:135], v[120:121]
	s_wait_loadcnt 0x1
	s_delay_alu instid0(VALU_DEP_1) | instskip(SKIP_1) | instid1(VALU_DEP_1)
	v_fmac_f64_e32 v[154:155], v[136:137], v[122:123]
	s_wait_dscnt 0x0
	v_fmac_f64_e32 v[154:155], v[138:139], v[124:125]
	s_wait_loadcnt 0x0
	s_delay_alu instid0(VALU_DEP_1) | instskip(NEXT) | instid1(VALU_DEP_1)
	v_fmac_f64_e32 v[154:155], v[148:149], v[126:127]
	v_add_f64_e64 v[2:3], v[118:119], -v[154:155]
	scratch_store_b64 off, v[2:3], off offset:256
	s_wait_xcnt 0x0
	v_cmpx_lt_u32_e32 31, v0
	s_cbranch_execz .LBB120_289
; %bb.288:
	scratch_load_b64 v[2:3], off, off offset:248
	v_mov_b64_e32 v[118:119], 0
	scratch_store_b64 off, v[118:119], off offset:248
	s_wait_loadcnt 0x0
	ds_store_b64 v1, v[2:3]
.LBB120_289:
	s_wait_xcnt 0x0
	s_or_b32 exec_lo, exec_lo, s0
	s_wait_storecnt_dscnt 0x0
	s_barrier_signal -1
	s_barrier_wait -1
	s_clause 0x5
	scratch_load_b128 v[118:121], off, off offset:248
	scratch_load_b128 v[122:125], off, off offset:264
	;; [unrolled: 1-line block ×6, first 2 shown]
	v_mov_b32_e32 v2, 0
	ds_load_b128 v[142:145], v2 offset:720
	ds_load_b128 v[146:149], v2 offset:736
	scratch_load_b128 v[150:153], off, off offset:344
	s_mov_b32 s0, exec_lo
	s_wait_loadcnt_dscnt 0x601
	v_fma_f64 v[154:155], v[120:121], v[142:143], 0
	s_wait_loadcnt 0x5
	s_delay_alu instid0(VALU_DEP_1) | instskip(SKIP_4) | instid1(VALU_DEP_1)
	v_fmac_f64_e32 v[154:155], v[122:123], v[144:145]
	scratch_load_b128 v[120:123], off, off offset:360
	s_wait_dscnt 0x0
	v_fmac_f64_e32 v[154:155], v[124:125], v[146:147]
	s_wait_loadcnt 0x5
	v_fmac_f64_e32 v[154:155], v[126:127], v[148:149]
	ds_load_b128 v[124:127], v2 offset:752
	ds_load_b128 v[142:145], v2 offset:768
	s_wait_dscnt 0x1
	v_fmac_f64_e32 v[154:155], v[128:129], v[124:125]
	s_wait_loadcnt 0x4
	s_delay_alu instid0(VALU_DEP_1)
	v_fmac_f64_e32 v[154:155], v[130:131], v[126:127]
	s_clause 0x1
	scratch_load_b128 v[124:127], off, off offset:376
	scratch_load_b128 v[128:131], off, off offset:392
	s_wait_dscnt 0x0
	v_fmac_f64_e32 v[154:155], v[132:133], v[142:143]
	s_wait_loadcnt 0x5
	s_delay_alu instid0(VALU_DEP_1)
	v_fmac_f64_e32 v[154:155], v[134:135], v[144:145]
	ds_load_b128 v[132:135], v2 offset:784
	ds_load_b128 v[142:145], v2 offset:800
	s_wait_dscnt 0x1
	v_fmac_f64_e32 v[154:155], v[136:137], v[132:133]
	s_wait_loadcnt 0x4
	s_delay_alu instid0(VALU_DEP_1)
	v_fmac_f64_e32 v[154:155], v[138:139], v[134:135]
	s_clause 0x1
	scratch_load_b128 v[132:135], off, off offset:408
	scratch_load_b128 v[136:139], off, off offset:424
	s_wait_dscnt 0x0
	v_fmac_f64_e32 v[154:155], v[140:141], v[142:143]
	s_wait_loadcnt 0x5
	s_delay_alu instid0(VALU_DEP_1)
	v_fmac_f64_e32 v[154:155], v[150:151], v[144:145]
	ds_load_b128 v[140:143], v2 offset:816
	ds_load_b128 v[144:147], v2 offset:832
	s_wait_dscnt 0x1
	v_fmac_f64_e32 v[154:155], v[152:153], v[140:141]
	s_wait_loadcnt 0x4
	s_delay_alu instid0(VALU_DEP_1) | instskip(SKIP_4) | instid1(VALU_DEP_1)
	v_fmac_f64_e32 v[154:155], v[120:121], v[142:143]
	scratch_load_b128 v[140:143], off, off offset:440
	s_wait_dscnt 0x0
	v_fmac_f64_e32 v[154:155], v[122:123], v[144:145]
	s_wait_loadcnt 0x4
	v_fmac_f64_e32 v[154:155], v[124:125], v[146:147]
	ds_load_b128 v[120:123], v2 offset:848
	ds_load_b128 v[144:147], v2 offset:864
	s_wait_dscnt 0x1
	v_fmac_f64_e32 v[154:155], v[126:127], v[120:121]
	s_wait_loadcnt 0x3
	s_delay_alu instid0(VALU_DEP_1)
	v_fmac_f64_e32 v[154:155], v[128:129], v[122:123]
	ds_load_b128 v[120:123], v2 offset:880
	ds_load_b128 v[124:127], v2 offset:896
	s_wait_dscnt 0x2
	v_fmac_f64_e32 v[154:155], v[130:131], v[144:145]
	s_wait_loadcnt 0x2
	s_delay_alu instid0(VALU_DEP_1) | instskip(SKIP_1) | instid1(VALU_DEP_1)
	v_fmac_f64_e32 v[154:155], v[132:133], v[146:147]
	s_wait_dscnt 0x1
	v_fmac_f64_e32 v[154:155], v[134:135], v[120:121]
	ds_load_b64 v[120:121], v2 offset:912
	s_wait_loadcnt 0x1
	v_fmac_f64_e32 v[154:155], v[136:137], v[122:123]
	s_wait_dscnt 0x1
	s_delay_alu instid0(VALU_DEP_1) | instskip(SKIP_1) | instid1(VALU_DEP_1)
	v_fmac_f64_e32 v[154:155], v[138:139], v[124:125]
	s_wait_loadcnt 0x0
	v_fmac_f64_e32 v[154:155], v[140:141], v[126:127]
	s_wait_dscnt 0x0
	s_delay_alu instid0(VALU_DEP_1) | instskip(NEXT) | instid1(VALU_DEP_1)
	v_fmac_f64_e32 v[154:155], v[142:143], v[120:121]
	v_add_f64_e64 v[118:119], v[118:119], -v[154:155]
	scratch_store_b64 off, v[118:119], off offset:248
	s_wait_xcnt 0x0
	v_cmpx_lt_u32_e32 30, v0
	s_cbranch_execz .LBB120_291
; %bb.290:
	scratch_load_b64 v[118:119], off, off offset:240
	v_mov_b64_e32 v[120:121], 0
	scratch_store_b64 off, v[120:121], off offset:240
	s_wait_loadcnt 0x0
	ds_store_b64 v1, v[118:119]
.LBB120_291:
	s_wait_xcnt 0x0
	s_or_b32 exec_lo, exec_lo, s0
	s_wait_storecnt_dscnt 0x0
	s_barrier_signal -1
	s_barrier_wait -1
	s_clause 0x5
	scratch_load_b128 v[118:121], off, off offset:240
	scratch_load_b128 v[122:125], off, off offset:256
	;; [unrolled: 1-line block ×6, first 2 shown]
	ds_load_2addr_b64 v[142:145], v2 offset0:89 offset1:90
	ds_load_2addr_b64 v[146:149], v2 offset0:91 offset1:92
	scratch_load_b128 v[150:153], off, off offset:336
	s_mov_b32 s0, exec_lo
	s_wait_loadcnt_dscnt 0x601
	v_fma_f64 v[154:155], v[120:121], v[142:143], 0
	s_wait_loadcnt 0x5
	s_delay_alu instid0(VALU_DEP_1) | instskip(SKIP_4) | instid1(VALU_DEP_1)
	v_fmac_f64_e32 v[154:155], v[122:123], v[144:145]
	scratch_load_b128 v[120:123], off, off offset:352
	s_wait_dscnt 0x0
	v_fmac_f64_e32 v[154:155], v[124:125], v[146:147]
	s_wait_loadcnt 0x5
	v_fmac_f64_e32 v[154:155], v[126:127], v[148:149]
	ds_load_2addr_b64 v[124:127], v2 offset0:93 offset1:94
	ds_load_2addr_b64 v[142:145], v2 offset0:95 offset1:96
	scratch_load_b128 v[146:149], off, off offset:368
	s_wait_dscnt 0x1
	v_fmac_f64_e32 v[154:155], v[128:129], v[124:125]
	s_wait_loadcnt 0x5
	s_delay_alu instid0(VALU_DEP_1) | instskip(SKIP_4) | instid1(VALU_DEP_1)
	v_fmac_f64_e32 v[154:155], v[130:131], v[126:127]
	scratch_load_b128 v[124:127], off, off offset:384
	s_wait_dscnt 0x0
	v_fmac_f64_e32 v[154:155], v[132:133], v[142:143]
	s_wait_loadcnt 0x5
	v_fmac_f64_e32 v[154:155], v[134:135], v[144:145]
	ds_load_2addr_b64 v[128:131], v2 offset0:97 offset1:98
	ds_load_2addr_b64 v[132:135], v2 offset0:99 offset1:100
	s_wait_dscnt 0x1
	v_fmac_f64_e32 v[154:155], v[136:137], v[128:129]
	s_wait_loadcnt 0x4
	s_delay_alu instid0(VALU_DEP_1) | instskip(SKIP_4) | instid1(VALU_DEP_1)
	v_fmac_f64_e32 v[154:155], v[138:139], v[130:131]
	scratch_load_b128 v[128:131], off, off offset:400
	s_wait_dscnt 0x0
	v_fmac_f64_e32 v[154:155], v[140:141], v[132:133]
	s_wait_loadcnt 0x4
	v_fmac_f64_e32 v[154:155], v[150:151], v[134:135]
	scratch_load_b128 v[132:135], off, off offset:416
	ds_load_2addr_b64 v[136:139], v2 offset0:101 offset1:102
	ds_load_2addr_b64 v[140:143], v2 offset0:103 offset1:104
	scratch_load_b64 v[144:145], off, off offset:448
	s_wait_dscnt 0x1
	v_fmac_f64_e32 v[154:155], v[152:153], v[136:137]
	s_wait_loadcnt 0x5
	s_delay_alu instid0(VALU_DEP_1) | instskip(SKIP_4) | instid1(VALU_DEP_1)
	v_fmac_f64_e32 v[154:155], v[120:121], v[138:139]
	scratch_load_b128 v[136:139], off, off offset:432
	s_wait_dscnt 0x0
	v_fmac_f64_e32 v[154:155], v[122:123], v[140:141]
	s_wait_loadcnt 0x5
	v_fmac_f64_e32 v[154:155], v[146:147], v[142:143]
	ds_load_2addr_b64 v[120:123], v2 offset0:105 offset1:106
	ds_load_2addr_b64 v[140:143], v2 offset0:107 offset1:108
	s_wait_dscnt 0x1
	v_fmac_f64_e32 v[154:155], v[148:149], v[120:121]
	s_wait_loadcnt 0x4
	s_delay_alu instid0(VALU_DEP_1) | instskip(SKIP_1) | instid1(VALU_DEP_1)
	v_fmac_f64_e32 v[154:155], v[124:125], v[122:123]
	s_wait_dscnt 0x0
	v_fmac_f64_e32 v[154:155], v[126:127], v[140:141]
	ds_load_2addr_b64 v[120:123], v2 offset0:109 offset1:110
	ds_load_2addr_b64 v[124:127], v2 offset0:111 offset1:112
	s_wait_loadcnt 0x3
	v_fmac_f64_e32 v[154:155], v[128:129], v[142:143]
	s_wait_dscnt 0x1
	s_delay_alu instid0(VALU_DEP_1) | instskip(SKIP_1) | instid1(VALU_DEP_1)
	v_fmac_f64_e32 v[154:155], v[130:131], v[120:121]
	s_wait_loadcnt 0x2
	v_fmac_f64_e32 v[154:155], v[132:133], v[122:123]
	ds_load_2addr_b64 v[120:123], v2 offset0:113 offset1:114
	s_wait_dscnt 0x1
	v_fmac_f64_e32 v[154:155], v[134:135], v[124:125]
	s_wait_loadcnt 0x0
	s_delay_alu instid0(VALU_DEP_1) | instskip(SKIP_1) | instid1(VALU_DEP_1)
	v_fmac_f64_e32 v[154:155], v[136:137], v[126:127]
	s_wait_dscnt 0x0
	v_fmac_f64_e32 v[154:155], v[138:139], v[120:121]
	s_delay_alu instid0(VALU_DEP_1) | instskip(NEXT) | instid1(VALU_DEP_1)
	v_fmac_f64_e32 v[154:155], v[144:145], v[122:123]
	v_add_f64_e64 v[2:3], v[118:119], -v[154:155]
	scratch_store_b64 off, v[2:3], off offset:240
	s_wait_xcnt 0x0
	v_cmpx_lt_u32_e32 29, v0
	s_cbranch_execz .LBB120_293
; %bb.292:
	scratch_load_b64 v[2:3], off, off offset:232
	v_mov_b64_e32 v[118:119], 0
	scratch_store_b64 off, v[118:119], off offset:232
	s_wait_loadcnt 0x0
	ds_store_b64 v1, v[2:3]
.LBB120_293:
	s_wait_xcnt 0x0
	s_or_b32 exec_lo, exec_lo, s0
	s_wait_storecnt_dscnt 0x0
	s_barrier_signal -1
	s_barrier_wait -1
	s_clause 0x5
	scratch_load_b128 v[118:121], off, off offset:232
	scratch_load_b128 v[122:125], off, off offset:248
	;; [unrolled: 1-line block ×6, first 2 shown]
	v_mov_b32_e32 v2, 0
	ds_load_b128 v[142:145], v2 offset:704
	ds_load_b128 v[146:149], v2 offset:720
	scratch_load_b128 v[150:153], off, off offset:328
	s_mov_b32 s0, exec_lo
	s_wait_loadcnt_dscnt 0x601
	v_fma_f64 v[154:155], v[120:121], v[142:143], 0
	s_wait_loadcnt 0x5
	s_delay_alu instid0(VALU_DEP_1) | instskip(SKIP_4) | instid1(VALU_DEP_1)
	v_fmac_f64_e32 v[154:155], v[122:123], v[144:145]
	scratch_load_b128 v[120:123], off, off offset:344
	s_wait_dscnt 0x0
	v_fmac_f64_e32 v[154:155], v[124:125], v[146:147]
	s_wait_loadcnt 0x5
	v_fmac_f64_e32 v[154:155], v[126:127], v[148:149]
	ds_load_b128 v[124:127], v2 offset:736
	ds_load_b128 v[142:145], v2 offset:752
	scratch_load_b128 v[146:149], off, off offset:360
	s_wait_dscnt 0x1
	v_fmac_f64_e32 v[154:155], v[128:129], v[124:125]
	s_wait_loadcnt 0x5
	s_delay_alu instid0(VALU_DEP_1) | instskip(SKIP_4) | instid1(VALU_DEP_1)
	v_fmac_f64_e32 v[154:155], v[130:131], v[126:127]
	scratch_load_b128 v[124:127], off, off offset:376
	s_wait_dscnt 0x0
	v_fmac_f64_e32 v[154:155], v[132:133], v[142:143]
	s_wait_loadcnt 0x5
	v_fmac_f64_e32 v[154:155], v[134:135], v[144:145]
	ds_load_b128 v[128:131], v2 offset:768
	ds_load_b128 v[132:135], v2 offset:784
	s_wait_dscnt 0x1
	v_fmac_f64_e32 v[154:155], v[136:137], v[128:129]
	s_wait_loadcnt 0x4
	s_delay_alu instid0(VALU_DEP_1) | instskip(SKIP_4) | instid1(VALU_DEP_1)
	v_fmac_f64_e32 v[154:155], v[138:139], v[130:131]
	scratch_load_b128 v[128:131], off, off offset:392
	s_wait_dscnt 0x0
	v_fmac_f64_e32 v[154:155], v[140:141], v[132:133]
	s_wait_loadcnt 0x4
	v_fmac_f64_e32 v[154:155], v[150:151], v[134:135]
	scratch_load_b128 v[132:135], off, off offset:408
	ds_load_b128 v[136:139], v2 offset:800
	ds_load_b128 v[140:143], v2 offset:816
	s_wait_dscnt 0x1
	v_fmac_f64_e32 v[154:155], v[152:153], v[136:137]
	s_wait_loadcnt 0x4
	s_delay_alu instid0(VALU_DEP_1)
	v_fmac_f64_e32 v[154:155], v[120:121], v[138:139]
	scratch_load_b128 v[136:139], off, off offset:424
	s_wait_dscnt 0x0
	v_fmac_f64_e32 v[154:155], v[122:123], v[140:141]
	scratch_load_b128 v[120:123], off, off offset:440
	s_wait_loadcnt 0x5
	v_fmac_f64_e32 v[154:155], v[146:147], v[142:143]
	ds_load_b128 v[140:143], v2 offset:832
	ds_load_b128 v[144:147], v2 offset:848
	s_wait_dscnt 0x1
	v_fmac_f64_e32 v[154:155], v[148:149], v[140:141]
	s_wait_loadcnt 0x4
	s_delay_alu instid0(VALU_DEP_1) | instskip(SKIP_1) | instid1(VALU_DEP_1)
	v_fmac_f64_e32 v[154:155], v[124:125], v[142:143]
	s_wait_dscnt 0x0
	v_fmac_f64_e32 v[154:155], v[126:127], v[144:145]
	ds_load_b128 v[124:127], v2 offset:864
	ds_load_b128 v[140:143], v2 offset:880
	s_wait_loadcnt 0x3
	v_fmac_f64_e32 v[154:155], v[128:129], v[146:147]
	s_wait_dscnt 0x1
	s_delay_alu instid0(VALU_DEP_1) | instskip(SKIP_1) | instid1(VALU_DEP_1)
	v_fmac_f64_e32 v[154:155], v[130:131], v[124:125]
	s_wait_loadcnt 0x2
	v_fmac_f64_e32 v[154:155], v[132:133], v[126:127]
	ds_load_b128 v[124:127], v2 offset:896
	ds_load_b64 v[128:129], v2 offset:912
	s_wait_dscnt 0x2
	v_fmac_f64_e32 v[154:155], v[134:135], v[140:141]
	s_wait_loadcnt 0x1
	s_delay_alu instid0(VALU_DEP_1) | instskip(SKIP_1) | instid1(VALU_DEP_1)
	v_fmac_f64_e32 v[154:155], v[136:137], v[142:143]
	s_wait_dscnt 0x1
	v_fmac_f64_e32 v[154:155], v[138:139], v[124:125]
	s_wait_loadcnt 0x0
	s_delay_alu instid0(VALU_DEP_1) | instskip(SKIP_1) | instid1(VALU_DEP_1)
	v_fmac_f64_e32 v[154:155], v[120:121], v[126:127]
	s_wait_dscnt 0x0
	v_fmac_f64_e32 v[154:155], v[122:123], v[128:129]
	s_delay_alu instid0(VALU_DEP_1)
	v_add_f64_e64 v[118:119], v[118:119], -v[154:155]
	scratch_store_b64 off, v[118:119], off offset:232
	s_wait_xcnt 0x0
	v_cmpx_lt_u32_e32 28, v0
	s_cbranch_execz .LBB120_295
; %bb.294:
	scratch_load_b64 v[118:119], off, off offset:224
	v_mov_b64_e32 v[120:121], 0
	scratch_store_b64 off, v[120:121], off offset:224
	s_wait_loadcnt 0x0
	ds_store_b64 v1, v[118:119]
.LBB120_295:
	s_wait_xcnt 0x0
	s_or_b32 exec_lo, exec_lo, s0
	s_wait_storecnt_dscnt 0x0
	s_barrier_signal -1
	s_barrier_wait -1
	s_clause 0x5
	scratch_load_b128 v[118:121], off, off offset:224
	scratch_load_b128 v[122:125], off, off offset:240
	scratch_load_b128 v[126:129], off, off offset:256
	scratch_load_b128 v[130:133], off, off offset:272
	scratch_load_b128 v[134:137], off, off offset:288
	scratch_load_b128 v[138:141], off, off offset:304
	ds_load_2addr_b64 v[142:145], v2 offset0:87 offset1:88
	ds_load_2addr_b64 v[146:149], v2 offset0:89 offset1:90
	scratch_load_b128 v[150:153], off, off offset:320
	s_mov_b32 s0, exec_lo
	s_wait_loadcnt_dscnt 0x601
	v_fma_f64 v[154:155], v[120:121], v[142:143], 0
	s_wait_loadcnt 0x5
	s_delay_alu instid0(VALU_DEP_1) | instskip(SKIP_4) | instid1(VALU_DEP_1)
	v_fmac_f64_e32 v[154:155], v[122:123], v[144:145]
	scratch_load_b128 v[120:123], off, off offset:336
	s_wait_dscnt 0x0
	v_fmac_f64_e32 v[154:155], v[124:125], v[146:147]
	s_wait_loadcnt 0x5
	v_fmac_f64_e32 v[154:155], v[126:127], v[148:149]
	ds_load_2addr_b64 v[124:127], v2 offset0:91 offset1:92
	ds_load_2addr_b64 v[142:145], v2 offset0:93 offset1:94
	scratch_load_b128 v[146:149], off, off offset:352
	s_wait_dscnt 0x1
	v_fmac_f64_e32 v[154:155], v[128:129], v[124:125]
	s_wait_loadcnt 0x5
	s_delay_alu instid0(VALU_DEP_1) | instskip(SKIP_4) | instid1(VALU_DEP_1)
	v_fmac_f64_e32 v[154:155], v[130:131], v[126:127]
	scratch_load_b128 v[124:127], off, off offset:368
	s_wait_dscnt 0x0
	v_fmac_f64_e32 v[154:155], v[132:133], v[142:143]
	s_wait_loadcnt 0x5
	v_fmac_f64_e32 v[154:155], v[134:135], v[144:145]
	ds_load_2addr_b64 v[128:131], v2 offset0:95 offset1:96
	ds_load_2addr_b64 v[132:135], v2 offset0:97 offset1:98
	s_wait_dscnt 0x1
	v_fmac_f64_e32 v[154:155], v[136:137], v[128:129]
	s_wait_loadcnt 0x4
	s_delay_alu instid0(VALU_DEP_1) | instskip(SKIP_4) | instid1(VALU_DEP_1)
	v_fmac_f64_e32 v[154:155], v[138:139], v[130:131]
	scratch_load_b128 v[128:131], off, off offset:384
	s_wait_dscnt 0x0
	v_fmac_f64_e32 v[154:155], v[140:141], v[132:133]
	s_wait_loadcnt 0x4
	v_fmac_f64_e32 v[154:155], v[150:151], v[134:135]
	scratch_load_b128 v[132:135], off, off offset:400
	ds_load_2addr_b64 v[136:139], v2 offset0:99 offset1:100
	ds_load_2addr_b64 v[140:143], v2 offset0:101 offset1:102
	s_wait_dscnt 0x1
	v_fmac_f64_e32 v[154:155], v[152:153], v[136:137]
	s_wait_loadcnt 0x4
	s_delay_alu instid0(VALU_DEP_1)
	v_fmac_f64_e32 v[154:155], v[120:121], v[138:139]
	scratch_load_b128 v[136:139], off, off offset:416
	s_wait_dscnt 0x0
	v_fmac_f64_e32 v[154:155], v[122:123], v[140:141]
	scratch_load_b128 v[120:123], off, off offset:432
	s_wait_loadcnt 0x5
	v_fmac_f64_e32 v[154:155], v[146:147], v[142:143]
	ds_load_2addr_b64 v[140:143], v2 offset0:103 offset1:104
	ds_load_2addr_b64 v[144:147], v2 offset0:105 offset1:106
	s_wait_dscnt 0x1
	v_fmac_f64_e32 v[154:155], v[148:149], v[140:141]
	scratch_load_b64 v[148:149], off, off offset:448
	s_wait_loadcnt 0x5
	v_fmac_f64_e32 v[154:155], v[124:125], v[142:143]
	s_wait_dscnt 0x0
	s_delay_alu instid0(VALU_DEP_1)
	v_fmac_f64_e32 v[154:155], v[126:127], v[144:145]
	ds_load_2addr_b64 v[124:127], v2 offset0:107 offset1:108
	ds_load_2addr_b64 v[140:143], v2 offset0:109 offset1:110
	s_wait_loadcnt 0x4
	v_fmac_f64_e32 v[154:155], v[128:129], v[146:147]
	s_wait_dscnt 0x1
	s_delay_alu instid0(VALU_DEP_1) | instskip(SKIP_1) | instid1(VALU_DEP_1)
	v_fmac_f64_e32 v[154:155], v[130:131], v[124:125]
	s_wait_loadcnt 0x3
	v_fmac_f64_e32 v[154:155], v[132:133], v[126:127]
	ds_load_2addr_b64 v[124:127], v2 offset0:111 offset1:112
	ds_load_2addr_b64 v[128:131], v2 offset0:113 offset1:114
	s_wait_dscnt 0x2
	v_fmac_f64_e32 v[154:155], v[134:135], v[140:141]
	s_wait_loadcnt 0x2
	s_delay_alu instid0(VALU_DEP_1) | instskip(SKIP_1) | instid1(VALU_DEP_1)
	v_fmac_f64_e32 v[154:155], v[136:137], v[142:143]
	s_wait_dscnt 0x1
	v_fmac_f64_e32 v[154:155], v[138:139], v[124:125]
	s_wait_loadcnt 0x1
	s_delay_alu instid0(VALU_DEP_1) | instskip(SKIP_1) | instid1(VALU_DEP_1)
	v_fmac_f64_e32 v[154:155], v[120:121], v[126:127]
	s_wait_dscnt 0x0
	v_fmac_f64_e32 v[154:155], v[122:123], v[128:129]
	s_wait_loadcnt 0x0
	s_delay_alu instid0(VALU_DEP_1) | instskip(NEXT) | instid1(VALU_DEP_1)
	v_fmac_f64_e32 v[154:155], v[148:149], v[130:131]
	v_add_f64_e64 v[2:3], v[118:119], -v[154:155]
	scratch_store_b64 off, v[2:3], off offset:224
	s_wait_xcnt 0x0
	v_cmpx_lt_u32_e32 27, v0
	s_cbranch_execz .LBB120_297
; %bb.296:
	scratch_load_b64 v[2:3], off, off offset:216
	v_mov_b64_e32 v[118:119], 0
	scratch_store_b64 off, v[118:119], off offset:216
	s_wait_loadcnt 0x0
	ds_store_b64 v1, v[2:3]
.LBB120_297:
	s_wait_xcnt 0x0
	s_or_b32 exec_lo, exec_lo, s0
	s_wait_storecnt_dscnt 0x0
	s_barrier_signal -1
	s_barrier_wait -1
	s_clause 0x5
	scratch_load_b128 v[118:121], off, off offset:216
	scratch_load_b128 v[122:125], off, off offset:232
	scratch_load_b128 v[126:129], off, off offset:248
	scratch_load_b128 v[130:133], off, off offset:264
	scratch_load_b128 v[134:137], off, off offset:280
	scratch_load_b128 v[138:141], off, off offset:296
	v_mov_b32_e32 v2, 0
	ds_load_b128 v[142:145], v2 offset:688
	ds_load_b128 v[146:149], v2 offset:704
	scratch_load_b128 v[150:153], off, off offset:312
	s_mov_b32 s0, exec_lo
	s_wait_loadcnt_dscnt 0x601
	v_fma_f64 v[154:155], v[120:121], v[142:143], 0
	s_wait_loadcnt 0x5
	s_delay_alu instid0(VALU_DEP_1) | instskip(SKIP_4) | instid1(VALU_DEP_1)
	v_fmac_f64_e32 v[154:155], v[122:123], v[144:145]
	scratch_load_b128 v[120:123], off, off offset:328
	s_wait_dscnt 0x0
	v_fmac_f64_e32 v[154:155], v[124:125], v[146:147]
	s_wait_loadcnt 0x5
	v_fmac_f64_e32 v[154:155], v[126:127], v[148:149]
	ds_load_b128 v[124:127], v2 offset:720
	ds_load_b128 v[142:145], v2 offset:736
	scratch_load_b128 v[146:149], off, off offset:344
	s_wait_dscnt 0x1
	v_fmac_f64_e32 v[154:155], v[128:129], v[124:125]
	s_wait_loadcnt 0x5
	s_delay_alu instid0(VALU_DEP_1) | instskip(SKIP_4) | instid1(VALU_DEP_1)
	v_fmac_f64_e32 v[154:155], v[130:131], v[126:127]
	scratch_load_b128 v[124:127], off, off offset:360
	s_wait_dscnt 0x0
	v_fmac_f64_e32 v[154:155], v[132:133], v[142:143]
	s_wait_loadcnt 0x5
	v_fmac_f64_e32 v[154:155], v[134:135], v[144:145]
	ds_load_b128 v[128:131], v2 offset:752
	ds_load_b128 v[132:135], v2 offset:768
	s_wait_dscnt 0x1
	v_fmac_f64_e32 v[154:155], v[136:137], v[128:129]
	s_wait_loadcnt 0x4
	s_delay_alu instid0(VALU_DEP_1) | instskip(SKIP_4) | instid1(VALU_DEP_1)
	v_fmac_f64_e32 v[154:155], v[138:139], v[130:131]
	scratch_load_b128 v[128:131], off, off offset:376
	s_wait_dscnt 0x0
	v_fmac_f64_e32 v[154:155], v[140:141], v[132:133]
	s_wait_loadcnt 0x4
	v_fmac_f64_e32 v[154:155], v[150:151], v[134:135]
	scratch_load_b128 v[132:135], off, off offset:392
	ds_load_b128 v[136:139], v2 offset:784
	ds_load_b128 v[140:143], v2 offset:800
	s_wait_dscnt 0x1
	v_fmac_f64_e32 v[154:155], v[152:153], v[136:137]
	s_wait_loadcnt 0x4
	s_delay_alu instid0(VALU_DEP_1)
	v_fmac_f64_e32 v[154:155], v[120:121], v[138:139]
	scratch_load_b128 v[136:139], off, off offset:408
	s_wait_dscnt 0x0
	v_fmac_f64_e32 v[154:155], v[122:123], v[140:141]
	scratch_load_b128 v[120:123], off, off offset:424
	s_wait_loadcnt 0x5
	v_fmac_f64_e32 v[154:155], v[146:147], v[142:143]
	ds_load_b128 v[140:143], v2 offset:816
	ds_load_b128 v[144:147], v2 offset:832
	s_wait_dscnt 0x1
	v_fmac_f64_e32 v[154:155], v[148:149], v[140:141]
	s_wait_loadcnt 0x4
	s_delay_alu instid0(VALU_DEP_1) | instskip(SKIP_4) | instid1(VALU_DEP_1)
	v_fmac_f64_e32 v[154:155], v[124:125], v[142:143]
	scratch_load_b128 v[140:143], off, off offset:440
	s_wait_dscnt 0x0
	v_fmac_f64_e32 v[154:155], v[126:127], v[144:145]
	s_wait_loadcnt 0x4
	v_fmac_f64_e32 v[154:155], v[128:129], v[146:147]
	ds_load_b128 v[124:127], v2 offset:848
	ds_load_b128 v[144:147], v2 offset:864
	s_wait_dscnt 0x1
	v_fmac_f64_e32 v[154:155], v[130:131], v[124:125]
	s_wait_loadcnt 0x3
	s_delay_alu instid0(VALU_DEP_1)
	v_fmac_f64_e32 v[154:155], v[132:133], v[126:127]
	ds_load_b128 v[124:127], v2 offset:880
	ds_load_b128 v[128:131], v2 offset:896
	s_wait_dscnt 0x2
	v_fmac_f64_e32 v[154:155], v[134:135], v[144:145]
	s_wait_loadcnt 0x2
	s_delay_alu instid0(VALU_DEP_1) | instskip(SKIP_1) | instid1(VALU_DEP_1)
	v_fmac_f64_e32 v[154:155], v[136:137], v[146:147]
	s_wait_dscnt 0x1
	v_fmac_f64_e32 v[154:155], v[138:139], v[124:125]
	s_wait_loadcnt 0x1
	s_delay_alu instid0(VALU_DEP_1) | instskip(SKIP_4) | instid1(VALU_DEP_1)
	v_fmac_f64_e32 v[154:155], v[120:121], v[126:127]
	ds_load_b64 v[120:121], v2 offset:912
	s_wait_dscnt 0x1
	v_fmac_f64_e32 v[154:155], v[122:123], v[128:129]
	s_wait_loadcnt 0x0
	v_fmac_f64_e32 v[154:155], v[140:141], v[130:131]
	s_wait_dscnt 0x0
	s_delay_alu instid0(VALU_DEP_1) | instskip(NEXT) | instid1(VALU_DEP_1)
	v_fmac_f64_e32 v[154:155], v[142:143], v[120:121]
	v_add_f64_e64 v[118:119], v[118:119], -v[154:155]
	scratch_store_b64 off, v[118:119], off offset:216
	s_wait_xcnt 0x0
	v_cmpx_lt_u32_e32 26, v0
	s_cbranch_execz .LBB120_299
; %bb.298:
	scratch_load_b64 v[118:119], off, off offset:208
	v_mov_b64_e32 v[120:121], 0
	scratch_store_b64 off, v[120:121], off offset:208
	s_wait_loadcnt 0x0
	ds_store_b64 v1, v[118:119]
.LBB120_299:
	s_wait_xcnt 0x0
	s_or_b32 exec_lo, exec_lo, s0
	s_wait_storecnt_dscnt 0x0
	s_barrier_signal -1
	s_barrier_wait -1
	s_clause 0x5
	scratch_load_b128 v[118:121], off, off offset:208
	scratch_load_b128 v[122:125], off, off offset:224
	;; [unrolled: 1-line block ×6, first 2 shown]
	ds_load_2addr_b64 v[142:145], v2 offset0:85 offset1:86
	ds_load_2addr_b64 v[146:149], v2 offset0:87 offset1:88
	scratch_load_b128 v[150:153], off, off offset:304
	s_mov_b32 s0, exec_lo
	s_wait_loadcnt_dscnt 0x601
	v_fma_f64 v[154:155], v[120:121], v[142:143], 0
	s_wait_loadcnt 0x5
	s_delay_alu instid0(VALU_DEP_1) | instskip(SKIP_4) | instid1(VALU_DEP_1)
	v_fmac_f64_e32 v[154:155], v[122:123], v[144:145]
	scratch_load_b128 v[120:123], off, off offset:320
	s_wait_dscnt 0x0
	v_fmac_f64_e32 v[154:155], v[124:125], v[146:147]
	s_wait_loadcnt 0x5
	v_fmac_f64_e32 v[154:155], v[126:127], v[148:149]
	ds_load_2addr_b64 v[124:127], v2 offset0:89 offset1:90
	ds_load_2addr_b64 v[142:145], v2 offset0:91 offset1:92
	scratch_load_b128 v[146:149], off, off offset:336
	s_wait_dscnt 0x1
	v_fmac_f64_e32 v[154:155], v[128:129], v[124:125]
	s_wait_loadcnt 0x5
	s_delay_alu instid0(VALU_DEP_1) | instskip(SKIP_4) | instid1(VALU_DEP_1)
	v_fmac_f64_e32 v[154:155], v[130:131], v[126:127]
	scratch_load_b128 v[124:127], off, off offset:352
	s_wait_dscnt 0x0
	v_fmac_f64_e32 v[154:155], v[132:133], v[142:143]
	s_wait_loadcnt 0x5
	v_fmac_f64_e32 v[154:155], v[134:135], v[144:145]
	ds_load_2addr_b64 v[128:131], v2 offset0:93 offset1:94
	ds_load_2addr_b64 v[132:135], v2 offset0:95 offset1:96
	scratch_load_b128 v[142:145], off, off offset:368
	s_wait_dscnt 0x1
	v_fmac_f64_e32 v[154:155], v[136:137], v[128:129]
	s_wait_loadcnt 0x5
	s_delay_alu instid0(VALU_DEP_1) | instskip(SKIP_4) | instid1(VALU_DEP_1)
	v_fmac_f64_e32 v[154:155], v[138:139], v[130:131]
	scratch_load_b128 v[128:131], off, off offset:384
	s_wait_dscnt 0x0
	v_fmac_f64_e32 v[154:155], v[140:141], v[132:133]
	s_wait_loadcnt 0x5
	v_fmac_f64_e32 v[154:155], v[150:151], v[134:135]
	ds_load_2addr_b64 v[132:135], v2 offset0:97 offset1:98
	ds_load_2addr_b64 v[136:139], v2 offset0:99 offset1:100
	s_wait_dscnt 0x1
	v_fmac_f64_e32 v[154:155], v[152:153], v[132:133]
	s_wait_loadcnt 0x4
	s_delay_alu instid0(VALU_DEP_1)
	v_fmac_f64_e32 v[154:155], v[120:121], v[134:135]
	scratch_load_b128 v[132:135], off, off offset:400
	s_wait_dscnt 0x0
	v_fmac_f64_e32 v[154:155], v[122:123], v[136:137]
	scratch_load_b128 v[120:123], off, off offset:416
	s_wait_loadcnt 0x5
	v_fmac_f64_e32 v[154:155], v[146:147], v[138:139]
	ds_load_2addr_b64 v[136:139], v2 offset0:101 offset1:102
	ds_load_2addr_b64 v[150:153], v2 offset0:103 offset1:104
	scratch_load_b64 v[146:147], off, off offset:448
	s_wait_dscnt 0x1
	v_fmac_f64_e32 v[154:155], v[148:149], v[136:137]
	s_wait_loadcnt 0x5
	s_delay_alu instid0(VALU_DEP_1) | instskip(SKIP_4) | instid1(VALU_DEP_1)
	v_fmac_f64_e32 v[154:155], v[124:125], v[138:139]
	scratch_load_b128 v[136:139], off, off offset:432
	s_wait_dscnt 0x0
	v_fmac_f64_e32 v[154:155], v[126:127], v[150:151]
	s_wait_loadcnt 0x5
	v_fmac_f64_e32 v[154:155], v[142:143], v[152:153]
	ds_load_2addr_b64 v[124:127], v2 offset0:105 offset1:106
	ds_load_2addr_b64 v[140:143], v2 offset0:107 offset1:108
	s_wait_dscnt 0x1
	v_fmac_f64_e32 v[154:155], v[144:145], v[124:125]
	s_wait_loadcnt 0x4
	s_delay_alu instid0(VALU_DEP_1) | instskip(SKIP_1) | instid1(VALU_DEP_1)
	v_fmac_f64_e32 v[154:155], v[128:129], v[126:127]
	s_wait_dscnt 0x0
	v_fmac_f64_e32 v[154:155], v[130:131], v[140:141]
	ds_load_2addr_b64 v[124:127], v2 offset0:109 offset1:110
	ds_load_2addr_b64 v[128:131], v2 offset0:111 offset1:112
	s_wait_loadcnt 0x3
	v_fmac_f64_e32 v[154:155], v[132:133], v[142:143]
	s_wait_dscnt 0x1
	s_delay_alu instid0(VALU_DEP_1) | instskip(SKIP_1) | instid1(VALU_DEP_1)
	v_fmac_f64_e32 v[154:155], v[134:135], v[124:125]
	s_wait_loadcnt 0x2
	v_fmac_f64_e32 v[154:155], v[120:121], v[126:127]
	s_wait_dscnt 0x0
	s_delay_alu instid0(VALU_DEP_1) | instskip(SKIP_4) | instid1(VALU_DEP_1)
	v_fmac_f64_e32 v[154:155], v[122:123], v[128:129]
	ds_load_2addr_b64 v[120:123], v2 offset0:113 offset1:114
	s_wait_loadcnt 0x0
	v_fmac_f64_e32 v[154:155], v[136:137], v[130:131]
	s_wait_dscnt 0x0
	v_fmac_f64_e32 v[154:155], v[138:139], v[120:121]
	s_delay_alu instid0(VALU_DEP_1) | instskip(NEXT) | instid1(VALU_DEP_1)
	v_fmac_f64_e32 v[154:155], v[146:147], v[122:123]
	v_add_f64_e64 v[2:3], v[118:119], -v[154:155]
	scratch_store_b64 off, v[2:3], off offset:208
	s_wait_xcnt 0x0
	v_cmpx_lt_u32_e32 25, v0
	s_cbranch_execz .LBB120_301
; %bb.300:
	scratch_load_b64 v[2:3], off, off offset:200
	v_mov_b64_e32 v[118:119], 0
	scratch_store_b64 off, v[118:119], off offset:200
	s_wait_loadcnt 0x0
	ds_store_b64 v1, v[2:3]
.LBB120_301:
	s_wait_xcnt 0x0
	s_or_b32 exec_lo, exec_lo, s0
	s_wait_storecnt_dscnt 0x0
	s_barrier_signal -1
	s_barrier_wait -1
	s_clause 0x5
	scratch_load_b128 v[118:121], off, off offset:200
	scratch_load_b128 v[122:125], off, off offset:216
	;; [unrolled: 1-line block ×6, first 2 shown]
	v_mov_b32_e32 v2, 0
	ds_load_b128 v[142:145], v2 offset:672
	ds_load_b128 v[146:149], v2 offset:688
	scratch_load_b128 v[150:153], off, off offset:296
	s_mov_b32 s0, exec_lo
	s_wait_loadcnt_dscnt 0x601
	v_fma_f64 v[154:155], v[120:121], v[142:143], 0
	s_wait_loadcnt 0x5
	s_delay_alu instid0(VALU_DEP_1) | instskip(SKIP_4) | instid1(VALU_DEP_1)
	v_fmac_f64_e32 v[154:155], v[122:123], v[144:145]
	scratch_load_b128 v[120:123], off, off offset:312
	s_wait_dscnt 0x0
	v_fmac_f64_e32 v[154:155], v[124:125], v[146:147]
	s_wait_loadcnt 0x5
	v_fmac_f64_e32 v[154:155], v[126:127], v[148:149]
	ds_load_b128 v[124:127], v2 offset:704
	ds_load_b128 v[142:145], v2 offset:720
	scratch_load_b128 v[146:149], off, off offset:328
	s_wait_dscnt 0x1
	v_fmac_f64_e32 v[154:155], v[128:129], v[124:125]
	s_wait_loadcnt 0x5
	s_delay_alu instid0(VALU_DEP_1) | instskip(SKIP_4) | instid1(VALU_DEP_1)
	v_fmac_f64_e32 v[154:155], v[130:131], v[126:127]
	scratch_load_b128 v[124:127], off, off offset:344
	s_wait_dscnt 0x0
	v_fmac_f64_e32 v[154:155], v[132:133], v[142:143]
	s_wait_loadcnt 0x5
	v_fmac_f64_e32 v[154:155], v[134:135], v[144:145]
	ds_load_b128 v[128:131], v2 offset:736
	ds_load_b128 v[132:135], v2 offset:752
	scratch_load_b128 v[142:145], off, off offset:360
	s_wait_dscnt 0x1
	v_fmac_f64_e32 v[154:155], v[136:137], v[128:129]
	s_wait_loadcnt 0x5
	s_delay_alu instid0(VALU_DEP_1) | instskip(SKIP_4) | instid1(VALU_DEP_1)
	v_fmac_f64_e32 v[154:155], v[138:139], v[130:131]
	scratch_load_b128 v[128:131], off, off offset:376
	s_wait_dscnt 0x0
	v_fmac_f64_e32 v[154:155], v[140:141], v[132:133]
	s_wait_loadcnt 0x5
	v_fmac_f64_e32 v[154:155], v[150:151], v[134:135]
	ds_load_b128 v[132:135], v2 offset:768
	ds_load_b128 v[136:139], v2 offset:784
	s_wait_dscnt 0x1
	v_fmac_f64_e32 v[154:155], v[152:153], v[132:133]
	s_wait_loadcnt 0x4
	s_delay_alu instid0(VALU_DEP_1)
	v_fmac_f64_e32 v[154:155], v[120:121], v[134:135]
	scratch_load_b128 v[132:135], off, off offset:392
	s_wait_dscnt 0x0
	v_fmac_f64_e32 v[154:155], v[122:123], v[136:137]
	scratch_load_b128 v[120:123], off, off offset:408
	s_wait_loadcnt 0x5
	v_fmac_f64_e32 v[154:155], v[146:147], v[138:139]
	ds_load_b128 v[136:139], v2 offset:800
	ds_load_b128 v[150:153], v2 offset:816
	s_wait_dscnt 0x1
	v_fmac_f64_e32 v[154:155], v[148:149], v[136:137]
	s_wait_loadcnt 0x4
	s_delay_alu instid0(VALU_DEP_1)
	v_fmac_f64_e32 v[154:155], v[124:125], v[138:139]
	scratch_load_b128 v[136:139], off, off offset:424
	s_wait_dscnt 0x0
	v_fmac_f64_e32 v[154:155], v[126:127], v[150:151]
	scratch_load_b128 v[124:127], off, off offset:440
	s_wait_loadcnt 0x5
	v_fmac_f64_e32 v[154:155], v[142:143], v[152:153]
	ds_load_b128 v[140:143], v2 offset:832
	ds_load_b128 v[146:149], v2 offset:848
	s_wait_dscnt 0x1
	v_fmac_f64_e32 v[154:155], v[144:145], v[140:141]
	s_wait_loadcnt 0x4
	s_delay_alu instid0(VALU_DEP_1) | instskip(SKIP_1) | instid1(VALU_DEP_1)
	v_fmac_f64_e32 v[154:155], v[128:129], v[142:143]
	s_wait_dscnt 0x0
	v_fmac_f64_e32 v[154:155], v[130:131], v[146:147]
	ds_load_b128 v[128:131], v2 offset:864
	ds_load_b128 v[140:143], v2 offset:880
	s_wait_loadcnt 0x3
	v_fmac_f64_e32 v[154:155], v[132:133], v[148:149]
	s_wait_dscnt 0x1
	s_delay_alu instid0(VALU_DEP_1) | instskip(SKIP_1) | instid1(VALU_DEP_1)
	v_fmac_f64_e32 v[154:155], v[134:135], v[128:129]
	s_wait_loadcnt 0x2
	v_fmac_f64_e32 v[154:155], v[120:121], v[130:131]
	s_wait_dscnt 0x0
	s_delay_alu instid0(VALU_DEP_1)
	v_fmac_f64_e32 v[154:155], v[122:123], v[140:141]
	ds_load_b128 v[120:123], v2 offset:896
	ds_load_b64 v[128:129], v2 offset:912
	s_wait_loadcnt 0x1
	v_fmac_f64_e32 v[154:155], v[136:137], v[142:143]
	s_wait_dscnt 0x1
	s_delay_alu instid0(VALU_DEP_1) | instskip(SKIP_1) | instid1(VALU_DEP_1)
	v_fmac_f64_e32 v[154:155], v[138:139], v[120:121]
	s_wait_loadcnt 0x0
	v_fmac_f64_e32 v[154:155], v[124:125], v[122:123]
	s_wait_dscnt 0x0
	s_delay_alu instid0(VALU_DEP_1) | instskip(NEXT) | instid1(VALU_DEP_1)
	v_fmac_f64_e32 v[154:155], v[126:127], v[128:129]
	v_add_f64_e64 v[118:119], v[118:119], -v[154:155]
	scratch_store_b64 off, v[118:119], off offset:200
	s_wait_xcnt 0x0
	v_cmpx_lt_u32_e32 24, v0
	s_cbranch_execz .LBB120_303
; %bb.302:
	scratch_load_b64 v[118:119], off, off offset:192
	v_mov_b64_e32 v[120:121], 0
	scratch_store_b64 off, v[120:121], off offset:192
	s_wait_loadcnt 0x0
	ds_store_b64 v1, v[118:119]
.LBB120_303:
	s_wait_xcnt 0x0
	s_or_b32 exec_lo, exec_lo, s0
	s_wait_storecnt_dscnt 0x0
	s_barrier_signal -1
	s_barrier_wait -1
	s_clause 0x5
	scratch_load_b128 v[118:121], off, off offset:192
	scratch_load_b128 v[122:125], off, off offset:208
	;; [unrolled: 1-line block ×6, first 2 shown]
	ds_load_2addr_b64 v[142:145], v2 offset0:83 offset1:84
	ds_load_2addr_b64 v[146:149], v2 offset0:85 offset1:86
	scratch_load_b128 v[150:153], off, off offset:288
	s_mov_b32 s0, exec_lo
	s_wait_loadcnt_dscnt 0x601
	v_fma_f64 v[154:155], v[120:121], v[142:143], 0
	s_wait_loadcnt 0x5
	s_delay_alu instid0(VALU_DEP_1) | instskip(SKIP_4) | instid1(VALU_DEP_1)
	v_fmac_f64_e32 v[154:155], v[122:123], v[144:145]
	scratch_load_b128 v[120:123], off, off offset:304
	s_wait_dscnt 0x0
	v_fmac_f64_e32 v[154:155], v[124:125], v[146:147]
	s_wait_loadcnt 0x5
	v_fmac_f64_e32 v[154:155], v[126:127], v[148:149]
	ds_load_2addr_b64 v[124:127], v2 offset0:87 offset1:88
	ds_load_2addr_b64 v[142:145], v2 offset0:89 offset1:90
	scratch_load_b128 v[146:149], off, off offset:320
	s_wait_dscnt 0x1
	v_fmac_f64_e32 v[154:155], v[128:129], v[124:125]
	s_wait_loadcnt 0x5
	s_delay_alu instid0(VALU_DEP_1) | instskip(SKIP_4) | instid1(VALU_DEP_1)
	v_fmac_f64_e32 v[154:155], v[130:131], v[126:127]
	scratch_load_b128 v[124:127], off, off offset:336
	s_wait_dscnt 0x0
	v_fmac_f64_e32 v[154:155], v[132:133], v[142:143]
	s_wait_loadcnt 0x5
	v_fmac_f64_e32 v[154:155], v[134:135], v[144:145]
	ds_load_2addr_b64 v[128:131], v2 offset0:91 offset1:92
	ds_load_2addr_b64 v[132:135], v2 offset0:93 offset1:94
	scratch_load_b128 v[142:145], off, off offset:352
	s_wait_dscnt 0x1
	v_fmac_f64_e32 v[154:155], v[136:137], v[128:129]
	s_wait_loadcnt 0x5
	s_delay_alu instid0(VALU_DEP_1) | instskip(SKIP_4) | instid1(VALU_DEP_1)
	v_fmac_f64_e32 v[154:155], v[138:139], v[130:131]
	scratch_load_b128 v[128:131], off, off offset:368
	s_wait_dscnt 0x0
	v_fmac_f64_e32 v[154:155], v[140:141], v[132:133]
	s_wait_loadcnt 0x5
	v_fmac_f64_e32 v[154:155], v[150:151], v[134:135]
	ds_load_2addr_b64 v[132:135], v2 offset0:95 offset1:96
	ds_load_2addr_b64 v[136:139], v2 offset0:97 offset1:98
	s_wait_dscnt 0x1
	v_fmac_f64_e32 v[154:155], v[152:153], v[132:133]
	s_wait_loadcnt 0x4
	s_delay_alu instid0(VALU_DEP_1)
	v_fmac_f64_e32 v[154:155], v[120:121], v[134:135]
	scratch_load_b128 v[132:135], off, off offset:384
	s_wait_dscnt 0x0
	v_fmac_f64_e32 v[154:155], v[122:123], v[136:137]
	scratch_load_b128 v[120:123], off, off offset:400
	s_wait_loadcnt 0x5
	v_fmac_f64_e32 v[154:155], v[146:147], v[138:139]
	ds_load_2addr_b64 v[136:139], v2 offset0:99 offset1:100
	ds_load_2addr_b64 v[150:153], v2 offset0:101 offset1:102
	s_wait_dscnt 0x1
	v_fmac_f64_e32 v[154:155], v[148:149], v[136:137]
	s_wait_loadcnt 0x4
	s_delay_alu instid0(VALU_DEP_1)
	v_fmac_f64_e32 v[154:155], v[124:125], v[138:139]
	scratch_load_b128 v[136:139], off, off offset:416
	s_wait_dscnt 0x0
	v_fmac_f64_e32 v[154:155], v[126:127], v[150:151]
	scratch_load_b128 v[124:127], off, off offset:432
	s_wait_loadcnt 0x5
	v_fmac_f64_e32 v[154:155], v[142:143], v[152:153]
	ds_load_2addr_b64 v[140:143], v2 offset0:103 offset1:104
	ds_load_2addr_b64 v[146:149], v2 offset0:105 offset1:106
	s_wait_dscnt 0x1
	v_fmac_f64_e32 v[154:155], v[144:145], v[140:141]
	scratch_load_b64 v[144:145], off, off offset:448
	s_wait_loadcnt 0x5
	v_fmac_f64_e32 v[154:155], v[128:129], v[142:143]
	s_wait_dscnt 0x0
	s_delay_alu instid0(VALU_DEP_1)
	v_fmac_f64_e32 v[154:155], v[130:131], v[146:147]
	ds_load_2addr_b64 v[128:131], v2 offset0:107 offset1:108
	ds_load_2addr_b64 v[140:143], v2 offset0:109 offset1:110
	s_wait_loadcnt 0x4
	v_fmac_f64_e32 v[154:155], v[132:133], v[148:149]
	s_wait_dscnt 0x1
	s_delay_alu instid0(VALU_DEP_1) | instskip(SKIP_1) | instid1(VALU_DEP_1)
	v_fmac_f64_e32 v[154:155], v[134:135], v[128:129]
	s_wait_loadcnt 0x3
	v_fmac_f64_e32 v[154:155], v[120:121], v[130:131]
	s_wait_dscnt 0x0
	s_delay_alu instid0(VALU_DEP_1)
	v_fmac_f64_e32 v[154:155], v[122:123], v[140:141]
	ds_load_2addr_b64 v[120:123], v2 offset0:111 offset1:112
	ds_load_2addr_b64 v[128:131], v2 offset0:113 offset1:114
	s_wait_loadcnt 0x2
	v_fmac_f64_e32 v[154:155], v[136:137], v[142:143]
	s_wait_dscnt 0x1
	s_delay_alu instid0(VALU_DEP_1) | instskip(SKIP_1) | instid1(VALU_DEP_1)
	v_fmac_f64_e32 v[154:155], v[138:139], v[120:121]
	s_wait_loadcnt 0x1
	v_fmac_f64_e32 v[154:155], v[124:125], v[122:123]
	s_wait_dscnt 0x0
	s_delay_alu instid0(VALU_DEP_1) | instskip(SKIP_1) | instid1(VALU_DEP_1)
	v_fmac_f64_e32 v[154:155], v[126:127], v[128:129]
	s_wait_loadcnt 0x0
	v_fmac_f64_e32 v[154:155], v[144:145], v[130:131]
	s_delay_alu instid0(VALU_DEP_1)
	v_add_f64_e64 v[2:3], v[118:119], -v[154:155]
	scratch_store_b64 off, v[2:3], off offset:192
	s_wait_xcnt 0x0
	v_cmpx_lt_u32_e32 23, v0
	s_cbranch_execz .LBB120_305
; %bb.304:
	scratch_load_b64 v[2:3], off, off offset:184
	v_mov_b64_e32 v[118:119], 0
	scratch_store_b64 off, v[118:119], off offset:184
	s_wait_loadcnt 0x0
	ds_store_b64 v1, v[2:3]
.LBB120_305:
	s_wait_xcnt 0x0
	s_or_b32 exec_lo, exec_lo, s0
	s_wait_storecnt_dscnt 0x0
	s_barrier_signal -1
	s_barrier_wait -1
	s_clause 0x5
	scratch_load_b128 v[118:121], off, off offset:184
	scratch_load_b128 v[122:125], off, off offset:200
	;; [unrolled: 1-line block ×6, first 2 shown]
	v_mov_b32_e32 v2, 0
	ds_load_b128 v[142:145], v2 offset:656
	ds_load_b128 v[146:149], v2 offset:672
	scratch_load_b128 v[150:153], off, off offset:280
	s_mov_b32 s0, exec_lo
	s_wait_loadcnt_dscnt 0x601
	v_fma_f64 v[154:155], v[120:121], v[142:143], 0
	s_wait_loadcnt 0x5
	s_delay_alu instid0(VALU_DEP_1) | instskip(SKIP_4) | instid1(VALU_DEP_1)
	v_fmac_f64_e32 v[154:155], v[122:123], v[144:145]
	scratch_load_b128 v[120:123], off, off offset:296
	s_wait_dscnt 0x0
	v_fmac_f64_e32 v[154:155], v[124:125], v[146:147]
	s_wait_loadcnt 0x5
	v_fmac_f64_e32 v[154:155], v[126:127], v[148:149]
	ds_load_b128 v[124:127], v2 offset:688
	ds_load_b128 v[142:145], v2 offset:704
	scratch_load_b128 v[146:149], off, off offset:312
	s_wait_dscnt 0x1
	v_fmac_f64_e32 v[154:155], v[128:129], v[124:125]
	s_wait_loadcnt 0x5
	s_delay_alu instid0(VALU_DEP_1) | instskip(SKIP_4) | instid1(VALU_DEP_1)
	v_fmac_f64_e32 v[154:155], v[130:131], v[126:127]
	scratch_load_b128 v[124:127], off, off offset:328
	s_wait_dscnt 0x0
	v_fmac_f64_e32 v[154:155], v[132:133], v[142:143]
	s_wait_loadcnt 0x5
	v_fmac_f64_e32 v[154:155], v[134:135], v[144:145]
	ds_load_b128 v[128:131], v2 offset:720
	ds_load_b128 v[132:135], v2 offset:736
	scratch_load_b128 v[142:145], off, off offset:344
	s_wait_dscnt 0x1
	v_fmac_f64_e32 v[154:155], v[136:137], v[128:129]
	s_wait_loadcnt 0x5
	s_delay_alu instid0(VALU_DEP_1) | instskip(SKIP_4) | instid1(VALU_DEP_1)
	v_fmac_f64_e32 v[154:155], v[138:139], v[130:131]
	scratch_load_b128 v[128:131], off, off offset:360
	s_wait_dscnt 0x0
	v_fmac_f64_e32 v[154:155], v[140:141], v[132:133]
	s_wait_loadcnt 0x5
	v_fmac_f64_e32 v[154:155], v[150:151], v[134:135]
	ds_load_b128 v[132:135], v2 offset:752
	ds_load_b128 v[136:139], v2 offset:768
	s_wait_dscnt 0x1
	v_fmac_f64_e32 v[154:155], v[152:153], v[132:133]
	s_wait_loadcnt 0x4
	s_delay_alu instid0(VALU_DEP_1)
	v_fmac_f64_e32 v[154:155], v[120:121], v[134:135]
	scratch_load_b128 v[132:135], off, off offset:376
	s_wait_dscnt 0x0
	v_fmac_f64_e32 v[154:155], v[122:123], v[136:137]
	scratch_load_b128 v[120:123], off, off offset:392
	s_wait_loadcnt 0x5
	v_fmac_f64_e32 v[154:155], v[146:147], v[138:139]
	ds_load_b128 v[136:139], v2 offset:784
	ds_load_b128 v[150:153], v2 offset:800
	s_wait_dscnt 0x1
	v_fmac_f64_e32 v[154:155], v[148:149], v[136:137]
	s_wait_loadcnt 0x4
	s_delay_alu instid0(VALU_DEP_1)
	v_fmac_f64_e32 v[154:155], v[124:125], v[138:139]
	scratch_load_b128 v[136:139], off, off offset:408
	s_wait_dscnt 0x0
	v_fmac_f64_e32 v[154:155], v[126:127], v[150:151]
	scratch_load_b128 v[124:127], off, off offset:424
	s_wait_loadcnt 0x5
	v_fmac_f64_e32 v[154:155], v[142:143], v[152:153]
	ds_load_b128 v[140:143], v2 offset:816
	ds_load_b128 v[146:149], v2 offset:832
	s_wait_dscnt 0x1
	v_fmac_f64_e32 v[154:155], v[144:145], v[140:141]
	s_wait_loadcnt 0x4
	s_delay_alu instid0(VALU_DEP_1)
	v_fmac_f64_e32 v[154:155], v[128:129], v[142:143]
	scratch_load_b128 v[140:143], off, off offset:440
	s_wait_dscnt 0x0
	v_fmac_f64_e32 v[154:155], v[130:131], v[146:147]
	ds_load_b128 v[128:131], v2 offset:848
	ds_load_b128 v[144:147], v2 offset:864
	s_wait_loadcnt 0x4
	v_fmac_f64_e32 v[154:155], v[132:133], v[148:149]
	s_wait_dscnt 0x1
	s_delay_alu instid0(VALU_DEP_1) | instskip(SKIP_1) | instid1(VALU_DEP_1)
	v_fmac_f64_e32 v[154:155], v[134:135], v[128:129]
	s_wait_loadcnt 0x3
	v_fmac_f64_e32 v[154:155], v[120:121], v[130:131]
	s_wait_dscnt 0x0
	s_delay_alu instid0(VALU_DEP_1)
	v_fmac_f64_e32 v[154:155], v[122:123], v[144:145]
	ds_load_b128 v[120:123], v2 offset:880
	ds_load_b128 v[128:131], v2 offset:896
	s_wait_loadcnt 0x2
	v_fmac_f64_e32 v[154:155], v[136:137], v[146:147]
	s_wait_dscnt 0x1
	s_delay_alu instid0(VALU_DEP_1) | instskip(SKIP_4) | instid1(VALU_DEP_1)
	v_fmac_f64_e32 v[154:155], v[138:139], v[120:121]
	ds_load_b64 v[120:121], v2 offset:912
	s_wait_loadcnt 0x1
	v_fmac_f64_e32 v[154:155], v[124:125], v[122:123]
	s_wait_dscnt 0x1
	v_fmac_f64_e32 v[154:155], v[126:127], v[128:129]
	s_wait_loadcnt 0x0
	s_delay_alu instid0(VALU_DEP_1) | instskip(SKIP_1) | instid1(VALU_DEP_1)
	v_fmac_f64_e32 v[154:155], v[140:141], v[130:131]
	s_wait_dscnt 0x0
	v_fmac_f64_e32 v[154:155], v[142:143], v[120:121]
	s_delay_alu instid0(VALU_DEP_1)
	v_add_f64_e64 v[118:119], v[118:119], -v[154:155]
	scratch_store_b64 off, v[118:119], off offset:184
	s_wait_xcnt 0x0
	v_cmpx_lt_u32_e32 22, v0
	s_cbranch_execz .LBB120_307
; %bb.306:
	scratch_load_b64 v[118:119], off, off offset:176
	v_mov_b64_e32 v[120:121], 0
	scratch_store_b64 off, v[120:121], off offset:176
	s_wait_loadcnt 0x0
	ds_store_b64 v1, v[118:119]
.LBB120_307:
	s_wait_xcnt 0x0
	s_or_b32 exec_lo, exec_lo, s0
	s_wait_storecnt_dscnt 0x0
	s_barrier_signal -1
	s_barrier_wait -1
	s_clause 0x5
	scratch_load_b128 v[118:121], off, off offset:176
	scratch_load_b128 v[122:125], off, off offset:192
	;; [unrolled: 1-line block ×6, first 2 shown]
	ds_load_2addr_b64 v[142:145], v2 offset0:81 offset1:82
	ds_load_2addr_b64 v[146:149], v2 offset0:83 offset1:84
	scratch_load_b128 v[150:153], off, off offset:272
	s_mov_b32 s0, exec_lo
	s_wait_loadcnt_dscnt 0x601
	v_fma_f64 v[154:155], v[120:121], v[142:143], 0
	s_wait_loadcnt 0x5
	s_delay_alu instid0(VALU_DEP_1) | instskip(SKIP_4) | instid1(VALU_DEP_1)
	v_fmac_f64_e32 v[154:155], v[122:123], v[144:145]
	scratch_load_b128 v[120:123], off, off offset:288
	s_wait_dscnt 0x0
	v_fmac_f64_e32 v[154:155], v[124:125], v[146:147]
	s_wait_loadcnt 0x5
	v_fmac_f64_e32 v[154:155], v[126:127], v[148:149]
	ds_load_2addr_b64 v[124:127], v2 offset0:85 offset1:86
	ds_load_2addr_b64 v[142:145], v2 offset0:87 offset1:88
	scratch_load_b128 v[146:149], off, off offset:304
	s_wait_dscnt 0x1
	v_fmac_f64_e32 v[154:155], v[128:129], v[124:125]
	s_wait_loadcnt 0x5
	s_delay_alu instid0(VALU_DEP_1) | instskip(SKIP_4) | instid1(VALU_DEP_1)
	v_fmac_f64_e32 v[154:155], v[130:131], v[126:127]
	scratch_load_b128 v[124:127], off, off offset:320
	s_wait_dscnt 0x0
	v_fmac_f64_e32 v[154:155], v[132:133], v[142:143]
	s_wait_loadcnt 0x5
	v_fmac_f64_e32 v[154:155], v[134:135], v[144:145]
	ds_load_2addr_b64 v[128:131], v2 offset0:89 offset1:90
	ds_load_2addr_b64 v[132:135], v2 offset0:91 offset1:92
	scratch_load_b128 v[142:145], off, off offset:336
	s_wait_dscnt 0x1
	v_fmac_f64_e32 v[154:155], v[136:137], v[128:129]
	s_wait_loadcnt 0x5
	s_delay_alu instid0(VALU_DEP_1) | instskip(SKIP_4) | instid1(VALU_DEP_1)
	v_fmac_f64_e32 v[154:155], v[138:139], v[130:131]
	scratch_load_b128 v[128:131], off, off offset:352
	s_wait_dscnt 0x0
	v_fmac_f64_e32 v[154:155], v[140:141], v[132:133]
	s_wait_loadcnt 0x5
	v_fmac_f64_e32 v[154:155], v[150:151], v[134:135]
	ds_load_2addr_b64 v[132:135], v2 offset0:93 offset1:94
	ds_load_2addr_b64 v[136:139], v2 offset0:95 offset1:96
	s_wait_dscnt 0x1
	v_fmac_f64_e32 v[154:155], v[152:153], v[132:133]
	scratch_load_b128 v[150:153], off, off offset:368
	s_wait_loadcnt 0x5
	v_fmac_f64_e32 v[154:155], v[120:121], v[134:135]
	s_wait_dscnt 0x0
	s_delay_alu instid0(VALU_DEP_1)
	v_fmac_f64_e32 v[154:155], v[122:123], v[136:137]
	scratch_load_b128 v[120:123], off, off offset:384
	s_wait_loadcnt 0x5
	v_fmac_f64_e32 v[154:155], v[146:147], v[138:139]
	ds_load_2addr_b64 v[132:135], v2 offset0:97 offset1:98
	ds_load_2addr_b64 v[136:139], v2 offset0:99 offset1:100
	s_wait_dscnt 0x1
	v_fmac_f64_e32 v[154:155], v[148:149], v[132:133]
	s_wait_loadcnt 0x4
	s_delay_alu instid0(VALU_DEP_1)
	v_fmac_f64_e32 v[154:155], v[124:125], v[134:135]
	scratch_load_b128 v[132:135], off, off offset:400
	s_wait_dscnt 0x0
	v_fmac_f64_e32 v[154:155], v[126:127], v[136:137]
	scratch_load_b128 v[124:127], off, off offset:416
	s_wait_loadcnt 0x5
	v_fmac_f64_e32 v[154:155], v[142:143], v[138:139]
	ds_load_2addr_b64 v[136:139], v2 offset0:101 offset1:102
	ds_load_2addr_b64 v[140:143], v2 offset0:103 offset1:104
	s_wait_dscnt 0x1
	v_fmac_f64_e32 v[154:155], v[144:145], v[136:137]
	scratch_load_b64 v[144:145], off, off offset:448
	s_wait_loadcnt 0x5
	v_fmac_f64_e32 v[154:155], v[128:129], v[138:139]
	scratch_load_b128 v[136:139], off, off offset:432
	s_wait_dscnt 0x0
	v_fmac_f64_e32 v[154:155], v[130:131], v[140:141]
	s_wait_loadcnt 0x5
	s_delay_alu instid0(VALU_DEP_1)
	v_fmac_f64_e32 v[154:155], v[150:151], v[142:143]
	ds_load_2addr_b64 v[128:131], v2 offset0:105 offset1:106
	ds_load_2addr_b64 v[140:143], v2 offset0:107 offset1:108
	s_wait_dscnt 0x1
	v_fmac_f64_e32 v[154:155], v[152:153], v[128:129]
	s_wait_loadcnt 0x4
	s_delay_alu instid0(VALU_DEP_1) | instskip(SKIP_1) | instid1(VALU_DEP_1)
	v_fmac_f64_e32 v[154:155], v[120:121], v[130:131]
	s_wait_dscnt 0x0
	v_fmac_f64_e32 v[154:155], v[122:123], v[140:141]
	ds_load_2addr_b64 v[120:123], v2 offset0:109 offset1:110
	ds_load_2addr_b64 v[128:131], v2 offset0:111 offset1:112
	s_wait_loadcnt 0x3
	v_fmac_f64_e32 v[154:155], v[132:133], v[142:143]
	s_wait_dscnt 0x1
	s_delay_alu instid0(VALU_DEP_1) | instskip(SKIP_1) | instid1(VALU_DEP_1)
	v_fmac_f64_e32 v[154:155], v[134:135], v[120:121]
	s_wait_loadcnt 0x2
	v_fmac_f64_e32 v[154:155], v[124:125], v[122:123]
	ds_load_2addr_b64 v[120:123], v2 offset0:113 offset1:114
	s_wait_dscnt 0x1
	v_fmac_f64_e32 v[154:155], v[126:127], v[128:129]
	s_wait_loadcnt 0x0
	s_delay_alu instid0(VALU_DEP_1) | instskip(SKIP_1) | instid1(VALU_DEP_1)
	v_fmac_f64_e32 v[154:155], v[136:137], v[130:131]
	s_wait_dscnt 0x0
	v_fmac_f64_e32 v[154:155], v[138:139], v[120:121]
	s_delay_alu instid0(VALU_DEP_1) | instskip(NEXT) | instid1(VALU_DEP_1)
	v_fmac_f64_e32 v[154:155], v[144:145], v[122:123]
	v_add_f64_e64 v[2:3], v[118:119], -v[154:155]
	scratch_store_b64 off, v[2:3], off offset:176
	s_wait_xcnt 0x0
	v_cmpx_lt_u32_e32 21, v0
	s_cbranch_execz .LBB120_309
; %bb.308:
	scratch_load_b64 v[2:3], off, off offset:168
	v_mov_b64_e32 v[118:119], 0
	scratch_store_b64 off, v[118:119], off offset:168
	s_wait_loadcnt 0x0
	ds_store_b64 v1, v[2:3]
.LBB120_309:
	s_wait_xcnt 0x0
	s_or_b32 exec_lo, exec_lo, s0
	s_wait_storecnt_dscnt 0x0
	s_barrier_signal -1
	s_barrier_wait -1
	s_clause 0x5
	scratch_load_b128 v[118:121], off, off offset:168
	scratch_load_b128 v[122:125], off, off offset:184
	;; [unrolled: 1-line block ×6, first 2 shown]
	v_mov_b32_e32 v2, 0
	ds_load_b128 v[142:145], v2 offset:640
	ds_load_b128 v[146:149], v2 offset:656
	scratch_load_b128 v[150:153], off, off offset:264
	s_mov_b32 s0, exec_lo
	s_wait_loadcnt_dscnt 0x601
	v_fma_f64 v[154:155], v[120:121], v[142:143], 0
	s_wait_loadcnt 0x5
	s_delay_alu instid0(VALU_DEP_1) | instskip(SKIP_4) | instid1(VALU_DEP_1)
	v_fmac_f64_e32 v[154:155], v[122:123], v[144:145]
	scratch_load_b128 v[120:123], off, off offset:280
	s_wait_dscnt 0x0
	v_fmac_f64_e32 v[154:155], v[124:125], v[146:147]
	s_wait_loadcnt 0x5
	v_fmac_f64_e32 v[154:155], v[126:127], v[148:149]
	ds_load_b128 v[124:127], v2 offset:672
	ds_load_b128 v[142:145], v2 offset:688
	scratch_load_b128 v[146:149], off, off offset:296
	s_wait_dscnt 0x1
	v_fmac_f64_e32 v[154:155], v[128:129], v[124:125]
	s_wait_loadcnt 0x5
	s_delay_alu instid0(VALU_DEP_1) | instskip(SKIP_4) | instid1(VALU_DEP_1)
	v_fmac_f64_e32 v[154:155], v[130:131], v[126:127]
	scratch_load_b128 v[124:127], off, off offset:312
	s_wait_dscnt 0x0
	v_fmac_f64_e32 v[154:155], v[132:133], v[142:143]
	s_wait_loadcnt 0x5
	v_fmac_f64_e32 v[154:155], v[134:135], v[144:145]
	ds_load_b128 v[128:131], v2 offset:704
	ds_load_b128 v[132:135], v2 offset:720
	scratch_load_b128 v[142:145], off, off offset:328
	s_wait_dscnt 0x1
	v_fmac_f64_e32 v[154:155], v[136:137], v[128:129]
	s_wait_loadcnt 0x5
	s_delay_alu instid0(VALU_DEP_1) | instskip(SKIP_4) | instid1(VALU_DEP_1)
	v_fmac_f64_e32 v[154:155], v[138:139], v[130:131]
	scratch_load_b128 v[128:131], off, off offset:344
	s_wait_dscnt 0x0
	v_fmac_f64_e32 v[154:155], v[140:141], v[132:133]
	s_wait_loadcnt 0x5
	v_fmac_f64_e32 v[154:155], v[150:151], v[134:135]
	ds_load_b128 v[132:135], v2 offset:736
	ds_load_b128 v[136:139], v2 offset:752
	s_wait_dscnt 0x1
	v_fmac_f64_e32 v[154:155], v[152:153], v[132:133]
	scratch_load_b128 v[150:153], off, off offset:360
	s_wait_loadcnt 0x5
	v_fmac_f64_e32 v[154:155], v[120:121], v[134:135]
	s_wait_dscnt 0x0
	s_delay_alu instid0(VALU_DEP_1)
	v_fmac_f64_e32 v[154:155], v[122:123], v[136:137]
	scratch_load_b128 v[120:123], off, off offset:376
	s_wait_loadcnt 0x5
	v_fmac_f64_e32 v[154:155], v[146:147], v[138:139]
	ds_load_b128 v[132:135], v2 offset:768
	ds_load_b128 v[136:139], v2 offset:784
	s_wait_dscnt 0x1
	v_fmac_f64_e32 v[154:155], v[148:149], v[132:133]
	s_wait_loadcnt 0x4
	s_delay_alu instid0(VALU_DEP_1)
	v_fmac_f64_e32 v[154:155], v[124:125], v[134:135]
	scratch_load_b128 v[132:135], off, off offset:392
	s_wait_dscnt 0x0
	v_fmac_f64_e32 v[154:155], v[126:127], v[136:137]
	scratch_load_b128 v[124:127], off, off offset:408
	s_wait_loadcnt 0x5
	v_fmac_f64_e32 v[154:155], v[142:143], v[138:139]
	ds_load_b128 v[136:139], v2 offset:800
	ds_load_b128 v[140:143], v2 offset:816
	s_wait_dscnt 0x1
	v_fmac_f64_e32 v[154:155], v[144:145], v[136:137]
	s_wait_loadcnt 0x4
	s_delay_alu instid0(VALU_DEP_1)
	v_fmac_f64_e32 v[154:155], v[128:129], v[138:139]
	scratch_load_b128 v[136:139], off, off offset:424
	s_wait_dscnt 0x0
	v_fmac_f64_e32 v[154:155], v[130:131], v[140:141]
	scratch_load_b128 v[128:131], off, off offset:440
	s_wait_loadcnt 0x5
	v_fmac_f64_e32 v[154:155], v[150:151], v[142:143]
	ds_load_b128 v[140:143], v2 offset:832
	ds_load_b128 v[144:147], v2 offset:848
	s_wait_dscnt 0x1
	v_fmac_f64_e32 v[154:155], v[152:153], v[140:141]
	s_wait_loadcnt 0x4
	s_delay_alu instid0(VALU_DEP_1) | instskip(SKIP_1) | instid1(VALU_DEP_1)
	v_fmac_f64_e32 v[154:155], v[120:121], v[142:143]
	s_wait_dscnt 0x0
	v_fmac_f64_e32 v[154:155], v[122:123], v[144:145]
	ds_load_b128 v[120:123], v2 offset:864
	ds_load_b128 v[140:143], v2 offset:880
	s_wait_loadcnt 0x3
	v_fmac_f64_e32 v[154:155], v[132:133], v[146:147]
	s_wait_dscnt 0x1
	s_delay_alu instid0(VALU_DEP_1) | instskip(SKIP_1) | instid1(VALU_DEP_1)
	v_fmac_f64_e32 v[154:155], v[134:135], v[120:121]
	s_wait_loadcnt 0x2
	v_fmac_f64_e32 v[154:155], v[124:125], v[122:123]
	ds_load_b128 v[120:123], v2 offset:896
	ds_load_b64 v[124:125], v2 offset:912
	s_wait_dscnt 0x2
	v_fmac_f64_e32 v[154:155], v[126:127], v[140:141]
	s_wait_loadcnt 0x1
	s_delay_alu instid0(VALU_DEP_1) | instskip(SKIP_1) | instid1(VALU_DEP_1)
	v_fmac_f64_e32 v[154:155], v[136:137], v[142:143]
	s_wait_dscnt 0x1
	v_fmac_f64_e32 v[154:155], v[138:139], v[120:121]
	s_wait_loadcnt 0x0
	s_delay_alu instid0(VALU_DEP_1) | instskip(SKIP_1) | instid1(VALU_DEP_1)
	v_fmac_f64_e32 v[154:155], v[128:129], v[122:123]
	s_wait_dscnt 0x0
	v_fmac_f64_e32 v[154:155], v[130:131], v[124:125]
	s_delay_alu instid0(VALU_DEP_1)
	v_add_f64_e64 v[118:119], v[118:119], -v[154:155]
	scratch_store_b64 off, v[118:119], off offset:168
	s_wait_xcnt 0x0
	v_cmpx_lt_u32_e32 20, v0
	s_cbranch_execz .LBB120_311
; %bb.310:
	scratch_load_b64 v[118:119], off, off offset:160
	v_mov_b64_e32 v[120:121], 0
	scratch_store_b64 off, v[120:121], off offset:160
	s_wait_loadcnt 0x0
	ds_store_b64 v1, v[118:119]
.LBB120_311:
	s_wait_xcnt 0x0
	s_or_b32 exec_lo, exec_lo, s0
	s_wait_storecnt_dscnt 0x0
	s_barrier_signal -1
	s_barrier_wait -1
	s_clause 0x5
	scratch_load_b128 v[118:121], off, off offset:160
	scratch_load_b128 v[122:125], off, off offset:176
	;; [unrolled: 1-line block ×6, first 2 shown]
	ds_load_2addr_b64 v[142:145], v2 offset0:79 offset1:80
	ds_load_2addr_b64 v[146:149], v2 offset0:81 offset1:82
	scratch_load_b128 v[150:153], off, off offset:256
	s_mov_b32 s0, exec_lo
	s_wait_loadcnt_dscnt 0x601
	v_fma_f64 v[154:155], v[120:121], v[142:143], 0
	s_wait_loadcnt 0x5
	s_delay_alu instid0(VALU_DEP_1) | instskip(SKIP_4) | instid1(VALU_DEP_1)
	v_fmac_f64_e32 v[154:155], v[122:123], v[144:145]
	scratch_load_b128 v[120:123], off, off offset:272
	s_wait_dscnt 0x0
	v_fmac_f64_e32 v[154:155], v[124:125], v[146:147]
	s_wait_loadcnt 0x5
	v_fmac_f64_e32 v[154:155], v[126:127], v[148:149]
	ds_load_2addr_b64 v[124:127], v2 offset0:83 offset1:84
	ds_load_2addr_b64 v[142:145], v2 offset0:85 offset1:86
	scratch_load_b128 v[146:149], off, off offset:288
	s_wait_dscnt 0x1
	v_fmac_f64_e32 v[154:155], v[128:129], v[124:125]
	s_wait_loadcnt 0x5
	s_delay_alu instid0(VALU_DEP_1) | instskip(SKIP_4) | instid1(VALU_DEP_1)
	v_fmac_f64_e32 v[154:155], v[130:131], v[126:127]
	scratch_load_b128 v[124:127], off, off offset:304
	s_wait_dscnt 0x0
	v_fmac_f64_e32 v[154:155], v[132:133], v[142:143]
	s_wait_loadcnt 0x5
	v_fmac_f64_e32 v[154:155], v[134:135], v[144:145]
	ds_load_2addr_b64 v[128:131], v2 offset0:87 offset1:88
	ds_load_2addr_b64 v[132:135], v2 offset0:89 offset1:90
	scratch_load_b128 v[142:145], off, off offset:320
	s_wait_dscnt 0x1
	v_fmac_f64_e32 v[154:155], v[136:137], v[128:129]
	s_wait_loadcnt 0x5
	s_delay_alu instid0(VALU_DEP_1) | instskip(SKIP_4) | instid1(VALU_DEP_1)
	v_fmac_f64_e32 v[154:155], v[138:139], v[130:131]
	scratch_load_b128 v[128:131], off, off offset:336
	s_wait_dscnt 0x0
	v_fmac_f64_e32 v[154:155], v[140:141], v[132:133]
	s_wait_loadcnt 0x5
	v_fmac_f64_e32 v[154:155], v[150:151], v[134:135]
	ds_load_2addr_b64 v[132:135], v2 offset0:91 offset1:92
	ds_load_2addr_b64 v[136:139], v2 offset0:93 offset1:94
	s_wait_dscnt 0x1
	v_fmac_f64_e32 v[154:155], v[152:153], v[132:133]
	scratch_load_b128 v[150:153], off, off offset:352
	s_wait_loadcnt 0x5
	v_fmac_f64_e32 v[154:155], v[120:121], v[134:135]
	s_wait_dscnt 0x0
	s_delay_alu instid0(VALU_DEP_1)
	v_fmac_f64_e32 v[154:155], v[122:123], v[136:137]
	scratch_load_b128 v[120:123], off, off offset:368
	s_wait_loadcnt 0x5
	v_fmac_f64_e32 v[154:155], v[146:147], v[138:139]
	ds_load_2addr_b64 v[132:135], v2 offset0:95 offset1:96
	ds_load_2addr_b64 v[136:139], v2 offset0:97 offset1:98
	s_wait_dscnt 0x1
	v_fmac_f64_e32 v[154:155], v[148:149], v[132:133]
	s_wait_loadcnt 0x4
	s_delay_alu instid0(VALU_DEP_1)
	v_fmac_f64_e32 v[154:155], v[124:125], v[134:135]
	scratch_load_b128 v[132:135], off, off offset:384
	s_wait_dscnt 0x0
	v_fmac_f64_e32 v[154:155], v[126:127], v[136:137]
	scratch_load_b128 v[124:127], off, off offset:400
	s_wait_loadcnt 0x5
	v_fmac_f64_e32 v[154:155], v[142:143], v[138:139]
	ds_load_2addr_b64 v[136:139], v2 offset0:99 offset1:100
	ds_load_2addr_b64 v[140:143], v2 offset0:101 offset1:102
	s_wait_dscnt 0x1
	v_fmac_f64_e32 v[154:155], v[144:145], v[136:137]
	s_wait_loadcnt 0x4
	s_delay_alu instid0(VALU_DEP_1)
	v_fmac_f64_e32 v[154:155], v[128:129], v[138:139]
	scratch_load_b128 v[136:139], off, off offset:416
	s_wait_dscnt 0x0
	v_fmac_f64_e32 v[154:155], v[130:131], v[140:141]
	scratch_load_b128 v[128:131], off, off offset:432
	s_wait_loadcnt 0x5
	v_fmac_f64_e32 v[154:155], v[150:151], v[142:143]
	ds_load_2addr_b64 v[140:143], v2 offset0:103 offset1:104
	ds_load_2addr_b64 v[144:147], v2 offset0:105 offset1:106
	scratch_load_b64 v[148:149], off, off offset:448
	s_wait_dscnt 0x1
	v_fmac_f64_e32 v[154:155], v[152:153], v[140:141]
	s_wait_loadcnt 0x5
	s_delay_alu instid0(VALU_DEP_1) | instskip(SKIP_1) | instid1(VALU_DEP_1)
	v_fmac_f64_e32 v[154:155], v[120:121], v[142:143]
	s_wait_dscnt 0x0
	v_fmac_f64_e32 v[154:155], v[122:123], v[144:145]
	ds_load_2addr_b64 v[120:123], v2 offset0:107 offset1:108
	ds_load_2addr_b64 v[140:143], v2 offset0:109 offset1:110
	s_wait_loadcnt 0x4
	v_fmac_f64_e32 v[154:155], v[132:133], v[146:147]
	s_wait_dscnt 0x1
	s_delay_alu instid0(VALU_DEP_1) | instskip(SKIP_1) | instid1(VALU_DEP_1)
	v_fmac_f64_e32 v[154:155], v[134:135], v[120:121]
	s_wait_loadcnt 0x3
	v_fmac_f64_e32 v[154:155], v[124:125], v[122:123]
	s_wait_dscnt 0x0
	s_delay_alu instid0(VALU_DEP_1)
	v_fmac_f64_e32 v[154:155], v[126:127], v[140:141]
	ds_load_2addr_b64 v[120:123], v2 offset0:111 offset1:112
	ds_load_2addr_b64 v[124:127], v2 offset0:113 offset1:114
	s_wait_loadcnt 0x2
	v_fmac_f64_e32 v[154:155], v[136:137], v[142:143]
	s_wait_dscnt 0x1
	s_delay_alu instid0(VALU_DEP_1) | instskip(SKIP_1) | instid1(VALU_DEP_1)
	v_fmac_f64_e32 v[154:155], v[138:139], v[120:121]
	s_wait_loadcnt 0x1
	v_fmac_f64_e32 v[154:155], v[128:129], v[122:123]
	s_wait_dscnt 0x0
	s_delay_alu instid0(VALU_DEP_1) | instskip(SKIP_1) | instid1(VALU_DEP_1)
	v_fmac_f64_e32 v[154:155], v[130:131], v[124:125]
	s_wait_loadcnt 0x0
	v_fmac_f64_e32 v[154:155], v[148:149], v[126:127]
	s_delay_alu instid0(VALU_DEP_1)
	v_add_f64_e64 v[2:3], v[118:119], -v[154:155]
	scratch_store_b64 off, v[2:3], off offset:160
	s_wait_xcnt 0x0
	v_cmpx_lt_u32_e32 19, v0
	s_cbranch_execz .LBB120_313
; %bb.312:
	scratch_load_b64 v[2:3], off, off offset:152
	v_mov_b64_e32 v[118:119], 0
	scratch_store_b64 off, v[118:119], off offset:152
	s_wait_loadcnt 0x0
	ds_store_b64 v1, v[2:3]
.LBB120_313:
	s_wait_xcnt 0x0
	s_or_b32 exec_lo, exec_lo, s0
	s_wait_storecnt_dscnt 0x0
	s_barrier_signal -1
	s_barrier_wait -1
	s_clause 0x5
	scratch_load_b128 v[118:121], off, off offset:152
	scratch_load_b128 v[122:125], off, off offset:168
	;; [unrolled: 1-line block ×6, first 2 shown]
	v_mov_b32_e32 v2, 0
	ds_load_b128 v[142:145], v2 offset:624
	ds_load_b128 v[146:149], v2 offset:640
	scratch_load_b128 v[150:153], off, off offset:248
	s_mov_b32 s0, exec_lo
	s_wait_loadcnt_dscnt 0x601
	v_fma_f64 v[154:155], v[120:121], v[142:143], 0
	s_wait_loadcnt 0x5
	s_delay_alu instid0(VALU_DEP_1) | instskip(SKIP_4) | instid1(VALU_DEP_1)
	v_fmac_f64_e32 v[154:155], v[122:123], v[144:145]
	scratch_load_b128 v[120:123], off, off offset:264
	s_wait_dscnt 0x0
	v_fmac_f64_e32 v[154:155], v[124:125], v[146:147]
	s_wait_loadcnt 0x5
	v_fmac_f64_e32 v[154:155], v[126:127], v[148:149]
	ds_load_b128 v[124:127], v2 offset:656
	ds_load_b128 v[142:145], v2 offset:672
	scratch_load_b128 v[146:149], off, off offset:280
	s_wait_dscnt 0x1
	v_fmac_f64_e32 v[154:155], v[128:129], v[124:125]
	s_wait_loadcnt 0x5
	s_delay_alu instid0(VALU_DEP_1) | instskip(SKIP_4) | instid1(VALU_DEP_1)
	v_fmac_f64_e32 v[154:155], v[130:131], v[126:127]
	scratch_load_b128 v[124:127], off, off offset:296
	s_wait_dscnt 0x0
	v_fmac_f64_e32 v[154:155], v[132:133], v[142:143]
	s_wait_loadcnt 0x5
	v_fmac_f64_e32 v[154:155], v[134:135], v[144:145]
	ds_load_b128 v[128:131], v2 offset:688
	ds_load_b128 v[132:135], v2 offset:704
	scratch_load_b128 v[142:145], off, off offset:312
	s_wait_dscnt 0x1
	v_fmac_f64_e32 v[154:155], v[136:137], v[128:129]
	s_wait_loadcnt 0x5
	s_delay_alu instid0(VALU_DEP_1) | instskip(SKIP_4) | instid1(VALU_DEP_1)
	v_fmac_f64_e32 v[154:155], v[138:139], v[130:131]
	scratch_load_b128 v[128:131], off, off offset:328
	s_wait_dscnt 0x0
	v_fmac_f64_e32 v[154:155], v[140:141], v[132:133]
	s_wait_loadcnt 0x5
	v_fmac_f64_e32 v[154:155], v[150:151], v[134:135]
	ds_load_b128 v[132:135], v2 offset:720
	ds_load_b128 v[136:139], v2 offset:736
	s_wait_dscnt 0x1
	v_fmac_f64_e32 v[154:155], v[152:153], v[132:133]
	scratch_load_b128 v[150:153], off, off offset:344
	s_wait_loadcnt 0x5
	v_fmac_f64_e32 v[154:155], v[120:121], v[134:135]
	s_wait_dscnt 0x0
	s_delay_alu instid0(VALU_DEP_1)
	v_fmac_f64_e32 v[154:155], v[122:123], v[136:137]
	scratch_load_b128 v[120:123], off, off offset:360
	s_wait_loadcnt 0x5
	v_fmac_f64_e32 v[154:155], v[146:147], v[138:139]
	ds_load_b128 v[132:135], v2 offset:752
	ds_load_b128 v[136:139], v2 offset:768
	s_wait_dscnt 0x1
	v_fmac_f64_e32 v[154:155], v[148:149], v[132:133]
	s_wait_loadcnt 0x4
	s_delay_alu instid0(VALU_DEP_1)
	v_fmac_f64_e32 v[154:155], v[124:125], v[134:135]
	scratch_load_b128 v[132:135], off, off offset:376
	s_wait_dscnt 0x0
	v_fmac_f64_e32 v[154:155], v[126:127], v[136:137]
	scratch_load_b128 v[124:127], off, off offset:392
	s_wait_loadcnt 0x5
	v_fmac_f64_e32 v[154:155], v[142:143], v[138:139]
	ds_load_b128 v[136:139], v2 offset:784
	ds_load_b128 v[140:143], v2 offset:800
	s_wait_dscnt 0x1
	v_fmac_f64_e32 v[154:155], v[144:145], v[136:137]
	s_wait_loadcnt 0x4
	s_delay_alu instid0(VALU_DEP_1)
	v_fmac_f64_e32 v[154:155], v[128:129], v[138:139]
	scratch_load_b128 v[136:139], off, off offset:408
	s_wait_dscnt 0x0
	v_fmac_f64_e32 v[154:155], v[130:131], v[140:141]
	scratch_load_b128 v[128:131], off, off offset:424
	s_wait_loadcnt 0x5
	v_fmac_f64_e32 v[154:155], v[150:151], v[142:143]
	ds_load_b128 v[140:143], v2 offset:816
	ds_load_b128 v[144:147], v2 offset:832
	s_wait_dscnt 0x1
	v_fmac_f64_e32 v[154:155], v[152:153], v[140:141]
	s_wait_loadcnt 0x4
	s_delay_alu instid0(VALU_DEP_1) | instskip(SKIP_4) | instid1(VALU_DEP_1)
	v_fmac_f64_e32 v[154:155], v[120:121], v[142:143]
	scratch_load_b128 v[140:143], off, off offset:440
	s_wait_dscnt 0x0
	v_fmac_f64_e32 v[154:155], v[122:123], v[144:145]
	s_wait_loadcnt 0x4
	v_fmac_f64_e32 v[154:155], v[132:133], v[146:147]
	ds_load_b128 v[120:123], v2 offset:848
	ds_load_b128 v[144:147], v2 offset:864
	s_wait_dscnt 0x1
	v_fmac_f64_e32 v[154:155], v[134:135], v[120:121]
	s_wait_loadcnt 0x3
	s_delay_alu instid0(VALU_DEP_1) | instskip(SKIP_1) | instid1(VALU_DEP_1)
	v_fmac_f64_e32 v[154:155], v[124:125], v[122:123]
	s_wait_dscnt 0x0
	v_fmac_f64_e32 v[154:155], v[126:127], v[144:145]
	ds_load_b128 v[120:123], v2 offset:880
	ds_load_b128 v[124:127], v2 offset:896
	s_wait_loadcnt 0x2
	v_fmac_f64_e32 v[154:155], v[136:137], v[146:147]
	s_wait_dscnt 0x1
	s_delay_alu instid0(VALU_DEP_1) | instskip(SKIP_4) | instid1(VALU_DEP_1)
	v_fmac_f64_e32 v[154:155], v[138:139], v[120:121]
	ds_load_b64 v[120:121], v2 offset:912
	s_wait_loadcnt 0x1
	v_fmac_f64_e32 v[154:155], v[128:129], v[122:123]
	s_wait_dscnt 0x1
	v_fmac_f64_e32 v[154:155], v[130:131], v[124:125]
	s_wait_loadcnt 0x0
	s_delay_alu instid0(VALU_DEP_1) | instskip(SKIP_1) | instid1(VALU_DEP_1)
	v_fmac_f64_e32 v[154:155], v[140:141], v[126:127]
	s_wait_dscnt 0x0
	v_fmac_f64_e32 v[154:155], v[142:143], v[120:121]
	s_delay_alu instid0(VALU_DEP_1)
	v_add_f64_e64 v[118:119], v[118:119], -v[154:155]
	scratch_store_b64 off, v[118:119], off offset:152
	s_wait_xcnt 0x0
	v_cmpx_lt_u32_e32 18, v0
	s_cbranch_execz .LBB120_315
; %bb.314:
	scratch_load_b64 v[118:119], off, off offset:144
	v_mov_b64_e32 v[120:121], 0
	scratch_store_b64 off, v[120:121], off offset:144
	s_wait_loadcnt 0x0
	ds_store_b64 v1, v[118:119]
.LBB120_315:
	s_wait_xcnt 0x0
	s_or_b32 exec_lo, exec_lo, s0
	s_wait_storecnt_dscnt 0x0
	s_barrier_signal -1
	s_barrier_wait -1
	s_clause 0x5
	scratch_load_b128 v[118:121], off, off offset:144
	scratch_load_b128 v[122:125], off, off offset:160
	;; [unrolled: 1-line block ×6, first 2 shown]
	ds_load_2addr_b64 v[142:145], v2 offset0:77 offset1:78
	ds_load_2addr_b64 v[146:149], v2 offset0:79 offset1:80
	scratch_load_b128 v[150:153], off, off offset:240
	s_mov_b32 s0, exec_lo
	s_wait_loadcnt_dscnt 0x601
	v_fma_f64 v[154:155], v[120:121], v[142:143], 0
	s_wait_loadcnt 0x5
	s_delay_alu instid0(VALU_DEP_1) | instskip(SKIP_4) | instid1(VALU_DEP_1)
	v_fmac_f64_e32 v[154:155], v[122:123], v[144:145]
	scratch_load_b128 v[120:123], off, off offset:256
	s_wait_dscnt 0x0
	v_fmac_f64_e32 v[154:155], v[124:125], v[146:147]
	s_wait_loadcnt 0x5
	v_fmac_f64_e32 v[154:155], v[126:127], v[148:149]
	ds_load_2addr_b64 v[124:127], v2 offset0:81 offset1:82
	ds_load_2addr_b64 v[142:145], v2 offset0:83 offset1:84
	scratch_load_b128 v[146:149], off, off offset:272
	s_wait_dscnt 0x1
	v_fmac_f64_e32 v[154:155], v[128:129], v[124:125]
	s_wait_loadcnt 0x5
	s_delay_alu instid0(VALU_DEP_1) | instskip(SKIP_4) | instid1(VALU_DEP_1)
	v_fmac_f64_e32 v[154:155], v[130:131], v[126:127]
	scratch_load_b128 v[124:127], off, off offset:288
	s_wait_dscnt 0x0
	v_fmac_f64_e32 v[154:155], v[132:133], v[142:143]
	s_wait_loadcnt 0x5
	v_fmac_f64_e32 v[154:155], v[134:135], v[144:145]
	ds_load_2addr_b64 v[128:131], v2 offset0:85 offset1:86
	ds_load_2addr_b64 v[132:135], v2 offset0:87 offset1:88
	scratch_load_b128 v[142:145], off, off offset:304
	s_wait_dscnt 0x1
	v_fmac_f64_e32 v[154:155], v[136:137], v[128:129]
	s_wait_loadcnt 0x5
	s_delay_alu instid0(VALU_DEP_1) | instskip(SKIP_4) | instid1(VALU_DEP_1)
	v_fmac_f64_e32 v[154:155], v[138:139], v[130:131]
	scratch_load_b128 v[128:131], off, off offset:320
	s_wait_dscnt 0x0
	v_fmac_f64_e32 v[154:155], v[140:141], v[132:133]
	s_wait_loadcnt 0x5
	v_fmac_f64_e32 v[154:155], v[150:151], v[134:135]
	ds_load_2addr_b64 v[132:135], v2 offset0:89 offset1:90
	ds_load_2addr_b64 v[136:139], v2 offset0:91 offset1:92
	s_wait_dscnt 0x1
	v_fmac_f64_e32 v[154:155], v[152:153], v[132:133]
	scratch_load_b128 v[150:153], off, off offset:336
	s_wait_loadcnt 0x5
	v_fmac_f64_e32 v[154:155], v[120:121], v[134:135]
	s_wait_dscnt 0x0
	s_delay_alu instid0(VALU_DEP_1)
	v_fmac_f64_e32 v[154:155], v[122:123], v[136:137]
	scratch_load_b128 v[120:123], off, off offset:352
	s_wait_loadcnt 0x5
	v_fmac_f64_e32 v[154:155], v[146:147], v[138:139]
	ds_load_2addr_b64 v[132:135], v2 offset0:93 offset1:94
	ds_load_2addr_b64 v[136:139], v2 offset0:95 offset1:96
	s_wait_dscnt 0x1
	v_fmac_f64_e32 v[154:155], v[148:149], v[132:133]
	scratch_load_b128 v[146:149], off, off offset:368
	s_wait_loadcnt 0x5
	v_fmac_f64_e32 v[154:155], v[124:125], v[134:135]
	s_wait_dscnt 0x0
	s_delay_alu instid0(VALU_DEP_1)
	v_fmac_f64_e32 v[154:155], v[126:127], v[136:137]
	scratch_load_b128 v[124:127], off, off offset:384
	s_wait_loadcnt 0x5
	v_fmac_f64_e32 v[154:155], v[142:143], v[138:139]
	ds_load_2addr_b64 v[132:135], v2 offset0:97 offset1:98
	ds_load_2addr_b64 v[136:139], v2 offset0:99 offset1:100
	s_wait_dscnt 0x1
	v_fmac_f64_e32 v[154:155], v[144:145], v[132:133]
	s_wait_loadcnt 0x4
	s_delay_alu instid0(VALU_DEP_1)
	v_fmac_f64_e32 v[154:155], v[128:129], v[134:135]
	scratch_load_b128 v[132:135], off, off offset:400
	s_wait_dscnt 0x0
	v_fmac_f64_e32 v[154:155], v[130:131], v[136:137]
	scratch_load_b128 v[128:131], off, off offset:416
	s_wait_loadcnt 0x5
	v_fmac_f64_e32 v[154:155], v[150:151], v[138:139]
	ds_load_2addr_b64 v[136:139], v2 offset0:101 offset1:102
	ds_load_2addr_b64 v[140:143], v2 offset0:103 offset1:104
	scratch_load_b64 v[144:145], off, off offset:448
	s_wait_dscnt 0x1
	v_fmac_f64_e32 v[154:155], v[152:153], v[136:137]
	s_wait_loadcnt 0x5
	s_delay_alu instid0(VALU_DEP_1) | instskip(SKIP_4) | instid1(VALU_DEP_1)
	v_fmac_f64_e32 v[154:155], v[120:121], v[138:139]
	scratch_load_b128 v[136:139], off, off offset:432
	s_wait_dscnt 0x0
	v_fmac_f64_e32 v[154:155], v[122:123], v[140:141]
	s_wait_loadcnt 0x5
	v_fmac_f64_e32 v[154:155], v[146:147], v[142:143]
	ds_load_2addr_b64 v[120:123], v2 offset0:105 offset1:106
	ds_load_2addr_b64 v[140:143], v2 offset0:107 offset1:108
	s_wait_dscnt 0x1
	v_fmac_f64_e32 v[154:155], v[148:149], v[120:121]
	s_wait_loadcnt 0x4
	s_delay_alu instid0(VALU_DEP_1) | instskip(SKIP_1) | instid1(VALU_DEP_1)
	v_fmac_f64_e32 v[154:155], v[124:125], v[122:123]
	s_wait_dscnt 0x0
	v_fmac_f64_e32 v[154:155], v[126:127], v[140:141]
	ds_load_2addr_b64 v[120:123], v2 offset0:109 offset1:110
	ds_load_2addr_b64 v[124:127], v2 offset0:111 offset1:112
	s_wait_loadcnt 0x3
	v_fmac_f64_e32 v[154:155], v[132:133], v[142:143]
	s_wait_dscnt 0x1
	s_delay_alu instid0(VALU_DEP_1) | instskip(SKIP_1) | instid1(VALU_DEP_1)
	v_fmac_f64_e32 v[154:155], v[134:135], v[120:121]
	s_wait_loadcnt 0x2
	v_fmac_f64_e32 v[154:155], v[128:129], v[122:123]
	ds_load_2addr_b64 v[120:123], v2 offset0:113 offset1:114
	s_wait_dscnt 0x1
	v_fmac_f64_e32 v[154:155], v[130:131], v[124:125]
	s_wait_loadcnt 0x0
	s_delay_alu instid0(VALU_DEP_1) | instskip(SKIP_1) | instid1(VALU_DEP_1)
	v_fmac_f64_e32 v[154:155], v[136:137], v[126:127]
	s_wait_dscnt 0x0
	v_fmac_f64_e32 v[154:155], v[138:139], v[120:121]
	s_delay_alu instid0(VALU_DEP_1) | instskip(NEXT) | instid1(VALU_DEP_1)
	v_fmac_f64_e32 v[154:155], v[144:145], v[122:123]
	v_add_f64_e64 v[2:3], v[118:119], -v[154:155]
	scratch_store_b64 off, v[2:3], off offset:144
	s_wait_xcnt 0x0
	v_cmpx_lt_u32_e32 17, v0
	s_cbranch_execz .LBB120_317
; %bb.316:
	scratch_load_b64 v[2:3], off, off offset:136
	v_mov_b64_e32 v[118:119], 0
	scratch_store_b64 off, v[118:119], off offset:136
	s_wait_loadcnt 0x0
	ds_store_b64 v1, v[2:3]
.LBB120_317:
	s_wait_xcnt 0x0
	s_or_b32 exec_lo, exec_lo, s0
	s_wait_storecnt_dscnt 0x0
	s_barrier_signal -1
	s_barrier_wait -1
	s_clause 0x5
	scratch_load_b128 v[118:121], off, off offset:136
	scratch_load_b128 v[122:125], off, off offset:152
	;; [unrolled: 1-line block ×6, first 2 shown]
	v_mov_b32_e32 v2, 0
	ds_load_b128 v[142:145], v2 offset:608
	ds_load_b128 v[146:149], v2 offset:624
	scratch_load_b128 v[150:153], off, off offset:232
	s_mov_b32 s0, exec_lo
	s_wait_loadcnt_dscnt 0x601
	v_fma_f64 v[154:155], v[120:121], v[142:143], 0
	s_wait_loadcnt 0x5
	s_delay_alu instid0(VALU_DEP_1) | instskip(SKIP_4) | instid1(VALU_DEP_1)
	v_fmac_f64_e32 v[154:155], v[122:123], v[144:145]
	scratch_load_b128 v[120:123], off, off offset:248
	s_wait_dscnt 0x0
	v_fmac_f64_e32 v[154:155], v[124:125], v[146:147]
	s_wait_loadcnt 0x5
	v_fmac_f64_e32 v[154:155], v[126:127], v[148:149]
	ds_load_b128 v[124:127], v2 offset:640
	ds_load_b128 v[142:145], v2 offset:656
	scratch_load_b128 v[146:149], off, off offset:264
	s_wait_dscnt 0x1
	v_fmac_f64_e32 v[154:155], v[128:129], v[124:125]
	s_wait_loadcnt 0x5
	s_delay_alu instid0(VALU_DEP_1) | instskip(SKIP_4) | instid1(VALU_DEP_1)
	v_fmac_f64_e32 v[154:155], v[130:131], v[126:127]
	scratch_load_b128 v[124:127], off, off offset:280
	s_wait_dscnt 0x0
	v_fmac_f64_e32 v[154:155], v[132:133], v[142:143]
	s_wait_loadcnt 0x5
	v_fmac_f64_e32 v[154:155], v[134:135], v[144:145]
	ds_load_b128 v[128:131], v2 offset:672
	ds_load_b128 v[132:135], v2 offset:688
	scratch_load_b128 v[142:145], off, off offset:296
	s_wait_dscnt 0x1
	v_fmac_f64_e32 v[154:155], v[136:137], v[128:129]
	s_wait_loadcnt 0x5
	s_delay_alu instid0(VALU_DEP_1) | instskip(SKIP_4) | instid1(VALU_DEP_1)
	v_fmac_f64_e32 v[154:155], v[138:139], v[130:131]
	scratch_load_b128 v[128:131], off, off offset:312
	s_wait_dscnt 0x0
	v_fmac_f64_e32 v[154:155], v[140:141], v[132:133]
	s_wait_loadcnt 0x5
	v_fmac_f64_e32 v[154:155], v[150:151], v[134:135]
	ds_load_b128 v[132:135], v2 offset:704
	ds_load_b128 v[136:139], v2 offset:720
	s_wait_dscnt 0x1
	v_fmac_f64_e32 v[154:155], v[152:153], v[132:133]
	scratch_load_b128 v[150:153], off, off offset:328
	s_wait_loadcnt 0x5
	v_fmac_f64_e32 v[154:155], v[120:121], v[134:135]
	s_wait_dscnt 0x0
	s_delay_alu instid0(VALU_DEP_1)
	v_fmac_f64_e32 v[154:155], v[122:123], v[136:137]
	scratch_load_b128 v[120:123], off, off offset:344
	s_wait_loadcnt 0x5
	v_fmac_f64_e32 v[154:155], v[146:147], v[138:139]
	ds_load_b128 v[132:135], v2 offset:736
	ds_load_b128 v[136:139], v2 offset:752
	s_wait_dscnt 0x1
	v_fmac_f64_e32 v[154:155], v[148:149], v[132:133]
	scratch_load_b128 v[146:149], off, off offset:360
	s_wait_loadcnt 0x5
	v_fmac_f64_e32 v[154:155], v[124:125], v[134:135]
	s_wait_dscnt 0x0
	s_delay_alu instid0(VALU_DEP_1)
	v_fmac_f64_e32 v[154:155], v[126:127], v[136:137]
	scratch_load_b128 v[124:127], off, off offset:376
	s_wait_loadcnt 0x5
	v_fmac_f64_e32 v[154:155], v[142:143], v[138:139]
	ds_load_b128 v[132:135], v2 offset:768
	ds_load_b128 v[136:139], v2 offset:784
	s_wait_dscnt 0x1
	v_fmac_f64_e32 v[154:155], v[144:145], v[132:133]
	s_wait_loadcnt 0x4
	s_delay_alu instid0(VALU_DEP_1)
	v_fmac_f64_e32 v[154:155], v[128:129], v[134:135]
	scratch_load_b128 v[132:135], off, off offset:392
	s_wait_dscnt 0x0
	v_fmac_f64_e32 v[154:155], v[130:131], v[136:137]
	scratch_load_b128 v[128:131], off, off offset:408
	s_wait_loadcnt 0x5
	v_fmac_f64_e32 v[154:155], v[150:151], v[138:139]
	ds_load_b128 v[136:139], v2 offset:800
	ds_load_b128 v[140:143], v2 offset:816
	s_wait_dscnt 0x1
	v_fmac_f64_e32 v[154:155], v[152:153], v[136:137]
	s_wait_loadcnt 0x4
	s_delay_alu instid0(VALU_DEP_1)
	v_fmac_f64_e32 v[154:155], v[120:121], v[138:139]
	scratch_load_b128 v[136:139], off, off offset:424
	s_wait_dscnt 0x0
	v_fmac_f64_e32 v[154:155], v[122:123], v[140:141]
	scratch_load_b128 v[120:123], off, off offset:440
	s_wait_loadcnt 0x5
	v_fmac_f64_e32 v[154:155], v[146:147], v[142:143]
	ds_load_b128 v[140:143], v2 offset:832
	ds_load_b128 v[144:147], v2 offset:848
	s_wait_dscnt 0x1
	v_fmac_f64_e32 v[154:155], v[148:149], v[140:141]
	s_wait_loadcnt 0x4
	s_delay_alu instid0(VALU_DEP_1) | instskip(SKIP_1) | instid1(VALU_DEP_1)
	v_fmac_f64_e32 v[154:155], v[124:125], v[142:143]
	s_wait_dscnt 0x0
	v_fmac_f64_e32 v[154:155], v[126:127], v[144:145]
	ds_load_b128 v[124:127], v2 offset:864
	ds_load_b128 v[140:143], v2 offset:880
	s_wait_loadcnt 0x3
	v_fmac_f64_e32 v[154:155], v[132:133], v[146:147]
	s_wait_dscnt 0x1
	s_delay_alu instid0(VALU_DEP_1) | instskip(SKIP_1) | instid1(VALU_DEP_1)
	v_fmac_f64_e32 v[154:155], v[134:135], v[124:125]
	s_wait_loadcnt 0x2
	v_fmac_f64_e32 v[154:155], v[128:129], v[126:127]
	ds_load_b128 v[124:127], v2 offset:896
	ds_load_b64 v[128:129], v2 offset:912
	s_wait_dscnt 0x2
	v_fmac_f64_e32 v[154:155], v[130:131], v[140:141]
	s_wait_loadcnt 0x1
	s_delay_alu instid0(VALU_DEP_1) | instskip(SKIP_1) | instid1(VALU_DEP_1)
	v_fmac_f64_e32 v[154:155], v[136:137], v[142:143]
	s_wait_dscnt 0x1
	v_fmac_f64_e32 v[154:155], v[138:139], v[124:125]
	s_wait_loadcnt 0x0
	s_delay_alu instid0(VALU_DEP_1) | instskip(SKIP_1) | instid1(VALU_DEP_1)
	v_fmac_f64_e32 v[154:155], v[120:121], v[126:127]
	s_wait_dscnt 0x0
	v_fmac_f64_e32 v[154:155], v[122:123], v[128:129]
	s_delay_alu instid0(VALU_DEP_1)
	v_add_f64_e64 v[118:119], v[118:119], -v[154:155]
	scratch_store_b64 off, v[118:119], off offset:136
	s_wait_xcnt 0x0
	v_cmpx_lt_u32_e32 16, v0
	s_cbranch_execz .LBB120_319
; %bb.318:
	scratch_load_b64 v[118:119], off, off offset:128
	v_mov_b64_e32 v[120:121], 0
	scratch_store_b64 off, v[120:121], off offset:128
	s_wait_loadcnt 0x0
	ds_store_b64 v1, v[118:119]
.LBB120_319:
	s_wait_xcnt 0x0
	s_or_b32 exec_lo, exec_lo, s0
	s_wait_storecnt_dscnt 0x0
	s_barrier_signal -1
	s_barrier_wait -1
	s_clause 0x5
	scratch_load_b128 v[118:121], off, off offset:128
	scratch_load_b128 v[122:125], off, off offset:144
	;; [unrolled: 1-line block ×6, first 2 shown]
	ds_load_2addr_b64 v[142:145], v2 offset0:75 offset1:76
	ds_load_2addr_b64 v[146:149], v2 offset0:77 offset1:78
	scratch_load_b128 v[150:153], off, off offset:224
	s_mov_b32 s0, exec_lo
	s_wait_loadcnt_dscnt 0x601
	v_fma_f64 v[154:155], v[120:121], v[142:143], 0
	s_wait_loadcnt 0x5
	s_delay_alu instid0(VALU_DEP_1) | instskip(SKIP_4) | instid1(VALU_DEP_1)
	v_fmac_f64_e32 v[154:155], v[122:123], v[144:145]
	scratch_load_b128 v[120:123], off, off offset:240
	s_wait_dscnt 0x0
	v_fmac_f64_e32 v[154:155], v[124:125], v[146:147]
	s_wait_loadcnt 0x5
	v_fmac_f64_e32 v[154:155], v[126:127], v[148:149]
	ds_load_2addr_b64 v[124:127], v2 offset0:79 offset1:80
	ds_load_2addr_b64 v[142:145], v2 offset0:81 offset1:82
	scratch_load_b128 v[146:149], off, off offset:256
	s_wait_dscnt 0x1
	v_fmac_f64_e32 v[154:155], v[128:129], v[124:125]
	s_wait_loadcnt 0x5
	s_delay_alu instid0(VALU_DEP_1) | instskip(SKIP_4) | instid1(VALU_DEP_1)
	v_fmac_f64_e32 v[154:155], v[130:131], v[126:127]
	scratch_load_b128 v[124:127], off, off offset:272
	s_wait_dscnt 0x0
	v_fmac_f64_e32 v[154:155], v[132:133], v[142:143]
	s_wait_loadcnt 0x5
	v_fmac_f64_e32 v[154:155], v[134:135], v[144:145]
	ds_load_2addr_b64 v[128:131], v2 offset0:83 offset1:84
	ds_load_2addr_b64 v[132:135], v2 offset0:85 offset1:86
	scratch_load_b128 v[142:145], off, off offset:288
	s_wait_dscnt 0x1
	v_fmac_f64_e32 v[154:155], v[136:137], v[128:129]
	s_wait_loadcnt 0x5
	s_delay_alu instid0(VALU_DEP_1) | instskip(SKIP_4) | instid1(VALU_DEP_1)
	v_fmac_f64_e32 v[154:155], v[138:139], v[130:131]
	scratch_load_b128 v[128:131], off, off offset:304
	s_wait_dscnt 0x0
	v_fmac_f64_e32 v[154:155], v[140:141], v[132:133]
	s_wait_loadcnt 0x5
	v_fmac_f64_e32 v[154:155], v[150:151], v[134:135]
	ds_load_2addr_b64 v[132:135], v2 offset0:87 offset1:88
	ds_load_2addr_b64 v[136:139], v2 offset0:89 offset1:90
	s_wait_dscnt 0x1
	v_fmac_f64_e32 v[154:155], v[152:153], v[132:133]
	scratch_load_b128 v[150:153], off, off offset:320
	s_wait_loadcnt 0x5
	v_fmac_f64_e32 v[154:155], v[120:121], v[134:135]
	s_wait_dscnt 0x0
	s_delay_alu instid0(VALU_DEP_1)
	v_fmac_f64_e32 v[154:155], v[122:123], v[136:137]
	scratch_load_b128 v[120:123], off, off offset:336
	s_wait_loadcnt 0x5
	v_fmac_f64_e32 v[154:155], v[146:147], v[138:139]
	ds_load_2addr_b64 v[132:135], v2 offset0:91 offset1:92
	ds_load_2addr_b64 v[136:139], v2 offset0:93 offset1:94
	s_wait_dscnt 0x1
	v_fmac_f64_e32 v[154:155], v[148:149], v[132:133]
	scratch_load_b128 v[146:149], off, off offset:352
	s_wait_loadcnt 0x5
	v_fmac_f64_e32 v[154:155], v[124:125], v[134:135]
	s_wait_dscnt 0x0
	s_delay_alu instid0(VALU_DEP_1)
	v_fmac_f64_e32 v[154:155], v[126:127], v[136:137]
	scratch_load_b128 v[124:127], off, off offset:368
	s_wait_loadcnt 0x5
	v_fmac_f64_e32 v[154:155], v[142:143], v[138:139]
	ds_load_2addr_b64 v[132:135], v2 offset0:95 offset1:96
	ds_load_2addr_b64 v[136:139], v2 offset0:97 offset1:98
	s_wait_dscnt 0x1
	v_fmac_f64_e32 v[154:155], v[144:145], v[132:133]
	s_wait_loadcnt 0x4
	s_delay_alu instid0(VALU_DEP_1)
	v_fmac_f64_e32 v[154:155], v[128:129], v[134:135]
	scratch_load_b128 v[132:135], off, off offset:384
	s_wait_dscnt 0x0
	v_fmac_f64_e32 v[154:155], v[130:131], v[136:137]
	scratch_load_b128 v[128:131], off, off offset:400
	s_wait_loadcnt 0x5
	v_fmac_f64_e32 v[154:155], v[150:151], v[138:139]
	ds_load_2addr_b64 v[136:139], v2 offset0:99 offset1:100
	ds_load_2addr_b64 v[140:143], v2 offset0:101 offset1:102
	s_wait_dscnt 0x1
	v_fmac_f64_e32 v[154:155], v[152:153], v[136:137]
	s_wait_loadcnt 0x4
	s_delay_alu instid0(VALU_DEP_1)
	v_fmac_f64_e32 v[154:155], v[120:121], v[138:139]
	scratch_load_b128 v[136:139], off, off offset:416
	s_wait_dscnt 0x0
	v_fmac_f64_e32 v[154:155], v[122:123], v[140:141]
	scratch_load_b128 v[120:123], off, off offset:432
	s_wait_loadcnt 0x5
	v_fmac_f64_e32 v[154:155], v[146:147], v[142:143]
	ds_load_2addr_b64 v[140:143], v2 offset0:103 offset1:104
	ds_load_2addr_b64 v[144:147], v2 offset0:105 offset1:106
	s_wait_dscnt 0x1
	v_fmac_f64_e32 v[154:155], v[148:149], v[140:141]
	scratch_load_b64 v[148:149], off, off offset:448
	s_wait_loadcnt 0x5
	v_fmac_f64_e32 v[154:155], v[124:125], v[142:143]
	s_wait_dscnt 0x0
	s_delay_alu instid0(VALU_DEP_1)
	v_fmac_f64_e32 v[154:155], v[126:127], v[144:145]
	ds_load_2addr_b64 v[124:127], v2 offset0:107 offset1:108
	ds_load_2addr_b64 v[140:143], v2 offset0:109 offset1:110
	s_wait_loadcnt 0x4
	v_fmac_f64_e32 v[154:155], v[132:133], v[146:147]
	s_wait_dscnt 0x1
	s_delay_alu instid0(VALU_DEP_1) | instskip(SKIP_1) | instid1(VALU_DEP_1)
	v_fmac_f64_e32 v[154:155], v[134:135], v[124:125]
	s_wait_loadcnt 0x3
	v_fmac_f64_e32 v[154:155], v[128:129], v[126:127]
	s_wait_dscnt 0x0
	s_delay_alu instid0(VALU_DEP_1)
	v_fmac_f64_e32 v[154:155], v[130:131], v[140:141]
	ds_load_2addr_b64 v[124:127], v2 offset0:111 offset1:112
	ds_load_2addr_b64 v[128:131], v2 offset0:113 offset1:114
	s_wait_loadcnt 0x2
	v_fmac_f64_e32 v[154:155], v[136:137], v[142:143]
	s_wait_dscnt 0x1
	s_delay_alu instid0(VALU_DEP_1) | instskip(SKIP_1) | instid1(VALU_DEP_1)
	v_fmac_f64_e32 v[154:155], v[138:139], v[124:125]
	s_wait_loadcnt 0x1
	v_fmac_f64_e32 v[154:155], v[120:121], v[126:127]
	s_wait_dscnt 0x0
	s_delay_alu instid0(VALU_DEP_1) | instskip(SKIP_1) | instid1(VALU_DEP_1)
	v_fmac_f64_e32 v[154:155], v[122:123], v[128:129]
	s_wait_loadcnt 0x0
	v_fmac_f64_e32 v[154:155], v[148:149], v[130:131]
	s_delay_alu instid0(VALU_DEP_1)
	v_add_f64_e64 v[2:3], v[118:119], -v[154:155]
	scratch_store_b64 off, v[2:3], off offset:128
	s_wait_xcnt 0x0
	v_cmpx_lt_u32_e32 15, v0
	s_cbranch_execz .LBB120_321
; %bb.320:
	scratch_load_b64 v[2:3], off, off offset:120
	v_mov_b64_e32 v[118:119], 0
	scratch_store_b64 off, v[118:119], off offset:120
	s_wait_loadcnt 0x0
	ds_store_b64 v1, v[2:3]
.LBB120_321:
	s_wait_xcnt 0x0
	s_or_b32 exec_lo, exec_lo, s0
	s_wait_storecnt_dscnt 0x0
	s_barrier_signal -1
	s_barrier_wait -1
	s_clause 0x5
	scratch_load_b128 v[118:121], off, off offset:120
	scratch_load_b128 v[122:125], off, off offset:136
	;; [unrolled: 1-line block ×6, first 2 shown]
	v_mov_b32_e32 v2, 0
	ds_load_b128 v[142:145], v2 offset:592
	ds_load_b128 v[146:149], v2 offset:608
	scratch_load_b128 v[150:153], off, off offset:216
	s_mov_b32 s0, exec_lo
	s_wait_loadcnt_dscnt 0x601
	v_fma_f64 v[154:155], v[120:121], v[142:143], 0
	s_wait_loadcnt 0x5
	s_delay_alu instid0(VALU_DEP_1) | instskip(SKIP_4) | instid1(VALU_DEP_1)
	v_fmac_f64_e32 v[154:155], v[122:123], v[144:145]
	scratch_load_b128 v[120:123], off, off offset:232
	s_wait_dscnt 0x0
	v_fmac_f64_e32 v[154:155], v[124:125], v[146:147]
	s_wait_loadcnt 0x5
	v_fmac_f64_e32 v[154:155], v[126:127], v[148:149]
	ds_load_b128 v[124:127], v2 offset:624
	ds_load_b128 v[142:145], v2 offset:640
	scratch_load_b128 v[146:149], off, off offset:248
	s_wait_dscnt 0x1
	v_fmac_f64_e32 v[154:155], v[128:129], v[124:125]
	s_wait_loadcnt 0x5
	s_delay_alu instid0(VALU_DEP_1) | instskip(SKIP_4) | instid1(VALU_DEP_1)
	v_fmac_f64_e32 v[154:155], v[130:131], v[126:127]
	scratch_load_b128 v[124:127], off, off offset:264
	s_wait_dscnt 0x0
	v_fmac_f64_e32 v[154:155], v[132:133], v[142:143]
	s_wait_loadcnt 0x5
	v_fmac_f64_e32 v[154:155], v[134:135], v[144:145]
	ds_load_b128 v[128:131], v2 offset:656
	ds_load_b128 v[132:135], v2 offset:672
	scratch_load_b128 v[142:145], off, off offset:280
	s_wait_dscnt 0x1
	v_fmac_f64_e32 v[154:155], v[136:137], v[128:129]
	s_wait_loadcnt 0x5
	s_delay_alu instid0(VALU_DEP_1) | instskip(SKIP_4) | instid1(VALU_DEP_1)
	v_fmac_f64_e32 v[154:155], v[138:139], v[130:131]
	scratch_load_b128 v[128:131], off, off offset:296
	s_wait_dscnt 0x0
	v_fmac_f64_e32 v[154:155], v[140:141], v[132:133]
	s_wait_loadcnt 0x5
	v_fmac_f64_e32 v[154:155], v[150:151], v[134:135]
	ds_load_b128 v[132:135], v2 offset:688
	ds_load_b128 v[136:139], v2 offset:704
	s_wait_dscnt 0x1
	v_fmac_f64_e32 v[154:155], v[152:153], v[132:133]
	scratch_load_b128 v[150:153], off, off offset:312
	s_wait_loadcnt 0x5
	v_fmac_f64_e32 v[154:155], v[120:121], v[134:135]
	s_wait_dscnt 0x0
	s_delay_alu instid0(VALU_DEP_1)
	v_fmac_f64_e32 v[154:155], v[122:123], v[136:137]
	scratch_load_b128 v[120:123], off, off offset:328
	s_wait_loadcnt 0x5
	v_fmac_f64_e32 v[154:155], v[146:147], v[138:139]
	ds_load_b128 v[132:135], v2 offset:720
	ds_load_b128 v[136:139], v2 offset:736
	s_wait_dscnt 0x1
	v_fmac_f64_e32 v[154:155], v[148:149], v[132:133]
	scratch_load_b128 v[146:149], off, off offset:344
	s_wait_loadcnt 0x5
	v_fmac_f64_e32 v[154:155], v[124:125], v[134:135]
	s_wait_dscnt 0x0
	s_delay_alu instid0(VALU_DEP_1)
	v_fmac_f64_e32 v[154:155], v[126:127], v[136:137]
	scratch_load_b128 v[124:127], off, off offset:360
	s_wait_loadcnt 0x5
	v_fmac_f64_e32 v[154:155], v[142:143], v[138:139]
	ds_load_b128 v[132:135], v2 offset:752
	ds_load_b128 v[136:139], v2 offset:768
	s_wait_dscnt 0x1
	v_fmac_f64_e32 v[154:155], v[144:145], v[132:133]
	s_wait_loadcnt 0x4
	s_delay_alu instid0(VALU_DEP_1)
	v_fmac_f64_e32 v[154:155], v[128:129], v[134:135]
	scratch_load_b128 v[132:135], off, off offset:376
	s_wait_dscnt 0x0
	v_fmac_f64_e32 v[154:155], v[130:131], v[136:137]
	scratch_load_b128 v[128:131], off, off offset:392
	s_wait_loadcnt 0x5
	v_fmac_f64_e32 v[154:155], v[150:151], v[138:139]
	ds_load_b128 v[136:139], v2 offset:784
	ds_load_b128 v[140:143], v2 offset:800
	s_wait_dscnt 0x1
	v_fmac_f64_e32 v[154:155], v[152:153], v[136:137]
	s_wait_loadcnt 0x4
	s_delay_alu instid0(VALU_DEP_1)
	v_fmac_f64_e32 v[154:155], v[120:121], v[138:139]
	scratch_load_b128 v[136:139], off, off offset:408
	s_wait_dscnt 0x0
	v_fmac_f64_e32 v[154:155], v[122:123], v[140:141]
	scratch_load_b128 v[120:123], off, off offset:424
	s_wait_loadcnt 0x5
	v_fmac_f64_e32 v[154:155], v[146:147], v[142:143]
	ds_load_b128 v[140:143], v2 offset:816
	ds_load_b128 v[144:147], v2 offset:832
	s_wait_dscnt 0x1
	v_fmac_f64_e32 v[154:155], v[148:149], v[140:141]
	s_wait_loadcnt 0x4
	s_delay_alu instid0(VALU_DEP_1) | instskip(SKIP_4) | instid1(VALU_DEP_1)
	v_fmac_f64_e32 v[154:155], v[124:125], v[142:143]
	scratch_load_b128 v[140:143], off, off offset:440
	s_wait_dscnt 0x0
	v_fmac_f64_e32 v[154:155], v[126:127], v[144:145]
	s_wait_loadcnt 0x4
	v_fmac_f64_e32 v[154:155], v[132:133], v[146:147]
	ds_load_b128 v[124:127], v2 offset:848
	ds_load_b128 v[144:147], v2 offset:864
	s_wait_dscnt 0x1
	v_fmac_f64_e32 v[154:155], v[134:135], v[124:125]
	s_wait_loadcnt 0x3
	s_delay_alu instid0(VALU_DEP_1) | instskip(SKIP_1) | instid1(VALU_DEP_1)
	v_fmac_f64_e32 v[154:155], v[128:129], v[126:127]
	s_wait_dscnt 0x0
	v_fmac_f64_e32 v[154:155], v[130:131], v[144:145]
	ds_load_b128 v[124:127], v2 offset:880
	ds_load_b128 v[128:131], v2 offset:896
	s_wait_loadcnt 0x2
	v_fmac_f64_e32 v[154:155], v[136:137], v[146:147]
	s_wait_dscnt 0x1
	s_delay_alu instid0(VALU_DEP_1) | instskip(SKIP_1) | instid1(VALU_DEP_1)
	v_fmac_f64_e32 v[154:155], v[138:139], v[124:125]
	s_wait_loadcnt 0x1
	v_fmac_f64_e32 v[154:155], v[120:121], v[126:127]
	ds_load_b64 v[120:121], v2 offset:912
	s_wait_dscnt 0x1
	v_fmac_f64_e32 v[154:155], v[122:123], v[128:129]
	s_wait_loadcnt 0x0
	s_delay_alu instid0(VALU_DEP_1) | instskip(SKIP_1) | instid1(VALU_DEP_1)
	v_fmac_f64_e32 v[154:155], v[140:141], v[130:131]
	s_wait_dscnt 0x0
	v_fmac_f64_e32 v[154:155], v[142:143], v[120:121]
	s_delay_alu instid0(VALU_DEP_1)
	v_add_f64_e64 v[118:119], v[118:119], -v[154:155]
	scratch_store_b64 off, v[118:119], off offset:120
	s_wait_xcnt 0x0
	v_cmpx_lt_u32_e32 14, v0
	s_cbranch_execz .LBB120_323
; %bb.322:
	scratch_load_b64 v[118:119], off, off offset:112
	v_mov_b64_e32 v[120:121], 0
	scratch_store_b64 off, v[120:121], off offset:112
	s_wait_loadcnt 0x0
	ds_store_b64 v1, v[118:119]
.LBB120_323:
	s_wait_xcnt 0x0
	s_or_b32 exec_lo, exec_lo, s0
	s_wait_storecnt_dscnt 0x0
	s_barrier_signal -1
	s_barrier_wait -1
	s_clause 0x5
	scratch_load_b128 v[118:121], off, off offset:112
	scratch_load_b128 v[122:125], off, off offset:128
	;; [unrolled: 1-line block ×6, first 2 shown]
	ds_load_2addr_b64 v[142:145], v2 offset0:73 offset1:74
	ds_load_2addr_b64 v[146:149], v2 offset0:75 offset1:76
	scratch_load_b128 v[150:153], off, off offset:208
	s_mov_b32 s0, exec_lo
	s_wait_loadcnt_dscnt 0x601
	v_fma_f64 v[154:155], v[120:121], v[142:143], 0
	s_wait_loadcnt 0x5
	s_delay_alu instid0(VALU_DEP_1) | instskip(SKIP_4) | instid1(VALU_DEP_1)
	v_fmac_f64_e32 v[154:155], v[122:123], v[144:145]
	scratch_load_b128 v[120:123], off, off offset:224
	s_wait_dscnt 0x0
	v_fmac_f64_e32 v[154:155], v[124:125], v[146:147]
	s_wait_loadcnt 0x5
	v_fmac_f64_e32 v[154:155], v[126:127], v[148:149]
	ds_load_2addr_b64 v[124:127], v2 offset0:77 offset1:78
	ds_load_2addr_b64 v[142:145], v2 offset0:79 offset1:80
	scratch_load_b128 v[146:149], off, off offset:240
	s_wait_dscnt 0x1
	v_fmac_f64_e32 v[154:155], v[128:129], v[124:125]
	s_wait_loadcnt 0x5
	s_delay_alu instid0(VALU_DEP_1) | instskip(SKIP_4) | instid1(VALU_DEP_1)
	v_fmac_f64_e32 v[154:155], v[130:131], v[126:127]
	scratch_load_b128 v[124:127], off, off offset:256
	s_wait_dscnt 0x0
	v_fmac_f64_e32 v[154:155], v[132:133], v[142:143]
	s_wait_loadcnt 0x5
	v_fmac_f64_e32 v[154:155], v[134:135], v[144:145]
	ds_load_2addr_b64 v[128:131], v2 offset0:81 offset1:82
	ds_load_2addr_b64 v[132:135], v2 offset0:83 offset1:84
	scratch_load_b128 v[142:145], off, off offset:272
	s_wait_dscnt 0x1
	v_fmac_f64_e32 v[154:155], v[136:137], v[128:129]
	s_wait_loadcnt 0x5
	s_delay_alu instid0(VALU_DEP_1) | instskip(SKIP_4) | instid1(VALU_DEP_1)
	v_fmac_f64_e32 v[154:155], v[138:139], v[130:131]
	scratch_load_b128 v[128:131], off, off offset:288
	s_wait_dscnt 0x0
	v_fmac_f64_e32 v[154:155], v[140:141], v[132:133]
	s_wait_loadcnt 0x5
	v_fmac_f64_e32 v[154:155], v[150:151], v[134:135]
	ds_load_2addr_b64 v[132:135], v2 offset0:85 offset1:86
	ds_load_2addr_b64 v[136:139], v2 offset0:87 offset1:88
	s_wait_dscnt 0x1
	v_fmac_f64_e32 v[154:155], v[152:153], v[132:133]
	scratch_load_b128 v[150:153], off, off offset:304
	s_wait_loadcnt 0x5
	v_fmac_f64_e32 v[154:155], v[120:121], v[134:135]
	s_wait_dscnt 0x0
	s_delay_alu instid0(VALU_DEP_1)
	v_fmac_f64_e32 v[154:155], v[122:123], v[136:137]
	scratch_load_b128 v[120:123], off, off offset:320
	s_wait_loadcnt 0x5
	v_fmac_f64_e32 v[154:155], v[146:147], v[138:139]
	ds_load_2addr_b64 v[132:135], v2 offset0:89 offset1:90
	ds_load_2addr_b64 v[136:139], v2 offset0:91 offset1:92
	s_wait_dscnt 0x1
	v_fmac_f64_e32 v[154:155], v[148:149], v[132:133]
	scratch_load_b128 v[146:149], off, off offset:336
	s_wait_loadcnt 0x5
	v_fmac_f64_e32 v[154:155], v[124:125], v[134:135]
	s_wait_dscnt 0x0
	s_delay_alu instid0(VALU_DEP_1)
	v_fmac_f64_e32 v[154:155], v[126:127], v[136:137]
	scratch_load_b128 v[124:127], off, off offset:352
	s_wait_loadcnt 0x5
	v_fmac_f64_e32 v[154:155], v[142:143], v[138:139]
	ds_load_2addr_b64 v[132:135], v2 offset0:93 offset1:94
	ds_load_2addr_b64 v[136:139], v2 offset0:95 offset1:96
	scratch_load_b128 v[140:143], off, off offset:368
	s_wait_dscnt 0x1
	v_fmac_f64_e32 v[154:155], v[144:145], v[132:133]
	s_wait_loadcnt 0x5
	s_delay_alu instid0(VALU_DEP_1) | instskip(SKIP_1) | instid1(VALU_DEP_1)
	v_fmac_f64_e32 v[154:155], v[128:129], v[134:135]
	s_wait_dscnt 0x0
	v_fmac_f64_e32 v[154:155], v[130:131], v[136:137]
	scratch_load_b128 v[128:131], off, off offset:384
	s_wait_loadcnt 0x5
	v_fmac_f64_e32 v[154:155], v[150:151], v[138:139]
	ds_load_2addr_b64 v[132:135], v2 offset0:97 offset1:98
	ds_load_2addr_b64 v[136:139], v2 offset0:99 offset1:100
	s_wait_dscnt 0x1
	v_fmac_f64_e32 v[154:155], v[152:153], v[132:133]
	s_wait_loadcnt 0x4
	s_delay_alu instid0(VALU_DEP_1)
	v_fmac_f64_e32 v[154:155], v[120:121], v[134:135]
	scratch_load_b128 v[132:135], off, off offset:400
	s_wait_dscnt 0x0
	v_fmac_f64_e32 v[154:155], v[122:123], v[136:137]
	scratch_load_b128 v[120:123], off, off offset:416
	s_wait_loadcnt 0x5
	v_fmac_f64_e32 v[154:155], v[146:147], v[138:139]
	ds_load_2addr_b64 v[136:139], v2 offset0:101 offset1:102
	ds_load_2addr_b64 v[144:147], v2 offset0:103 offset1:104
	s_wait_dscnt 0x1
	v_fmac_f64_e32 v[154:155], v[148:149], v[136:137]
	s_wait_loadcnt 0x4
	s_delay_alu instid0(VALU_DEP_1) | instskip(SKIP_4) | instid1(VALU_DEP_1)
	v_fmac_f64_e32 v[154:155], v[124:125], v[138:139]
	scratch_load_b128 v[136:139], off, off offset:432
	s_wait_dscnt 0x0
	v_fmac_f64_e32 v[154:155], v[126:127], v[144:145]
	s_wait_loadcnt 0x4
	v_fmac_f64_e32 v[154:155], v[140:141], v[146:147]
	scratch_load_b64 v[140:141], off, off offset:448
	ds_load_2addr_b64 v[124:127], v2 offset0:105 offset1:106
	ds_load_2addr_b64 v[144:147], v2 offset0:107 offset1:108
	s_wait_dscnt 0x1
	v_fmac_f64_e32 v[154:155], v[142:143], v[124:125]
	s_wait_loadcnt 0x4
	s_delay_alu instid0(VALU_DEP_1) | instskip(SKIP_1) | instid1(VALU_DEP_1)
	v_fmac_f64_e32 v[154:155], v[128:129], v[126:127]
	s_wait_dscnt 0x0
	v_fmac_f64_e32 v[154:155], v[130:131], v[144:145]
	ds_load_2addr_b64 v[124:127], v2 offset0:109 offset1:110
	ds_load_2addr_b64 v[128:131], v2 offset0:111 offset1:112
	s_wait_loadcnt 0x3
	v_fmac_f64_e32 v[154:155], v[132:133], v[146:147]
	s_wait_dscnt 0x1
	s_delay_alu instid0(VALU_DEP_1) | instskip(SKIP_1) | instid1(VALU_DEP_1)
	v_fmac_f64_e32 v[154:155], v[134:135], v[124:125]
	s_wait_loadcnt 0x2
	v_fmac_f64_e32 v[154:155], v[120:121], v[126:127]
	s_wait_dscnt 0x0
	s_delay_alu instid0(VALU_DEP_1) | instskip(SKIP_4) | instid1(VALU_DEP_1)
	v_fmac_f64_e32 v[154:155], v[122:123], v[128:129]
	ds_load_2addr_b64 v[120:123], v2 offset0:113 offset1:114
	s_wait_loadcnt 0x1
	v_fmac_f64_e32 v[154:155], v[136:137], v[130:131]
	s_wait_dscnt 0x0
	v_fmac_f64_e32 v[154:155], v[138:139], v[120:121]
	s_wait_loadcnt 0x0
	s_delay_alu instid0(VALU_DEP_1) | instskip(NEXT) | instid1(VALU_DEP_1)
	v_fmac_f64_e32 v[154:155], v[140:141], v[122:123]
	v_add_f64_e64 v[2:3], v[118:119], -v[154:155]
	scratch_store_b64 off, v[2:3], off offset:112
	s_wait_xcnt 0x0
	v_cmpx_lt_u32_e32 13, v0
	s_cbranch_execz .LBB120_325
; %bb.324:
	scratch_load_b64 v[2:3], off, off offset:104
	v_mov_b64_e32 v[118:119], 0
	scratch_store_b64 off, v[118:119], off offset:104
	s_wait_loadcnt 0x0
	ds_store_b64 v1, v[2:3]
.LBB120_325:
	s_wait_xcnt 0x0
	s_or_b32 exec_lo, exec_lo, s0
	s_wait_storecnt_dscnt 0x0
	s_barrier_signal -1
	s_barrier_wait -1
	s_clause 0x5
	scratch_load_b128 v[118:121], off, off offset:104
	scratch_load_b128 v[122:125], off, off offset:120
	scratch_load_b128 v[126:129], off, off offset:136
	scratch_load_b128 v[130:133], off, off offset:152
	scratch_load_b128 v[134:137], off, off offset:168
	scratch_load_b128 v[138:141], off, off offset:184
	v_mov_b32_e32 v2, 0
	ds_load_b128 v[142:145], v2 offset:576
	ds_load_b128 v[146:149], v2 offset:592
	scratch_load_b128 v[150:153], off, off offset:200
	s_mov_b32 s0, exec_lo
	s_wait_loadcnt_dscnt 0x601
	v_fma_f64 v[154:155], v[120:121], v[142:143], 0
	s_wait_loadcnt 0x5
	s_delay_alu instid0(VALU_DEP_1) | instskip(SKIP_4) | instid1(VALU_DEP_1)
	v_fmac_f64_e32 v[154:155], v[122:123], v[144:145]
	scratch_load_b128 v[120:123], off, off offset:216
	s_wait_dscnt 0x0
	v_fmac_f64_e32 v[154:155], v[124:125], v[146:147]
	s_wait_loadcnt 0x5
	v_fmac_f64_e32 v[154:155], v[126:127], v[148:149]
	ds_load_b128 v[124:127], v2 offset:608
	ds_load_b128 v[142:145], v2 offset:624
	scratch_load_b128 v[146:149], off, off offset:232
	s_wait_dscnt 0x1
	v_fmac_f64_e32 v[154:155], v[128:129], v[124:125]
	s_wait_loadcnt 0x5
	s_delay_alu instid0(VALU_DEP_1) | instskip(SKIP_4) | instid1(VALU_DEP_1)
	v_fmac_f64_e32 v[154:155], v[130:131], v[126:127]
	scratch_load_b128 v[124:127], off, off offset:248
	s_wait_dscnt 0x0
	v_fmac_f64_e32 v[154:155], v[132:133], v[142:143]
	s_wait_loadcnt 0x5
	v_fmac_f64_e32 v[154:155], v[134:135], v[144:145]
	ds_load_b128 v[128:131], v2 offset:640
	ds_load_b128 v[132:135], v2 offset:656
	scratch_load_b128 v[142:145], off, off offset:264
	s_wait_dscnt 0x1
	v_fmac_f64_e32 v[154:155], v[136:137], v[128:129]
	s_wait_loadcnt 0x5
	s_delay_alu instid0(VALU_DEP_1) | instskip(SKIP_4) | instid1(VALU_DEP_1)
	v_fmac_f64_e32 v[154:155], v[138:139], v[130:131]
	scratch_load_b128 v[128:131], off, off offset:280
	s_wait_dscnt 0x0
	v_fmac_f64_e32 v[154:155], v[140:141], v[132:133]
	s_wait_loadcnt 0x5
	v_fmac_f64_e32 v[154:155], v[150:151], v[134:135]
	ds_load_b128 v[132:135], v2 offset:672
	ds_load_b128 v[136:139], v2 offset:688
	s_wait_dscnt 0x1
	v_fmac_f64_e32 v[154:155], v[152:153], v[132:133]
	scratch_load_b128 v[150:153], off, off offset:296
	s_wait_loadcnt 0x5
	v_fmac_f64_e32 v[154:155], v[120:121], v[134:135]
	s_wait_dscnt 0x0
	s_delay_alu instid0(VALU_DEP_1)
	v_fmac_f64_e32 v[154:155], v[122:123], v[136:137]
	scratch_load_b128 v[120:123], off, off offset:312
	s_wait_loadcnt 0x5
	v_fmac_f64_e32 v[154:155], v[146:147], v[138:139]
	ds_load_b128 v[132:135], v2 offset:704
	ds_load_b128 v[136:139], v2 offset:720
	s_wait_dscnt 0x1
	v_fmac_f64_e32 v[154:155], v[148:149], v[132:133]
	scratch_load_b128 v[146:149], off, off offset:328
	s_wait_loadcnt 0x5
	v_fmac_f64_e32 v[154:155], v[124:125], v[134:135]
	s_wait_dscnt 0x0
	s_delay_alu instid0(VALU_DEP_1)
	v_fmac_f64_e32 v[154:155], v[126:127], v[136:137]
	scratch_load_b128 v[124:127], off, off offset:344
	s_wait_loadcnt 0x5
	v_fmac_f64_e32 v[154:155], v[142:143], v[138:139]
	ds_load_b128 v[132:135], v2 offset:736
	ds_load_b128 v[136:139], v2 offset:752
	scratch_load_b128 v[140:143], off, off offset:360
	s_wait_dscnt 0x1
	v_fmac_f64_e32 v[154:155], v[144:145], v[132:133]
	s_wait_loadcnt 0x5
	s_delay_alu instid0(VALU_DEP_1) | instskip(SKIP_1) | instid1(VALU_DEP_1)
	v_fmac_f64_e32 v[154:155], v[128:129], v[134:135]
	s_wait_dscnt 0x0
	v_fmac_f64_e32 v[154:155], v[130:131], v[136:137]
	scratch_load_b128 v[128:131], off, off offset:376
	s_wait_loadcnt 0x5
	v_fmac_f64_e32 v[154:155], v[150:151], v[138:139]
	ds_load_b128 v[132:135], v2 offset:768
	ds_load_b128 v[136:139], v2 offset:784
	s_wait_dscnt 0x1
	v_fmac_f64_e32 v[154:155], v[152:153], v[132:133]
	s_wait_loadcnt 0x4
	s_delay_alu instid0(VALU_DEP_1)
	v_fmac_f64_e32 v[154:155], v[120:121], v[134:135]
	scratch_load_b128 v[132:135], off, off offset:392
	s_wait_dscnt 0x0
	v_fmac_f64_e32 v[154:155], v[122:123], v[136:137]
	scratch_load_b128 v[120:123], off, off offset:408
	s_wait_loadcnt 0x5
	v_fmac_f64_e32 v[154:155], v[146:147], v[138:139]
	ds_load_b128 v[136:139], v2 offset:800
	ds_load_b128 v[144:147], v2 offset:816
	s_wait_dscnt 0x1
	v_fmac_f64_e32 v[154:155], v[148:149], v[136:137]
	s_wait_loadcnt 0x4
	s_delay_alu instid0(VALU_DEP_1)
	v_fmac_f64_e32 v[154:155], v[124:125], v[138:139]
	scratch_load_b128 v[136:139], off, off offset:424
	s_wait_dscnt 0x0
	v_fmac_f64_e32 v[154:155], v[126:127], v[144:145]
	scratch_load_b128 v[124:127], off, off offset:440
	s_wait_loadcnt 0x5
	v_fmac_f64_e32 v[154:155], v[140:141], v[146:147]
	ds_load_b128 v[144:147], v2 offset:832
	ds_load_b128 v[148:151], v2 offset:848
	s_wait_dscnt 0x1
	v_fmac_f64_e32 v[154:155], v[142:143], v[144:145]
	s_wait_loadcnt 0x4
	s_delay_alu instid0(VALU_DEP_1) | instskip(SKIP_1) | instid1(VALU_DEP_1)
	v_fmac_f64_e32 v[154:155], v[128:129], v[146:147]
	s_wait_dscnt 0x0
	v_fmac_f64_e32 v[154:155], v[130:131], v[148:149]
	ds_load_b128 v[128:131], v2 offset:864
	ds_load_b128 v[140:143], v2 offset:880
	s_wait_loadcnt 0x3
	v_fmac_f64_e32 v[154:155], v[132:133], v[150:151]
	s_wait_dscnt 0x1
	s_delay_alu instid0(VALU_DEP_1) | instskip(SKIP_1) | instid1(VALU_DEP_1)
	v_fmac_f64_e32 v[154:155], v[134:135], v[128:129]
	s_wait_loadcnt 0x2
	v_fmac_f64_e32 v[154:155], v[120:121], v[130:131]
	s_wait_dscnt 0x0
	s_delay_alu instid0(VALU_DEP_1)
	v_fmac_f64_e32 v[154:155], v[122:123], v[140:141]
	ds_load_b128 v[120:123], v2 offset:896
	ds_load_b64 v[128:129], v2 offset:912
	s_wait_loadcnt 0x1
	v_fmac_f64_e32 v[154:155], v[136:137], v[142:143]
	s_wait_dscnt 0x1
	s_delay_alu instid0(VALU_DEP_1) | instskip(SKIP_1) | instid1(VALU_DEP_1)
	v_fmac_f64_e32 v[154:155], v[138:139], v[120:121]
	s_wait_loadcnt 0x0
	v_fmac_f64_e32 v[154:155], v[124:125], v[122:123]
	s_wait_dscnt 0x0
	s_delay_alu instid0(VALU_DEP_1) | instskip(NEXT) | instid1(VALU_DEP_1)
	v_fmac_f64_e32 v[154:155], v[126:127], v[128:129]
	v_add_f64_e64 v[118:119], v[118:119], -v[154:155]
	scratch_store_b64 off, v[118:119], off offset:104
	s_wait_xcnt 0x0
	v_cmpx_lt_u32_e32 12, v0
	s_cbranch_execz .LBB120_327
; %bb.326:
	scratch_load_b64 v[118:119], off, off offset:96
	v_mov_b64_e32 v[120:121], 0
	scratch_store_b64 off, v[120:121], off offset:96
	s_wait_loadcnt 0x0
	ds_store_b64 v1, v[118:119]
.LBB120_327:
	s_wait_xcnt 0x0
	s_or_b32 exec_lo, exec_lo, s0
	s_wait_storecnt_dscnt 0x0
	s_barrier_signal -1
	s_barrier_wait -1
	s_clause 0x5
	scratch_load_b128 v[118:121], off, off offset:96
	scratch_load_b128 v[122:125], off, off offset:112
	;; [unrolled: 1-line block ×6, first 2 shown]
	ds_load_2addr_b64 v[142:145], v2 offset0:71 offset1:72
	ds_load_2addr_b64 v[146:149], v2 offset0:73 offset1:74
	scratch_load_b128 v[150:153], off, off offset:192
	s_mov_b32 s0, exec_lo
	s_wait_loadcnt_dscnt 0x601
	v_fma_f64 v[154:155], v[120:121], v[142:143], 0
	s_wait_loadcnt 0x5
	s_delay_alu instid0(VALU_DEP_1) | instskip(SKIP_4) | instid1(VALU_DEP_1)
	v_fmac_f64_e32 v[154:155], v[122:123], v[144:145]
	scratch_load_b128 v[120:123], off, off offset:208
	s_wait_dscnt 0x0
	v_fmac_f64_e32 v[154:155], v[124:125], v[146:147]
	s_wait_loadcnt 0x5
	v_fmac_f64_e32 v[154:155], v[126:127], v[148:149]
	ds_load_2addr_b64 v[124:127], v2 offset0:75 offset1:76
	ds_load_2addr_b64 v[142:145], v2 offset0:77 offset1:78
	scratch_load_b128 v[146:149], off, off offset:224
	s_wait_dscnt 0x1
	v_fmac_f64_e32 v[154:155], v[128:129], v[124:125]
	s_wait_loadcnt 0x5
	s_delay_alu instid0(VALU_DEP_1) | instskip(SKIP_4) | instid1(VALU_DEP_1)
	v_fmac_f64_e32 v[154:155], v[130:131], v[126:127]
	scratch_load_b128 v[124:127], off, off offset:240
	s_wait_dscnt 0x0
	v_fmac_f64_e32 v[154:155], v[132:133], v[142:143]
	s_wait_loadcnt 0x5
	v_fmac_f64_e32 v[154:155], v[134:135], v[144:145]
	ds_load_2addr_b64 v[128:131], v2 offset0:79 offset1:80
	ds_load_2addr_b64 v[132:135], v2 offset0:81 offset1:82
	scratch_load_b128 v[142:145], off, off offset:256
	s_wait_dscnt 0x1
	v_fmac_f64_e32 v[154:155], v[136:137], v[128:129]
	s_wait_loadcnt 0x5
	s_delay_alu instid0(VALU_DEP_1) | instskip(SKIP_4) | instid1(VALU_DEP_1)
	v_fmac_f64_e32 v[154:155], v[138:139], v[130:131]
	scratch_load_b128 v[128:131], off, off offset:272
	s_wait_dscnt 0x0
	v_fmac_f64_e32 v[154:155], v[140:141], v[132:133]
	s_wait_loadcnt 0x5
	v_fmac_f64_e32 v[154:155], v[150:151], v[134:135]
	ds_load_2addr_b64 v[132:135], v2 offset0:83 offset1:84
	ds_load_2addr_b64 v[136:139], v2 offset0:85 offset1:86
	s_wait_dscnt 0x1
	v_fmac_f64_e32 v[154:155], v[152:153], v[132:133]
	scratch_load_b128 v[150:153], off, off offset:288
	s_wait_loadcnt 0x5
	v_fmac_f64_e32 v[154:155], v[120:121], v[134:135]
	s_wait_dscnt 0x0
	s_delay_alu instid0(VALU_DEP_1)
	v_fmac_f64_e32 v[154:155], v[122:123], v[136:137]
	scratch_load_b128 v[120:123], off, off offset:304
	s_wait_loadcnt 0x5
	v_fmac_f64_e32 v[154:155], v[146:147], v[138:139]
	ds_load_2addr_b64 v[132:135], v2 offset0:87 offset1:88
	ds_load_2addr_b64 v[136:139], v2 offset0:89 offset1:90
	s_wait_dscnt 0x1
	v_fmac_f64_e32 v[154:155], v[148:149], v[132:133]
	scratch_load_b128 v[146:149], off, off offset:320
	s_wait_loadcnt 0x5
	v_fmac_f64_e32 v[154:155], v[124:125], v[134:135]
	s_wait_dscnt 0x0
	s_delay_alu instid0(VALU_DEP_1)
	v_fmac_f64_e32 v[154:155], v[126:127], v[136:137]
	scratch_load_b128 v[124:127], off, off offset:336
	s_wait_loadcnt 0x5
	v_fmac_f64_e32 v[154:155], v[142:143], v[138:139]
	ds_load_2addr_b64 v[132:135], v2 offset0:91 offset1:92
	ds_load_2addr_b64 v[136:139], v2 offset0:93 offset1:94
	scratch_load_b128 v[140:143], off, off offset:352
	s_wait_dscnt 0x1
	v_fmac_f64_e32 v[154:155], v[144:145], v[132:133]
	s_wait_loadcnt 0x5
	s_delay_alu instid0(VALU_DEP_1) | instskip(SKIP_1) | instid1(VALU_DEP_1)
	v_fmac_f64_e32 v[154:155], v[128:129], v[134:135]
	s_wait_dscnt 0x0
	v_fmac_f64_e32 v[154:155], v[130:131], v[136:137]
	scratch_load_b128 v[128:131], off, off offset:368
	s_wait_loadcnt 0x5
	v_fmac_f64_e32 v[154:155], v[150:151], v[138:139]
	ds_load_2addr_b64 v[132:135], v2 offset0:95 offset1:96
	ds_load_2addr_b64 v[136:139], v2 offset0:97 offset1:98
	s_wait_dscnt 0x1
	v_fmac_f64_e32 v[154:155], v[152:153], v[132:133]
	s_wait_loadcnt 0x4
	s_delay_alu instid0(VALU_DEP_1)
	v_fmac_f64_e32 v[154:155], v[120:121], v[134:135]
	scratch_load_b128 v[132:135], off, off offset:384
	s_wait_dscnt 0x0
	v_fmac_f64_e32 v[154:155], v[122:123], v[136:137]
	scratch_load_b128 v[120:123], off, off offset:400
	s_wait_loadcnt 0x5
	v_fmac_f64_e32 v[154:155], v[146:147], v[138:139]
	ds_load_2addr_b64 v[136:139], v2 offset0:99 offset1:100
	ds_load_2addr_b64 v[144:147], v2 offset0:101 offset1:102
	s_wait_dscnt 0x1
	v_fmac_f64_e32 v[154:155], v[148:149], v[136:137]
	s_wait_loadcnt 0x4
	s_delay_alu instid0(VALU_DEP_1)
	v_fmac_f64_e32 v[154:155], v[124:125], v[138:139]
	scratch_load_b128 v[136:139], off, off offset:416
	s_wait_dscnt 0x0
	v_fmac_f64_e32 v[154:155], v[126:127], v[144:145]
	scratch_load_b128 v[124:127], off, off offset:432
	s_wait_loadcnt 0x5
	v_fmac_f64_e32 v[154:155], v[140:141], v[146:147]
	ds_load_2addr_b64 v[144:147], v2 offset0:103 offset1:104
	ds_load_2addr_b64 v[148:151], v2 offset0:105 offset1:106
	s_wait_dscnt 0x1
	v_fmac_f64_e32 v[154:155], v[142:143], v[144:145]
	scratch_load_b64 v[144:145], off, off offset:448
	s_wait_loadcnt 0x5
	v_fmac_f64_e32 v[154:155], v[128:129], v[146:147]
	s_wait_dscnt 0x0
	s_delay_alu instid0(VALU_DEP_1)
	v_fmac_f64_e32 v[154:155], v[130:131], v[148:149]
	ds_load_2addr_b64 v[128:131], v2 offset0:107 offset1:108
	ds_load_2addr_b64 v[140:143], v2 offset0:109 offset1:110
	s_wait_loadcnt 0x4
	v_fmac_f64_e32 v[154:155], v[132:133], v[150:151]
	s_wait_dscnt 0x1
	s_delay_alu instid0(VALU_DEP_1) | instskip(SKIP_1) | instid1(VALU_DEP_1)
	v_fmac_f64_e32 v[154:155], v[134:135], v[128:129]
	s_wait_loadcnt 0x3
	v_fmac_f64_e32 v[154:155], v[120:121], v[130:131]
	s_wait_dscnt 0x0
	s_delay_alu instid0(VALU_DEP_1)
	v_fmac_f64_e32 v[154:155], v[122:123], v[140:141]
	ds_load_2addr_b64 v[120:123], v2 offset0:111 offset1:112
	ds_load_2addr_b64 v[128:131], v2 offset0:113 offset1:114
	s_wait_loadcnt 0x2
	v_fmac_f64_e32 v[154:155], v[136:137], v[142:143]
	s_wait_dscnt 0x1
	s_delay_alu instid0(VALU_DEP_1) | instskip(SKIP_1) | instid1(VALU_DEP_1)
	v_fmac_f64_e32 v[154:155], v[138:139], v[120:121]
	s_wait_loadcnt 0x1
	v_fmac_f64_e32 v[154:155], v[124:125], v[122:123]
	s_wait_dscnt 0x0
	s_delay_alu instid0(VALU_DEP_1) | instskip(SKIP_1) | instid1(VALU_DEP_1)
	v_fmac_f64_e32 v[154:155], v[126:127], v[128:129]
	s_wait_loadcnt 0x0
	v_fmac_f64_e32 v[154:155], v[144:145], v[130:131]
	s_delay_alu instid0(VALU_DEP_1)
	v_add_f64_e64 v[2:3], v[118:119], -v[154:155]
	scratch_store_b64 off, v[2:3], off offset:96
	s_wait_xcnt 0x0
	v_cmpx_lt_u32_e32 11, v0
	s_cbranch_execz .LBB120_329
; %bb.328:
	scratch_load_b64 v[2:3], off, off offset:88
	v_mov_b64_e32 v[118:119], 0
	scratch_store_b64 off, v[118:119], off offset:88
	s_wait_loadcnt 0x0
	ds_store_b64 v1, v[2:3]
.LBB120_329:
	s_wait_xcnt 0x0
	s_or_b32 exec_lo, exec_lo, s0
	s_wait_storecnt_dscnt 0x0
	s_barrier_signal -1
	s_barrier_wait -1
	s_clause 0x5
	scratch_load_b128 v[118:121], off, off offset:88
	scratch_load_b128 v[122:125], off, off offset:104
	;; [unrolled: 1-line block ×6, first 2 shown]
	v_mov_b32_e32 v2, 0
	ds_load_b128 v[142:145], v2 offset:560
	ds_load_b128 v[146:149], v2 offset:576
	scratch_load_b128 v[150:153], off, off offset:184
	s_mov_b32 s0, exec_lo
	s_wait_loadcnt_dscnt 0x601
	v_fma_f64 v[154:155], v[120:121], v[142:143], 0
	s_wait_loadcnt 0x5
	s_delay_alu instid0(VALU_DEP_1) | instskip(SKIP_4) | instid1(VALU_DEP_1)
	v_fmac_f64_e32 v[154:155], v[122:123], v[144:145]
	scratch_load_b128 v[120:123], off, off offset:200
	s_wait_dscnt 0x0
	v_fmac_f64_e32 v[154:155], v[124:125], v[146:147]
	s_wait_loadcnt 0x5
	v_fmac_f64_e32 v[154:155], v[126:127], v[148:149]
	ds_load_b128 v[124:127], v2 offset:592
	ds_load_b128 v[142:145], v2 offset:608
	scratch_load_b128 v[146:149], off, off offset:216
	s_wait_dscnt 0x1
	v_fmac_f64_e32 v[154:155], v[128:129], v[124:125]
	s_wait_loadcnt 0x5
	s_delay_alu instid0(VALU_DEP_1) | instskip(SKIP_4) | instid1(VALU_DEP_1)
	v_fmac_f64_e32 v[154:155], v[130:131], v[126:127]
	scratch_load_b128 v[124:127], off, off offset:232
	s_wait_dscnt 0x0
	v_fmac_f64_e32 v[154:155], v[132:133], v[142:143]
	s_wait_loadcnt 0x5
	v_fmac_f64_e32 v[154:155], v[134:135], v[144:145]
	ds_load_b128 v[128:131], v2 offset:624
	ds_load_b128 v[132:135], v2 offset:640
	scratch_load_b128 v[142:145], off, off offset:248
	s_wait_dscnt 0x1
	v_fmac_f64_e32 v[154:155], v[136:137], v[128:129]
	s_wait_loadcnt 0x5
	s_delay_alu instid0(VALU_DEP_1) | instskip(SKIP_4) | instid1(VALU_DEP_1)
	v_fmac_f64_e32 v[154:155], v[138:139], v[130:131]
	scratch_load_b128 v[128:131], off, off offset:264
	s_wait_dscnt 0x0
	v_fmac_f64_e32 v[154:155], v[140:141], v[132:133]
	s_wait_loadcnt 0x5
	v_fmac_f64_e32 v[154:155], v[150:151], v[134:135]
	ds_load_b128 v[132:135], v2 offset:656
	ds_load_b128 v[136:139], v2 offset:672
	s_wait_dscnt 0x1
	v_fmac_f64_e32 v[154:155], v[152:153], v[132:133]
	scratch_load_b128 v[150:153], off, off offset:280
	s_wait_loadcnt 0x5
	v_fmac_f64_e32 v[154:155], v[120:121], v[134:135]
	s_wait_dscnt 0x0
	s_delay_alu instid0(VALU_DEP_1)
	v_fmac_f64_e32 v[154:155], v[122:123], v[136:137]
	scratch_load_b128 v[120:123], off, off offset:296
	s_wait_loadcnt 0x5
	v_fmac_f64_e32 v[154:155], v[146:147], v[138:139]
	ds_load_b128 v[132:135], v2 offset:688
	ds_load_b128 v[136:139], v2 offset:704
	s_wait_dscnt 0x1
	v_fmac_f64_e32 v[154:155], v[148:149], v[132:133]
	scratch_load_b128 v[146:149], off, off offset:312
	s_wait_loadcnt 0x5
	v_fmac_f64_e32 v[154:155], v[124:125], v[134:135]
	s_wait_dscnt 0x0
	s_delay_alu instid0(VALU_DEP_1)
	v_fmac_f64_e32 v[154:155], v[126:127], v[136:137]
	scratch_load_b128 v[124:127], off, off offset:328
	s_wait_loadcnt 0x5
	v_fmac_f64_e32 v[154:155], v[142:143], v[138:139]
	ds_load_b128 v[132:135], v2 offset:720
	ds_load_b128 v[136:139], v2 offset:736
	scratch_load_b128 v[140:143], off, off offset:344
	s_wait_dscnt 0x1
	v_fmac_f64_e32 v[154:155], v[144:145], v[132:133]
	s_wait_loadcnt 0x5
	s_delay_alu instid0(VALU_DEP_1) | instskip(SKIP_1) | instid1(VALU_DEP_1)
	v_fmac_f64_e32 v[154:155], v[128:129], v[134:135]
	s_wait_dscnt 0x0
	v_fmac_f64_e32 v[154:155], v[130:131], v[136:137]
	scratch_load_b128 v[128:131], off, off offset:360
	s_wait_loadcnt 0x5
	v_fmac_f64_e32 v[154:155], v[150:151], v[138:139]
	ds_load_b128 v[132:135], v2 offset:752
	ds_load_b128 v[136:139], v2 offset:768
	s_wait_dscnt 0x1
	v_fmac_f64_e32 v[154:155], v[152:153], v[132:133]
	s_wait_loadcnt 0x4
	s_delay_alu instid0(VALU_DEP_1)
	v_fmac_f64_e32 v[154:155], v[120:121], v[134:135]
	scratch_load_b128 v[132:135], off, off offset:376
	s_wait_dscnt 0x0
	v_fmac_f64_e32 v[154:155], v[122:123], v[136:137]
	scratch_load_b128 v[120:123], off, off offset:392
	s_wait_loadcnt 0x5
	v_fmac_f64_e32 v[154:155], v[146:147], v[138:139]
	ds_load_b128 v[136:139], v2 offset:784
	ds_load_b128 v[144:147], v2 offset:800
	s_wait_dscnt 0x1
	v_fmac_f64_e32 v[154:155], v[148:149], v[136:137]
	s_wait_loadcnt 0x4
	s_delay_alu instid0(VALU_DEP_1)
	v_fmac_f64_e32 v[154:155], v[124:125], v[138:139]
	scratch_load_b128 v[136:139], off, off offset:408
	s_wait_dscnt 0x0
	v_fmac_f64_e32 v[154:155], v[126:127], v[144:145]
	scratch_load_b128 v[124:127], off, off offset:424
	s_wait_loadcnt 0x5
	v_fmac_f64_e32 v[154:155], v[140:141], v[146:147]
	ds_load_b128 v[144:147], v2 offset:816
	ds_load_b128 v[148:151], v2 offset:832
	s_wait_dscnt 0x1
	v_fmac_f64_e32 v[154:155], v[142:143], v[144:145]
	scratch_load_b128 v[140:143], off, off offset:440
	s_wait_loadcnt 0x5
	v_fmac_f64_e32 v[154:155], v[128:129], v[146:147]
	s_wait_dscnt 0x0
	s_delay_alu instid0(VALU_DEP_1)
	v_fmac_f64_e32 v[154:155], v[130:131], v[148:149]
	ds_load_b128 v[128:131], v2 offset:848
	ds_load_b128 v[144:147], v2 offset:864
	s_wait_loadcnt 0x4
	v_fmac_f64_e32 v[154:155], v[132:133], v[150:151]
	s_wait_dscnt 0x1
	s_delay_alu instid0(VALU_DEP_1) | instskip(SKIP_1) | instid1(VALU_DEP_1)
	v_fmac_f64_e32 v[154:155], v[134:135], v[128:129]
	s_wait_loadcnt 0x3
	v_fmac_f64_e32 v[154:155], v[120:121], v[130:131]
	s_wait_dscnt 0x0
	s_delay_alu instid0(VALU_DEP_1)
	v_fmac_f64_e32 v[154:155], v[122:123], v[144:145]
	ds_load_b128 v[120:123], v2 offset:880
	ds_load_b128 v[128:131], v2 offset:896
	s_wait_loadcnt 0x2
	v_fmac_f64_e32 v[154:155], v[136:137], v[146:147]
	s_wait_dscnt 0x1
	s_delay_alu instid0(VALU_DEP_1) | instskip(SKIP_4) | instid1(VALU_DEP_1)
	v_fmac_f64_e32 v[154:155], v[138:139], v[120:121]
	ds_load_b64 v[120:121], v2 offset:912
	s_wait_loadcnt 0x1
	v_fmac_f64_e32 v[154:155], v[124:125], v[122:123]
	s_wait_dscnt 0x1
	v_fmac_f64_e32 v[154:155], v[126:127], v[128:129]
	s_wait_loadcnt 0x0
	s_delay_alu instid0(VALU_DEP_1) | instskip(SKIP_1) | instid1(VALU_DEP_1)
	v_fmac_f64_e32 v[154:155], v[140:141], v[130:131]
	s_wait_dscnt 0x0
	v_fmac_f64_e32 v[154:155], v[142:143], v[120:121]
	s_delay_alu instid0(VALU_DEP_1)
	v_add_f64_e64 v[118:119], v[118:119], -v[154:155]
	scratch_store_b64 off, v[118:119], off offset:88
	s_wait_xcnt 0x0
	v_cmpx_lt_u32_e32 10, v0
	s_cbranch_execz .LBB120_331
; %bb.330:
	scratch_load_b64 v[118:119], off, off offset:80
	v_mov_b64_e32 v[120:121], 0
	scratch_store_b64 off, v[120:121], off offset:80
	s_wait_loadcnt 0x0
	ds_store_b64 v1, v[118:119]
.LBB120_331:
	s_wait_xcnt 0x0
	s_or_b32 exec_lo, exec_lo, s0
	s_wait_storecnt_dscnt 0x0
	s_barrier_signal -1
	s_barrier_wait -1
	s_clause 0x5
	scratch_load_b128 v[118:121], off, off offset:80
	scratch_load_b128 v[122:125], off, off offset:96
	;; [unrolled: 1-line block ×6, first 2 shown]
	ds_load_2addr_b64 v[142:145], v2 offset0:69 offset1:70
	ds_load_2addr_b64 v[146:149], v2 offset0:71 offset1:72
	scratch_load_b128 v[150:153], off, off offset:176
	s_mov_b32 s0, exec_lo
	s_wait_loadcnt_dscnt 0x601
	v_fma_f64 v[154:155], v[120:121], v[142:143], 0
	s_wait_loadcnt 0x5
	s_delay_alu instid0(VALU_DEP_1) | instskip(SKIP_4) | instid1(VALU_DEP_1)
	v_fmac_f64_e32 v[154:155], v[122:123], v[144:145]
	scratch_load_b128 v[120:123], off, off offset:192
	s_wait_dscnt 0x0
	v_fmac_f64_e32 v[154:155], v[124:125], v[146:147]
	s_wait_loadcnt 0x5
	v_fmac_f64_e32 v[154:155], v[126:127], v[148:149]
	ds_load_2addr_b64 v[124:127], v2 offset0:73 offset1:74
	ds_load_2addr_b64 v[142:145], v2 offset0:75 offset1:76
	scratch_load_b128 v[146:149], off, off offset:208
	s_wait_dscnt 0x1
	v_fmac_f64_e32 v[154:155], v[128:129], v[124:125]
	s_wait_loadcnt 0x5
	s_delay_alu instid0(VALU_DEP_1) | instskip(SKIP_4) | instid1(VALU_DEP_1)
	v_fmac_f64_e32 v[154:155], v[130:131], v[126:127]
	scratch_load_b128 v[124:127], off, off offset:224
	s_wait_dscnt 0x0
	v_fmac_f64_e32 v[154:155], v[132:133], v[142:143]
	s_wait_loadcnt 0x5
	v_fmac_f64_e32 v[154:155], v[134:135], v[144:145]
	ds_load_2addr_b64 v[128:131], v2 offset0:77 offset1:78
	ds_load_2addr_b64 v[132:135], v2 offset0:79 offset1:80
	scratch_load_b128 v[142:145], off, off offset:240
	s_wait_dscnt 0x1
	v_fmac_f64_e32 v[154:155], v[136:137], v[128:129]
	s_wait_loadcnt 0x5
	s_delay_alu instid0(VALU_DEP_1) | instskip(SKIP_4) | instid1(VALU_DEP_1)
	v_fmac_f64_e32 v[154:155], v[138:139], v[130:131]
	scratch_load_b128 v[128:131], off, off offset:256
	s_wait_dscnt 0x0
	v_fmac_f64_e32 v[154:155], v[140:141], v[132:133]
	s_wait_loadcnt 0x5
	v_fmac_f64_e32 v[154:155], v[150:151], v[134:135]
	ds_load_2addr_b64 v[132:135], v2 offset0:81 offset1:82
	ds_load_2addr_b64 v[136:139], v2 offset0:83 offset1:84
	s_wait_dscnt 0x1
	v_fmac_f64_e32 v[154:155], v[152:153], v[132:133]
	scratch_load_b128 v[150:153], off, off offset:272
	s_wait_loadcnt 0x5
	v_fmac_f64_e32 v[154:155], v[120:121], v[134:135]
	s_wait_dscnt 0x0
	s_delay_alu instid0(VALU_DEP_1)
	v_fmac_f64_e32 v[154:155], v[122:123], v[136:137]
	scratch_load_b128 v[120:123], off, off offset:288
	s_wait_loadcnt 0x5
	v_fmac_f64_e32 v[154:155], v[146:147], v[138:139]
	ds_load_2addr_b64 v[132:135], v2 offset0:85 offset1:86
	ds_load_2addr_b64 v[136:139], v2 offset0:87 offset1:88
	s_wait_dscnt 0x1
	v_fmac_f64_e32 v[154:155], v[148:149], v[132:133]
	scratch_load_b128 v[146:149], off, off offset:304
	s_wait_loadcnt 0x5
	v_fmac_f64_e32 v[154:155], v[124:125], v[134:135]
	s_wait_dscnt 0x0
	s_delay_alu instid0(VALU_DEP_1)
	v_fmac_f64_e32 v[154:155], v[126:127], v[136:137]
	scratch_load_b128 v[124:127], off, off offset:320
	s_wait_loadcnt 0x5
	v_fmac_f64_e32 v[154:155], v[142:143], v[138:139]
	ds_load_2addr_b64 v[132:135], v2 offset0:89 offset1:90
	ds_load_2addr_b64 v[136:139], v2 offset0:91 offset1:92
	scratch_load_b128 v[140:143], off, off offset:336
	s_wait_dscnt 0x1
	v_fmac_f64_e32 v[154:155], v[144:145], v[132:133]
	s_wait_loadcnt 0x5
	s_delay_alu instid0(VALU_DEP_1) | instskip(SKIP_1) | instid1(VALU_DEP_1)
	v_fmac_f64_e32 v[154:155], v[128:129], v[134:135]
	s_wait_dscnt 0x0
	v_fmac_f64_e32 v[154:155], v[130:131], v[136:137]
	scratch_load_b128 v[128:131], off, off offset:352
	s_wait_loadcnt 0x5
	v_fmac_f64_e32 v[154:155], v[150:151], v[138:139]
	ds_load_2addr_b64 v[132:135], v2 offset0:93 offset1:94
	ds_load_2addr_b64 v[136:139], v2 offset0:95 offset1:96
	s_wait_dscnt 0x1
	v_fmac_f64_e32 v[154:155], v[152:153], v[132:133]
	scratch_load_b128 v[150:153], off, off offset:368
	s_wait_loadcnt 0x5
	v_fmac_f64_e32 v[154:155], v[120:121], v[134:135]
	s_wait_dscnt 0x0
	s_delay_alu instid0(VALU_DEP_1)
	v_fmac_f64_e32 v[154:155], v[122:123], v[136:137]
	scratch_load_b128 v[120:123], off, off offset:384
	s_wait_loadcnt 0x5
	v_fmac_f64_e32 v[154:155], v[146:147], v[138:139]
	ds_load_2addr_b64 v[132:135], v2 offset0:97 offset1:98
	ds_load_2addr_b64 v[136:139], v2 offset0:99 offset1:100
	s_wait_dscnt 0x1
	v_fmac_f64_e32 v[154:155], v[148:149], v[132:133]
	s_wait_loadcnt 0x4
	s_delay_alu instid0(VALU_DEP_1)
	v_fmac_f64_e32 v[154:155], v[124:125], v[134:135]
	scratch_load_b128 v[132:135], off, off offset:400
	s_wait_dscnt 0x0
	v_fmac_f64_e32 v[154:155], v[126:127], v[136:137]
	scratch_load_b128 v[124:127], off, off offset:416
	s_wait_loadcnt 0x5
	v_fmac_f64_e32 v[154:155], v[140:141], v[138:139]
	ds_load_2addr_b64 v[136:139], v2 offset0:101 offset1:102
	ds_load_2addr_b64 v[144:147], v2 offset0:103 offset1:104
	s_wait_dscnt 0x1
	v_fmac_f64_e32 v[154:155], v[142:143], v[136:137]
	s_wait_loadcnt 0x4
	s_delay_alu instid0(VALU_DEP_1)
	v_fmac_f64_e32 v[154:155], v[128:129], v[138:139]
	scratch_load_b128 v[136:139], off, off offset:432
	s_wait_dscnt 0x0
	v_fmac_f64_e32 v[154:155], v[130:131], v[144:145]
	scratch_load_b64 v[144:145], off, off offset:448
	ds_load_2addr_b64 v[128:131], v2 offset0:105 offset1:106
	ds_load_2addr_b64 v[140:143], v2 offset0:107 offset1:108
	s_wait_loadcnt 0x5
	v_fmac_f64_e32 v[154:155], v[150:151], v[146:147]
	s_wait_dscnt 0x1
	s_delay_alu instid0(VALU_DEP_1) | instskip(SKIP_1) | instid1(VALU_DEP_1)
	v_fmac_f64_e32 v[154:155], v[152:153], v[128:129]
	s_wait_loadcnt 0x4
	v_fmac_f64_e32 v[154:155], v[120:121], v[130:131]
	s_wait_dscnt 0x0
	s_delay_alu instid0(VALU_DEP_1)
	v_fmac_f64_e32 v[154:155], v[122:123], v[140:141]
	ds_load_2addr_b64 v[120:123], v2 offset0:109 offset1:110
	ds_load_2addr_b64 v[128:131], v2 offset0:111 offset1:112
	s_wait_loadcnt 0x3
	v_fmac_f64_e32 v[154:155], v[132:133], v[142:143]
	s_wait_dscnt 0x1
	s_delay_alu instid0(VALU_DEP_1) | instskip(SKIP_1) | instid1(VALU_DEP_1)
	v_fmac_f64_e32 v[154:155], v[134:135], v[120:121]
	s_wait_loadcnt 0x2
	v_fmac_f64_e32 v[154:155], v[124:125], v[122:123]
	ds_load_2addr_b64 v[120:123], v2 offset0:113 offset1:114
	s_wait_dscnt 0x1
	v_fmac_f64_e32 v[154:155], v[126:127], v[128:129]
	s_wait_loadcnt 0x1
	s_delay_alu instid0(VALU_DEP_1) | instskip(SKIP_1) | instid1(VALU_DEP_1)
	v_fmac_f64_e32 v[154:155], v[136:137], v[130:131]
	s_wait_dscnt 0x0
	v_fmac_f64_e32 v[154:155], v[138:139], v[120:121]
	s_wait_loadcnt 0x0
	s_delay_alu instid0(VALU_DEP_1) | instskip(NEXT) | instid1(VALU_DEP_1)
	v_fmac_f64_e32 v[154:155], v[144:145], v[122:123]
	v_add_f64_e64 v[2:3], v[118:119], -v[154:155]
	scratch_store_b64 off, v[2:3], off offset:80
	s_wait_xcnt 0x0
	v_cmpx_lt_u32_e32 9, v0
	s_cbranch_execz .LBB120_333
; %bb.332:
	scratch_load_b64 v[2:3], off, off offset:72
	v_mov_b64_e32 v[118:119], 0
	scratch_store_b64 off, v[118:119], off offset:72
	s_wait_loadcnt 0x0
	ds_store_b64 v1, v[2:3]
.LBB120_333:
	s_wait_xcnt 0x0
	s_or_b32 exec_lo, exec_lo, s0
	s_wait_storecnt_dscnt 0x0
	s_barrier_signal -1
	s_barrier_wait -1
	s_clause 0x5
	scratch_load_b128 v[118:121], off, off offset:72
	scratch_load_b128 v[122:125], off, off offset:88
	;; [unrolled: 1-line block ×6, first 2 shown]
	v_mov_b32_e32 v2, 0
	ds_load_b128 v[142:145], v2 offset:544
	ds_load_b128 v[146:149], v2 offset:560
	scratch_load_b128 v[150:153], off, off offset:168
	s_mov_b32 s0, exec_lo
	s_wait_loadcnt_dscnt 0x601
	v_fma_f64 v[154:155], v[120:121], v[142:143], 0
	s_wait_loadcnt 0x5
	s_delay_alu instid0(VALU_DEP_1) | instskip(SKIP_4) | instid1(VALU_DEP_1)
	v_fmac_f64_e32 v[154:155], v[122:123], v[144:145]
	scratch_load_b128 v[120:123], off, off offset:184
	s_wait_dscnt 0x0
	v_fmac_f64_e32 v[154:155], v[124:125], v[146:147]
	s_wait_loadcnt 0x5
	v_fmac_f64_e32 v[154:155], v[126:127], v[148:149]
	ds_load_b128 v[124:127], v2 offset:576
	ds_load_b128 v[142:145], v2 offset:592
	scratch_load_b128 v[146:149], off, off offset:200
	s_wait_dscnt 0x1
	v_fmac_f64_e32 v[154:155], v[128:129], v[124:125]
	s_wait_loadcnt 0x5
	s_delay_alu instid0(VALU_DEP_1) | instskip(SKIP_4) | instid1(VALU_DEP_1)
	v_fmac_f64_e32 v[154:155], v[130:131], v[126:127]
	scratch_load_b128 v[124:127], off, off offset:216
	s_wait_dscnt 0x0
	v_fmac_f64_e32 v[154:155], v[132:133], v[142:143]
	s_wait_loadcnt 0x5
	v_fmac_f64_e32 v[154:155], v[134:135], v[144:145]
	ds_load_b128 v[128:131], v2 offset:608
	ds_load_b128 v[132:135], v2 offset:624
	scratch_load_b128 v[142:145], off, off offset:232
	s_wait_dscnt 0x1
	v_fmac_f64_e32 v[154:155], v[136:137], v[128:129]
	s_wait_loadcnt 0x5
	s_delay_alu instid0(VALU_DEP_1) | instskip(SKIP_4) | instid1(VALU_DEP_1)
	v_fmac_f64_e32 v[154:155], v[138:139], v[130:131]
	scratch_load_b128 v[128:131], off, off offset:248
	s_wait_dscnt 0x0
	v_fmac_f64_e32 v[154:155], v[140:141], v[132:133]
	s_wait_loadcnt 0x5
	v_fmac_f64_e32 v[154:155], v[150:151], v[134:135]
	ds_load_b128 v[132:135], v2 offset:640
	ds_load_b128 v[136:139], v2 offset:656
	s_wait_dscnt 0x1
	v_fmac_f64_e32 v[154:155], v[152:153], v[132:133]
	scratch_load_b128 v[150:153], off, off offset:264
	s_wait_loadcnt 0x5
	v_fmac_f64_e32 v[154:155], v[120:121], v[134:135]
	s_wait_dscnt 0x0
	s_delay_alu instid0(VALU_DEP_1)
	v_fmac_f64_e32 v[154:155], v[122:123], v[136:137]
	scratch_load_b128 v[120:123], off, off offset:280
	s_wait_loadcnt 0x5
	v_fmac_f64_e32 v[154:155], v[146:147], v[138:139]
	ds_load_b128 v[132:135], v2 offset:672
	ds_load_b128 v[136:139], v2 offset:688
	s_wait_dscnt 0x1
	v_fmac_f64_e32 v[154:155], v[148:149], v[132:133]
	scratch_load_b128 v[146:149], off, off offset:296
	s_wait_loadcnt 0x5
	v_fmac_f64_e32 v[154:155], v[124:125], v[134:135]
	s_wait_dscnt 0x0
	s_delay_alu instid0(VALU_DEP_1)
	v_fmac_f64_e32 v[154:155], v[126:127], v[136:137]
	scratch_load_b128 v[124:127], off, off offset:312
	s_wait_loadcnt 0x5
	v_fmac_f64_e32 v[154:155], v[142:143], v[138:139]
	ds_load_b128 v[132:135], v2 offset:704
	ds_load_b128 v[136:139], v2 offset:720
	scratch_load_b128 v[140:143], off, off offset:328
	s_wait_dscnt 0x1
	v_fmac_f64_e32 v[154:155], v[144:145], v[132:133]
	s_wait_loadcnt 0x5
	s_delay_alu instid0(VALU_DEP_1) | instskip(SKIP_1) | instid1(VALU_DEP_1)
	v_fmac_f64_e32 v[154:155], v[128:129], v[134:135]
	s_wait_dscnt 0x0
	v_fmac_f64_e32 v[154:155], v[130:131], v[136:137]
	scratch_load_b128 v[128:131], off, off offset:344
	s_wait_loadcnt 0x5
	v_fmac_f64_e32 v[154:155], v[150:151], v[138:139]
	ds_load_b128 v[132:135], v2 offset:736
	ds_load_b128 v[136:139], v2 offset:752
	s_wait_dscnt 0x1
	v_fmac_f64_e32 v[154:155], v[152:153], v[132:133]
	scratch_load_b128 v[150:153], off, off offset:360
	s_wait_loadcnt 0x5
	v_fmac_f64_e32 v[154:155], v[120:121], v[134:135]
	s_wait_dscnt 0x0
	s_delay_alu instid0(VALU_DEP_1)
	v_fmac_f64_e32 v[154:155], v[122:123], v[136:137]
	scratch_load_b128 v[120:123], off, off offset:376
	s_wait_loadcnt 0x5
	v_fmac_f64_e32 v[154:155], v[146:147], v[138:139]
	ds_load_b128 v[132:135], v2 offset:768
	ds_load_b128 v[136:139], v2 offset:784
	s_wait_dscnt 0x1
	v_fmac_f64_e32 v[154:155], v[148:149], v[132:133]
	s_wait_loadcnt 0x4
	s_delay_alu instid0(VALU_DEP_1)
	v_fmac_f64_e32 v[154:155], v[124:125], v[134:135]
	scratch_load_b128 v[132:135], off, off offset:392
	s_wait_dscnt 0x0
	v_fmac_f64_e32 v[154:155], v[126:127], v[136:137]
	scratch_load_b128 v[124:127], off, off offset:408
	s_wait_loadcnt 0x5
	v_fmac_f64_e32 v[154:155], v[140:141], v[138:139]
	ds_load_b128 v[136:139], v2 offset:800
	ds_load_b128 v[144:147], v2 offset:816
	s_wait_dscnt 0x1
	v_fmac_f64_e32 v[154:155], v[142:143], v[136:137]
	s_wait_loadcnt 0x4
	s_delay_alu instid0(VALU_DEP_1)
	v_fmac_f64_e32 v[154:155], v[128:129], v[138:139]
	scratch_load_b128 v[136:139], off, off offset:424
	s_wait_dscnt 0x0
	v_fmac_f64_e32 v[154:155], v[130:131], v[144:145]
	scratch_load_b128 v[128:131], off, off offset:440
	s_wait_loadcnt 0x5
	v_fmac_f64_e32 v[154:155], v[150:151], v[146:147]
	ds_load_b128 v[140:143], v2 offset:832
	ds_load_b128 v[144:147], v2 offset:848
	s_wait_dscnt 0x1
	v_fmac_f64_e32 v[154:155], v[152:153], v[140:141]
	s_wait_loadcnt 0x4
	s_delay_alu instid0(VALU_DEP_1) | instskip(SKIP_1) | instid1(VALU_DEP_1)
	v_fmac_f64_e32 v[154:155], v[120:121], v[142:143]
	s_wait_dscnt 0x0
	v_fmac_f64_e32 v[154:155], v[122:123], v[144:145]
	ds_load_b128 v[120:123], v2 offset:864
	ds_load_b128 v[140:143], v2 offset:880
	s_wait_loadcnt 0x3
	v_fmac_f64_e32 v[154:155], v[132:133], v[146:147]
	s_wait_dscnt 0x1
	s_delay_alu instid0(VALU_DEP_1) | instskip(SKIP_1) | instid1(VALU_DEP_1)
	v_fmac_f64_e32 v[154:155], v[134:135], v[120:121]
	s_wait_loadcnt 0x2
	v_fmac_f64_e32 v[154:155], v[124:125], v[122:123]
	ds_load_b128 v[120:123], v2 offset:896
	ds_load_b64 v[124:125], v2 offset:912
	s_wait_dscnt 0x2
	v_fmac_f64_e32 v[154:155], v[126:127], v[140:141]
	s_wait_loadcnt 0x1
	s_delay_alu instid0(VALU_DEP_1) | instskip(SKIP_1) | instid1(VALU_DEP_1)
	v_fmac_f64_e32 v[154:155], v[136:137], v[142:143]
	s_wait_dscnt 0x1
	v_fmac_f64_e32 v[154:155], v[138:139], v[120:121]
	s_wait_loadcnt 0x0
	s_delay_alu instid0(VALU_DEP_1) | instskip(SKIP_1) | instid1(VALU_DEP_1)
	v_fmac_f64_e32 v[154:155], v[128:129], v[122:123]
	s_wait_dscnt 0x0
	v_fmac_f64_e32 v[154:155], v[130:131], v[124:125]
	s_delay_alu instid0(VALU_DEP_1)
	v_add_f64_e64 v[118:119], v[118:119], -v[154:155]
	scratch_store_b64 off, v[118:119], off offset:72
	s_wait_xcnt 0x0
	v_cmpx_lt_u32_e32 8, v0
	s_cbranch_execz .LBB120_335
; %bb.334:
	scratch_load_b64 v[118:119], off, off offset:64
	v_mov_b64_e32 v[120:121], 0
	scratch_store_b64 off, v[120:121], off offset:64
	s_wait_loadcnt 0x0
	ds_store_b64 v1, v[118:119]
.LBB120_335:
	s_wait_xcnt 0x0
	s_or_b32 exec_lo, exec_lo, s0
	s_wait_storecnt_dscnt 0x0
	s_barrier_signal -1
	s_barrier_wait -1
	s_clause 0x5
	scratch_load_b128 v[118:121], off, off offset:64
	scratch_load_b128 v[122:125], off, off offset:80
	;; [unrolled: 1-line block ×6, first 2 shown]
	ds_load_2addr_b64 v[142:145], v2 offset0:67 offset1:68
	ds_load_2addr_b64 v[146:149], v2 offset0:69 offset1:70
	scratch_load_b128 v[150:153], off, off offset:160
	s_mov_b32 s0, exec_lo
	s_wait_loadcnt_dscnt 0x601
	v_fma_f64 v[154:155], v[120:121], v[142:143], 0
	s_wait_loadcnt 0x5
	s_delay_alu instid0(VALU_DEP_1) | instskip(SKIP_4) | instid1(VALU_DEP_1)
	v_fmac_f64_e32 v[154:155], v[122:123], v[144:145]
	scratch_load_b128 v[120:123], off, off offset:176
	s_wait_dscnt 0x0
	v_fmac_f64_e32 v[154:155], v[124:125], v[146:147]
	s_wait_loadcnt 0x5
	v_fmac_f64_e32 v[154:155], v[126:127], v[148:149]
	ds_load_2addr_b64 v[124:127], v2 offset0:71 offset1:72
	ds_load_2addr_b64 v[142:145], v2 offset0:73 offset1:74
	scratch_load_b128 v[146:149], off, off offset:192
	s_wait_dscnt 0x1
	v_fmac_f64_e32 v[154:155], v[128:129], v[124:125]
	s_wait_loadcnt 0x5
	s_delay_alu instid0(VALU_DEP_1) | instskip(SKIP_4) | instid1(VALU_DEP_1)
	v_fmac_f64_e32 v[154:155], v[130:131], v[126:127]
	scratch_load_b128 v[124:127], off, off offset:208
	s_wait_dscnt 0x0
	v_fmac_f64_e32 v[154:155], v[132:133], v[142:143]
	s_wait_loadcnt 0x5
	v_fmac_f64_e32 v[154:155], v[134:135], v[144:145]
	ds_load_2addr_b64 v[128:131], v2 offset0:75 offset1:76
	ds_load_2addr_b64 v[132:135], v2 offset0:77 offset1:78
	scratch_load_b128 v[142:145], off, off offset:224
	s_wait_dscnt 0x1
	v_fmac_f64_e32 v[154:155], v[136:137], v[128:129]
	s_wait_loadcnt 0x5
	s_delay_alu instid0(VALU_DEP_1) | instskip(SKIP_4) | instid1(VALU_DEP_1)
	v_fmac_f64_e32 v[154:155], v[138:139], v[130:131]
	scratch_load_b128 v[128:131], off, off offset:240
	s_wait_dscnt 0x0
	v_fmac_f64_e32 v[154:155], v[140:141], v[132:133]
	s_wait_loadcnt 0x5
	v_fmac_f64_e32 v[154:155], v[150:151], v[134:135]
	ds_load_2addr_b64 v[132:135], v2 offset0:79 offset1:80
	ds_load_2addr_b64 v[136:139], v2 offset0:81 offset1:82
	s_wait_dscnt 0x1
	v_fmac_f64_e32 v[154:155], v[152:153], v[132:133]
	scratch_load_b128 v[150:153], off, off offset:256
	s_wait_loadcnt 0x5
	v_fmac_f64_e32 v[154:155], v[120:121], v[134:135]
	s_wait_dscnt 0x0
	s_delay_alu instid0(VALU_DEP_1)
	v_fmac_f64_e32 v[154:155], v[122:123], v[136:137]
	scratch_load_b128 v[120:123], off, off offset:272
	s_wait_loadcnt 0x5
	v_fmac_f64_e32 v[154:155], v[146:147], v[138:139]
	ds_load_2addr_b64 v[132:135], v2 offset0:83 offset1:84
	ds_load_2addr_b64 v[136:139], v2 offset0:85 offset1:86
	s_wait_dscnt 0x1
	v_fmac_f64_e32 v[154:155], v[148:149], v[132:133]
	scratch_load_b128 v[146:149], off, off offset:288
	s_wait_loadcnt 0x5
	v_fmac_f64_e32 v[154:155], v[124:125], v[134:135]
	s_wait_dscnt 0x0
	s_delay_alu instid0(VALU_DEP_1)
	v_fmac_f64_e32 v[154:155], v[126:127], v[136:137]
	scratch_load_b128 v[124:127], off, off offset:304
	s_wait_loadcnt 0x5
	v_fmac_f64_e32 v[154:155], v[142:143], v[138:139]
	ds_load_2addr_b64 v[132:135], v2 offset0:87 offset1:88
	ds_load_2addr_b64 v[136:139], v2 offset0:89 offset1:90
	scratch_load_b128 v[140:143], off, off offset:320
	s_wait_dscnt 0x1
	v_fmac_f64_e32 v[154:155], v[144:145], v[132:133]
	s_wait_loadcnt 0x5
	s_delay_alu instid0(VALU_DEP_1) | instskip(SKIP_1) | instid1(VALU_DEP_1)
	v_fmac_f64_e32 v[154:155], v[128:129], v[134:135]
	s_wait_dscnt 0x0
	v_fmac_f64_e32 v[154:155], v[130:131], v[136:137]
	scratch_load_b128 v[128:131], off, off offset:336
	s_wait_loadcnt 0x5
	v_fmac_f64_e32 v[154:155], v[150:151], v[138:139]
	ds_load_2addr_b64 v[132:135], v2 offset0:91 offset1:92
	ds_load_2addr_b64 v[136:139], v2 offset0:93 offset1:94
	s_wait_dscnt 0x1
	v_fmac_f64_e32 v[154:155], v[152:153], v[132:133]
	scratch_load_b128 v[150:153], off, off offset:352
	s_wait_loadcnt 0x5
	v_fmac_f64_e32 v[154:155], v[120:121], v[134:135]
	s_wait_dscnt 0x0
	s_delay_alu instid0(VALU_DEP_1)
	v_fmac_f64_e32 v[154:155], v[122:123], v[136:137]
	scratch_load_b128 v[120:123], off, off offset:368
	s_wait_loadcnt 0x5
	v_fmac_f64_e32 v[154:155], v[146:147], v[138:139]
	ds_load_2addr_b64 v[132:135], v2 offset0:95 offset1:96
	ds_load_2addr_b64 v[136:139], v2 offset0:97 offset1:98
	s_wait_dscnt 0x1
	v_fmac_f64_e32 v[154:155], v[148:149], v[132:133]
	s_wait_loadcnt 0x4
	s_delay_alu instid0(VALU_DEP_1)
	v_fmac_f64_e32 v[154:155], v[124:125], v[134:135]
	scratch_load_b128 v[132:135], off, off offset:384
	s_wait_dscnt 0x0
	v_fmac_f64_e32 v[154:155], v[126:127], v[136:137]
	scratch_load_b128 v[124:127], off, off offset:400
	s_wait_loadcnt 0x5
	v_fmac_f64_e32 v[154:155], v[140:141], v[138:139]
	ds_load_2addr_b64 v[136:139], v2 offset0:99 offset1:100
	ds_load_2addr_b64 v[144:147], v2 offset0:101 offset1:102
	s_wait_dscnt 0x1
	v_fmac_f64_e32 v[154:155], v[142:143], v[136:137]
	s_wait_loadcnt 0x4
	s_delay_alu instid0(VALU_DEP_1)
	v_fmac_f64_e32 v[154:155], v[128:129], v[138:139]
	scratch_load_b128 v[136:139], off, off offset:416
	s_wait_dscnt 0x0
	v_fmac_f64_e32 v[154:155], v[130:131], v[144:145]
	scratch_load_b128 v[128:131], off, off offset:432
	s_wait_loadcnt 0x5
	v_fmac_f64_e32 v[154:155], v[150:151], v[146:147]
	ds_load_2addr_b64 v[140:143], v2 offset0:103 offset1:104
	ds_load_2addr_b64 v[144:147], v2 offset0:105 offset1:106
	scratch_load_b64 v[148:149], off, off offset:448
	s_wait_dscnt 0x1
	v_fmac_f64_e32 v[154:155], v[152:153], v[140:141]
	s_wait_loadcnt 0x5
	s_delay_alu instid0(VALU_DEP_1) | instskip(SKIP_1) | instid1(VALU_DEP_1)
	v_fmac_f64_e32 v[154:155], v[120:121], v[142:143]
	s_wait_dscnt 0x0
	v_fmac_f64_e32 v[154:155], v[122:123], v[144:145]
	ds_load_2addr_b64 v[120:123], v2 offset0:107 offset1:108
	ds_load_2addr_b64 v[140:143], v2 offset0:109 offset1:110
	s_wait_loadcnt 0x4
	v_fmac_f64_e32 v[154:155], v[132:133], v[146:147]
	s_wait_dscnt 0x1
	s_delay_alu instid0(VALU_DEP_1) | instskip(SKIP_1) | instid1(VALU_DEP_1)
	v_fmac_f64_e32 v[154:155], v[134:135], v[120:121]
	s_wait_loadcnt 0x3
	v_fmac_f64_e32 v[154:155], v[124:125], v[122:123]
	s_wait_dscnt 0x0
	s_delay_alu instid0(VALU_DEP_1)
	v_fmac_f64_e32 v[154:155], v[126:127], v[140:141]
	ds_load_2addr_b64 v[120:123], v2 offset0:111 offset1:112
	ds_load_2addr_b64 v[124:127], v2 offset0:113 offset1:114
	s_wait_loadcnt 0x2
	v_fmac_f64_e32 v[154:155], v[136:137], v[142:143]
	s_wait_dscnt 0x1
	s_delay_alu instid0(VALU_DEP_1) | instskip(SKIP_1) | instid1(VALU_DEP_1)
	v_fmac_f64_e32 v[154:155], v[138:139], v[120:121]
	s_wait_loadcnt 0x1
	v_fmac_f64_e32 v[154:155], v[128:129], v[122:123]
	s_wait_dscnt 0x0
	s_delay_alu instid0(VALU_DEP_1) | instskip(SKIP_1) | instid1(VALU_DEP_1)
	v_fmac_f64_e32 v[154:155], v[130:131], v[124:125]
	s_wait_loadcnt 0x0
	v_fmac_f64_e32 v[154:155], v[148:149], v[126:127]
	s_delay_alu instid0(VALU_DEP_1)
	v_add_f64_e64 v[2:3], v[118:119], -v[154:155]
	scratch_store_b64 off, v[2:3], off offset:64
	s_wait_xcnt 0x0
	v_cmpx_lt_u32_e32 7, v0
	s_cbranch_execz .LBB120_337
; %bb.336:
	scratch_load_b64 v[2:3], off, off offset:56
	v_mov_b64_e32 v[118:119], 0
	scratch_store_b64 off, v[118:119], off offset:56
	s_wait_loadcnt 0x0
	ds_store_b64 v1, v[2:3]
.LBB120_337:
	s_wait_xcnt 0x0
	s_or_b32 exec_lo, exec_lo, s0
	s_wait_storecnt_dscnt 0x0
	s_barrier_signal -1
	s_barrier_wait -1
	s_clause 0x5
	scratch_load_b128 v[118:121], off, off offset:56
	scratch_load_b128 v[122:125], off, off offset:72
	;; [unrolled: 1-line block ×6, first 2 shown]
	v_mov_b32_e32 v2, 0
	ds_load_b128 v[142:145], v2 offset:528
	ds_load_b128 v[146:149], v2 offset:544
	scratch_load_b128 v[150:153], off, off offset:152
	s_mov_b32 s0, exec_lo
	s_wait_loadcnt_dscnt 0x601
	v_fma_f64 v[154:155], v[120:121], v[142:143], 0
	s_wait_loadcnt 0x5
	s_delay_alu instid0(VALU_DEP_1) | instskip(SKIP_4) | instid1(VALU_DEP_1)
	v_fmac_f64_e32 v[154:155], v[122:123], v[144:145]
	scratch_load_b128 v[120:123], off, off offset:168
	s_wait_dscnt 0x0
	v_fmac_f64_e32 v[154:155], v[124:125], v[146:147]
	s_wait_loadcnt 0x5
	v_fmac_f64_e32 v[154:155], v[126:127], v[148:149]
	ds_load_b128 v[124:127], v2 offset:560
	ds_load_b128 v[142:145], v2 offset:576
	scratch_load_b128 v[146:149], off, off offset:184
	s_wait_dscnt 0x1
	v_fmac_f64_e32 v[154:155], v[128:129], v[124:125]
	s_wait_loadcnt 0x5
	s_delay_alu instid0(VALU_DEP_1) | instskip(SKIP_4) | instid1(VALU_DEP_1)
	v_fmac_f64_e32 v[154:155], v[130:131], v[126:127]
	scratch_load_b128 v[124:127], off, off offset:200
	s_wait_dscnt 0x0
	v_fmac_f64_e32 v[154:155], v[132:133], v[142:143]
	s_wait_loadcnt 0x5
	v_fmac_f64_e32 v[154:155], v[134:135], v[144:145]
	ds_load_b128 v[128:131], v2 offset:592
	ds_load_b128 v[132:135], v2 offset:608
	scratch_load_b128 v[142:145], off, off offset:216
	s_wait_dscnt 0x1
	v_fmac_f64_e32 v[154:155], v[136:137], v[128:129]
	s_wait_loadcnt 0x5
	s_delay_alu instid0(VALU_DEP_1) | instskip(SKIP_4) | instid1(VALU_DEP_1)
	v_fmac_f64_e32 v[154:155], v[138:139], v[130:131]
	scratch_load_b128 v[128:131], off, off offset:232
	s_wait_dscnt 0x0
	v_fmac_f64_e32 v[154:155], v[140:141], v[132:133]
	s_wait_loadcnt 0x5
	v_fmac_f64_e32 v[154:155], v[150:151], v[134:135]
	ds_load_b128 v[132:135], v2 offset:624
	ds_load_b128 v[136:139], v2 offset:640
	s_wait_dscnt 0x1
	v_fmac_f64_e32 v[154:155], v[152:153], v[132:133]
	scratch_load_b128 v[150:153], off, off offset:248
	s_wait_loadcnt 0x5
	v_fmac_f64_e32 v[154:155], v[120:121], v[134:135]
	s_wait_dscnt 0x0
	s_delay_alu instid0(VALU_DEP_1)
	v_fmac_f64_e32 v[154:155], v[122:123], v[136:137]
	scratch_load_b128 v[120:123], off, off offset:264
	s_wait_loadcnt 0x5
	v_fmac_f64_e32 v[154:155], v[146:147], v[138:139]
	ds_load_b128 v[132:135], v2 offset:656
	ds_load_b128 v[136:139], v2 offset:672
	s_wait_dscnt 0x1
	v_fmac_f64_e32 v[154:155], v[148:149], v[132:133]
	scratch_load_b128 v[146:149], off, off offset:280
	s_wait_loadcnt 0x5
	v_fmac_f64_e32 v[154:155], v[124:125], v[134:135]
	s_wait_dscnt 0x0
	s_delay_alu instid0(VALU_DEP_1)
	v_fmac_f64_e32 v[154:155], v[126:127], v[136:137]
	scratch_load_b128 v[124:127], off, off offset:296
	s_wait_loadcnt 0x5
	v_fmac_f64_e32 v[154:155], v[142:143], v[138:139]
	ds_load_b128 v[132:135], v2 offset:688
	ds_load_b128 v[136:139], v2 offset:704
	scratch_load_b128 v[140:143], off, off offset:312
	s_wait_dscnt 0x1
	v_fmac_f64_e32 v[154:155], v[144:145], v[132:133]
	s_wait_loadcnt 0x5
	s_delay_alu instid0(VALU_DEP_1) | instskip(SKIP_1) | instid1(VALU_DEP_1)
	v_fmac_f64_e32 v[154:155], v[128:129], v[134:135]
	s_wait_dscnt 0x0
	v_fmac_f64_e32 v[154:155], v[130:131], v[136:137]
	scratch_load_b128 v[128:131], off, off offset:328
	s_wait_loadcnt 0x5
	v_fmac_f64_e32 v[154:155], v[150:151], v[138:139]
	ds_load_b128 v[132:135], v2 offset:720
	ds_load_b128 v[136:139], v2 offset:736
	s_wait_dscnt 0x1
	v_fmac_f64_e32 v[154:155], v[152:153], v[132:133]
	scratch_load_b128 v[150:153], off, off offset:344
	s_wait_loadcnt 0x5
	v_fmac_f64_e32 v[154:155], v[120:121], v[134:135]
	s_wait_dscnt 0x0
	s_delay_alu instid0(VALU_DEP_1)
	v_fmac_f64_e32 v[154:155], v[122:123], v[136:137]
	scratch_load_b128 v[120:123], off, off offset:360
	s_wait_loadcnt 0x5
	v_fmac_f64_e32 v[154:155], v[146:147], v[138:139]
	ds_load_b128 v[132:135], v2 offset:752
	ds_load_b128 v[136:139], v2 offset:768
	s_wait_dscnt 0x1
	v_fmac_f64_e32 v[154:155], v[148:149], v[132:133]
	s_wait_loadcnt 0x4
	s_delay_alu instid0(VALU_DEP_1)
	v_fmac_f64_e32 v[154:155], v[124:125], v[134:135]
	scratch_load_b128 v[132:135], off, off offset:376
	s_wait_dscnt 0x0
	v_fmac_f64_e32 v[154:155], v[126:127], v[136:137]
	scratch_load_b128 v[124:127], off, off offset:392
	s_wait_loadcnt 0x5
	v_fmac_f64_e32 v[154:155], v[140:141], v[138:139]
	ds_load_b128 v[136:139], v2 offset:784
	ds_load_b128 v[144:147], v2 offset:800
	s_wait_dscnt 0x1
	v_fmac_f64_e32 v[154:155], v[142:143], v[136:137]
	s_wait_loadcnt 0x4
	s_delay_alu instid0(VALU_DEP_1)
	v_fmac_f64_e32 v[154:155], v[128:129], v[138:139]
	scratch_load_b128 v[136:139], off, off offset:408
	s_wait_dscnt 0x0
	v_fmac_f64_e32 v[154:155], v[130:131], v[144:145]
	scratch_load_b128 v[128:131], off, off offset:424
	s_wait_loadcnt 0x5
	v_fmac_f64_e32 v[154:155], v[150:151], v[146:147]
	ds_load_b128 v[140:143], v2 offset:816
	ds_load_b128 v[144:147], v2 offset:832
	s_wait_dscnt 0x1
	v_fmac_f64_e32 v[154:155], v[152:153], v[140:141]
	s_wait_loadcnt 0x4
	s_delay_alu instid0(VALU_DEP_1) | instskip(SKIP_4) | instid1(VALU_DEP_1)
	v_fmac_f64_e32 v[154:155], v[120:121], v[142:143]
	scratch_load_b128 v[140:143], off, off offset:440
	s_wait_dscnt 0x0
	v_fmac_f64_e32 v[154:155], v[122:123], v[144:145]
	s_wait_loadcnt 0x4
	v_fmac_f64_e32 v[154:155], v[132:133], v[146:147]
	ds_load_b128 v[120:123], v2 offset:848
	ds_load_b128 v[144:147], v2 offset:864
	s_wait_dscnt 0x1
	v_fmac_f64_e32 v[154:155], v[134:135], v[120:121]
	s_wait_loadcnt 0x3
	s_delay_alu instid0(VALU_DEP_1) | instskip(SKIP_1) | instid1(VALU_DEP_1)
	v_fmac_f64_e32 v[154:155], v[124:125], v[122:123]
	s_wait_dscnt 0x0
	v_fmac_f64_e32 v[154:155], v[126:127], v[144:145]
	ds_load_b128 v[120:123], v2 offset:880
	ds_load_b128 v[124:127], v2 offset:896
	s_wait_loadcnt 0x2
	v_fmac_f64_e32 v[154:155], v[136:137], v[146:147]
	s_wait_dscnt 0x1
	s_delay_alu instid0(VALU_DEP_1) | instskip(SKIP_4) | instid1(VALU_DEP_1)
	v_fmac_f64_e32 v[154:155], v[138:139], v[120:121]
	ds_load_b64 v[120:121], v2 offset:912
	s_wait_loadcnt 0x1
	v_fmac_f64_e32 v[154:155], v[128:129], v[122:123]
	s_wait_dscnt 0x1
	v_fmac_f64_e32 v[154:155], v[130:131], v[124:125]
	s_wait_loadcnt 0x0
	s_delay_alu instid0(VALU_DEP_1) | instskip(SKIP_1) | instid1(VALU_DEP_1)
	v_fmac_f64_e32 v[154:155], v[140:141], v[126:127]
	s_wait_dscnt 0x0
	v_fmac_f64_e32 v[154:155], v[142:143], v[120:121]
	s_delay_alu instid0(VALU_DEP_1)
	v_add_f64_e64 v[118:119], v[118:119], -v[154:155]
	scratch_store_b64 off, v[118:119], off offset:56
	s_wait_xcnt 0x0
	v_cmpx_lt_u32_e32 6, v0
	s_cbranch_execz .LBB120_339
; %bb.338:
	scratch_load_b64 v[118:119], off, off offset:48
	v_mov_b64_e32 v[120:121], 0
	scratch_store_b64 off, v[120:121], off offset:48
	s_wait_loadcnt 0x0
	ds_store_b64 v1, v[118:119]
.LBB120_339:
	s_wait_xcnt 0x0
	s_or_b32 exec_lo, exec_lo, s0
	s_wait_storecnt_dscnt 0x0
	s_barrier_signal -1
	s_barrier_wait -1
	s_clause 0x5
	scratch_load_b128 v[118:121], off, off offset:48
	scratch_load_b128 v[122:125], off, off offset:64
	;; [unrolled: 1-line block ×6, first 2 shown]
	ds_load_2addr_b64 v[142:145], v2 offset0:65 offset1:66
	ds_load_2addr_b64 v[146:149], v2 offset0:67 offset1:68
	scratch_load_b128 v[150:153], off, off offset:144
	s_mov_b32 s0, exec_lo
	s_wait_loadcnt_dscnt 0x601
	v_fma_f64 v[154:155], v[120:121], v[142:143], 0
	s_wait_loadcnt 0x5
	s_delay_alu instid0(VALU_DEP_1) | instskip(SKIP_4) | instid1(VALU_DEP_1)
	v_fmac_f64_e32 v[154:155], v[122:123], v[144:145]
	scratch_load_b128 v[120:123], off, off offset:160
	s_wait_dscnt 0x0
	v_fmac_f64_e32 v[154:155], v[124:125], v[146:147]
	s_wait_loadcnt 0x5
	v_fmac_f64_e32 v[154:155], v[126:127], v[148:149]
	ds_load_2addr_b64 v[124:127], v2 offset0:69 offset1:70
	ds_load_2addr_b64 v[142:145], v2 offset0:71 offset1:72
	scratch_load_b128 v[146:149], off, off offset:176
	s_wait_dscnt 0x1
	v_fmac_f64_e32 v[154:155], v[128:129], v[124:125]
	s_wait_loadcnt 0x5
	s_delay_alu instid0(VALU_DEP_1) | instskip(SKIP_4) | instid1(VALU_DEP_1)
	v_fmac_f64_e32 v[154:155], v[130:131], v[126:127]
	scratch_load_b128 v[124:127], off, off offset:192
	s_wait_dscnt 0x0
	v_fmac_f64_e32 v[154:155], v[132:133], v[142:143]
	s_wait_loadcnt 0x5
	v_fmac_f64_e32 v[154:155], v[134:135], v[144:145]
	ds_load_2addr_b64 v[128:131], v2 offset0:73 offset1:74
	ds_load_2addr_b64 v[132:135], v2 offset0:75 offset1:76
	scratch_load_b128 v[142:145], off, off offset:208
	s_wait_dscnt 0x1
	v_fmac_f64_e32 v[154:155], v[136:137], v[128:129]
	s_wait_loadcnt 0x5
	s_delay_alu instid0(VALU_DEP_1) | instskip(SKIP_4) | instid1(VALU_DEP_1)
	v_fmac_f64_e32 v[154:155], v[138:139], v[130:131]
	scratch_load_b128 v[128:131], off, off offset:224
	s_wait_dscnt 0x0
	v_fmac_f64_e32 v[154:155], v[140:141], v[132:133]
	s_wait_loadcnt 0x5
	v_fmac_f64_e32 v[154:155], v[150:151], v[134:135]
	ds_load_2addr_b64 v[132:135], v2 offset0:77 offset1:78
	ds_load_2addr_b64 v[136:139], v2 offset0:79 offset1:80
	s_wait_dscnt 0x1
	v_fmac_f64_e32 v[154:155], v[152:153], v[132:133]
	scratch_load_b128 v[150:153], off, off offset:240
	s_wait_loadcnt 0x5
	v_fmac_f64_e32 v[154:155], v[120:121], v[134:135]
	s_wait_dscnt 0x0
	s_delay_alu instid0(VALU_DEP_1)
	v_fmac_f64_e32 v[154:155], v[122:123], v[136:137]
	scratch_load_b128 v[120:123], off, off offset:256
	s_wait_loadcnt 0x5
	v_fmac_f64_e32 v[154:155], v[146:147], v[138:139]
	ds_load_2addr_b64 v[132:135], v2 offset0:81 offset1:82
	ds_load_2addr_b64 v[136:139], v2 offset0:83 offset1:84
	s_wait_dscnt 0x1
	v_fmac_f64_e32 v[154:155], v[148:149], v[132:133]
	scratch_load_b128 v[146:149], off, off offset:272
	s_wait_loadcnt 0x5
	v_fmac_f64_e32 v[154:155], v[124:125], v[134:135]
	s_wait_dscnt 0x0
	s_delay_alu instid0(VALU_DEP_1)
	v_fmac_f64_e32 v[154:155], v[126:127], v[136:137]
	scratch_load_b128 v[124:127], off, off offset:288
	s_wait_loadcnt 0x5
	v_fmac_f64_e32 v[154:155], v[142:143], v[138:139]
	ds_load_2addr_b64 v[132:135], v2 offset0:85 offset1:86
	ds_load_2addr_b64 v[136:139], v2 offset0:87 offset1:88
	scratch_load_b128 v[140:143], off, off offset:304
	s_wait_dscnt 0x1
	v_fmac_f64_e32 v[154:155], v[144:145], v[132:133]
	s_wait_loadcnt 0x5
	s_delay_alu instid0(VALU_DEP_1) | instskip(SKIP_1) | instid1(VALU_DEP_1)
	v_fmac_f64_e32 v[154:155], v[128:129], v[134:135]
	s_wait_dscnt 0x0
	v_fmac_f64_e32 v[154:155], v[130:131], v[136:137]
	scratch_load_b128 v[128:131], off, off offset:320
	s_wait_loadcnt 0x5
	v_fmac_f64_e32 v[154:155], v[150:151], v[138:139]
	ds_load_2addr_b64 v[132:135], v2 offset0:89 offset1:90
	ds_load_2addr_b64 v[136:139], v2 offset0:91 offset1:92
	s_wait_dscnt 0x1
	v_fmac_f64_e32 v[154:155], v[152:153], v[132:133]
	scratch_load_b128 v[150:153], off, off offset:336
	s_wait_loadcnt 0x5
	v_fmac_f64_e32 v[154:155], v[120:121], v[134:135]
	s_wait_dscnt 0x0
	s_delay_alu instid0(VALU_DEP_1)
	v_fmac_f64_e32 v[154:155], v[122:123], v[136:137]
	scratch_load_b128 v[120:123], off, off offset:352
	s_wait_loadcnt 0x5
	v_fmac_f64_e32 v[154:155], v[146:147], v[138:139]
	ds_load_2addr_b64 v[132:135], v2 offset0:93 offset1:94
	ds_load_2addr_b64 v[136:139], v2 offset0:95 offset1:96
	scratch_load_b128 v[144:147], off, off offset:368
	s_wait_dscnt 0x1
	v_fmac_f64_e32 v[154:155], v[148:149], v[132:133]
	s_wait_loadcnt 0x5
	s_delay_alu instid0(VALU_DEP_1) | instskip(SKIP_1) | instid1(VALU_DEP_1)
	v_fmac_f64_e32 v[154:155], v[124:125], v[134:135]
	s_wait_dscnt 0x0
	v_fmac_f64_e32 v[154:155], v[126:127], v[136:137]
	scratch_load_b128 v[124:127], off, off offset:384
	s_wait_loadcnt 0x5
	v_fmac_f64_e32 v[154:155], v[140:141], v[138:139]
	ds_load_2addr_b64 v[132:135], v2 offset0:97 offset1:98
	ds_load_2addr_b64 v[136:139], v2 offset0:99 offset1:100
	s_wait_dscnt 0x1
	v_fmac_f64_e32 v[154:155], v[142:143], v[132:133]
	s_wait_loadcnt 0x4
	s_delay_alu instid0(VALU_DEP_1)
	v_fmac_f64_e32 v[154:155], v[128:129], v[134:135]
	scratch_load_b128 v[132:135], off, off offset:400
	s_wait_dscnt 0x0
	v_fmac_f64_e32 v[154:155], v[130:131], v[136:137]
	scratch_load_b128 v[128:131], off, off offset:416
	s_wait_loadcnt 0x5
	v_fmac_f64_e32 v[154:155], v[150:151], v[138:139]
	ds_load_2addr_b64 v[136:139], v2 offset0:101 offset1:102
	ds_load_2addr_b64 v[140:143], v2 offset0:103 offset1:104
	s_wait_dscnt 0x1
	v_fmac_f64_e32 v[154:155], v[152:153], v[136:137]
	s_wait_loadcnt 0x4
	s_delay_alu instid0(VALU_DEP_1) | instskip(SKIP_4) | instid1(VALU_DEP_1)
	v_fmac_f64_e32 v[154:155], v[120:121], v[138:139]
	scratch_load_b128 v[136:139], off, off offset:432
	s_wait_dscnt 0x0
	v_fmac_f64_e32 v[154:155], v[122:123], v[140:141]
	s_wait_loadcnt 0x4
	v_fmac_f64_e32 v[154:155], v[144:145], v[142:143]
	scratch_load_b64 v[144:145], off, off offset:448
	ds_load_2addr_b64 v[120:123], v2 offset0:105 offset1:106
	ds_load_2addr_b64 v[140:143], v2 offset0:107 offset1:108
	s_wait_dscnt 0x1
	v_fmac_f64_e32 v[154:155], v[146:147], v[120:121]
	s_wait_loadcnt 0x4
	s_delay_alu instid0(VALU_DEP_1) | instskip(SKIP_1) | instid1(VALU_DEP_1)
	v_fmac_f64_e32 v[154:155], v[124:125], v[122:123]
	s_wait_dscnt 0x0
	v_fmac_f64_e32 v[154:155], v[126:127], v[140:141]
	ds_load_2addr_b64 v[120:123], v2 offset0:109 offset1:110
	ds_load_2addr_b64 v[124:127], v2 offset0:111 offset1:112
	s_wait_loadcnt 0x3
	v_fmac_f64_e32 v[154:155], v[132:133], v[142:143]
	s_wait_dscnt 0x1
	s_delay_alu instid0(VALU_DEP_1) | instskip(SKIP_1) | instid1(VALU_DEP_1)
	v_fmac_f64_e32 v[154:155], v[134:135], v[120:121]
	s_wait_loadcnt 0x2
	v_fmac_f64_e32 v[154:155], v[128:129], v[122:123]
	ds_load_2addr_b64 v[120:123], v2 offset0:113 offset1:114
	s_wait_dscnt 0x1
	v_fmac_f64_e32 v[154:155], v[130:131], v[124:125]
	s_wait_loadcnt 0x1
	s_delay_alu instid0(VALU_DEP_1) | instskip(SKIP_1) | instid1(VALU_DEP_1)
	v_fmac_f64_e32 v[154:155], v[136:137], v[126:127]
	s_wait_dscnt 0x0
	v_fmac_f64_e32 v[154:155], v[138:139], v[120:121]
	s_wait_loadcnt 0x0
	s_delay_alu instid0(VALU_DEP_1) | instskip(NEXT) | instid1(VALU_DEP_1)
	v_fmac_f64_e32 v[154:155], v[144:145], v[122:123]
	v_add_f64_e64 v[2:3], v[118:119], -v[154:155]
	scratch_store_b64 off, v[2:3], off offset:48
	s_wait_xcnt 0x0
	v_cmpx_lt_u32_e32 5, v0
	s_cbranch_execz .LBB120_341
; %bb.340:
	scratch_load_b64 v[2:3], off, off offset:40
	v_mov_b64_e32 v[118:119], 0
	scratch_store_b64 off, v[118:119], off offset:40
	s_wait_loadcnt 0x0
	ds_store_b64 v1, v[2:3]
.LBB120_341:
	s_wait_xcnt 0x0
	s_or_b32 exec_lo, exec_lo, s0
	s_wait_storecnt_dscnt 0x0
	s_barrier_signal -1
	s_barrier_wait -1
	s_clause 0x5
	scratch_load_b128 v[118:121], off, off offset:40
	scratch_load_b128 v[122:125], off, off offset:56
	;; [unrolled: 1-line block ×6, first 2 shown]
	v_mov_b32_e32 v2, 0
	ds_load_b128 v[142:145], v2 offset:512
	ds_load_b128 v[146:149], v2 offset:528
	scratch_load_b128 v[150:153], off, off offset:136
	s_mov_b32 s0, exec_lo
	s_wait_loadcnt_dscnt 0x601
	v_fma_f64 v[154:155], v[120:121], v[142:143], 0
	s_wait_loadcnt 0x5
	s_delay_alu instid0(VALU_DEP_1) | instskip(SKIP_4) | instid1(VALU_DEP_1)
	v_fmac_f64_e32 v[154:155], v[122:123], v[144:145]
	scratch_load_b128 v[120:123], off, off offset:152
	s_wait_dscnt 0x0
	v_fmac_f64_e32 v[154:155], v[124:125], v[146:147]
	s_wait_loadcnt 0x5
	v_fmac_f64_e32 v[154:155], v[126:127], v[148:149]
	ds_load_b128 v[124:127], v2 offset:544
	ds_load_b128 v[142:145], v2 offset:560
	scratch_load_b128 v[146:149], off, off offset:168
	s_wait_dscnt 0x1
	v_fmac_f64_e32 v[154:155], v[128:129], v[124:125]
	s_wait_loadcnt 0x5
	s_delay_alu instid0(VALU_DEP_1) | instskip(SKIP_4) | instid1(VALU_DEP_1)
	v_fmac_f64_e32 v[154:155], v[130:131], v[126:127]
	scratch_load_b128 v[124:127], off, off offset:184
	s_wait_dscnt 0x0
	v_fmac_f64_e32 v[154:155], v[132:133], v[142:143]
	s_wait_loadcnt 0x5
	v_fmac_f64_e32 v[154:155], v[134:135], v[144:145]
	ds_load_b128 v[128:131], v2 offset:576
	ds_load_b128 v[132:135], v2 offset:592
	scratch_load_b128 v[142:145], off, off offset:200
	s_wait_dscnt 0x1
	v_fmac_f64_e32 v[154:155], v[136:137], v[128:129]
	s_wait_loadcnt 0x5
	s_delay_alu instid0(VALU_DEP_1) | instskip(SKIP_4) | instid1(VALU_DEP_1)
	v_fmac_f64_e32 v[154:155], v[138:139], v[130:131]
	scratch_load_b128 v[128:131], off, off offset:216
	s_wait_dscnt 0x0
	v_fmac_f64_e32 v[154:155], v[140:141], v[132:133]
	s_wait_loadcnt 0x5
	v_fmac_f64_e32 v[154:155], v[150:151], v[134:135]
	ds_load_b128 v[132:135], v2 offset:608
	ds_load_b128 v[136:139], v2 offset:624
	s_wait_dscnt 0x1
	v_fmac_f64_e32 v[154:155], v[152:153], v[132:133]
	scratch_load_b128 v[150:153], off, off offset:232
	s_wait_loadcnt 0x5
	v_fmac_f64_e32 v[154:155], v[120:121], v[134:135]
	s_wait_dscnt 0x0
	s_delay_alu instid0(VALU_DEP_1)
	v_fmac_f64_e32 v[154:155], v[122:123], v[136:137]
	scratch_load_b128 v[120:123], off, off offset:248
	s_wait_loadcnt 0x5
	v_fmac_f64_e32 v[154:155], v[146:147], v[138:139]
	ds_load_b128 v[132:135], v2 offset:640
	ds_load_b128 v[136:139], v2 offset:656
	s_wait_dscnt 0x1
	v_fmac_f64_e32 v[154:155], v[148:149], v[132:133]
	scratch_load_b128 v[146:149], off, off offset:264
	s_wait_loadcnt 0x5
	v_fmac_f64_e32 v[154:155], v[124:125], v[134:135]
	s_wait_dscnt 0x0
	s_delay_alu instid0(VALU_DEP_1)
	v_fmac_f64_e32 v[154:155], v[126:127], v[136:137]
	scratch_load_b128 v[124:127], off, off offset:280
	s_wait_loadcnt 0x5
	v_fmac_f64_e32 v[154:155], v[142:143], v[138:139]
	ds_load_b128 v[132:135], v2 offset:672
	ds_load_b128 v[136:139], v2 offset:688
	scratch_load_b128 v[140:143], off, off offset:296
	s_wait_dscnt 0x1
	v_fmac_f64_e32 v[154:155], v[144:145], v[132:133]
	s_wait_loadcnt 0x5
	s_delay_alu instid0(VALU_DEP_1) | instskip(SKIP_1) | instid1(VALU_DEP_1)
	v_fmac_f64_e32 v[154:155], v[128:129], v[134:135]
	s_wait_dscnt 0x0
	v_fmac_f64_e32 v[154:155], v[130:131], v[136:137]
	scratch_load_b128 v[128:131], off, off offset:312
	s_wait_loadcnt 0x5
	v_fmac_f64_e32 v[154:155], v[150:151], v[138:139]
	ds_load_b128 v[132:135], v2 offset:704
	ds_load_b128 v[136:139], v2 offset:720
	s_wait_dscnt 0x1
	v_fmac_f64_e32 v[154:155], v[152:153], v[132:133]
	scratch_load_b128 v[150:153], off, off offset:328
	s_wait_loadcnt 0x5
	v_fmac_f64_e32 v[154:155], v[120:121], v[134:135]
	s_wait_dscnt 0x0
	s_delay_alu instid0(VALU_DEP_1)
	v_fmac_f64_e32 v[154:155], v[122:123], v[136:137]
	scratch_load_b128 v[120:123], off, off offset:344
	s_wait_loadcnt 0x5
	v_fmac_f64_e32 v[154:155], v[146:147], v[138:139]
	ds_load_b128 v[132:135], v2 offset:736
	ds_load_b128 v[136:139], v2 offset:752
	scratch_load_b128 v[144:147], off, off offset:360
	s_wait_dscnt 0x1
	v_fmac_f64_e32 v[154:155], v[148:149], v[132:133]
	s_wait_loadcnt 0x5
	s_delay_alu instid0(VALU_DEP_1) | instskip(SKIP_1) | instid1(VALU_DEP_1)
	v_fmac_f64_e32 v[154:155], v[124:125], v[134:135]
	s_wait_dscnt 0x0
	v_fmac_f64_e32 v[154:155], v[126:127], v[136:137]
	scratch_load_b128 v[124:127], off, off offset:376
	s_wait_loadcnt 0x5
	v_fmac_f64_e32 v[154:155], v[140:141], v[138:139]
	ds_load_b128 v[132:135], v2 offset:768
	ds_load_b128 v[136:139], v2 offset:784
	s_wait_dscnt 0x1
	v_fmac_f64_e32 v[154:155], v[142:143], v[132:133]
	s_wait_loadcnt 0x4
	s_delay_alu instid0(VALU_DEP_1)
	v_fmac_f64_e32 v[154:155], v[128:129], v[134:135]
	scratch_load_b128 v[132:135], off, off offset:392
	s_wait_dscnt 0x0
	v_fmac_f64_e32 v[154:155], v[130:131], v[136:137]
	scratch_load_b128 v[128:131], off, off offset:408
	s_wait_loadcnt 0x5
	v_fmac_f64_e32 v[154:155], v[150:151], v[138:139]
	ds_load_b128 v[136:139], v2 offset:800
	ds_load_b128 v[140:143], v2 offset:816
	s_wait_dscnt 0x1
	v_fmac_f64_e32 v[154:155], v[152:153], v[136:137]
	s_wait_loadcnt 0x4
	s_delay_alu instid0(VALU_DEP_1)
	v_fmac_f64_e32 v[154:155], v[120:121], v[138:139]
	scratch_load_b128 v[136:139], off, off offset:424
	s_wait_dscnt 0x0
	v_fmac_f64_e32 v[154:155], v[122:123], v[140:141]
	scratch_load_b128 v[120:123], off, off offset:440
	s_wait_loadcnt 0x5
	v_fmac_f64_e32 v[154:155], v[144:145], v[142:143]
	ds_load_b128 v[140:143], v2 offset:832
	ds_load_b128 v[148:151], v2 offset:848
	s_wait_dscnt 0x1
	v_fmac_f64_e32 v[154:155], v[146:147], v[140:141]
	s_wait_loadcnt 0x4
	s_delay_alu instid0(VALU_DEP_1) | instskip(SKIP_1) | instid1(VALU_DEP_1)
	v_fmac_f64_e32 v[154:155], v[124:125], v[142:143]
	s_wait_dscnt 0x0
	v_fmac_f64_e32 v[154:155], v[126:127], v[148:149]
	ds_load_b128 v[124:127], v2 offset:864
	ds_load_b128 v[140:143], v2 offset:880
	s_wait_loadcnt 0x3
	v_fmac_f64_e32 v[154:155], v[132:133], v[150:151]
	s_wait_dscnt 0x1
	s_delay_alu instid0(VALU_DEP_1) | instskip(SKIP_1) | instid1(VALU_DEP_1)
	v_fmac_f64_e32 v[154:155], v[134:135], v[124:125]
	s_wait_loadcnt 0x2
	v_fmac_f64_e32 v[154:155], v[128:129], v[126:127]
	ds_load_b128 v[124:127], v2 offset:896
	ds_load_b64 v[128:129], v2 offset:912
	s_wait_dscnt 0x2
	v_fmac_f64_e32 v[154:155], v[130:131], v[140:141]
	s_wait_loadcnt 0x1
	s_delay_alu instid0(VALU_DEP_1) | instskip(SKIP_1) | instid1(VALU_DEP_1)
	v_fmac_f64_e32 v[154:155], v[136:137], v[142:143]
	s_wait_dscnt 0x1
	v_fmac_f64_e32 v[154:155], v[138:139], v[124:125]
	s_wait_loadcnt 0x0
	s_delay_alu instid0(VALU_DEP_1) | instskip(SKIP_1) | instid1(VALU_DEP_1)
	v_fmac_f64_e32 v[154:155], v[120:121], v[126:127]
	s_wait_dscnt 0x0
	v_fmac_f64_e32 v[154:155], v[122:123], v[128:129]
	s_delay_alu instid0(VALU_DEP_1)
	v_add_f64_e64 v[118:119], v[118:119], -v[154:155]
	scratch_store_b64 off, v[118:119], off offset:40
	s_wait_xcnt 0x0
	v_cmpx_lt_u32_e32 4, v0
	s_cbranch_execz .LBB120_343
; %bb.342:
	scratch_load_b64 v[118:119], off, off offset:32
	v_mov_b64_e32 v[120:121], 0
	scratch_store_b64 off, v[120:121], off offset:32
	s_wait_loadcnt 0x0
	ds_store_b64 v1, v[118:119]
.LBB120_343:
	s_wait_xcnt 0x0
	s_or_b32 exec_lo, exec_lo, s0
	s_wait_storecnt_dscnt 0x0
	s_barrier_signal -1
	s_barrier_wait -1
	s_clause 0x5
	scratch_load_b128 v[118:121], off, off offset:32
	scratch_load_b128 v[122:125], off, off offset:48
	scratch_load_b128 v[126:129], off, off offset:64
	scratch_load_b128 v[130:133], off, off offset:80
	scratch_load_b128 v[134:137], off, off offset:96
	scratch_load_b128 v[138:141], off, off offset:112
	ds_load_2addr_b64 v[142:145], v2 offset0:63 offset1:64
	ds_load_2addr_b64 v[146:149], v2 offset0:65 offset1:66
	scratch_load_b128 v[150:153], off, off offset:128
	s_mov_b32 s0, exec_lo
	s_wait_loadcnt_dscnt 0x601
	v_fma_f64 v[154:155], v[120:121], v[142:143], 0
	s_wait_loadcnt 0x5
	s_delay_alu instid0(VALU_DEP_1) | instskip(SKIP_4) | instid1(VALU_DEP_1)
	v_fmac_f64_e32 v[154:155], v[122:123], v[144:145]
	scratch_load_b128 v[120:123], off, off offset:144
	s_wait_dscnt 0x0
	v_fmac_f64_e32 v[154:155], v[124:125], v[146:147]
	s_wait_loadcnt 0x5
	v_fmac_f64_e32 v[154:155], v[126:127], v[148:149]
	ds_load_2addr_b64 v[124:127], v2 offset0:67 offset1:68
	ds_load_2addr_b64 v[142:145], v2 offset0:69 offset1:70
	scratch_load_b128 v[146:149], off, off offset:160
	s_wait_dscnt 0x1
	v_fmac_f64_e32 v[154:155], v[128:129], v[124:125]
	s_wait_loadcnt 0x5
	s_delay_alu instid0(VALU_DEP_1) | instskip(SKIP_4) | instid1(VALU_DEP_1)
	v_fmac_f64_e32 v[154:155], v[130:131], v[126:127]
	scratch_load_b128 v[124:127], off, off offset:176
	s_wait_dscnt 0x0
	v_fmac_f64_e32 v[154:155], v[132:133], v[142:143]
	s_wait_loadcnt 0x5
	v_fmac_f64_e32 v[154:155], v[134:135], v[144:145]
	ds_load_2addr_b64 v[128:131], v2 offset0:71 offset1:72
	ds_load_2addr_b64 v[132:135], v2 offset0:73 offset1:74
	scratch_load_b128 v[142:145], off, off offset:192
	s_wait_dscnt 0x1
	v_fmac_f64_e32 v[154:155], v[136:137], v[128:129]
	s_wait_loadcnt 0x5
	s_delay_alu instid0(VALU_DEP_1) | instskip(SKIP_4) | instid1(VALU_DEP_1)
	v_fmac_f64_e32 v[154:155], v[138:139], v[130:131]
	scratch_load_b128 v[128:131], off, off offset:208
	s_wait_dscnt 0x0
	v_fmac_f64_e32 v[154:155], v[140:141], v[132:133]
	s_wait_loadcnt 0x5
	v_fmac_f64_e32 v[154:155], v[150:151], v[134:135]
	ds_load_2addr_b64 v[132:135], v2 offset0:75 offset1:76
	ds_load_2addr_b64 v[136:139], v2 offset0:77 offset1:78
	s_wait_dscnt 0x1
	v_fmac_f64_e32 v[154:155], v[152:153], v[132:133]
	scratch_load_b128 v[150:153], off, off offset:224
	s_wait_loadcnt 0x5
	v_fmac_f64_e32 v[154:155], v[120:121], v[134:135]
	s_wait_dscnt 0x0
	s_delay_alu instid0(VALU_DEP_1)
	v_fmac_f64_e32 v[154:155], v[122:123], v[136:137]
	scratch_load_b128 v[120:123], off, off offset:240
	s_wait_loadcnt 0x5
	v_fmac_f64_e32 v[154:155], v[146:147], v[138:139]
	ds_load_2addr_b64 v[132:135], v2 offset0:79 offset1:80
	ds_load_2addr_b64 v[136:139], v2 offset0:81 offset1:82
	s_wait_dscnt 0x1
	v_fmac_f64_e32 v[154:155], v[148:149], v[132:133]
	scratch_load_b128 v[146:149], off, off offset:256
	s_wait_loadcnt 0x5
	v_fmac_f64_e32 v[154:155], v[124:125], v[134:135]
	s_wait_dscnt 0x0
	s_delay_alu instid0(VALU_DEP_1)
	v_fmac_f64_e32 v[154:155], v[126:127], v[136:137]
	scratch_load_b128 v[124:127], off, off offset:272
	s_wait_loadcnt 0x5
	v_fmac_f64_e32 v[154:155], v[142:143], v[138:139]
	ds_load_2addr_b64 v[132:135], v2 offset0:83 offset1:84
	ds_load_2addr_b64 v[136:139], v2 offset0:85 offset1:86
	scratch_load_b128 v[140:143], off, off offset:288
	s_wait_dscnt 0x1
	v_fmac_f64_e32 v[154:155], v[144:145], v[132:133]
	s_wait_loadcnt 0x5
	s_delay_alu instid0(VALU_DEP_1) | instskip(SKIP_1) | instid1(VALU_DEP_1)
	v_fmac_f64_e32 v[154:155], v[128:129], v[134:135]
	s_wait_dscnt 0x0
	v_fmac_f64_e32 v[154:155], v[130:131], v[136:137]
	scratch_load_b128 v[128:131], off, off offset:304
	s_wait_loadcnt 0x5
	v_fmac_f64_e32 v[154:155], v[150:151], v[138:139]
	ds_load_2addr_b64 v[132:135], v2 offset0:87 offset1:88
	ds_load_2addr_b64 v[136:139], v2 offset0:89 offset1:90
	s_wait_dscnt 0x1
	v_fmac_f64_e32 v[154:155], v[152:153], v[132:133]
	scratch_load_b128 v[150:153], off, off offset:320
	s_wait_loadcnt 0x5
	v_fmac_f64_e32 v[154:155], v[120:121], v[134:135]
	s_wait_dscnt 0x0
	s_delay_alu instid0(VALU_DEP_1)
	v_fmac_f64_e32 v[154:155], v[122:123], v[136:137]
	scratch_load_b128 v[120:123], off, off offset:336
	s_wait_loadcnt 0x5
	v_fmac_f64_e32 v[154:155], v[146:147], v[138:139]
	ds_load_2addr_b64 v[132:135], v2 offset0:91 offset1:92
	ds_load_2addr_b64 v[136:139], v2 offset0:93 offset1:94
	scratch_load_b128 v[144:147], off, off offset:352
	s_wait_dscnt 0x1
	v_fmac_f64_e32 v[154:155], v[148:149], v[132:133]
	s_wait_loadcnt 0x5
	s_delay_alu instid0(VALU_DEP_1) | instskip(SKIP_1) | instid1(VALU_DEP_1)
	v_fmac_f64_e32 v[154:155], v[124:125], v[134:135]
	s_wait_dscnt 0x0
	v_fmac_f64_e32 v[154:155], v[126:127], v[136:137]
	scratch_load_b128 v[124:127], off, off offset:368
	s_wait_loadcnt 0x5
	v_fmac_f64_e32 v[154:155], v[140:141], v[138:139]
	ds_load_2addr_b64 v[132:135], v2 offset0:95 offset1:96
	ds_load_2addr_b64 v[136:139], v2 offset0:97 offset1:98
	s_wait_dscnt 0x1
	v_fmac_f64_e32 v[154:155], v[142:143], v[132:133]
	s_wait_loadcnt 0x4
	s_delay_alu instid0(VALU_DEP_1)
	v_fmac_f64_e32 v[154:155], v[128:129], v[134:135]
	scratch_load_b128 v[132:135], off, off offset:384
	s_wait_dscnt 0x0
	v_fmac_f64_e32 v[154:155], v[130:131], v[136:137]
	scratch_load_b128 v[128:131], off, off offset:400
	s_wait_loadcnt 0x5
	v_fmac_f64_e32 v[154:155], v[150:151], v[138:139]
	ds_load_2addr_b64 v[136:139], v2 offset0:99 offset1:100
	ds_load_2addr_b64 v[140:143], v2 offset0:101 offset1:102
	s_wait_dscnt 0x1
	v_fmac_f64_e32 v[154:155], v[152:153], v[136:137]
	s_wait_loadcnt 0x4
	s_delay_alu instid0(VALU_DEP_1)
	v_fmac_f64_e32 v[154:155], v[120:121], v[138:139]
	scratch_load_b128 v[136:139], off, off offset:416
	s_wait_dscnt 0x0
	v_fmac_f64_e32 v[154:155], v[122:123], v[140:141]
	scratch_load_b128 v[120:123], off, off offset:432
	s_wait_loadcnt 0x5
	v_fmac_f64_e32 v[154:155], v[144:145], v[142:143]
	ds_load_2addr_b64 v[140:143], v2 offset0:103 offset1:104
	ds_load_2addr_b64 v[148:151], v2 offset0:105 offset1:106
	scratch_load_b64 v[144:145], off, off offset:448
	s_wait_dscnt 0x1
	v_fmac_f64_e32 v[154:155], v[146:147], v[140:141]
	s_wait_loadcnt 0x5
	s_delay_alu instid0(VALU_DEP_1) | instskip(SKIP_1) | instid1(VALU_DEP_1)
	v_fmac_f64_e32 v[154:155], v[124:125], v[142:143]
	s_wait_dscnt 0x0
	v_fmac_f64_e32 v[154:155], v[126:127], v[148:149]
	ds_load_2addr_b64 v[124:127], v2 offset0:107 offset1:108
	ds_load_2addr_b64 v[140:143], v2 offset0:109 offset1:110
	s_wait_loadcnt 0x4
	v_fmac_f64_e32 v[154:155], v[132:133], v[150:151]
	s_wait_dscnt 0x1
	s_delay_alu instid0(VALU_DEP_1) | instskip(SKIP_1) | instid1(VALU_DEP_1)
	v_fmac_f64_e32 v[154:155], v[134:135], v[124:125]
	s_wait_loadcnt 0x3
	v_fmac_f64_e32 v[154:155], v[128:129], v[126:127]
	s_wait_dscnt 0x0
	s_delay_alu instid0(VALU_DEP_1)
	v_fmac_f64_e32 v[154:155], v[130:131], v[140:141]
	ds_load_2addr_b64 v[124:127], v2 offset0:111 offset1:112
	ds_load_2addr_b64 v[128:131], v2 offset0:113 offset1:114
	s_wait_loadcnt 0x2
	v_fmac_f64_e32 v[154:155], v[136:137], v[142:143]
	s_wait_dscnt 0x1
	s_delay_alu instid0(VALU_DEP_1) | instskip(SKIP_1) | instid1(VALU_DEP_1)
	v_fmac_f64_e32 v[154:155], v[138:139], v[124:125]
	s_wait_loadcnt 0x1
	v_fmac_f64_e32 v[154:155], v[120:121], v[126:127]
	s_wait_dscnt 0x0
	s_delay_alu instid0(VALU_DEP_1) | instskip(SKIP_1) | instid1(VALU_DEP_1)
	v_fmac_f64_e32 v[154:155], v[122:123], v[128:129]
	s_wait_loadcnt 0x0
	v_fmac_f64_e32 v[154:155], v[144:145], v[130:131]
	s_delay_alu instid0(VALU_DEP_1)
	v_add_f64_e64 v[2:3], v[118:119], -v[154:155]
	scratch_store_b64 off, v[2:3], off offset:32
	s_wait_xcnt 0x0
	v_cmpx_lt_u32_e32 3, v0
	s_cbranch_execz .LBB120_345
; %bb.344:
	scratch_load_b64 v[2:3], off, off offset:24
	v_mov_b64_e32 v[118:119], 0
	scratch_store_b64 off, v[118:119], off offset:24
	s_wait_loadcnt 0x0
	ds_store_b64 v1, v[2:3]
.LBB120_345:
	s_wait_xcnt 0x0
	s_or_b32 exec_lo, exec_lo, s0
	s_wait_storecnt_dscnt 0x0
	s_barrier_signal -1
	s_barrier_wait -1
	s_clause 0x5
	scratch_load_b128 v[118:121], off, off offset:24
	scratch_load_b128 v[122:125], off, off offset:40
	;; [unrolled: 1-line block ×6, first 2 shown]
	v_mov_b32_e32 v2, 0
	ds_load_b128 v[142:145], v2 offset:496
	ds_load_b128 v[146:149], v2 offset:512
	scratch_load_b128 v[150:153], off, off offset:120
	s_mov_b32 s0, exec_lo
	s_wait_loadcnt_dscnt 0x601
	v_fma_f64 v[154:155], v[120:121], v[142:143], 0
	s_wait_loadcnt 0x5
	s_delay_alu instid0(VALU_DEP_1) | instskip(SKIP_4) | instid1(VALU_DEP_1)
	v_fmac_f64_e32 v[154:155], v[122:123], v[144:145]
	scratch_load_b128 v[120:123], off, off offset:136
	s_wait_dscnt 0x0
	v_fmac_f64_e32 v[154:155], v[124:125], v[146:147]
	s_wait_loadcnt 0x5
	v_fmac_f64_e32 v[154:155], v[126:127], v[148:149]
	ds_load_b128 v[124:127], v2 offset:528
	ds_load_b128 v[142:145], v2 offset:544
	scratch_load_b128 v[146:149], off, off offset:152
	s_wait_dscnt 0x1
	v_fmac_f64_e32 v[154:155], v[128:129], v[124:125]
	s_wait_loadcnt 0x5
	s_delay_alu instid0(VALU_DEP_1) | instskip(SKIP_4) | instid1(VALU_DEP_1)
	v_fmac_f64_e32 v[154:155], v[130:131], v[126:127]
	scratch_load_b128 v[124:127], off, off offset:168
	s_wait_dscnt 0x0
	v_fmac_f64_e32 v[154:155], v[132:133], v[142:143]
	s_wait_loadcnt 0x5
	v_fmac_f64_e32 v[154:155], v[134:135], v[144:145]
	ds_load_b128 v[128:131], v2 offset:560
	ds_load_b128 v[132:135], v2 offset:576
	scratch_load_b128 v[142:145], off, off offset:184
	s_wait_dscnt 0x1
	v_fmac_f64_e32 v[154:155], v[136:137], v[128:129]
	s_wait_loadcnt 0x5
	s_delay_alu instid0(VALU_DEP_1) | instskip(SKIP_4) | instid1(VALU_DEP_1)
	v_fmac_f64_e32 v[154:155], v[138:139], v[130:131]
	scratch_load_b128 v[128:131], off, off offset:200
	s_wait_dscnt 0x0
	v_fmac_f64_e32 v[154:155], v[140:141], v[132:133]
	s_wait_loadcnt 0x5
	v_fmac_f64_e32 v[154:155], v[150:151], v[134:135]
	ds_load_b128 v[132:135], v2 offset:592
	ds_load_b128 v[136:139], v2 offset:608
	s_wait_dscnt 0x1
	v_fmac_f64_e32 v[154:155], v[152:153], v[132:133]
	scratch_load_b128 v[150:153], off, off offset:216
	s_wait_loadcnt 0x5
	v_fmac_f64_e32 v[154:155], v[120:121], v[134:135]
	s_wait_dscnt 0x0
	s_delay_alu instid0(VALU_DEP_1)
	v_fmac_f64_e32 v[154:155], v[122:123], v[136:137]
	scratch_load_b128 v[120:123], off, off offset:232
	s_wait_loadcnt 0x5
	v_fmac_f64_e32 v[154:155], v[146:147], v[138:139]
	ds_load_b128 v[132:135], v2 offset:624
	ds_load_b128 v[136:139], v2 offset:640
	s_wait_dscnt 0x1
	v_fmac_f64_e32 v[154:155], v[148:149], v[132:133]
	scratch_load_b128 v[146:149], off, off offset:248
	s_wait_loadcnt 0x5
	v_fmac_f64_e32 v[154:155], v[124:125], v[134:135]
	s_wait_dscnt 0x0
	s_delay_alu instid0(VALU_DEP_1)
	v_fmac_f64_e32 v[154:155], v[126:127], v[136:137]
	scratch_load_b128 v[124:127], off, off offset:264
	s_wait_loadcnt 0x5
	v_fmac_f64_e32 v[154:155], v[142:143], v[138:139]
	ds_load_b128 v[132:135], v2 offset:656
	ds_load_b128 v[136:139], v2 offset:672
	scratch_load_b128 v[140:143], off, off offset:280
	s_wait_dscnt 0x1
	v_fmac_f64_e32 v[154:155], v[144:145], v[132:133]
	s_wait_loadcnt 0x5
	s_delay_alu instid0(VALU_DEP_1) | instskip(SKIP_1) | instid1(VALU_DEP_1)
	v_fmac_f64_e32 v[154:155], v[128:129], v[134:135]
	s_wait_dscnt 0x0
	v_fmac_f64_e32 v[154:155], v[130:131], v[136:137]
	scratch_load_b128 v[128:131], off, off offset:296
	s_wait_loadcnt 0x5
	v_fmac_f64_e32 v[154:155], v[150:151], v[138:139]
	ds_load_b128 v[132:135], v2 offset:688
	ds_load_b128 v[136:139], v2 offset:704
	s_wait_dscnt 0x1
	v_fmac_f64_e32 v[154:155], v[152:153], v[132:133]
	scratch_load_b128 v[150:153], off, off offset:312
	s_wait_loadcnt 0x5
	v_fmac_f64_e32 v[154:155], v[120:121], v[134:135]
	s_wait_dscnt 0x0
	s_delay_alu instid0(VALU_DEP_1)
	v_fmac_f64_e32 v[154:155], v[122:123], v[136:137]
	scratch_load_b128 v[120:123], off, off offset:328
	s_wait_loadcnt 0x5
	v_fmac_f64_e32 v[154:155], v[146:147], v[138:139]
	ds_load_b128 v[132:135], v2 offset:720
	ds_load_b128 v[136:139], v2 offset:736
	scratch_load_b128 v[144:147], off, off offset:344
	s_wait_dscnt 0x1
	v_fmac_f64_e32 v[154:155], v[148:149], v[132:133]
	s_wait_loadcnt 0x5
	s_delay_alu instid0(VALU_DEP_1) | instskip(SKIP_1) | instid1(VALU_DEP_1)
	v_fmac_f64_e32 v[154:155], v[124:125], v[134:135]
	s_wait_dscnt 0x0
	v_fmac_f64_e32 v[154:155], v[126:127], v[136:137]
	scratch_load_b128 v[124:127], off, off offset:360
	s_wait_loadcnt 0x5
	v_fmac_f64_e32 v[154:155], v[140:141], v[138:139]
	ds_load_b128 v[132:135], v2 offset:752
	ds_load_b128 v[136:139], v2 offset:768
	s_wait_dscnt 0x1
	v_fmac_f64_e32 v[154:155], v[142:143], v[132:133]
	s_wait_loadcnt 0x4
	s_delay_alu instid0(VALU_DEP_1)
	v_fmac_f64_e32 v[154:155], v[128:129], v[134:135]
	scratch_load_b128 v[132:135], off, off offset:376
	s_wait_dscnt 0x0
	v_fmac_f64_e32 v[154:155], v[130:131], v[136:137]
	scratch_load_b128 v[128:131], off, off offset:392
	s_wait_loadcnt 0x5
	v_fmac_f64_e32 v[154:155], v[150:151], v[138:139]
	ds_load_b128 v[136:139], v2 offset:784
	ds_load_b128 v[140:143], v2 offset:800
	s_wait_dscnt 0x1
	v_fmac_f64_e32 v[154:155], v[152:153], v[136:137]
	s_wait_loadcnt 0x4
	s_delay_alu instid0(VALU_DEP_1)
	v_fmac_f64_e32 v[154:155], v[120:121], v[138:139]
	scratch_load_b128 v[136:139], off, off offset:408
	;; [unrolled: 13-line block ×3, first 2 shown]
	s_wait_dscnt 0x0
	v_fmac_f64_e32 v[154:155], v[126:127], v[148:149]
	ds_load_b128 v[124:127], v2 offset:848
	ds_load_b128 v[144:147], v2 offset:864
	s_wait_loadcnt 0x4
	v_fmac_f64_e32 v[154:155], v[132:133], v[150:151]
	s_wait_dscnt 0x1
	s_delay_alu instid0(VALU_DEP_1) | instskip(SKIP_1) | instid1(VALU_DEP_1)
	v_fmac_f64_e32 v[154:155], v[134:135], v[124:125]
	s_wait_loadcnt 0x3
	v_fmac_f64_e32 v[154:155], v[128:129], v[126:127]
	s_wait_dscnt 0x0
	s_delay_alu instid0(VALU_DEP_1)
	v_fmac_f64_e32 v[154:155], v[130:131], v[144:145]
	ds_load_b128 v[124:127], v2 offset:880
	ds_load_b128 v[128:131], v2 offset:896
	s_wait_loadcnt 0x2
	v_fmac_f64_e32 v[154:155], v[136:137], v[146:147]
	s_wait_dscnt 0x1
	s_delay_alu instid0(VALU_DEP_1) | instskip(SKIP_1) | instid1(VALU_DEP_1)
	v_fmac_f64_e32 v[154:155], v[138:139], v[124:125]
	s_wait_loadcnt 0x1
	v_fmac_f64_e32 v[154:155], v[120:121], v[126:127]
	ds_load_b64 v[120:121], v2 offset:912
	s_wait_dscnt 0x1
	v_fmac_f64_e32 v[154:155], v[122:123], v[128:129]
	s_wait_loadcnt 0x0
	s_delay_alu instid0(VALU_DEP_1) | instskip(SKIP_1) | instid1(VALU_DEP_1)
	v_fmac_f64_e32 v[154:155], v[140:141], v[130:131]
	s_wait_dscnt 0x0
	v_fmac_f64_e32 v[154:155], v[142:143], v[120:121]
	s_delay_alu instid0(VALU_DEP_1)
	v_add_f64_e64 v[118:119], v[118:119], -v[154:155]
	scratch_store_b64 off, v[118:119], off offset:24
	s_wait_xcnt 0x0
	v_cmpx_lt_u32_e32 2, v0
	s_cbranch_execz .LBB120_347
; %bb.346:
	scratch_load_b64 v[118:119], off, off offset:16
	v_mov_b64_e32 v[120:121], 0
	scratch_store_b64 off, v[120:121], off offset:16
	s_wait_loadcnt 0x0
	ds_store_b64 v1, v[118:119]
.LBB120_347:
	s_wait_xcnt 0x0
	s_or_b32 exec_lo, exec_lo, s0
	s_wait_storecnt_dscnt 0x0
	s_barrier_signal -1
	s_barrier_wait -1
	s_clause 0x5
	scratch_load_b128 v[118:121], off, off offset:16
	scratch_load_b128 v[122:125], off, off offset:32
	;; [unrolled: 1-line block ×6, first 2 shown]
	ds_load_2addr_b64 v[142:145], v2 offset0:61 offset1:62
	ds_load_2addr_b64 v[146:149], v2 offset0:63 offset1:64
	scratch_load_b128 v[150:153], off, off offset:112
	s_mov_b32 s0, exec_lo
	s_wait_loadcnt_dscnt 0x601
	v_fma_f64 v[154:155], v[120:121], v[142:143], 0
	s_wait_loadcnt 0x5
	s_delay_alu instid0(VALU_DEP_1) | instskip(SKIP_4) | instid1(VALU_DEP_1)
	v_fmac_f64_e32 v[154:155], v[122:123], v[144:145]
	scratch_load_b128 v[120:123], off, off offset:128
	s_wait_dscnt 0x0
	v_fmac_f64_e32 v[154:155], v[124:125], v[146:147]
	s_wait_loadcnt 0x5
	v_fmac_f64_e32 v[154:155], v[126:127], v[148:149]
	ds_load_2addr_b64 v[124:127], v2 offset0:65 offset1:66
	ds_load_2addr_b64 v[142:145], v2 offset0:67 offset1:68
	scratch_load_b128 v[146:149], off, off offset:144
	s_wait_dscnt 0x1
	v_fmac_f64_e32 v[154:155], v[128:129], v[124:125]
	s_wait_loadcnt 0x5
	s_delay_alu instid0(VALU_DEP_1) | instskip(SKIP_4) | instid1(VALU_DEP_1)
	v_fmac_f64_e32 v[154:155], v[130:131], v[126:127]
	scratch_load_b128 v[124:127], off, off offset:160
	s_wait_dscnt 0x0
	v_fmac_f64_e32 v[154:155], v[132:133], v[142:143]
	s_wait_loadcnt 0x5
	v_fmac_f64_e32 v[154:155], v[134:135], v[144:145]
	ds_load_2addr_b64 v[128:131], v2 offset0:69 offset1:70
	ds_load_2addr_b64 v[132:135], v2 offset0:71 offset1:72
	scratch_load_b128 v[142:145], off, off offset:176
	s_wait_dscnt 0x1
	v_fmac_f64_e32 v[154:155], v[136:137], v[128:129]
	s_wait_loadcnt 0x5
	s_delay_alu instid0(VALU_DEP_1) | instskip(SKIP_4) | instid1(VALU_DEP_1)
	v_fmac_f64_e32 v[154:155], v[138:139], v[130:131]
	scratch_load_b128 v[128:131], off, off offset:192
	s_wait_dscnt 0x0
	v_fmac_f64_e32 v[154:155], v[140:141], v[132:133]
	s_wait_loadcnt 0x5
	v_fmac_f64_e32 v[154:155], v[150:151], v[134:135]
	ds_load_2addr_b64 v[132:135], v2 offset0:73 offset1:74
	ds_load_2addr_b64 v[136:139], v2 offset0:75 offset1:76
	s_wait_dscnt 0x1
	v_fmac_f64_e32 v[154:155], v[152:153], v[132:133]
	scratch_load_b128 v[150:153], off, off offset:208
	s_wait_loadcnt 0x5
	v_fmac_f64_e32 v[154:155], v[120:121], v[134:135]
	s_wait_dscnt 0x0
	s_delay_alu instid0(VALU_DEP_1)
	v_fmac_f64_e32 v[154:155], v[122:123], v[136:137]
	scratch_load_b128 v[120:123], off, off offset:224
	s_wait_loadcnt 0x5
	v_fmac_f64_e32 v[154:155], v[146:147], v[138:139]
	ds_load_2addr_b64 v[132:135], v2 offset0:77 offset1:78
	ds_load_2addr_b64 v[136:139], v2 offset0:79 offset1:80
	s_wait_dscnt 0x1
	v_fmac_f64_e32 v[154:155], v[148:149], v[132:133]
	scratch_load_b128 v[146:149], off, off offset:240
	s_wait_loadcnt 0x5
	v_fmac_f64_e32 v[154:155], v[124:125], v[134:135]
	s_wait_dscnt 0x0
	s_delay_alu instid0(VALU_DEP_1)
	v_fmac_f64_e32 v[154:155], v[126:127], v[136:137]
	scratch_load_b128 v[124:127], off, off offset:256
	s_wait_loadcnt 0x5
	v_fmac_f64_e32 v[154:155], v[142:143], v[138:139]
	ds_load_2addr_b64 v[132:135], v2 offset0:81 offset1:82
	ds_load_2addr_b64 v[136:139], v2 offset0:83 offset1:84
	scratch_load_b128 v[140:143], off, off offset:272
	s_wait_dscnt 0x1
	v_fmac_f64_e32 v[154:155], v[144:145], v[132:133]
	s_wait_loadcnt 0x5
	s_delay_alu instid0(VALU_DEP_1) | instskip(SKIP_1) | instid1(VALU_DEP_1)
	v_fmac_f64_e32 v[154:155], v[128:129], v[134:135]
	s_wait_dscnt 0x0
	v_fmac_f64_e32 v[154:155], v[130:131], v[136:137]
	scratch_load_b128 v[128:131], off, off offset:288
	s_wait_loadcnt 0x5
	v_fmac_f64_e32 v[154:155], v[150:151], v[138:139]
	ds_load_2addr_b64 v[132:135], v2 offset0:85 offset1:86
	ds_load_2addr_b64 v[136:139], v2 offset0:87 offset1:88
	s_wait_dscnt 0x1
	v_fmac_f64_e32 v[154:155], v[152:153], v[132:133]
	scratch_load_b128 v[150:153], off, off offset:304
	s_wait_loadcnt 0x5
	v_fmac_f64_e32 v[154:155], v[120:121], v[134:135]
	s_wait_dscnt 0x0
	s_delay_alu instid0(VALU_DEP_1)
	v_fmac_f64_e32 v[154:155], v[122:123], v[136:137]
	scratch_load_b128 v[120:123], off, off offset:320
	s_wait_loadcnt 0x5
	v_fmac_f64_e32 v[154:155], v[146:147], v[138:139]
	ds_load_2addr_b64 v[132:135], v2 offset0:89 offset1:90
	ds_load_2addr_b64 v[136:139], v2 offset0:91 offset1:92
	scratch_load_b128 v[144:147], off, off offset:336
	s_wait_dscnt 0x1
	v_fmac_f64_e32 v[154:155], v[148:149], v[132:133]
	s_wait_loadcnt 0x5
	s_delay_alu instid0(VALU_DEP_1) | instskip(SKIP_1) | instid1(VALU_DEP_1)
	v_fmac_f64_e32 v[154:155], v[124:125], v[134:135]
	s_wait_dscnt 0x0
	v_fmac_f64_e32 v[154:155], v[126:127], v[136:137]
	scratch_load_b128 v[124:127], off, off offset:352
	s_wait_loadcnt 0x5
	v_fmac_f64_e32 v[154:155], v[140:141], v[138:139]
	ds_load_2addr_b64 v[132:135], v2 offset0:93 offset1:94
	ds_load_2addr_b64 v[136:139], v2 offset0:95 offset1:96
	s_wait_dscnt 0x1
	v_fmac_f64_e32 v[154:155], v[142:143], v[132:133]
	scratch_load_b128 v[140:143], off, off offset:368
	s_wait_loadcnt 0x5
	v_fmac_f64_e32 v[154:155], v[128:129], v[134:135]
	s_wait_dscnt 0x0
	s_delay_alu instid0(VALU_DEP_1)
	v_fmac_f64_e32 v[154:155], v[130:131], v[136:137]
	scratch_load_b128 v[128:131], off, off offset:384
	s_wait_loadcnt 0x5
	v_fmac_f64_e32 v[154:155], v[150:151], v[138:139]
	ds_load_2addr_b64 v[132:135], v2 offset0:97 offset1:98
	ds_load_2addr_b64 v[136:139], v2 offset0:99 offset1:100
	s_wait_dscnt 0x1
	v_fmac_f64_e32 v[154:155], v[152:153], v[132:133]
	s_wait_loadcnt 0x4
	s_delay_alu instid0(VALU_DEP_1)
	v_fmac_f64_e32 v[154:155], v[120:121], v[134:135]
	scratch_load_b128 v[132:135], off, off offset:400
	s_wait_dscnt 0x0
	v_fmac_f64_e32 v[154:155], v[122:123], v[136:137]
	scratch_load_b128 v[120:123], off, off offset:416
	s_wait_loadcnt 0x5
	v_fmac_f64_e32 v[154:155], v[144:145], v[138:139]
	ds_load_2addr_b64 v[136:139], v2 offset0:101 offset1:102
	ds_load_2addr_b64 v[148:151], v2 offset0:103 offset1:104
	s_wait_dscnt 0x1
	v_fmac_f64_e32 v[154:155], v[146:147], v[136:137]
	s_wait_loadcnt 0x4
	s_delay_alu instid0(VALU_DEP_1) | instskip(SKIP_4) | instid1(VALU_DEP_1)
	v_fmac_f64_e32 v[154:155], v[124:125], v[138:139]
	scratch_load_b128 v[136:139], off, off offset:432
	s_wait_dscnt 0x0
	v_fmac_f64_e32 v[154:155], v[126:127], v[148:149]
	s_wait_loadcnt 0x4
	v_fmac_f64_e32 v[154:155], v[140:141], v[150:151]
	scratch_load_b64 v[140:141], off, off offset:448
	ds_load_2addr_b64 v[124:127], v2 offset0:105 offset1:106
	ds_load_2addr_b64 v[144:147], v2 offset0:107 offset1:108
	s_wait_dscnt 0x1
	v_fmac_f64_e32 v[154:155], v[142:143], v[124:125]
	s_wait_loadcnt 0x4
	s_delay_alu instid0(VALU_DEP_1) | instskip(SKIP_1) | instid1(VALU_DEP_1)
	v_fmac_f64_e32 v[154:155], v[128:129], v[126:127]
	s_wait_dscnt 0x0
	v_fmac_f64_e32 v[154:155], v[130:131], v[144:145]
	ds_load_2addr_b64 v[124:127], v2 offset0:109 offset1:110
	ds_load_2addr_b64 v[128:131], v2 offset0:111 offset1:112
	s_wait_loadcnt 0x3
	v_fmac_f64_e32 v[154:155], v[132:133], v[146:147]
	s_wait_dscnt 0x1
	s_delay_alu instid0(VALU_DEP_1) | instskip(SKIP_1) | instid1(VALU_DEP_1)
	v_fmac_f64_e32 v[154:155], v[134:135], v[124:125]
	s_wait_loadcnt 0x2
	v_fmac_f64_e32 v[154:155], v[120:121], v[126:127]
	s_wait_dscnt 0x0
	s_delay_alu instid0(VALU_DEP_1) | instskip(SKIP_4) | instid1(VALU_DEP_1)
	v_fmac_f64_e32 v[154:155], v[122:123], v[128:129]
	ds_load_2addr_b64 v[120:123], v2 offset0:113 offset1:114
	s_wait_loadcnt 0x1
	v_fmac_f64_e32 v[154:155], v[136:137], v[130:131]
	s_wait_dscnt 0x0
	v_fmac_f64_e32 v[154:155], v[138:139], v[120:121]
	s_wait_loadcnt 0x0
	s_delay_alu instid0(VALU_DEP_1) | instskip(NEXT) | instid1(VALU_DEP_1)
	v_fmac_f64_e32 v[154:155], v[140:141], v[122:123]
	v_add_f64_e64 v[2:3], v[118:119], -v[154:155]
	scratch_store_b64 off, v[2:3], off offset:16
	s_wait_xcnt 0x0
	v_cmpx_lt_u32_e32 1, v0
	s_cbranch_execz .LBB120_349
; %bb.348:
	scratch_load_b64 v[2:3], off, off offset:8
	v_mov_b64_e32 v[118:119], 0
	scratch_store_b64 off, v[118:119], off offset:8
	s_wait_loadcnt 0x0
	ds_store_b64 v1, v[2:3]
.LBB120_349:
	s_wait_xcnt 0x0
	s_or_b32 exec_lo, exec_lo, s0
	s_wait_storecnt_dscnt 0x0
	s_barrier_signal -1
	s_barrier_wait -1
	s_clause 0x5
	scratch_load_b128 v[120:123], off, off offset:8
	scratch_load_b128 v[124:127], off, off offset:24
	;; [unrolled: 1-line block ×6, first 2 shown]
	v_dual_mov_b32 v118, 0 :: v_dual_ashrrev_i32 v9, 31, v8
	ds_load_b128 v[144:147], v118 offset:480
	ds_load_b128 v[148:151], v118 offset:496
	scratch_load_b128 v[152:155], off, off offset:104
	v_dual_ashrrev_i32 v11, 31, v10 :: v_dual_ashrrev_i32 v13, 31, v12
	v_dual_ashrrev_i32 v15, 31, v14 :: v_dual_ashrrev_i32 v17, 31, v16
	;; [unrolled: 1-line block ×26, first 2 shown]
	v_ashrrev_i32_e32 v115, 31, v114
	s_mov_b32 s0, exec_lo
	v_ashrrev_i32_e32 v69, 31, v68
	s_wait_loadcnt_dscnt 0x601
	v_fma_f64 v[2:3], v[122:123], v[144:145], 0
	s_wait_loadcnt 0x5
	s_delay_alu instid0(VALU_DEP_1) | instskip(SKIP_4) | instid1(VALU_DEP_1)
	v_fmac_f64_e32 v[2:3], v[124:125], v[146:147]
	scratch_load_b128 v[122:125], off, off offset:120
	s_wait_dscnt 0x0
	v_fmac_f64_e32 v[2:3], v[126:127], v[148:149]
	s_wait_loadcnt 0x5
	v_fmac_f64_e32 v[2:3], v[128:129], v[150:151]
	ds_load_b128 v[126:129], v118 offset:512
	ds_load_b128 v[144:147], v118 offset:528
	scratch_load_b128 v[148:151], off, off offset:136
	s_wait_dscnt 0x1
	v_fmac_f64_e32 v[2:3], v[130:131], v[126:127]
	s_wait_loadcnt 0x5
	s_delay_alu instid0(VALU_DEP_1) | instskip(SKIP_4) | instid1(VALU_DEP_1)
	v_fmac_f64_e32 v[2:3], v[132:133], v[128:129]
	scratch_load_b128 v[126:129], off, off offset:152
	s_wait_dscnt 0x0
	v_fmac_f64_e32 v[2:3], v[134:135], v[144:145]
	s_wait_loadcnt 0x5
	v_fmac_f64_e32 v[2:3], v[136:137], v[146:147]
	ds_load_b128 v[130:133], v118 offset:544
	ds_load_b128 v[134:137], v118 offset:560
	scratch_load_b128 v[144:147], off, off offset:168
	s_wait_dscnt 0x1
	v_fmac_f64_e32 v[2:3], v[138:139], v[130:131]
	s_wait_loadcnt 0x5
	s_delay_alu instid0(VALU_DEP_1) | instskip(SKIP_4) | instid1(VALU_DEP_1)
	v_fmac_f64_e32 v[2:3], v[140:141], v[132:133]
	scratch_load_b128 v[130:133], off, off offset:184
	s_wait_dscnt 0x0
	v_fmac_f64_e32 v[2:3], v[142:143], v[134:135]
	s_wait_loadcnt 0x5
	v_fmac_f64_e32 v[2:3], v[152:153], v[136:137]
	ds_load_b128 v[134:137], v118 offset:576
	ds_load_b128 v[138:141], v118 offset:592
	s_wait_dscnt 0x1
	v_fmac_f64_e32 v[2:3], v[154:155], v[134:135]
	scratch_load_b128 v[152:155], off, off offset:200
	s_wait_loadcnt 0x5
	v_fmac_f64_e32 v[2:3], v[122:123], v[136:137]
	s_wait_dscnt 0x0
	s_delay_alu instid0(VALU_DEP_1)
	v_fmac_f64_e32 v[2:3], v[124:125], v[138:139]
	scratch_load_b128 v[122:125], off, off offset:216
	s_wait_loadcnt 0x5
	v_fmac_f64_e32 v[2:3], v[148:149], v[140:141]
	ds_load_b128 v[134:137], v118 offset:608
	ds_load_b128 v[138:141], v118 offset:624
	s_wait_dscnt 0x1
	v_fmac_f64_e32 v[2:3], v[150:151], v[134:135]
	scratch_load_b128 v[148:151], off, off offset:232
	s_wait_loadcnt 0x5
	v_fmac_f64_e32 v[2:3], v[126:127], v[136:137]
	s_wait_dscnt 0x0
	s_delay_alu instid0(VALU_DEP_1)
	v_fmac_f64_e32 v[2:3], v[128:129], v[138:139]
	scratch_load_b128 v[126:129], off, off offset:248
	s_wait_loadcnt 0x5
	v_fmac_f64_e32 v[2:3], v[144:145], v[140:141]
	ds_load_b128 v[134:137], v118 offset:640
	ds_load_b128 v[138:141], v118 offset:656
	scratch_load_b128 v[142:145], off, off offset:264
	s_wait_dscnt 0x1
	v_fmac_f64_e32 v[2:3], v[146:147], v[134:135]
	s_wait_loadcnt 0x5
	s_delay_alu instid0(VALU_DEP_1) | instskip(SKIP_1) | instid1(VALU_DEP_1)
	v_fmac_f64_e32 v[2:3], v[130:131], v[136:137]
	s_wait_dscnt 0x0
	v_fmac_f64_e32 v[2:3], v[132:133], v[138:139]
	scratch_load_b128 v[130:133], off, off offset:280
	s_wait_loadcnt 0x5
	v_fmac_f64_e32 v[2:3], v[152:153], v[140:141]
	ds_load_b128 v[134:137], v118 offset:672
	ds_load_b128 v[138:141], v118 offset:688
	s_wait_dscnt 0x1
	v_fmac_f64_e32 v[2:3], v[154:155], v[134:135]
	scratch_load_b128 v[152:155], off, off offset:296
	s_wait_loadcnt 0x5
	v_fmac_f64_e32 v[2:3], v[122:123], v[136:137]
	s_wait_dscnt 0x0
	s_delay_alu instid0(VALU_DEP_1)
	v_fmac_f64_e32 v[2:3], v[124:125], v[138:139]
	scratch_load_b128 v[122:125], off, off offset:312
	s_wait_loadcnt 0x5
	v_fmac_f64_e32 v[2:3], v[148:149], v[140:141]
	ds_load_b128 v[134:137], v118 offset:704
	ds_load_b128 v[138:141], v118 offset:720
	scratch_load_b128 v[146:149], off, off offset:328
	s_wait_dscnt 0x1
	v_fmac_f64_e32 v[2:3], v[150:151], v[134:135]
	s_wait_loadcnt 0x5
	s_delay_alu instid0(VALU_DEP_1) | instskip(SKIP_1) | instid1(VALU_DEP_1)
	v_fmac_f64_e32 v[2:3], v[126:127], v[136:137]
	s_wait_dscnt 0x0
	v_fmac_f64_e32 v[2:3], v[128:129], v[138:139]
	scratch_load_b128 v[126:129], off, off offset:344
	s_wait_loadcnt 0x5
	v_fmac_f64_e32 v[2:3], v[142:143], v[140:141]
	ds_load_b128 v[134:137], v118 offset:736
	ds_load_b128 v[138:141], v118 offset:752
	s_wait_dscnt 0x1
	v_fmac_f64_e32 v[2:3], v[144:145], v[134:135]
	scratch_load_b128 v[142:145], off, off offset:360
	s_wait_loadcnt 0x5
	v_fmac_f64_e32 v[2:3], v[130:131], v[136:137]
	s_wait_dscnt 0x0
	s_delay_alu instid0(VALU_DEP_1)
	v_fmac_f64_e32 v[2:3], v[132:133], v[138:139]
	scratch_load_b128 v[130:133], off, off offset:376
	s_wait_loadcnt 0x5
	v_fmac_f64_e32 v[2:3], v[152:153], v[140:141]
	ds_load_b128 v[134:137], v118 offset:768
	ds_load_b128 v[138:141], v118 offset:784
	s_wait_dscnt 0x1
	v_fmac_f64_e32 v[2:3], v[154:155], v[134:135]
	s_wait_loadcnt 0x4
	s_delay_alu instid0(VALU_DEP_1)
	v_fmac_f64_e32 v[2:3], v[122:123], v[136:137]
	scratch_load_b128 v[134:137], off, off offset:392
	s_wait_dscnt 0x0
	v_fmac_f64_e32 v[2:3], v[124:125], v[138:139]
	scratch_load_b128 v[122:125], off, off offset:408
	s_wait_loadcnt 0x5
	v_fmac_f64_e32 v[2:3], v[146:147], v[140:141]
	ds_load_b128 v[138:141], v118 offset:800
	ds_load_b128 v[150:153], v118 offset:816
	s_wait_dscnt 0x1
	v_fmac_f64_e32 v[2:3], v[148:149], v[138:139]
	s_wait_loadcnt 0x4
	s_delay_alu instid0(VALU_DEP_1)
	v_fmac_f64_e32 v[2:3], v[126:127], v[140:141]
	scratch_load_b128 v[138:141], off, off offset:424
	s_wait_dscnt 0x0
	v_fmac_f64_e32 v[2:3], v[128:129], v[150:151]
	scratch_load_b128 v[126:129], off, off offset:440
	s_wait_loadcnt 0x5
	v_fmac_f64_e32 v[2:3], v[142:143], v[152:153]
	ds_load_b128 v[146:149], v118 offset:832
	ds_load_b128 v[150:153], v118 offset:848
	s_wait_dscnt 0x1
	v_fmac_f64_e32 v[2:3], v[144:145], v[146:147]
	s_wait_loadcnt 0x4
	s_delay_alu instid0(VALU_DEP_1) | instskip(SKIP_1) | instid1(VALU_DEP_1)
	v_fmac_f64_e32 v[2:3], v[130:131], v[148:149]
	s_wait_dscnt 0x0
	v_fmac_f64_e32 v[2:3], v[132:133], v[150:151]
	ds_load_b128 v[130:133], v118 offset:864
	ds_load_b128 v[142:145], v118 offset:880
	s_wait_loadcnt 0x3
	v_fmac_f64_e32 v[2:3], v[134:135], v[152:153]
	s_wait_dscnt 0x1
	s_delay_alu instid0(VALU_DEP_1) | instskip(SKIP_1) | instid1(VALU_DEP_1)
	v_fmac_f64_e32 v[2:3], v[136:137], v[130:131]
	s_wait_loadcnt 0x2
	v_fmac_f64_e32 v[2:3], v[122:123], v[132:133]
	s_wait_dscnt 0x0
	s_delay_alu instid0(VALU_DEP_1) | instskip(SKIP_4) | instid1(VALU_DEP_1)
	v_fmac_f64_e32 v[2:3], v[124:125], v[142:143]
	ds_load_b128 v[122:125], v118 offset:896
	s_wait_loadcnt 0x1
	v_fmac_f64_e32 v[2:3], v[138:139], v[144:145]
	s_wait_dscnt 0x0
	v_fmac_f64_e32 v[2:3], v[140:141], v[122:123]
	ds_load_b64 v[122:123], v118 offset:912
	s_wait_loadcnt 0x0
	v_fmac_f64_e32 v[2:3], v[126:127], v[124:125]
	s_wait_dscnt 0x0
	s_delay_alu instid0(VALU_DEP_1) | instskip(NEXT) | instid1(VALU_DEP_1)
	v_fmac_f64_e32 v[2:3], v[128:129], v[122:123]
	v_add_f64_e64 v[2:3], v[120:121], -v[2:3]
	scratch_store_b64 off, v[2:3], off offset:8
	s_wait_xcnt 0x0
	v_cmpx_ne_u32_e32 0, v0
	s_cbranch_execz .LBB120_351
; %bb.350:
	scratch_load_b64 v[2:3], off, off
	v_mov_b64_e32 v[120:121], 0
	scratch_store_b64 off, v[120:121], off
	s_wait_loadcnt 0x0
	ds_store_b64 v1, v[2:3]
.LBB120_351:
	s_wait_xcnt 0x0
	s_or_b32 exec_lo, exec_lo, s0
	s_wait_storecnt_dscnt 0x0
	s_barrier_signal -1
	s_barrier_wait -1
	s_clause 0x5
	scratch_load_b128 v[120:123], off, off
	scratch_load_b128 v[0:3], off, off offset:16
	scratch_load_b128 v[124:127], off, off offset:32
	;; [unrolled: 1-line block ×5, first 2 shown]
	ds_load_2addr_b64 v[140:143], v118 offset0:59 offset1:60
	scratch_load_b128 v[144:147], off, off offset:96
	s_and_b32 vcc_lo, exec_lo, s12
	s_wait_loadcnt_dscnt 0x600
	v_fma_f64 v[150:151], v[122:123], v[140:141], 0
	s_wait_loadcnt 0x5
	s_delay_alu instid0(VALU_DEP_1)
	v_fmac_f64_e32 v[150:151], v[0:1], v[142:143]
	ds_load_2addr_b64 v[140:143], v118 offset0:61 offset1:62
	s_wait_dscnt 0x0
	v_fmac_f64_e32 v[150:151], v[2:3], v[140:141]
	scratch_load_b128 v[0:3], off, off offset:112
	s_wait_loadcnt 0x5
	v_fmac_f64_e32 v[150:151], v[124:125], v[142:143]
	ds_load_2addr_b64 v[122:125], v118 offset0:63 offset1:64
	scratch_load_b128 v[140:143], off, off offset:128
	s_wait_dscnt 0x0
	v_fmac_f64_e32 v[150:151], v[126:127], v[122:123]
	s_wait_loadcnt 0x5
	s_delay_alu instid0(VALU_DEP_1)
	v_fmac_f64_e32 v[150:151], v[128:129], v[124:125]
	ds_load_2addr_b64 v[122:125], v118 offset0:65 offset1:66
	scratch_load_b128 v[126:129], off, off offset:144
	s_wait_dscnt 0x0
	v_fmac_f64_e32 v[150:151], v[130:131], v[122:123]
	s_wait_loadcnt 0x5
	s_delay_alu instid0(VALU_DEP_1)
	;; [unrolled: 7-line block ×4, first 2 shown]
	v_fmac_f64_e32 v[150:151], v[144:145], v[124:125]
	ds_load_2addr_b64 v[122:125], v118 offset0:71 offset1:72
	s_wait_dscnt 0x0
	v_fmac_f64_e32 v[150:151], v[146:147], v[122:123]
	scratch_load_b128 v[144:147], off, off offset:192
	s_wait_loadcnt 0x5
	v_fmac_f64_e32 v[150:151], v[0:1], v[124:125]
	ds_load_2addr_b64 v[122:125], v118 offset0:73 offset1:74
	s_wait_dscnt 0x0
	v_fmac_f64_e32 v[150:151], v[2:3], v[122:123]
	scratch_load_b128 v[0:3], off, off offset:208
	s_wait_loadcnt 0x5
	v_fmac_f64_e32 v[150:151], v[140:141], v[124:125]
	ds_load_2addr_b64 v[122:125], v118 offset0:75 offset1:76
	scratch_load_b128 v[138:141], off, off offset:224
	s_wait_dscnt 0x0
	v_fmac_f64_e32 v[150:151], v[142:143], v[122:123]
	s_wait_loadcnt 0x5
	s_delay_alu instid0(VALU_DEP_1)
	v_fmac_f64_e32 v[150:151], v[126:127], v[124:125]
	ds_load_2addr_b64 v[122:125], v118 offset0:77 offset1:78
	s_wait_dscnt 0x0
	v_fmac_f64_e32 v[150:151], v[128:129], v[122:123]
	scratch_load_b128 v[126:129], off, off offset:240
	s_wait_loadcnt 0x5
	v_fmac_f64_e32 v[150:151], v[130:131], v[124:125]
	ds_load_2addr_b64 v[122:125], v118 offset0:79 offset1:80
	s_wait_dscnt 0x0
	v_fmac_f64_e32 v[150:151], v[132:133], v[122:123]
	scratch_load_b128 v[130:133], off, off offset:256
	s_wait_loadcnt 0x5
	;; [unrolled: 6-line block ×3, first 2 shown]
	v_fmac_f64_e32 v[150:151], v[144:145], v[124:125]
	ds_load_2addr_b64 v[122:125], v118 offset0:83 offset1:84
	scratch_load_b128 v[142:145], off, off offset:288
	s_wait_dscnt 0x0
	v_fmac_f64_e32 v[150:151], v[146:147], v[122:123]
	scratch_load_b128 v[146:149], off, off offset:400
	s_wait_loadcnt 0x6
	v_fmac_f64_e32 v[150:151], v[0:1], v[124:125]
	ds_load_2addr_b64 v[122:125], v118 offset0:85 offset1:86
	s_wait_dscnt 0x0
	v_fmac_f64_e32 v[150:151], v[2:3], v[122:123]
	scratch_load_b128 v[0:3], off, off offset:304
	s_wait_loadcnt 0x6
	v_fmac_f64_e32 v[150:151], v[138:139], v[124:125]
	ds_load_2addr_b64 v[122:125], v118 offset0:87 offset1:88
	;; [unrolled: 6-line block ×7, first 2 shown]
	s_wait_dscnt 0x0
	v_fmac_f64_e32 v[150:151], v[2:3], v[122:123]
	ds_load_2addr_b64 v[0:3], v118 offset0:99 offset1:100
	s_wait_loadcnt 0x4
	v_fmac_f64_e32 v[150:151], v[138:139], v[124:125]
	scratch_load_b128 v[122:125], off, off offset:416
	s_wait_dscnt 0x0
	v_fmac_f64_e32 v[150:151], v[140:141], v[0:1]
	ds_load_2addr_b64 v[138:141], v118 offset0:101 offset1:102
	s_wait_loadcnt 0x4
	v_fmac_f64_e32 v[150:151], v[126:127], v[2:3]
	scratch_load_b128 v[0:3], off, off offset:432
	s_wait_dscnt 0x0
	v_fmac_f64_e32 v[150:151], v[128:129], v[138:139]
	ds_load_2addr_b64 v[126:129], v118 offset0:103 offset1:104
	s_wait_loadcnt 0x4
	v_fmac_f64_e32 v[150:151], v[130:131], v[140:141]
	scratch_load_b64 v[130:131], off, off offset:448
	s_wait_dscnt 0x0
	v_fmac_f64_e32 v[150:151], v[132:133], v[126:127]
	s_wait_loadcnt 0x4
	s_delay_alu instid0(VALU_DEP_1) | instskip(SKIP_4) | instid1(VALU_DEP_1)
	v_fmac_f64_e32 v[150:151], v[134:135], v[128:129]
	ds_load_2addr_b64 v[126:129], v118 offset0:105 offset1:106
	s_wait_dscnt 0x0
	v_fmac_f64_e32 v[150:151], v[136:137], v[126:127]
	s_wait_loadcnt 0x3
	v_fmac_f64_e32 v[150:151], v[142:143], v[128:129]
	ds_load_2addr_b64 v[126:129], v118 offset0:107 offset1:108
	s_wait_dscnt 0x0
	v_fmac_f64_e32 v[150:151], v[144:145], v[126:127]
	s_delay_alu instid0(VALU_DEP_1) | instskip(SKIP_4) | instid1(VALU_DEP_1)
	v_fmac_f64_e32 v[150:151], v[146:147], v[128:129]
	ds_load_2addr_b64 v[126:129], v118 offset0:109 offset1:110
	s_wait_dscnt 0x0
	v_fmac_f64_e32 v[150:151], v[148:149], v[126:127]
	s_wait_loadcnt 0x2
	v_fmac_f64_e32 v[150:151], v[122:123], v[128:129]
	ds_load_2addr_b64 v[126:129], v118 offset0:111 offset1:112
	s_wait_dscnt 0x0
	v_fmac_f64_e32 v[150:151], v[124:125], v[126:127]
	ds_load_2addr_b64 v[122:125], v118 offset0:113 offset1:114
	s_wait_loadcnt 0x1
	v_fmac_f64_e32 v[150:151], v[0:1], v[128:129]
	s_wait_dscnt 0x0
	s_delay_alu instid0(VALU_DEP_1) | instskip(SKIP_1) | instid1(VALU_DEP_1)
	v_fmac_f64_e32 v[150:151], v[2:3], v[122:123]
	s_wait_loadcnt 0x0
	v_fmac_f64_e32 v[150:151], v[130:131], v[124:125]
	s_delay_alu instid0(VALU_DEP_1)
	v_add_f64_e64 v[122:123], v[120:121], -v[150:151]
	scratch_store_b64 off, v[122:123], off
	s_cbranch_vccz .LBB120_464
; %bb.352:
	v_mov_b32_e32 v0, 0
	global_load_b32 v1, v0, s[8:9] offset:220
	s_wait_loadcnt 0x0
	v_cmp_ne_u32_e32 vcc_lo, 56, v1
	s_cbranch_vccz .LBB120_354
; %bb.353:
	v_lshlrev_b32_e32 v1, 3, v1
	scratch_load_b64 v[118:119], v1, off offset:-8
	s_wait_loadcnt 0x0
	scratch_store_b64 off, v[118:119], off offset:440
	scratch_store_b64 v1, v[2:3], off offset:-8
.LBB120_354:
	global_load_b32 v0, v0, s[8:9] offset:216
	s_wait_loadcnt 0x0
	v_cmp_eq_u32_e32 vcc_lo, 55, v0
	s_cbranch_vccnz .LBB120_356
; %bb.355:
	s_wait_xcnt 0x0
	v_lshlrev_b32_e32 v0, 3, v0
	s_delay_alu instid0(VALU_DEP_1)
	v_mov_b32_e32 v118, v0
	scratch_load_b64 v[0:1], v118, off offset:-8
	scratch_load_b64 v[2:3], off, off offset:432
	s_wait_loadcnt 0x1
	scratch_store_b64 off, v[0:1], off offset:432
	s_wait_loadcnt 0x0
	scratch_store_b64 v118, v[2:3], off offset:-8
.LBB120_356:
	s_wait_xcnt 0x0
	v_mov_b32_e32 v0, 0
	global_load_b32 v1, v0, s[8:9] offset:212
	s_wait_loadcnt 0x0
	v_cmp_eq_u32_e32 vcc_lo, 54, v1
	s_cbranch_vccnz .LBB120_358
; %bb.357:
	v_lshlrev_b32_e32 v1, 3, v1
	scratch_load_b64 v[2:3], v1, off offset:-8
	scratch_load_b64 v[118:119], off, off offset:424
	s_wait_loadcnt 0x1
	scratch_store_b64 off, v[2:3], off offset:424
	s_wait_loadcnt 0x0
	scratch_store_b64 v1, v[118:119], off offset:-8
.LBB120_358:
	global_load_b32 v0, v0, s[8:9] offset:208
	s_wait_loadcnt 0x0
	v_cmp_eq_u32_e32 vcc_lo, 53, v0
	s_cbranch_vccnz .LBB120_360
; %bb.359:
	s_wait_xcnt 0x0
	v_lshlrev_b32_e32 v0, 3, v0
	s_delay_alu instid0(VALU_DEP_1)
	v_mov_b32_e32 v118, v0
	scratch_load_b64 v[0:1], v118, off offset:-8
	scratch_load_b64 v[2:3], off, off offset:416
	s_wait_loadcnt 0x1
	scratch_store_b64 off, v[0:1], off offset:416
	s_wait_loadcnt 0x0
	scratch_store_b64 v118, v[2:3], off offset:-8
.LBB120_360:
	s_wait_xcnt 0x0
	v_mov_b32_e32 v0, 0
	global_load_b32 v1, v0, s[8:9] offset:204
	s_wait_loadcnt 0x0
	v_cmp_eq_u32_e32 vcc_lo, 52, v1
	s_cbranch_vccnz .LBB120_362
; %bb.361:
	v_lshlrev_b32_e32 v1, 3, v1
	scratch_load_b64 v[2:3], v1, off offset:-8
	scratch_load_b64 v[118:119], off, off offset:408
	s_wait_loadcnt 0x1
	scratch_store_b64 off, v[2:3], off offset:408
	s_wait_loadcnt 0x0
	scratch_store_b64 v1, v[118:119], off offset:-8
.LBB120_362:
	;; [unrolled: 31-line block ×27, first 2 shown]
	global_load_b32 v0, v0, s[8:9]
	scratch_load_b64 v[122:123], off, off
	s_wait_loadcnt 0x1
	v_cmp_eq_u32_e32 vcc_lo, 1, v0
	s_cbranch_vccnz .LBB120_464
; %bb.463:
	s_wait_xcnt 0x1
	v_lshlrev_b32_e32 v0, 3, v0
	s_delay_alu instid0(VALU_DEP_1)
	v_mov_b32_e32 v2, v0
	scratch_load_b64 v[0:1], v2, off offset:-8
	s_wait_loadcnt 0x0
	scratch_store_b64 off, v[0:1], off
	scratch_store_b64 v2, v[122:123], off offset:-8
	scratch_load_b64 v[122:123], off, off
.LBB120_464:
	s_wait_loadcnt 0x0
	flat_store_b64 v[4:5], v[122:123]
	scratch_load_b64 v[4:5], off, off offset:8
	v_lshl_add_u64 v[170:171], v[8:9], 3, s[2:3]
	v_lshl_add_u64 v[168:169], v[10:11], 3, s[2:3]
	;; [unrolled: 1-line block ×55, first 2 shown]
	s_wait_loadcnt 0x0
	flat_store_b64 v[6:7], v[4:5]
	scratch_load_b64 v[4:5], off, off offset:16
	s_wait_loadcnt 0x0
	flat_store_b64 v[170:171], v[4:5]
	scratch_load_b64 v[4:5], off, off offset:24
	;; [unrolled: 3-line block ×55, first 2 shown]
	s_wait_loadcnt 0x0
	flat_store_b64 v[0:1], v[2:3]
	s_sendmsg sendmsg(MSG_DEALLOC_VGPRS)
	s_endpgm
	.section	.rodata,"a",@progbits
	.p2align	6, 0x0
	.amdhsa_kernel _ZN9rocsolver6v33100L18getri_kernel_smallILi57EdPKPdEEvT1_iilPiilS6_bb
		.amdhsa_group_segment_fixed_size 920
		.amdhsa_private_segment_fixed_size 464
		.amdhsa_kernarg_size 60
		.amdhsa_user_sgpr_count 2
		.amdhsa_user_sgpr_dispatch_ptr 0
		.amdhsa_user_sgpr_queue_ptr 0
		.amdhsa_user_sgpr_kernarg_segment_ptr 1
		.amdhsa_user_sgpr_dispatch_id 0
		.amdhsa_user_sgpr_kernarg_preload_length 0
		.amdhsa_user_sgpr_kernarg_preload_offset 0
		.amdhsa_user_sgpr_private_segment_size 0
		.amdhsa_wavefront_size32 1
		.amdhsa_uses_dynamic_stack 0
		.amdhsa_enable_private_segment 1
		.amdhsa_system_sgpr_workgroup_id_x 1
		.amdhsa_system_sgpr_workgroup_id_y 0
		.amdhsa_system_sgpr_workgroup_id_z 0
		.amdhsa_system_sgpr_workgroup_info 0
		.amdhsa_system_vgpr_workitem_id 0
		.amdhsa_next_free_vgpr 172
		.amdhsa_next_free_sgpr 19
		.amdhsa_named_barrier_count 0
		.amdhsa_reserve_vcc 1
		.amdhsa_float_round_mode_32 0
		.amdhsa_float_round_mode_16_64 0
		.amdhsa_float_denorm_mode_32 3
		.amdhsa_float_denorm_mode_16_64 3
		.amdhsa_fp16_overflow 0
		.amdhsa_memory_ordered 1
		.amdhsa_forward_progress 1
		.amdhsa_inst_pref_size 255
		.amdhsa_round_robin_scheduling 0
		.amdhsa_exception_fp_ieee_invalid_op 0
		.amdhsa_exception_fp_denorm_src 0
		.amdhsa_exception_fp_ieee_div_zero 0
		.amdhsa_exception_fp_ieee_overflow 0
		.amdhsa_exception_fp_ieee_underflow 0
		.amdhsa_exception_fp_ieee_inexact 0
		.amdhsa_exception_int_div_zero 0
	.end_amdhsa_kernel
	.section	.text._ZN9rocsolver6v33100L18getri_kernel_smallILi57EdPKPdEEvT1_iilPiilS6_bb,"axG",@progbits,_ZN9rocsolver6v33100L18getri_kernel_smallILi57EdPKPdEEvT1_iilPiilS6_bb,comdat
.Lfunc_end120:
	.size	_ZN9rocsolver6v33100L18getri_kernel_smallILi57EdPKPdEEvT1_iilPiilS6_bb, .Lfunc_end120-_ZN9rocsolver6v33100L18getri_kernel_smallILi57EdPKPdEEvT1_iilPiilS6_bb
                                        ; -- End function
	.set _ZN9rocsolver6v33100L18getri_kernel_smallILi57EdPKPdEEvT1_iilPiilS6_bb.num_vgpr, 172
	.set _ZN9rocsolver6v33100L18getri_kernel_smallILi57EdPKPdEEvT1_iilPiilS6_bb.num_agpr, 0
	.set _ZN9rocsolver6v33100L18getri_kernel_smallILi57EdPKPdEEvT1_iilPiilS6_bb.numbered_sgpr, 19
	.set _ZN9rocsolver6v33100L18getri_kernel_smallILi57EdPKPdEEvT1_iilPiilS6_bb.num_named_barrier, 0
	.set _ZN9rocsolver6v33100L18getri_kernel_smallILi57EdPKPdEEvT1_iilPiilS6_bb.private_seg_size, 464
	.set _ZN9rocsolver6v33100L18getri_kernel_smallILi57EdPKPdEEvT1_iilPiilS6_bb.uses_vcc, 1
	.set _ZN9rocsolver6v33100L18getri_kernel_smallILi57EdPKPdEEvT1_iilPiilS6_bb.uses_flat_scratch, 1
	.set _ZN9rocsolver6v33100L18getri_kernel_smallILi57EdPKPdEEvT1_iilPiilS6_bb.has_dyn_sized_stack, 0
	.set _ZN9rocsolver6v33100L18getri_kernel_smallILi57EdPKPdEEvT1_iilPiilS6_bb.has_recursion, 0
	.set _ZN9rocsolver6v33100L18getri_kernel_smallILi57EdPKPdEEvT1_iilPiilS6_bb.has_indirect_call, 0
	.section	.AMDGPU.csdata,"",@progbits
; Kernel info:
; codeLenInByte = 58852
; TotalNumSgprs: 21
; NumVgprs: 172
; ScratchSize: 464
; MemoryBound: 0
; FloatMode: 240
; IeeeMode: 1
; LDSByteSize: 920 bytes/workgroup (compile time only)
; SGPRBlocks: 0
; VGPRBlocks: 10
; NumSGPRsForWavesPerEU: 21
; NumVGPRsForWavesPerEU: 172
; NamedBarCnt: 0
; Occupancy: 5
; WaveLimiterHint : 1
; COMPUTE_PGM_RSRC2:SCRATCH_EN: 1
; COMPUTE_PGM_RSRC2:USER_SGPR: 2
; COMPUTE_PGM_RSRC2:TRAP_HANDLER: 0
; COMPUTE_PGM_RSRC2:TGID_X_EN: 1
; COMPUTE_PGM_RSRC2:TGID_Y_EN: 0
; COMPUTE_PGM_RSRC2:TGID_Z_EN: 0
; COMPUTE_PGM_RSRC2:TIDIG_COMP_CNT: 0
	.section	.text._ZN9rocsolver6v33100L18getri_kernel_smallILi58EdPKPdEEvT1_iilPiilS6_bb,"axG",@progbits,_ZN9rocsolver6v33100L18getri_kernel_smallILi58EdPKPdEEvT1_iilPiilS6_bb,comdat
	.globl	_ZN9rocsolver6v33100L18getri_kernel_smallILi58EdPKPdEEvT1_iilPiilS6_bb ; -- Begin function _ZN9rocsolver6v33100L18getri_kernel_smallILi58EdPKPdEEvT1_iilPiilS6_bb
	.p2align	8
	.type	_ZN9rocsolver6v33100L18getri_kernel_smallILi58EdPKPdEEvT1_iilPiilS6_bb,@function
_ZN9rocsolver6v33100L18getri_kernel_smallILi58EdPKPdEEvT1_iilPiilS6_bb: ; @_ZN9rocsolver6v33100L18getri_kernel_smallILi58EdPKPdEEvT1_iilPiilS6_bb
; %bb.0:
	s_mov_b32 s2, exec_lo
	v_cmpx_gt_u32_e32 58, v0
	s_cbranch_execz .LBB121_242
; %bb.1:
	s_clause 0x1
	s_load_b32 s13, s[0:1], 0x38
	s_load_b64 s[2:3], s[0:1], 0x0
	s_getreg_b32 s6, hwreg(HW_REG_IB_STS2, 6, 4)
	s_wait_kmcnt 0x0
	s_bitcmp1_b32 s13, 8
	s_cselect_b32 s12, -1, 0
	s_bfe_u32 s4, ttmp6, 0x4000c
	s_and_b32 s5, ttmp6, 15
	s_add_co_i32 s4, s4, 1
	s_delay_alu instid0(SALU_CYCLE_1) | instskip(NEXT) | instid1(SALU_CYCLE_1)
	s_mul_i32 s4, ttmp9, s4
	s_add_co_i32 s5, s5, s4
	s_cmp_eq_u32 s6, 0
	s_cselect_b32 s10, ttmp9, s5
	s_load_b128 s[4:7], s[0:1], 0x28
	s_ashr_i32 s11, s10, 31
	s_delay_alu instid0(SALU_CYCLE_1) | instskip(NEXT) | instid1(SALU_CYCLE_1)
	s_lshl_b64 s[8:9], s[10:11], 3
	s_add_nc_u64 s[2:3], s[2:3], s[8:9]
	s_bfe_u32 s8, s13, 0x10008
	s_load_b64 s[2:3], s[2:3], 0x0
	s_cmp_eq_u32 s8, 0
                                        ; implicit-def: $sgpr8_sgpr9
	s_cbranch_scc1 .LBB121_3
; %bb.2:
	s_load_b96 s[16:18], s[0:1], 0x18
	s_wait_kmcnt 0x0
	s_mul_u64 s[4:5], s[4:5], s[10:11]
	s_delay_alu instid0(SALU_CYCLE_1) | instskip(SKIP_4) | instid1(SALU_CYCLE_1)
	s_lshl_b64 s[4:5], s[4:5], 2
	s_ashr_i32 s9, s18, 31
	s_mov_b32 s8, s18
	s_add_nc_u64 s[4:5], s[16:17], s[4:5]
	s_lshl_b64 s[8:9], s[8:9], 2
	s_add_nc_u64 s[8:9], s[4:5], s[8:9]
.LBB121_3:
	s_wait_kmcnt 0x0
	s_clause 0x1
	s_load_b64 s[4:5], s[0:1], 0x8
	s_load_b32 s13, s[0:1], 0x38
	v_dual_mov_b32 v3, 0 :: v_dual_lshlrev_b32 v2, 3, v0
	s_wait_kmcnt 0x0
	s_ashr_i32 s1, s4, 31
	s_mov_b32 s0, s4
	s_delay_alu instid0(SALU_CYCLE_1) | instskip(NEXT) | instid1(SALU_CYCLE_1)
	s_lshl_b64 s[0:1], s[0:1], 3
	s_add_nc_u64 s[2:3], s[2:3], s[0:1]
	s_ashr_i32 s1, s5, 31
	flat_load_b64 v[8:9], v0, s[2:3] scale_offset
	v_add_nc_u64_e32 v[4:5], s[2:3], v[2:3]
	s_mov_b32 s0, s5
	s_bitcmp0_b32 s13, 0
	s_delay_alu instid0(VALU_DEP_1)
	v_lshl_add_u64 v[6:7], s[0:1], 3, v[4:5]
	s_mov_b32 s1, -1
	s_wait_loadcnt_dscnt 0x0
	scratch_store_b64 off, v[8:9], off
	flat_load_b64 v[10:11], v[6:7]
	s_wait_xcnt 0x1
	v_add3_u32 v8, s5, s5, v0
	s_wait_loadcnt_dscnt 0x0
	scratch_store_b64 off, v[10:11], off offset:8
	flat_load_b64 v[12:13], v8, s[2:3] scale_offset
	s_wait_xcnt 0x1
	v_add_nc_u32_e32 v10, s5, v8
	s_wait_loadcnt_dscnt 0x0
	scratch_store_b64 off, v[12:13], off offset:16
	flat_load_b64 v[14:15], v10, s[2:3] scale_offset
	s_wait_xcnt 0x1
	v_add_nc_u32_e32 v12, s5, v10
	;; [unrolled: 5-line block ×55, first 2 shown]
	s_wait_loadcnt_dscnt 0x0
	scratch_store_b64 off, v[120:121], off offset:448
	flat_load_b64 v[120:121], v118, s[2:3] scale_offset
	s_wait_loadcnt_dscnt 0x0
	scratch_store_b64 off, v[120:121], off offset:456
	s_cbranch_scc1 .LBB121_240
; %bb.4:
	v_cmp_eq_u32_e64 s0, 0, v0
	s_wait_xcnt 0x0
	s_and_saveexec_b32 s1, s0
; %bb.5:
	v_mov_b32_e32 v1, 0
	ds_store_b32 v1, v1 offset:928
; %bb.6:
	s_or_b32 exec_lo, exec_lo, s1
	s_wait_storecnt_dscnt 0x0
	s_barrier_signal -1
	s_barrier_wait -1
	scratch_load_b64 v[120:121], v0, off scale_offset
	s_mov_b32 s4, exec_lo
	s_wait_loadcnt 0x0
	v_cmpx_eq_f64_e32 0, v[120:121]
	s_cbranch_execz .LBB121_10
; %bb.7:
	v_mov_b32_e32 v1, 0
	s_mov_b32 s5, 0
	ds_load_b32 v3, v1 offset:928
	s_wait_dscnt 0x0
	v_readfirstlane_b32 s1, v3
	v_add_nc_u32_e32 v3, 1, v0
	s_cmp_eq_u32 s1, 0
	s_delay_alu instid0(VALU_DEP_1) | instskip(SKIP_1) | instid1(SALU_CYCLE_1)
	v_cmp_gt_i32_e32 vcc_lo, s1, v3
	s_cselect_b32 s13, -1, 0
	s_or_b32 s13, s13, vcc_lo
	s_delay_alu instid0(SALU_CYCLE_1)
	s_and_b32 exec_lo, exec_lo, s13
	s_cbranch_execz .LBB121_10
; %bb.8:
	v_mov_b32_e32 v9, s1
.LBB121_9:                              ; =>This Inner Loop Header: Depth=1
	ds_cmpstore_rtn_b32 v9, v1, v3, v9 offset:928
	s_wait_dscnt 0x0
	v_cmp_ne_u32_e32 vcc_lo, 0, v9
	v_cmp_le_i32_e64 s1, v9, v3
	s_and_b32 s1, vcc_lo, s1
	s_delay_alu instid0(SALU_CYCLE_1) | instskip(NEXT) | instid1(SALU_CYCLE_1)
	s_and_b32 s1, exec_lo, s1
	s_or_b32 s5, s1, s5
	s_delay_alu instid0(SALU_CYCLE_1)
	s_and_not1_b32 exec_lo, exec_lo, s5
	s_cbranch_execnz .LBB121_9
.LBB121_10:
	s_or_b32 exec_lo, exec_lo, s4
	v_mov_b32_e32 v1, 0
	s_barrier_signal -1
	s_barrier_wait -1
	ds_load_b32 v3, v1 offset:928
	s_and_saveexec_b32 s1, s0
	s_cbranch_execz .LBB121_12
; %bb.11:
	s_lshl_b64 s[4:5], s[10:11], 2
	s_delay_alu instid0(SALU_CYCLE_1)
	s_add_nc_u64 s[4:5], s[6:7], s[4:5]
	s_wait_dscnt 0x0
	global_store_b32 v1, v3, s[4:5]
.LBB121_12:
	s_wait_xcnt 0x0
	s_or_b32 exec_lo, exec_lo, s1
	s_wait_dscnt 0x0
	v_cmp_ne_u32_e32 vcc_lo, 0, v3
	s_mov_b32 s1, 0
	s_cbranch_vccnz .LBB121_240
; %bb.13:
	v_lshl_add_u32 v3, v0, 3, 0
	v_add_nc_u32_e32 v1, 0x1d0, v2
	scratch_load_b64 v[120:121], v3, off
	s_wait_loadcnt 0x0
	v_div_scale_f64 v[122:123], null, v[120:121], v[120:121], 1.0
	v_div_scale_f64 v[128:129], vcc_lo, 1.0, v[120:121], 1.0
	s_delay_alu instid0(VALU_DEP_2) | instskip(SKIP_1) | instid1(TRANS32_DEP_1)
	v_rcp_f64_e32 v[124:125], v[122:123]
	v_nop
	v_fma_f64 v[126:127], -v[122:123], v[124:125], 1.0
	s_delay_alu instid0(VALU_DEP_1) | instskip(NEXT) | instid1(VALU_DEP_1)
	v_fmac_f64_e32 v[124:125], v[124:125], v[126:127]
	v_fma_f64 v[126:127], -v[122:123], v[124:125], 1.0
	s_delay_alu instid0(VALU_DEP_1) | instskip(NEXT) | instid1(VALU_DEP_1)
	v_fmac_f64_e32 v[124:125], v[124:125], v[126:127]
	v_mul_f64_e32 v[126:127], v[128:129], v[124:125]
	s_delay_alu instid0(VALU_DEP_1) | instskip(NEXT) | instid1(VALU_DEP_1)
	v_fma_f64 v[122:123], -v[122:123], v[126:127], v[128:129]
	v_div_fmas_f64 v[122:123], v[122:123], v[124:125], v[126:127]
	s_delay_alu instid0(VALU_DEP_1)
	v_div_fixup_f64 v[120:121], v[122:123], v[120:121], 1.0
	scratch_store_b64 v3, v[120:121], off
	scratch_load_b64 v[122:123], off, off offset:8
	s_wait_xcnt 0x1
	v_xor_b32_e32 v121, 0x80000000, v121
	s_wait_loadcnt 0x0
	ds_store_2addr_b64 v2, v[120:121], v[122:123] offset1:58
	s_wait_storecnt_dscnt 0x0
	s_barrier_signal -1
	s_barrier_wait -1
	s_wait_xcnt 0x0
	s_and_saveexec_b32 s1, s0
	s_cbranch_execz .LBB121_15
; %bb.14:
	scratch_load_b64 v[120:121], v3, off
	ds_load_b64 v[122:123], v1
	s_wait_loadcnt_dscnt 0x0
	v_fma_f64 v[120:121], v[120:121], v[122:123], 0
	v_mov_b32_e32 v9, 0
	ds_load_b64 v[124:125], v9 offset:8
	s_wait_dscnt 0x0
	v_mul_f64_e32 v[120:121], v[120:121], v[124:125]
	scratch_store_b64 off, v[120:121], off offset:8
.LBB121_15:
	s_wait_xcnt 0x0
	s_or_b32 exec_lo, exec_lo, s1
	s_wait_storecnt 0x0
	s_barrier_signal -1
	s_barrier_wait -1
	scratch_load_b64 v[120:121], off, off offset:16
	s_mov_b32 s1, exec_lo
	s_wait_loadcnt 0x0
	ds_store_b64 v1, v[120:121]
	s_wait_dscnt 0x0
	s_barrier_signal -1
	s_barrier_wait -1
	v_cmpx_gt_u32_e32 2, v0
	s_cbranch_execz .LBB121_19
; %bb.16:
	scratch_load_b64 v[120:121], v3, off
	ds_load_b64 v[122:123], v1
	s_wait_loadcnt_dscnt 0x0
	v_fma_f64 v[120:121], v[120:121], v[122:123], 0
	s_and_saveexec_b32 s4, s0
	s_cbranch_execz .LBB121_18
; %bb.17:
	scratch_load_b64 v[122:123], off, off offset:8
	v_mov_b32_e32 v3, 0
	ds_load_b64 v[124:125], v3 offset:472
	s_wait_loadcnt_dscnt 0x0
	v_fmac_f64_e32 v[120:121], v[122:123], v[124:125]
.LBB121_18:
	s_or_b32 exec_lo, exec_lo, s4
	v_mov_b32_e32 v3, 0
	ds_load_b64 v[122:123], v3 offset:16
	s_wait_dscnt 0x0
	v_mul_f64_e32 v[120:121], v[120:121], v[122:123]
	scratch_store_b64 off, v[120:121], off offset:16
.LBB121_19:
	s_wait_xcnt 0x0
	s_or_b32 exec_lo, exec_lo, s1
	s_wait_storecnt 0x0
	s_barrier_signal -1
	s_barrier_wait -1
	scratch_load_b64 v[120:121], off, off offset:24
	v_add_nc_u32_e32 v3, -1, v0
	s_mov_b32 s0, exec_lo
	s_wait_loadcnt 0x0
	ds_store_b64 v1, v[120:121]
	s_wait_dscnt 0x0
	s_barrier_signal -1
	s_barrier_wait -1
	v_cmpx_gt_u32_e32 3, v0
	s_cbranch_execz .LBB121_23
; %bb.20:
	v_mov_b64_e32 v[120:121], 0
	v_dual_add_nc_u32 v9, -1, v0 :: v_dual_mov_b32 v13, v2
	v_add_nc_u32_e32 v11, 0x1d0, v2
	s_mov_b32 s1, 0
.LBB121_21:                             ; =>This Inner Loop Header: Depth=1
	scratch_load_b64 v[122:123], v13, off
	ds_load_b64 v[124:125], v11
	v_dual_add_nc_u32 v9, 1, v9 :: v_dual_add_nc_u32 v11, 8, v11
	s_wait_xcnt 0x0
	v_add_nc_u32_e32 v13, 8, v13
	s_delay_alu instid0(VALU_DEP_2)
	v_cmp_lt_u32_e32 vcc_lo, 1, v9
	s_or_b32 s1, vcc_lo, s1
	s_wait_loadcnt_dscnt 0x0
	v_fmac_f64_e32 v[120:121], v[122:123], v[124:125]
	s_and_not1_b32 exec_lo, exec_lo, s1
	s_cbranch_execnz .LBB121_21
; %bb.22:
	s_or_b32 exec_lo, exec_lo, s1
	v_mov_b32_e32 v9, 0
	ds_load_b64 v[122:123], v9 offset:24
	s_wait_dscnt 0x0
	v_mul_f64_e32 v[120:121], v[120:121], v[122:123]
	scratch_store_b64 off, v[120:121], off offset:24
.LBB121_23:
	s_wait_xcnt 0x0
	s_or_b32 exec_lo, exec_lo, s0
	s_wait_storecnt 0x0
	s_barrier_signal -1
	s_barrier_wait -1
	scratch_load_b64 v[120:121], off, off offset:32
	s_mov_b32 s0, exec_lo
	s_wait_loadcnt 0x0
	ds_store_b64 v1, v[120:121]
	s_wait_dscnt 0x0
	s_barrier_signal -1
	s_barrier_wait -1
	v_cmpx_gt_u32_e32 4, v0
	s_cbranch_execz .LBB121_27
; %bb.24:
	v_mov_b64_e32 v[120:121], 0
	v_dual_add_nc_u32 v9, -1, v0 :: v_dual_mov_b32 v13, v2
	v_add_nc_u32_e32 v11, 0x1d0, v2
	s_mov_b32 s1, 0
.LBB121_25:                             ; =>This Inner Loop Header: Depth=1
	scratch_load_b64 v[122:123], v13, off
	ds_load_b64 v[124:125], v11
	v_dual_add_nc_u32 v9, 1, v9 :: v_dual_add_nc_u32 v11, 8, v11
	s_wait_xcnt 0x0
	v_add_nc_u32_e32 v13, 8, v13
	s_delay_alu instid0(VALU_DEP_2)
	v_cmp_lt_u32_e32 vcc_lo, 2, v9
	s_or_b32 s1, vcc_lo, s1
	s_wait_loadcnt_dscnt 0x0
	v_fmac_f64_e32 v[120:121], v[122:123], v[124:125]
	s_and_not1_b32 exec_lo, exec_lo, s1
	s_cbranch_execnz .LBB121_25
; %bb.26:
	s_or_b32 exec_lo, exec_lo, s1
	v_mov_b32_e32 v9, 0
	ds_load_b64 v[122:123], v9 offset:32
	s_wait_dscnt 0x0
	v_mul_f64_e32 v[120:121], v[120:121], v[122:123]
	scratch_store_b64 off, v[120:121], off offset:32
.LBB121_27:
	s_wait_xcnt 0x0
	s_or_b32 exec_lo, exec_lo, s0
	s_wait_storecnt 0x0
	s_barrier_signal -1
	s_barrier_wait -1
	scratch_load_b64 v[120:121], off, off offset:40
	;; [unrolled: 40-line block ×20, first 2 shown]
	s_mov_b32 s0, exec_lo
	s_wait_loadcnt 0x0
	ds_store_b64 v1, v[120:121]
	s_wait_dscnt 0x0
	s_barrier_signal -1
	s_barrier_wait -1
	v_cmpx_gt_u32_e32 23, v0
	s_cbranch_execz .LBB121_103
; %bb.100:
	v_mov_b64_e32 v[120:121], 0
	v_dual_add_nc_u32 v9, -1, v0 :: v_dual_mov_b32 v13, v2
	v_add_nc_u32_e32 v11, 0x1d0, v2
	s_mov_b32 s1, 0
.LBB121_101:                            ; =>This Inner Loop Header: Depth=1
	scratch_load_b64 v[122:123], v13, off
	ds_load_b64 v[124:125], v11
	v_dual_add_nc_u32 v9, 1, v9 :: v_dual_add_nc_u32 v11, 8, v11
	s_wait_xcnt 0x0
	v_add_nc_u32_e32 v13, 8, v13
	s_delay_alu instid0(VALU_DEP_2)
	v_cmp_lt_u32_e32 vcc_lo, 21, v9
	s_or_b32 s1, vcc_lo, s1
	s_wait_loadcnt_dscnt 0x0
	v_fmac_f64_e32 v[120:121], v[122:123], v[124:125]
	s_and_not1_b32 exec_lo, exec_lo, s1
	s_cbranch_execnz .LBB121_101
; %bb.102:
	s_or_b32 exec_lo, exec_lo, s1
	v_mov_b32_e32 v9, 0
	ds_load_b64 v[122:123], v9 offset:184
	s_wait_dscnt 0x0
	v_mul_f64_e32 v[120:121], v[120:121], v[122:123]
	scratch_store_b64 off, v[120:121], off offset:184
.LBB121_103:
	s_wait_xcnt 0x0
	s_or_b32 exec_lo, exec_lo, s0
	s_wait_storecnt 0x0
	s_barrier_signal -1
	s_barrier_wait -1
	scratch_load_b64 v[120:121], off, off offset:192
	s_mov_b32 s0, exec_lo
	s_wait_loadcnt 0x0
	ds_store_b64 v1, v[120:121]
	s_wait_dscnt 0x0
	s_barrier_signal -1
	s_barrier_wait -1
	v_cmpx_gt_u32_e32 24, v0
	s_cbranch_execz .LBB121_107
; %bb.104:
	v_mov_b64_e32 v[120:121], 0
	v_dual_add_nc_u32 v9, -1, v0 :: v_dual_mov_b32 v13, v2
	v_add_nc_u32_e32 v11, 0x1d0, v2
	s_mov_b32 s1, 0
.LBB121_105:                            ; =>This Inner Loop Header: Depth=1
	scratch_load_b64 v[122:123], v13, off
	ds_load_b64 v[124:125], v11
	v_dual_add_nc_u32 v9, 1, v9 :: v_dual_add_nc_u32 v11, 8, v11
	s_wait_xcnt 0x0
	v_add_nc_u32_e32 v13, 8, v13
	s_delay_alu instid0(VALU_DEP_2)
	v_cmp_lt_u32_e32 vcc_lo, 22, v9
	s_or_b32 s1, vcc_lo, s1
	s_wait_loadcnt_dscnt 0x0
	v_fmac_f64_e32 v[120:121], v[122:123], v[124:125]
	s_and_not1_b32 exec_lo, exec_lo, s1
	s_cbranch_execnz .LBB121_105
; %bb.106:
	s_or_b32 exec_lo, exec_lo, s1
	v_mov_b32_e32 v9, 0
	ds_load_b64 v[122:123], v9 offset:192
	s_wait_dscnt 0x0
	v_mul_f64_e32 v[120:121], v[120:121], v[122:123]
	scratch_store_b64 off, v[120:121], off offset:192
.LBB121_107:
	s_wait_xcnt 0x0
	s_or_b32 exec_lo, exec_lo, s0
	s_wait_storecnt 0x0
	s_barrier_signal -1
	s_barrier_wait -1
	scratch_load_b64 v[120:121], off, off offset:200
	;; [unrolled: 40-line block ×34, first 2 shown]
	s_mov_b32 s0, exec_lo
	s_wait_loadcnt 0x0
	ds_store_b64 v1, v[120:121]
	s_wait_dscnt 0x0
	s_barrier_signal -1
	s_barrier_wait -1
	v_cmpx_ne_u32_e32 57, v0
	s_cbranch_execz .LBB121_239
; %bb.236:
	v_mov_b64_e32 v[120:121], 0
	s_mov_b32 s1, 0
.LBB121_237:                            ; =>This Inner Loop Header: Depth=1
	scratch_load_b64 v[122:123], v2, off
	ds_load_b64 v[124:125], v1
	v_dual_add_nc_u32 v3, 1, v3 :: v_dual_add_nc_u32 v1, 8, v1
	s_wait_xcnt 0x0
	v_add_nc_u32_e32 v2, 8, v2
	s_delay_alu instid0(VALU_DEP_2)
	v_cmp_lt_u32_e32 vcc_lo, 55, v3
	s_or_b32 s1, vcc_lo, s1
	s_wait_loadcnt_dscnt 0x0
	v_fmac_f64_e32 v[120:121], v[122:123], v[124:125]
	s_and_not1_b32 exec_lo, exec_lo, s1
	s_cbranch_execnz .LBB121_237
; %bb.238:
	s_or_b32 exec_lo, exec_lo, s1
	v_mov_b32_e32 v1, 0
	ds_load_b64 v[2:3], v1 offset:456
	s_wait_dscnt 0x0
	v_mul_f64_e32 v[2:3], v[120:121], v[2:3]
	scratch_store_b64 off, v[2:3], off offset:456
.LBB121_239:
	s_wait_xcnt 0x0
	s_or_b32 exec_lo, exec_lo, s0
	s_mov_b32 s1, -1
	s_wait_storecnt 0x0
	s_barrier_signal -1
	s_barrier_wait -1
.LBB121_240:
	s_and_b32 vcc_lo, exec_lo, s1
	s_cbranch_vccz .LBB121_242
; %bb.241:
	v_mov_b32_e32 v1, 0
	s_lshl_b64 s[0:1], s[10:11], 2
	s_delay_alu instid0(SALU_CYCLE_1)
	s_add_nc_u64 s[0:1], s[6:7], s[0:1]
	global_load_b32 v1, v1, s[0:1]
	s_wait_loadcnt 0x0
	v_cmp_ne_u32_e32 vcc_lo, 0, v1
	s_cbranch_vccz .LBB121_243
.LBB121_242:
	s_sendmsg sendmsg(MSG_DEALLOC_VGPRS)
	s_endpgm
.LBB121_243:
	s_wait_xcnt 0x0
	v_lshl_add_u32 v1, v0, 3, 0x1d0
	s_mov_b32 s0, exec_lo
	v_cmpx_eq_u32_e32 57, v0
	s_cbranch_execz .LBB121_245
; %bb.244:
	scratch_load_b64 v[2:3], off, off offset:448
	v_mov_b64_e32 v[120:121], 0
	scratch_store_b64 off, v[120:121], off offset:448
	s_wait_loadcnt 0x0
	ds_store_b64 v1, v[2:3]
.LBB121_245:
	s_wait_xcnt 0x0
	s_or_b32 exec_lo, exec_lo, s0
	s_wait_storecnt_dscnt 0x0
	s_barrier_signal -1
	s_barrier_wait -1
	scratch_load_b128 v[120:123], off, off offset:448
	v_mov_b32_e32 v2, 0
	s_mov_b32 s0, exec_lo
	ds_load_b64 v[124:125], v2 offset:920
	s_wait_loadcnt_dscnt 0x0
	v_fma_f64 v[122:123], v[122:123], v[124:125], 0
	s_delay_alu instid0(VALU_DEP_1)
	v_add_f64_e64 v[120:121], v[120:121], -v[122:123]
	scratch_store_b64 off, v[120:121], off offset:448
	s_wait_xcnt 0x0
	v_cmpx_lt_u32_e32 55, v0
	s_cbranch_execz .LBB121_247
; %bb.246:
	scratch_load_b64 v[120:121], off, off offset:440
	v_mov_b64_e32 v[122:123], 0
	scratch_store_b64 off, v[122:123], off offset:440
	s_wait_loadcnt 0x0
	ds_store_b64 v1, v[120:121]
.LBB121_247:
	s_wait_xcnt 0x0
	s_or_b32 exec_lo, exec_lo, s0
	s_wait_storecnt_dscnt 0x0
	s_barrier_signal -1
	s_barrier_wait -1
	s_clause 0x1
	scratch_load_b128 v[120:123], off, off offset:440
	scratch_load_b64 v[128:129], off, off offset:456
	ds_load_b128 v[124:127], v2 offset:912
	s_mov_b32 s0, exec_lo
	s_wait_loadcnt_dscnt 0x100
	v_fma_f64 v[2:3], v[122:123], v[124:125], 0
	s_wait_loadcnt 0x0
	s_delay_alu instid0(VALU_DEP_1) | instskip(NEXT) | instid1(VALU_DEP_1)
	v_fmac_f64_e32 v[2:3], v[128:129], v[126:127]
	v_add_f64_e64 v[2:3], v[120:121], -v[2:3]
	scratch_store_b64 off, v[2:3], off offset:440
	s_wait_xcnt 0x0
	v_cmpx_lt_u32_e32 54, v0
	s_cbranch_execz .LBB121_249
; %bb.248:
	scratch_load_b64 v[2:3], off, off offset:432
	v_mov_b64_e32 v[120:121], 0
	scratch_store_b64 off, v[120:121], off offset:432
	s_wait_loadcnt 0x0
	ds_store_b64 v1, v[2:3]
.LBB121_249:
	s_wait_xcnt 0x0
	s_or_b32 exec_lo, exec_lo, s0
	s_wait_storecnt_dscnt 0x0
	s_barrier_signal -1
	s_barrier_wait -1
	s_clause 0x1
	scratch_load_b128 v[120:123], off, off offset:432
	scratch_load_b128 v[124:127], off, off offset:448
	v_mov_b32_e32 v2, 0
	ds_load_2addr_b64 v[128:131], v2 offset0:113 offset1:114
	ds_load_b64 v[132:133], v2 offset:920
	s_mov_b32 s0, exec_lo
	s_wait_loadcnt_dscnt 0x101
	v_fma_f64 v[122:123], v[122:123], v[128:129], 0
	s_wait_loadcnt 0x0
	s_delay_alu instid0(VALU_DEP_1) | instskip(SKIP_1) | instid1(VALU_DEP_1)
	v_fmac_f64_e32 v[122:123], v[124:125], v[130:131]
	s_wait_dscnt 0x0
	v_fmac_f64_e32 v[122:123], v[126:127], v[132:133]
	s_delay_alu instid0(VALU_DEP_1)
	v_add_f64_e64 v[120:121], v[120:121], -v[122:123]
	scratch_store_b64 off, v[120:121], off offset:432
	s_wait_xcnt 0x0
	v_cmpx_lt_u32_e32 53, v0
	s_cbranch_execz .LBB121_251
; %bb.250:
	scratch_load_b64 v[120:121], off, off offset:424
	v_mov_b64_e32 v[122:123], 0
	scratch_store_b64 off, v[122:123], off offset:424
	s_wait_loadcnt 0x0
	ds_store_b64 v1, v[120:121]
.LBB121_251:
	s_wait_xcnt 0x0
	s_or_b32 exec_lo, exec_lo, s0
	s_wait_storecnt_dscnt 0x0
	s_barrier_signal -1
	s_barrier_wait -1
	s_clause 0x2
	scratch_load_b128 v[120:123], off, off offset:424
	scratch_load_b128 v[124:127], off, off offset:440
	scratch_load_b64 v[136:137], off, off offset:456
	ds_load_b128 v[128:131], v2 offset:896
	ds_load_b128 v[132:135], v2 offset:912
	s_mov_b32 s0, exec_lo
	s_wait_loadcnt_dscnt 0x201
	v_fma_f64 v[2:3], v[122:123], v[128:129], 0
	s_wait_loadcnt 0x1
	s_delay_alu instid0(VALU_DEP_1) | instskip(SKIP_1) | instid1(VALU_DEP_1)
	v_fmac_f64_e32 v[2:3], v[124:125], v[130:131]
	s_wait_dscnt 0x0
	v_fmac_f64_e32 v[2:3], v[126:127], v[132:133]
	s_wait_loadcnt 0x0
	s_delay_alu instid0(VALU_DEP_1) | instskip(NEXT) | instid1(VALU_DEP_1)
	v_fmac_f64_e32 v[2:3], v[136:137], v[134:135]
	v_add_f64_e64 v[2:3], v[120:121], -v[2:3]
	scratch_store_b64 off, v[2:3], off offset:424
	s_wait_xcnt 0x0
	v_cmpx_lt_u32_e32 52, v0
	s_cbranch_execz .LBB121_253
; %bb.252:
	scratch_load_b64 v[2:3], off, off offset:416
	v_mov_b64_e32 v[120:121], 0
	scratch_store_b64 off, v[120:121], off offset:416
	s_wait_loadcnt 0x0
	ds_store_b64 v1, v[2:3]
.LBB121_253:
	s_wait_xcnt 0x0
	s_or_b32 exec_lo, exec_lo, s0
	s_wait_storecnt_dscnt 0x0
	s_barrier_signal -1
	s_barrier_wait -1
	s_clause 0x2
	scratch_load_b128 v[120:123], off, off offset:416
	scratch_load_b128 v[124:127], off, off offset:432
	;; [unrolled: 1-line block ×3, first 2 shown]
	v_mov_b32_e32 v2, 0
	ds_load_2addr_b64 v[132:135], v2 offset0:111 offset1:112
	ds_load_2addr_b64 v[136:139], v2 offset0:113 offset1:114
	s_mov_b32 s0, exec_lo
	s_wait_loadcnt_dscnt 0x201
	v_fma_f64 v[122:123], v[122:123], v[132:133], 0
	s_wait_loadcnt 0x1
	s_delay_alu instid0(VALU_DEP_1) | instskip(SKIP_4) | instid1(VALU_DEP_1)
	v_fmac_f64_e32 v[122:123], v[124:125], v[134:135]
	ds_load_b64 v[124:125], v2 offset:920
	s_wait_dscnt 0x1
	v_fmac_f64_e32 v[122:123], v[126:127], v[136:137]
	s_wait_loadcnt 0x0
	v_fmac_f64_e32 v[122:123], v[128:129], v[138:139]
	s_wait_dscnt 0x0
	s_delay_alu instid0(VALU_DEP_1) | instskip(NEXT) | instid1(VALU_DEP_1)
	v_fmac_f64_e32 v[122:123], v[130:131], v[124:125]
	v_add_f64_e64 v[120:121], v[120:121], -v[122:123]
	scratch_store_b64 off, v[120:121], off offset:416
	s_wait_xcnt 0x0
	v_cmpx_lt_u32_e32 51, v0
	s_cbranch_execz .LBB121_255
; %bb.254:
	scratch_load_b64 v[120:121], off, off offset:408
	v_mov_b64_e32 v[122:123], 0
	scratch_store_b64 off, v[122:123], off offset:408
	s_wait_loadcnt 0x0
	ds_store_b64 v1, v[120:121]
.LBB121_255:
	s_wait_xcnt 0x0
	s_or_b32 exec_lo, exec_lo, s0
	s_wait_storecnt_dscnt 0x0
	s_barrier_signal -1
	s_barrier_wait -1
	s_clause 0x3
	scratch_load_b128 v[120:123], off, off offset:408
	scratch_load_b128 v[124:127], off, off offset:424
	;; [unrolled: 1-line block ×3, first 2 shown]
	scratch_load_b64 v[140:141], off, off offset:456
	ds_load_b128 v[132:135], v2 offset:880
	ds_load_b128 v[136:139], v2 offset:896
	s_mov_b32 s0, exec_lo
	s_wait_loadcnt_dscnt 0x301
	v_fma_f64 v[132:133], v[122:123], v[132:133], 0
	s_wait_loadcnt 0x2
	s_delay_alu instid0(VALU_DEP_1) | instskip(SKIP_4) | instid1(VALU_DEP_1)
	v_fmac_f64_e32 v[132:133], v[124:125], v[134:135]
	ds_load_b128 v[122:125], v2 offset:912
	s_wait_dscnt 0x1
	v_fmac_f64_e32 v[132:133], v[126:127], v[136:137]
	s_wait_loadcnt 0x1
	v_fmac_f64_e32 v[132:133], v[128:129], v[138:139]
	s_wait_dscnt 0x0
	s_delay_alu instid0(VALU_DEP_1) | instskip(SKIP_1) | instid1(VALU_DEP_1)
	v_fmac_f64_e32 v[132:133], v[130:131], v[122:123]
	s_wait_loadcnt 0x0
	v_fmac_f64_e32 v[132:133], v[140:141], v[124:125]
	s_delay_alu instid0(VALU_DEP_1)
	v_add_f64_e64 v[2:3], v[120:121], -v[132:133]
	scratch_store_b64 off, v[2:3], off offset:408
	s_wait_xcnt 0x0
	v_cmpx_lt_u32_e32 50, v0
	s_cbranch_execz .LBB121_257
; %bb.256:
	scratch_load_b64 v[2:3], off, off offset:400
	v_mov_b64_e32 v[120:121], 0
	scratch_store_b64 off, v[120:121], off offset:400
	s_wait_loadcnt 0x0
	ds_store_b64 v1, v[2:3]
.LBB121_257:
	s_wait_xcnt 0x0
	s_or_b32 exec_lo, exec_lo, s0
	s_wait_storecnt_dscnt 0x0
	s_barrier_signal -1
	s_barrier_wait -1
	s_clause 0x3
	scratch_load_b128 v[120:123], off, off offset:400
	scratch_load_b128 v[124:127], off, off offset:416
	;; [unrolled: 1-line block ×4, first 2 shown]
	v_mov_b32_e32 v2, 0
	ds_load_2addr_b64 v[136:139], v2 offset0:109 offset1:110
	ds_load_2addr_b64 v[140:143], v2 offset0:111 offset1:112
	s_mov_b32 s0, exec_lo
	s_wait_loadcnt_dscnt 0x301
	v_fma_f64 v[136:137], v[122:123], v[136:137], 0
	s_wait_loadcnt 0x2
	s_delay_alu instid0(VALU_DEP_1) | instskip(SKIP_1) | instid1(VALU_DEP_1)
	v_fmac_f64_e32 v[136:137], v[124:125], v[138:139]
	s_wait_dscnt 0x0
	v_fmac_f64_e32 v[136:137], v[126:127], v[140:141]
	ds_load_2addr_b64 v[122:125], v2 offset0:113 offset1:114
	ds_load_b64 v[126:127], v2 offset:920
	s_wait_loadcnt 0x1
	v_fmac_f64_e32 v[136:137], v[128:129], v[142:143]
	s_wait_dscnt 0x1
	s_delay_alu instid0(VALU_DEP_1) | instskip(SKIP_1) | instid1(VALU_DEP_1)
	v_fmac_f64_e32 v[136:137], v[130:131], v[122:123]
	s_wait_loadcnt 0x0
	v_fmac_f64_e32 v[136:137], v[132:133], v[124:125]
	s_wait_dscnt 0x0
	s_delay_alu instid0(VALU_DEP_1) | instskip(NEXT) | instid1(VALU_DEP_1)
	v_fmac_f64_e32 v[136:137], v[134:135], v[126:127]
	v_add_f64_e64 v[120:121], v[120:121], -v[136:137]
	scratch_store_b64 off, v[120:121], off offset:400
	s_wait_xcnt 0x0
	v_cmpx_lt_u32_e32 49, v0
	s_cbranch_execz .LBB121_259
; %bb.258:
	scratch_load_b64 v[120:121], off, off offset:392
	v_mov_b64_e32 v[122:123], 0
	scratch_store_b64 off, v[122:123], off offset:392
	s_wait_loadcnt 0x0
	ds_store_b64 v1, v[120:121]
.LBB121_259:
	s_wait_xcnt 0x0
	s_or_b32 exec_lo, exec_lo, s0
	s_wait_storecnt_dscnt 0x0
	s_barrier_signal -1
	s_barrier_wait -1
	s_clause 0x4
	scratch_load_b128 v[120:123], off, off offset:392
	scratch_load_b128 v[124:127], off, off offset:408
	;; [unrolled: 1-line block ×4, first 2 shown]
	scratch_load_b64 v[144:145], off, off offset:456
	ds_load_b128 v[136:139], v2 offset:864
	ds_load_b128 v[140:143], v2 offset:880
	s_mov_b32 s0, exec_lo
	s_wait_loadcnt_dscnt 0x401
	v_fma_f64 v[136:137], v[122:123], v[136:137], 0
	s_wait_loadcnt 0x3
	s_delay_alu instid0(VALU_DEP_1) | instskip(SKIP_1) | instid1(VALU_DEP_1)
	v_fmac_f64_e32 v[136:137], v[124:125], v[138:139]
	s_wait_dscnt 0x0
	v_fmac_f64_e32 v[136:137], v[126:127], v[140:141]
	s_wait_loadcnt 0x2
	s_delay_alu instid0(VALU_DEP_1)
	v_fmac_f64_e32 v[136:137], v[128:129], v[142:143]
	ds_load_b128 v[122:125], v2 offset:896
	ds_load_b128 v[126:129], v2 offset:912
	s_wait_dscnt 0x1
	v_fmac_f64_e32 v[136:137], v[130:131], v[122:123]
	s_wait_loadcnt 0x1
	s_delay_alu instid0(VALU_DEP_1) | instskip(SKIP_1) | instid1(VALU_DEP_1)
	v_fmac_f64_e32 v[136:137], v[132:133], v[124:125]
	s_wait_dscnt 0x0
	v_fmac_f64_e32 v[136:137], v[134:135], v[126:127]
	s_wait_loadcnt 0x0
	s_delay_alu instid0(VALU_DEP_1) | instskip(NEXT) | instid1(VALU_DEP_1)
	v_fmac_f64_e32 v[136:137], v[144:145], v[128:129]
	v_add_f64_e64 v[2:3], v[120:121], -v[136:137]
	scratch_store_b64 off, v[2:3], off offset:392
	s_wait_xcnt 0x0
	v_cmpx_lt_u32_e32 48, v0
	s_cbranch_execz .LBB121_261
; %bb.260:
	scratch_load_b64 v[2:3], off, off offset:384
	v_mov_b64_e32 v[120:121], 0
	scratch_store_b64 off, v[120:121], off offset:384
	s_wait_loadcnt 0x0
	ds_store_b64 v1, v[2:3]
.LBB121_261:
	s_wait_xcnt 0x0
	s_or_b32 exec_lo, exec_lo, s0
	s_wait_storecnt_dscnt 0x0
	s_barrier_signal -1
	s_barrier_wait -1
	s_clause 0x4
	scratch_load_b128 v[120:123], off, off offset:384
	scratch_load_b128 v[124:127], off, off offset:400
	;; [unrolled: 1-line block ×5, first 2 shown]
	v_mov_b32_e32 v2, 0
	ds_load_2addr_b64 v[140:143], v2 offset0:107 offset1:108
	ds_load_2addr_b64 v[144:147], v2 offset0:109 offset1:110
	s_mov_b32 s0, exec_lo
	s_wait_loadcnt_dscnt 0x401
	v_fma_f64 v[140:141], v[122:123], v[140:141], 0
	s_wait_loadcnt 0x3
	s_delay_alu instid0(VALU_DEP_1) | instskip(SKIP_1) | instid1(VALU_DEP_1)
	v_fmac_f64_e32 v[140:141], v[124:125], v[142:143]
	s_wait_dscnt 0x0
	v_fmac_f64_e32 v[140:141], v[126:127], v[144:145]
	s_wait_loadcnt 0x2
	s_delay_alu instid0(VALU_DEP_1)
	v_fmac_f64_e32 v[140:141], v[128:129], v[146:147]
	ds_load_2addr_b64 v[122:125], v2 offset0:111 offset1:112
	ds_load_2addr_b64 v[126:129], v2 offset0:113 offset1:114
	s_wait_dscnt 0x1
	v_fmac_f64_e32 v[140:141], v[130:131], v[122:123]
	ds_load_b64 v[122:123], v2 offset:920
	s_wait_loadcnt 0x1
	v_fmac_f64_e32 v[140:141], v[132:133], v[124:125]
	s_wait_dscnt 0x1
	s_delay_alu instid0(VALU_DEP_1) | instskip(SKIP_1) | instid1(VALU_DEP_1)
	v_fmac_f64_e32 v[140:141], v[134:135], v[126:127]
	s_wait_loadcnt 0x0
	v_fmac_f64_e32 v[140:141], v[136:137], v[128:129]
	s_wait_dscnt 0x0
	s_delay_alu instid0(VALU_DEP_1) | instskip(NEXT) | instid1(VALU_DEP_1)
	v_fmac_f64_e32 v[140:141], v[138:139], v[122:123]
	v_add_f64_e64 v[120:121], v[120:121], -v[140:141]
	scratch_store_b64 off, v[120:121], off offset:384
	s_wait_xcnt 0x0
	v_cmpx_lt_u32_e32 47, v0
	s_cbranch_execz .LBB121_263
; %bb.262:
	scratch_load_b64 v[120:121], off, off offset:376
	v_mov_b64_e32 v[122:123], 0
	scratch_store_b64 off, v[122:123], off offset:376
	s_wait_loadcnt 0x0
	ds_store_b64 v1, v[120:121]
.LBB121_263:
	s_wait_xcnt 0x0
	s_or_b32 exec_lo, exec_lo, s0
	s_wait_storecnt_dscnt 0x0
	s_barrier_signal -1
	s_barrier_wait -1
	s_clause 0x5
	scratch_load_b128 v[120:123], off, off offset:376
	scratch_load_b128 v[124:127], off, off offset:392
	;; [unrolled: 1-line block ×5, first 2 shown]
	scratch_load_b64 v[148:149], off, off offset:456
	ds_load_b128 v[140:143], v2 offset:848
	ds_load_b128 v[144:147], v2 offset:864
	s_mov_b32 s0, exec_lo
	s_wait_loadcnt_dscnt 0x501
	v_fma_f64 v[140:141], v[122:123], v[140:141], 0
	s_wait_loadcnt 0x4
	s_delay_alu instid0(VALU_DEP_1) | instskip(SKIP_1) | instid1(VALU_DEP_1)
	v_fmac_f64_e32 v[140:141], v[124:125], v[142:143]
	s_wait_dscnt 0x0
	v_fmac_f64_e32 v[140:141], v[126:127], v[144:145]
	s_wait_loadcnt 0x3
	s_delay_alu instid0(VALU_DEP_1)
	v_fmac_f64_e32 v[140:141], v[128:129], v[146:147]
	ds_load_b128 v[122:125], v2 offset:880
	ds_load_b128 v[126:129], v2 offset:896
	s_wait_dscnt 0x1
	v_fmac_f64_e32 v[140:141], v[130:131], v[122:123]
	s_wait_loadcnt 0x2
	s_delay_alu instid0(VALU_DEP_1) | instskip(SKIP_4) | instid1(VALU_DEP_1)
	v_fmac_f64_e32 v[140:141], v[132:133], v[124:125]
	ds_load_b128 v[122:125], v2 offset:912
	s_wait_dscnt 0x1
	v_fmac_f64_e32 v[140:141], v[134:135], v[126:127]
	s_wait_loadcnt 0x1
	v_fmac_f64_e32 v[140:141], v[136:137], v[128:129]
	s_wait_dscnt 0x0
	s_delay_alu instid0(VALU_DEP_1) | instskip(SKIP_1) | instid1(VALU_DEP_1)
	v_fmac_f64_e32 v[140:141], v[138:139], v[122:123]
	s_wait_loadcnt 0x0
	v_fmac_f64_e32 v[140:141], v[148:149], v[124:125]
	s_delay_alu instid0(VALU_DEP_1)
	v_add_f64_e64 v[2:3], v[120:121], -v[140:141]
	scratch_store_b64 off, v[2:3], off offset:376
	s_wait_xcnt 0x0
	v_cmpx_lt_u32_e32 46, v0
	s_cbranch_execz .LBB121_265
; %bb.264:
	scratch_load_b64 v[2:3], off, off offset:368
	v_mov_b64_e32 v[120:121], 0
	scratch_store_b64 off, v[120:121], off offset:368
	s_wait_loadcnt 0x0
	ds_store_b64 v1, v[2:3]
.LBB121_265:
	s_wait_xcnt 0x0
	s_or_b32 exec_lo, exec_lo, s0
	s_wait_storecnt_dscnt 0x0
	s_barrier_signal -1
	s_barrier_wait -1
	s_clause 0x5
	scratch_load_b128 v[120:123], off, off offset:368
	scratch_load_b128 v[124:127], off, off offset:384
	;; [unrolled: 1-line block ×6, first 2 shown]
	v_mov_b32_e32 v2, 0
	ds_load_2addr_b64 v[144:147], v2 offset0:105 offset1:106
	ds_load_2addr_b64 v[148:151], v2 offset0:107 offset1:108
	s_mov_b32 s0, exec_lo
	s_wait_loadcnt_dscnt 0x501
	v_fma_f64 v[144:145], v[122:123], v[144:145], 0
	s_wait_loadcnt 0x4
	s_delay_alu instid0(VALU_DEP_1) | instskip(SKIP_1) | instid1(VALU_DEP_1)
	v_fmac_f64_e32 v[144:145], v[124:125], v[146:147]
	s_wait_dscnt 0x0
	v_fmac_f64_e32 v[144:145], v[126:127], v[148:149]
	s_wait_loadcnt 0x3
	s_delay_alu instid0(VALU_DEP_1)
	v_fmac_f64_e32 v[144:145], v[128:129], v[150:151]
	ds_load_2addr_b64 v[122:125], v2 offset0:109 offset1:110
	ds_load_2addr_b64 v[126:129], v2 offset0:111 offset1:112
	s_wait_dscnt 0x1
	v_fmac_f64_e32 v[144:145], v[130:131], v[122:123]
	s_wait_loadcnt 0x2
	s_delay_alu instid0(VALU_DEP_1) | instskip(SKIP_1) | instid1(VALU_DEP_1)
	v_fmac_f64_e32 v[144:145], v[132:133], v[124:125]
	s_wait_dscnt 0x0
	v_fmac_f64_e32 v[144:145], v[134:135], v[126:127]
	ds_load_2addr_b64 v[122:125], v2 offset0:113 offset1:114
	ds_load_b64 v[126:127], v2 offset:920
	s_wait_loadcnt 0x1
	v_fmac_f64_e32 v[144:145], v[136:137], v[128:129]
	s_wait_dscnt 0x1
	s_delay_alu instid0(VALU_DEP_1) | instskip(SKIP_1) | instid1(VALU_DEP_1)
	v_fmac_f64_e32 v[144:145], v[138:139], v[122:123]
	s_wait_loadcnt 0x0
	v_fmac_f64_e32 v[144:145], v[140:141], v[124:125]
	s_wait_dscnt 0x0
	s_delay_alu instid0(VALU_DEP_1) | instskip(NEXT) | instid1(VALU_DEP_1)
	v_fmac_f64_e32 v[144:145], v[142:143], v[126:127]
	v_add_f64_e64 v[120:121], v[120:121], -v[144:145]
	scratch_store_b64 off, v[120:121], off offset:368
	s_wait_xcnt 0x0
	v_cmpx_lt_u32_e32 45, v0
	s_cbranch_execz .LBB121_267
; %bb.266:
	scratch_load_b64 v[120:121], off, off offset:360
	v_mov_b64_e32 v[122:123], 0
	scratch_store_b64 off, v[122:123], off offset:360
	s_wait_loadcnt 0x0
	ds_store_b64 v1, v[120:121]
.LBB121_267:
	s_wait_xcnt 0x0
	s_or_b32 exec_lo, exec_lo, s0
	s_wait_storecnt_dscnt 0x0
	s_barrier_signal -1
	s_barrier_wait -1
	s_clause 0x5
	scratch_load_b128 v[120:123], off, off offset:360
	scratch_load_b128 v[124:127], off, off offset:376
	;; [unrolled: 1-line block ×6, first 2 shown]
	ds_load_b128 v[144:147], v2 offset:832
	ds_load_b128 v[148:151], v2 offset:848
	s_mov_b32 s0, exec_lo
	s_wait_loadcnt_dscnt 0x501
	v_fma_f64 v[144:145], v[122:123], v[144:145], 0
	s_wait_loadcnt 0x4
	s_delay_alu instid0(VALU_DEP_1) | instskip(SKIP_4) | instid1(VALU_DEP_1)
	v_fmac_f64_e32 v[144:145], v[124:125], v[146:147]
	scratch_load_b64 v[146:147], off, off offset:456
	s_wait_dscnt 0x0
	v_fmac_f64_e32 v[144:145], v[126:127], v[148:149]
	s_wait_loadcnt 0x4
	v_fmac_f64_e32 v[144:145], v[128:129], v[150:151]
	ds_load_b128 v[122:125], v2 offset:864
	ds_load_b128 v[126:129], v2 offset:880
	s_wait_dscnt 0x1
	v_fmac_f64_e32 v[144:145], v[130:131], v[122:123]
	s_wait_loadcnt 0x3
	s_delay_alu instid0(VALU_DEP_1) | instskip(SKIP_1) | instid1(VALU_DEP_1)
	v_fmac_f64_e32 v[144:145], v[132:133], v[124:125]
	s_wait_dscnt 0x0
	v_fmac_f64_e32 v[144:145], v[134:135], v[126:127]
	s_wait_loadcnt 0x2
	s_delay_alu instid0(VALU_DEP_1)
	v_fmac_f64_e32 v[144:145], v[136:137], v[128:129]
	ds_load_b128 v[122:125], v2 offset:896
	ds_load_b128 v[126:129], v2 offset:912
	s_wait_dscnt 0x1
	v_fmac_f64_e32 v[144:145], v[138:139], v[122:123]
	s_wait_loadcnt 0x1
	s_delay_alu instid0(VALU_DEP_1) | instskip(SKIP_1) | instid1(VALU_DEP_1)
	v_fmac_f64_e32 v[144:145], v[140:141], v[124:125]
	s_wait_dscnt 0x0
	v_fmac_f64_e32 v[144:145], v[142:143], v[126:127]
	s_wait_loadcnt 0x0
	s_delay_alu instid0(VALU_DEP_1) | instskip(NEXT) | instid1(VALU_DEP_1)
	v_fmac_f64_e32 v[144:145], v[146:147], v[128:129]
	v_add_f64_e64 v[2:3], v[120:121], -v[144:145]
	scratch_store_b64 off, v[2:3], off offset:360
	s_wait_xcnt 0x0
	v_cmpx_lt_u32_e32 44, v0
	s_cbranch_execz .LBB121_269
; %bb.268:
	scratch_load_b64 v[2:3], off, off offset:352
	v_mov_b64_e32 v[120:121], 0
	scratch_store_b64 off, v[120:121], off offset:352
	s_wait_loadcnt 0x0
	ds_store_b64 v1, v[2:3]
.LBB121_269:
	s_wait_xcnt 0x0
	s_or_b32 exec_lo, exec_lo, s0
	s_wait_storecnt_dscnt 0x0
	s_barrier_signal -1
	s_barrier_wait -1
	s_clause 0x5
	scratch_load_b128 v[120:123], off, off offset:352
	scratch_load_b128 v[124:127], off, off offset:368
	;; [unrolled: 1-line block ×6, first 2 shown]
	v_mov_b32_e32 v2, 0
	ds_load_2addr_b64 v[144:147], v2 offset0:103 offset1:104
	ds_load_2addr_b64 v[148:151], v2 offset0:105 offset1:106
	s_mov_b32 s0, exec_lo
	s_wait_loadcnt_dscnt 0x501
	v_fma_f64 v[152:153], v[122:123], v[144:145], 0
	s_wait_loadcnt 0x4
	s_delay_alu instid0(VALU_DEP_1) | instskip(SKIP_4) | instid1(VALU_DEP_1)
	v_fmac_f64_e32 v[152:153], v[124:125], v[146:147]
	scratch_load_b128 v[122:125], off, off offset:448
	s_wait_dscnt 0x0
	v_fmac_f64_e32 v[152:153], v[126:127], v[148:149]
	s_wait_loadcnt 0x4
	v_fmac_f64_e32 v[152:153], v[128:129], v[150:151]
	ds_load_2addr_b64 v[126:129], v2 offset0:107 offset1:108
	ds_load_2addr_b64 v[144:147], v2 offset0:109 offset1:110
	s_wait_dscnt 0x1
	v_fmac_f64_e32 v[152:153], v[130:131], v[126:127]
	s_wait_loadcnt 0x3
	s_delay_alu instid0(VALU_DEP_1)
	v_fmac_f64_e32 v[152:153], v[132:133], v[128:129]
	ds_load_2addr_b64 v[126:129], v2 offset0:111 offset1:112
	ds_load_2addr_b64 v[130:133], v2 offset0:113 offset1:114
	s_wait_dscnt 0x2
	v_fmac_f64_e32 v[152:153], v[134:135], v[144:145]
	s_wait_loadcnt 0x2
	s_delay_alu instid0(VALU_DEP_1) | instskip(SKIP_1) | instid1(VALU_DEP_1)
	v_fmac_f64_e32 v[152:153], v[136:137], v[146:147]
	s_wait_dscnt 0x1
	v_fmac_f64_e32 v[152:153], v[138:139], v[126:127]
	s_wait_loadcnt 0x1
	s_delay_alu instid0(VALU_DEP_1) | instskip(SKIP_1) | instid1(VALU_DEP_1)
	v_fmac_f64_e32 v[152:153], v[140:141], v[128:129]
	s_wait_dscnt 0x0
	v_fmac_f64_e32 v[152:153], v[142:143], v[130:131]
	s_wait_loadcnt 0x0
	s_delay_alu instid0(VALU_DEP_1) | instskip(SKIP_3) | instid1(VALU_DEP_1)
	v_fmac_f64_e32 v[152:153], v[122:123], v[132:133]
	ds_load_b64 v[122:123], v2 offset:920
	s_wait_dscnt 0x0
	v_fmac_f64_e32 v[152:153], v[124:125], v[122:123]
	v_add_f64_e64 v[120:121], v[120:121], -v[152:153]
	scratch_store_b64 off, v[120:121], off offset:352
	s_wait_xcnt 0x0
	v_cmpx_lt_u32_e32 43, v0
	s_cbranch_execz .LBB121_271
; %bb.270:
	scratch_load_b64 v[120:121], off, off offset:344
	v_mov_b64_e32 v[122:123], 0
	scratch_store_b64 off, v[122:123], off offset:344
	s_wait_loadcnt 0x0
	ds_store_b64 v1, v[120:121]
.LBB121_271:
	s_wait_xcnt 0x0
	s_or_b32 exec_lo, exec_lo, s0
	s_wait_storecnt_dscnt 0x0
	s_barrier_signal -1
	s_barrier_wait -1
	s_clause 0x5
	scratch_load_b128 v[120:123], off, off offset:344
	scratch_load_b128 v[124:127], off, off offset:360
	;; [unrolled: 1-line block ×6, first 2 shown]
	ds_load_b128 v[144:147], v2 offset:816
	ds_load_b128 v[148:151], v2 offset:832
	s_mov_b32 s0, exec_lo
	s_wait_loadcnt_dscnt 0x501
	v_fma_f64 v[152:153], v[122:123], v[144:145], 0
	s_wait_loadcnt 0x4
	s_delay_alu instid0(VALU_DEP_1)
	v_fmac_f64_e32 v[152:153], v[124:125], v[146:147]
	scratch_load_b128 v[122:125], off, off offset:440
	s_wait_dscnt 0x0
	v_fmac_f64_e32 v[152:153], v[126:127], v[148:149]
	scratch_load_b64 v[148:149], off, off offset:456
	s_wait_loadcnt 0x5
	v_fmac_f64_e32 v[152:153], v[128:129], v[150:151]
	ds_load_b128 v[126:129], v2 offset:848
	ds_load_b128 v[144:147], v2 offset:864
	s_wait_dscnt 0x1
	v_fmac_f64_e32 v[152:153], v[130:131], v[126:127]
	s_wait_loadcnt 0x4
	s_delay_alu instid0(VALU_DEP_1)
	v_fmac_f64_e32 v[152:153], v[132:133], v[128:129]
	ds_load_b128 v[126:129], v2 offset:880
	ds_load_b128 v[130:133], v2 offset:896
	s_wait_dscnt 0x2
	v_fmac_f64_e32 v[152:153], v[134:135], v[144:145]
	s_wait_loadcnt 0x3
	s_delay_alu instid0(VALU_DEP_1) | instskip(SKIP_1) | instid1(VALU_DEP_1)
	v_fmac_f64_e32 v[152:153], v[136:137], v[146:147]
	s_wait_dscnt 0x1
	v_fmac_f64_e32 v[152:153], v[138:139], v[126:127]
	s_wait_loadcnt 0x2
	s_delay_alu instid0(VALU_DEP_1) | instskip(SKIP_4) | instid1(VALU_DEP_1)
	v_fmac_f64_e32 v[152:153], v[140:141], v[128:129]
	ds_load_b128 v[126:129], v2 offset:912
	s_wait_dscnt 0x1
	v_fmac_f64_e32 v[152:153], v[142:143], v[130:131]
	s_wait_loadcnt 0x1
	v_fmac_f64_e32 v[152:153], v[122:123], v[132:133]
	s_wait_dscnt 0x0
	s_delay_alu instid0(VALU_DEP_1) | instskip(SKIP_1) | instid1(VALU_DEP_1)
	v_fmac_f64_e32 v[152:153], v[124:125], v[126:127]
	s_wait_loadcnt 0x0
	v_fmac_f64_e32 v[152:153], v[148:149], v[128:129]
	s_delay_alu instid0(VALU_DEP_1)
	v_add_f64_e64 v[2:3], v[120:121], -v[152:153]
	scratch_store_b64 off, v[2:3], off offset:344
	s_wait_xcnt 0x0
	v_cmpx_lt_u32_e32 42, v0
	s_cbranch_execz .LBB121_273
; %bb.272:
	scratch_load_b64 v[2:3], off, off offset:336
	v_mov_b64_e32 v[120:121], 0
	scratch_store_b64 off, v[120:121], off offset:336
	s_wait_loadcnt 0x0
	ds_store_b64 v1, v[2:3]
.LBB121_273:
	s_wait_xcnt 0x0
	s_or_b32 exec_lo, exec_lo, s0
	s_wait_storecnt_dscnt 0x0
	s_barrier_signal -1
	s_barrier_wait -1
	s_clause 0x5
	scratch_load_b128 v[120:123], off, off offset:336
	scratch_load_b128 v[124:127], off, off offset:352
	;; [unrolled: 1-line block ×6, first 2 shown]
	v_mov_b32_e32 v2, 0
	ds_load_2addr_b64 v[144:147], v2 offset0:101 offset1:102
	ds_load_2addr_b64 v[148:151], v2 offset0:103 offset1:104
	s_mov_b32 s0, exec_lo
	s_wait_loadcnt_dscnt 0x501
	v_fma_f64 v[152:153], v[122:123], v[144:145], 0
	s_wait_loadcnt 0x4
	s_delay_alu instid0(VALU_DEP_1) | instskip(SKIP_4) | instid1(VALU_DEP_1)
	v_fmac_f64_e32 v[152:153], v[124:125], v[146:147]
	scratch_load_b128 v[122:125], off, off offset:432
	s_wait_dscnt 0x0
	v_fmac_f64_e32 v[152:153], v[126:127], v[148:149]
	s_wait_loadcnt 0x4
	v_fmac_f64_e32 v[152:153], v[128:129], v[150:151]
	scratch_load_b128 v[126:129], off, off offset:448
	ds_load_2addr_b64 v[144:147], v2 offset0:105 offset1:106
	ds_load_2addr_b64 v[148:151], v2 offset0:107 offset1:108
	s_wait_dscnt 0x1
	v_fmac_f64_e32 v[152:153], v[130:131], v[144:145]
	s_wait_loadcnt 0x4
	s_delay_alu instid0(VALU_DEP_1) | instskip(SKIP_1) | instid1(VALU_DEP_1)
	v_fmac_f64_e32 v[152:153], v[132:133], v[146:147]
	s_wait_dscnt 0x0
	v_fmac_f64_e32 v[152:153], v[134:135], v[148:149]
	s_wait_loadcnt 0x3
	s_delay_alu instid0(VALU_DEP_1)
	v_fmac_f64_e32 v[152:153], v[136:137], v[150:151]
	ds_load_2addr_b64 v[130:133], v2 offset0:109 offset1:110
	ds_load_2addr_b64 v[134:137], v2 offset0:111 offset1:112
	s_wait_dscnt 0x1
	v_fmac_f64_e32 v[152:153], v[138:139], v[130:131]
	s_wait_loadcnt 0x2
	s_delay_alu instid0(VALU_DEP_1) | instskip(SKIP_1) | instid1(VALU_DEP_1)
	v_fmac_f64_e32 v[152:153], v[140:141], v[132:133]
	s_wait_dscnt 0x0
	v_fmac_f64_e32 v[152:153], v[142:143], v[134:135]
	s_wait_loadcnt 0x1
	s_delay_alu instid0(VALU_DEP_1)
	v_fmac_f64_e32 v[152:153], v[122:123], v[136:137]
	ds_load_2addr_b64 v[130:133], v2 offset0:113 offset1:114
	ds_load_b64 v[122:123], v2 offset:920
	s_wait_dscnt 0x1
	v_fmac_f64_e32 v[152:153], v[124:125], v[130:131]
	s_wait_loadcnt 0x0
	s_delay_alu instid0(VALU_DEP_1) | instskip(SKIP_1) | instid1(VALU_DEP_1)
	v_fmac_f64_e32 v[152:153], v[126:127], v[132:133]
	s_wait_dscnt 0x0
	v_fmac_f64_e32 v[152:153], v[128:129], v[122:123]
	s_delay_alu instid0(VALU_DEP_1)
	v_add_f64_e64 v[120:121], v[120:121], -v[152:153]
	scratch_store_b64 off, v[120:121], off offset:336
	s_wait_xcnt 0x0
	v_cmpx_lt_u32_e32 41, v0
	s_cbranch_execz .LBB121_275
; %bb.274:
	scratch_load_b64 v[120:121], off, off offset:328
	v_mov_b64_e32 v[122:123], 0
	scratch_store_b64 off, v[122:123], off offset:328
	s_wait_loadcnt 0x0
	ds_store_b64 v1, v[120:121]
.LBB121_275:
	s_wait_xcnt 0x0
	s_or_b32 exec_lo, exec_lo, s0
	s_wait_storecnt_dscnt 0x0
	s_barrier_signal -1
	s_barrier_wait -1
	s_clause 0x5
	scratch_load_b128 v[120:123], off, off offset:328
	scratch_load_b128 v[124:127], off, off offset:344
	;; [unrolled: 1-line block ×6, first 2 shown]
	ds_load_b128 v[144:147], v2 offset:800
	ds_load_b128 v[148:151], v2 offset:816
	s_mov_b32 s0, exec_lo
	s_wait_loadcnt_dscnt 0x501
	v_fma_f64 v[152:153], v[122:123], v[144:145], 0
	s_wait_loadcnt 0x4
	s_delay_alu instid0(VALU_DEP_1) | instskip(SKIP_4) | instid1(VALU_DEP_1)
	v_fmac_f64_e32 v[152:153], v[124:125], v[146:147]
	scratch_load_b128 v[122:125], off, off offset:424
	s_wait_dscnt 0x0
	v_fmac_f64_e32 v[152:153], v[126:127], v[148:149]
	s_wait_loadcnt 0x4
	v_fmac_f64_e32 v[152:153], v[128:129], v[150:151]
	scratch_load_b128 v[126:129], off, off offset:440
	ds_load_b128 v[144:147], v2 offset:832
	ds_load_b128 v[148:151], v2 offset:848
	s_wait_dscnt 0x1
	v_fmac_f64_e32 v[152:153], v[130:131], v[144:145]
	scratch_load_b64 v[144:145], off, off offset:456
	s_wait_loadcnt 0x5
	v_fmac_f64_e32 v[152:153], v[132:133], v[146:147]
	s_wait_dscnt 0x0
	s_delay_alu instid0(VALU_DEP_1) | instskip(SKIP_1) | instid1(VALU_DEP_1)
	v_fmac_f64_e32 v[152:153], v[134:135], v[148:149]
	s_wait_loadcnt 0x4
	v_fmac_f64_e32 v[152:153], v[136:137], v[150:151]
	ds_load_b128 v[130:133], v2 offset:864
	ds_load_b128 v[134:137], v2 offset:880
	s_wait_dscnt 0x1
	v_fmac_f64_e32 v[152:153], v[138:139], v[130:131]
	s_wait_loadcnt 0x3
	s_delay_alu instid0(VALU_DEP_1) | instskip(SKIP_1) | instid1(VALU_DEP_1)
	v_fmac_f64_e32 v[152:153], v[140:141], v[132:133]
	s_wait_dscnt 0x0
	v_fmac_f64_e32 v[152:153], v[142:143], v[134:135]
	s_wait_loadcnt 0x2
	s_delay_alu instid0(VALU_DEP_1)
	v_fmac_f64_e32 v[152:153], v[122:123], v[136:137]
	ds_load_b128 v[130:133], v2 offset:896
	ds_load_b128 v[134:137], v2 offset:912
	s_wait_dscnt 0x1
	v_fmac_f64_e32 v[152:153], v[124:125], v[130:131]
	s_wait_loadcnt 0x1
	s_delay_alu instid0(VALU_DEP_1) | instskip(SKIP_1) | instid1(VALU_DEP_1)
	v_fmac_f64_e32 v[152:153], v[126:127], v[132:133]
	s_wait_dscnt 0x0
	v_fmac_f64_e32 v[152:153], v[128:129], v[134:135]
	s_wait_loadcnt 0x0
	s_delay_alu instid0(VALU_DEP_1) | instskip(NEXT) | instid1(VALU_DEP_1)
	v_fmac_f64_e32 v[152:153], v[144:145], v[136:137]
	v_add_f64_e64 v[2:3], v[120:121], -v[152:153]
	scratch_store_b64 off, v[2:3], off offset:328
	s_wait_xcnt 0x0
	v_cmpx_lt_u32_e32 40, v0
	s_cbranch_execz .LBB121_277
; %bb.276:
	scratch_load_b64 v[2:3], off, off offset:320
	v_mov_b64_e32 v[120:121], 0
	scratch_store_b64 off, v[120:121], off offset:320
	s_wait_loadcnt 0x0
	ds_store_b64 v1, v[2:3]
.LBB121_277:
	s_wait_xcnt 0x0
	s_or_b32 exec_lo, exec_lo, s0
	s_wait_storecnt_dscnt 0x0
	s_barrier_signal -1
	s_barrier_wait -1
	s_clause 0x5
	scratch_load_b128 v[120:123], off, off offset:320
	scratch_load_b128 v[124:127], off, off offset:336
	;; [unrolled: 1-line block ×6, first 2 shown]
	v_mov_b32_e32 v2, 0
	ds_load_2addr_b64 v[144:147], v2 offset0:99 offset1:100
	ds_load_2addr_b64 v[148:151], v2 offset0:101 offset1:102
	s_mov_b32 s0, exec_lo
	s_wait_loadcnt_dscnt 0x501
	v_fma_f64 v[152:153], v[122:123], v[144:145], 0
	s_wait_loadcnt 0x4
	s_delay_alu instid0(VALU_DEP_1) | instskip(SKIP_4) | instid1(VALU_DEP_1)
	v_fmac_f64_e32 v[152:153], v[124:125], v[146:147]
	scratch_load_b128 v[122:125], off, off offset:416
	s_wait_dscnt 0x0
	v_fmac_f64_e32 v[152:153], v[126:127], v[148:149]
	s_wait_loadcnt 0x4
	v_fmac_f64_e32 v[152:153], v[128:129], v[150:151]
	scratch_load_b128 v[126:129], off, off offset:432
	ds_load_2addr_b64 v[144:147], v2 offset0:103 offset1:104
	ds_load_2addr_b64 v[148:151], v2 offset0:105 offset1:106
	s_wait_dscnt 0x1
	v_fmac_f64_e32 v[152:153], v[130:131], v[144:145]
	s_wait_loadcnt 0x4
	s_delay_alu instid0(VALU_DEP_1) | instskip(SKIP_4) | instid1(VALU_DEP_1)
	v_fmac_f64_e32 v[152:153], v[132:133], v[146:147]
	scratch_load_b128 v[130:133], off, off offset:448
	s_wait_dscnt 0x0
	v_fmac_f64_e32 v[152:153], v[134:135], v[148:149]
	s_wait_loadcnt 0x4
	v_fmac_f64_e32 v[152:153], v[136:137], v[150:151]
	ds_load_2addr_b64 v[134:137], v2 offset0:107 offset1:108
	ds_load_2addr_b64 v[144:147], v2 offset0:109 offset1:110
	s_wait_dscnt 0x1
	v_fmac_f64_e32 v[152:153], v[138:139], v[134:135]
	s_wait_loadcnt 0x3
	s_delay_alu instid0(VALU_DEP_1)
	v_fmac_f64_e32 v[152:153], v[140:141], v[136:137]
	ds_load_2addr_b64 v[134:137], v2 offset0:111 offset1:112
	ds_load_2addr_b64 v[138:141], v2 offset0:113 offset1:114
	s_wait_dscnt 0x2
	v_fmac_f64_e32 v[152:153], v[142:143], v[144:145]
	s_wait_loadcnt 0x2
	s_delay_alu instid0(VALU_DEP_1) | instskip(SKIP_4) | instid1(VALU_DEP_1)
	v_fmac_f64_e32 v[152:153], v[122:123], v[146:147]
	ds_load_b64 v[122:123], v2 offset:920
	s_wait_dscnt 0x2
	v_fmac_f64_e32 v[152:153], v[124:125], v[134:135]
	s_wait_loadcnt 0x1
	v_fmac_f64_e32 v[152:153], v[126:127], v[136:137]
	s_wait_dscnt 0x1
	s_delay_alu instid0(VALU_DEP_1) | instskip(SKIP_1) | instid1(VALU_DEP_1)
	v_fmac_f64_e32 v[152:153], v[128:129], v[138:139]
	s_wait_loadcnt 0x0
	v_fmac_f64_e32 v[152:153], v[130:131], v[140:141]
	s_wait_dscnt 0x0
	s_delay_alu instid0(VALU_DEP_1) | instskip(NEXT) | instid1(VALU_DEP_1)
	v_fmac_f64_e32 v[152:153], v[132:133], v[122:123]
	v_add_f64_e64 v[120:121], v[120:121], -v[152:153]
	scratch_store_b64 off, v[120:121], off offset:320
	s_wait_xcnt 0x0
	v_cmpx_lt_u32_e32 39, v0
	s_cbranch_execz .LBB121_279
; %bb.278:
	scratch_load_b64 v[120:121], off, off offset:312
	v_mov_b64_e32 v[122:123], 0
	scratch_store_b64 off, v[122:123], off offset:312
	s_wait_loadcnt 0x0
	ds_store_b64 v1, v[120:121]
.LBB121_279:
	s_wait_xcnt 0x0
	s_or_b32 exec_lo, exec_lo, s0
	s_wait_storecnt_dscnt 0x0
	s_barrier_signal -1
	s_barrier_wait -1
	s_clause 0x5
	scratch_load_b128 v[120:123], off, off offset:312
	scratch_load_b128 v[124:127], off, off offset:328
	;; [unrolled: 1-line block ×6, first 2 shown]
	ds_load_b128 v[144:147], v2 offset:784
	ds_load_b128 v[148:151], v2 offset:800
	s_mov_b32 s0, exec_lo
	s_wait_loadcnt_dscnt 0x501
	v_fma_f64 v[152:153], v[122:123], v[144:145], 0
	s_wait_loadcnt 0x4
	s_delay_alu instid0(VALU_DEP_1) | instskip(SKIP_4) | instid1(VALU_DEP_1)
	v_fmac_f64_e32 v[152:153], v[124:125], v[146:147]
	scratch_load_b128 v[122:125], off, off offset:408
	s_wait_dscnt 0x0
	v_fmac_f64_e32 v[152:153], v[126:127], v[148:149]
	s_wait_loadcnt 0x4
	v_fmac_f64_e32 v[152:153], v[128:129], v[150:151]
	scratch_load_b128 v[126:129], off, off offset:424
	ds_load_b128 v[144:147], v2 offset:816
	ds_load_b128 v[148:151], v2 offset:832
	s_wait_dscnt 0x1
	v_fmac_f64_e32 v[152:153], v[130:131], v[144:145]
	s_wait_loadcnt 0x4
	s_delay_alu instid0(VALU_DEP_1)
	v_fmac_f64_e32 v[152:153], v[132:133], v[146:147]
	scratch_load_b128 v[130:133], off, off offset:440
	s_wait_dscnt 0x0
	v_fmac_f64_e32 v[152:153], v[134:135], v[148:149]
	scratch_load_b64 v[148:149], off, off offset:456
	s_wait_loadcnt 0x5
	v_fmac_f64_e32 v[152:153], v[136:137], v[150:151]
	ds_load_b128 v[134:137], v2 offset:848
	ds_load_b128 v[144:147], v2 offset:864
	s_wait_dscnt 0x1
	v_fmac_f64_e32 v[152:153], v[138:139], v[134:135]
	s_wait_loadcnt 0x4
	s_delay_alu instid0(VALU_DEP_1)
	v_fmac_f64_e32 v[152:153], v[140:141], v[136:137]
	ds_load_b128 v[134:137], v2 offset:880
	ds_load_b128 v[138:141], v2 offset:896
	s_wait_dscnt 0x2
	v_fmac_f64_e32 v[152:153], v[142:143], v[144:145]
	s_wait_loadcnt 0x3
	s_delay_alu instid0(VALU_DEP_1) | instskip(SKIP_1) | instid1(VALU_DEP_1)
	v_fmac_f64_e32 v[152:153], v[122:123], v[146:147]
	s_wait_dscnt 0x1
	v_fmac_f64_e32 v[152:153], v[124:125], v[134:135]
	ds_load_b128 v[122:125], v2 offset:912
	s_wait_loadcnt 0x2
	v_fmac_f64_e32 v[152:153], v[126:127], v[136:137]
	s_wait_dscnt 0x1
	s_delay_alu instid0(VALU_DEP_1) | instskip(SKIP_1) | instid1(VALU_DEP_1)
	v_fmac_f64_e32 v[152:153], v[128:129], v[138:139]
	s_wait_loadcnt 0x1
	v_fmac_f64_e32 v[152:153], v[130:131], v[140:141]
	s_wait_dscnt 0x0
	s_delay_alu instid0(VALU_DEP_1) | instskip(SKIP_1) | instid1(VALU_DEP_1)
	v_fmac_f64_e32 v[152:153], v[132:133], v[122:123]
	s_wait_loadcnt 0x0
	v_fmac_f64_e32 v[152:153], v[148:149], v[124:125]
	s_delay_alu instid0(VALU_DEP_1)
	v_add_f64_e64 v[2:3], v[120:121], -v[152:153]
	scratch_store_b64 off, v[2:3], off offset:312
	s_wait_xcnt 0x0
	v_cmpx_lt_u32_e32 38, v0
	s_cbranch_execz .LBB121_281
; %bb.280:
	scratch_load_b64 v[2:3], off, off offset:304
	v_mov_b64_e32 v[120:121], 0
	scratch_store_b64 off, v[120:121], off offset:304
	s_wait_loadcnt 0x0
	ds_store_b64 v1, v[2:3]
.LBB121_281:
	s_wait_xcnt 0x0
	s_or_b32 exec_lo, exec_lo, s0
	s_wait_storecnt_dscnt 0x0
	s_barrier_signal -1
	s_barrier_wait -1
	s_clause 0x5
	scratch_load_b128 v[120:123], off, off offset:304
	scratch_load_b128 v[124:127], off, off offset:320
	;; [unrolled: 1-line block ×6, first 2 shown]
	v_mov_b32_e32 v2, 0
	ds_load_2addr_b64 v[144:147], v2 offset0:97 offset1:98
	ds_load_2addr_b64 v[148:151], v2 offset0:99 offset1:100
	s_mov_b32 s0, exec_lo
	s_wait_loadcnt_dscnt 0x501
	v_fma_f64 v[152:153], v[122:123], v[144:145], 0
	s_wait_loadcnt 0x4
	s_delay_alu instid0(VALU_DEP_1) | instskip(SKIP_4) | instid1(VALU_DEP_1)
	v_fmac_f64_e32 v[152:153], v[124:125], v[146:147]
	scratch_load_b128 v[122:125], off, off offset:400
	s_wait_dscnt 0x0
	v_fmac_f64_e32 v[152:153], v[126:127], v[148:149]
	s_wait_loadcnt 0x4
	v_fmac_f64_e32 v[152:153], v[128:129], v[150:151]
	scratch_load_b128 v[126:129], off, off offset:416
	ds_load_2addr_b64 v[144:147], v2 offset0:101 offset1:102
	ds_load_2addr_b64 v[148:151], v2 offset0:103 offset1:104
	s_wait_dscnt 0x1
	v_fmac_f64_e32 v[152:153], v[130:131], v[144:145]
	s_wait_loadcnt 0x4
	s_delay_alu instid0(VALU_DEP_1) | instskip(SKIP_4) | instid1(VALU_DEP_1)
	v_fmac_f64_e32 v[152:153], v[132:133], v[146:147]
	scratch_load_b128 v[130:133], off, off offset:432
	s_wait_dscnt 0x0
	v_fmac_f64_e32 v[152:153], v[134:135], v[148:149]
	s_wait_loadcnt 0x4
	v_fmac_f64_e32 v[152:153], v[136:137], v[150:151]
	scratch_load_b128 v[134:137], off, off offset:448
	ds_load_2addr_b64 v[144:147], v2 offset0:105 offset1:106
	ds_load_2addr_b64 v[148:151], v2 offset0:107 offset1:108
	s_wait_dscnt 0x1
	v_fmac_f64_e32 v[152:153], v[138:139], v[144:145]
	s_wait_loadcnt 0x4
	s_delay_alu instid0(VALU_DEP_1) | instskip(SKIP_1) | instid1(VALU_DEP_1)
	v_fmac_f64_e32 v[152:153], v[140:141], v[146:147]
	s_wait_dscnt 0x0
	v_fmac_f64_e32 v[152:153], v[142:143], v[148:149]
	ds_load_2addr_b64 v[138:141], v2 offset0:109 offset1:110
	ds_load_2addr_b64 v[142:145], v2 offset0:111 offset1:112
	s_wait_loadcnt 0x3
	v_fmac_f64_e32 v[152:153], v[122:123], v[150:151]
	s_wait_dscnt 0x1
	s_delay_alu instid0(VALU_DEP_1) | instskip(SKIP_1) | instid1(VALU_DEP_1)
	v_fmac_f64_e32 v[152:153], v[124:125], v[138:139]
	s_wait_loadcnt 0x2
	v_fmac_f64_e32 v[152:153], v[126:127], v[140:141]
	ds_load_2addr_b64 v[122:125], v2 offset0:113 offset1:114
	ds_load_b64 v[126:127], v2 offset:920
	s_wait_dscnt 0x2
	v_fmac_f64_e32 v[152:153], v[128:129], v[142:143]
	s_wait_loadcnt 0x1
	s_delay_alu instid0(VALU_DEP_1) | instskip(SKIP_1) | instid1(VALU_DEP_1)
	v_fmac_f64_e32 v[152:153], v[130:131], v[144:145]
	s_wait_dscnt 0x1
	v_fmac_f64_e32 v[152:153], v[132:133], v[122:123]
	s_wait_loadcnt 0x0
	s_delay_alu instid0(VALU_DEP_1) | instskip(SKIP_1) | instid1(VALU_DEP_1)
	v_fmac_f64_e32 v[152:153], v[134:135], v[124:125]
	s_wait_dscnt 0x0
	v_fmac_f64_e32 v[152:153], v[136:137], v[126:127]
	s_delay_alu instid0(VALU_DEP_1)
	v_add_f64_e64 v[120:121], v[120:121], -v[152:153]
	scratch_store_b64 off, v[120:121], off offset:304
	s_wait_xcnt 0x0
	v_cmpx_lt_u32_e32 37, v0
	s_cbranch_execz .LBB121_283
; %bb.282:
	scratch_load_b64 v[120:121], off, off offset:296
	v_mov_b64_e32 v[122:123], 0
	scratch_store_b64 off, v[122:123], off offset:296
	s_wait_loadcnt 0x0
	ds_store_b64 v1, v[120:121]
.LBB121_283:
	s_wait_xcnt 0x0
	s_or_b32 exec_lo, exec_lo, s0
	s_wait_storecnt_dscnt 0x0
	s_barrier_signal -1
	s_barrier_wait -1
	s_clause 0x5
	scratch_load_b128 v[120:123], off, off offset:296
	scratch_load_b128 v[124:127], off, off offset:312
	;; [unrolled: 1-line block ×6, first 2 shown]
	ds_load_b128 v[144:147], v2 offset:768
	ds_load_b128 v[148:151], v2 offset:784
	s_mov_b32 s0, exec_lo
	s_wait_loadcnt_dscnt 0x501
	v_fma_f64 v[152:153], v[122:123], v[144:145], 0
	s_wait_loadcnt 0x4
	s_delay_alu instid0(VALU_DEP_1) | instskip(SKIP_4) | instid1(VALU_DEP_1)
	v_fmac_f64_e32 v[152:153], v[124:125], v[146:147]
	scratch_load_b128 v[122:125], off, off offset:392
	s_wait_dscnt 0x0
	v_fmac_f64_e32 v[152:153], v[126:127], v[148:149]
	s_wait_loadcnt 0x4
	v_fmac_f64_e32 v[152:153], v[128:129], v[150:151]
	scratch_load_b128 v[126:129], off, off offset:408
	ds_load_b128 v[144:147], v2 offset:800
	ds_load_b128 v[148:151], v2 offset:816
	s_wait_dscnt 0x1
	v_fmac_f64_e32 v[152:153], v[130:131], v[144:145]
	s_wait_loadcnt 0x4
	s_delay_alu instid0(VALU_DEP_1) | instskip(SKIP_4) | instid1(VALU_DEP_1)
	v_fmac_f64_e32 v[152:153], v[132:133], v[146:147]
	scratch_load_b128 v[130:133], off, off offset:424
	s_wait_dscnt 0x0
	v_fmac_f64_e32 v[152:153], v[134:135], v[148:149]
	s_wait_loadcnt 0x4
	v_fmac_f64_e32 v[152:153], v[136:137], v[150:151]
	scratch_load_b128 v[134:137], off, off offset:440
	ds_load_b128 v[144:147], v2 offset:832
	ds_load_b128 v[148:151], v2 offset:848
	s_wait_dscnt 0x1
	v_fmac_f64_e32 v[152:153], v[138:139], v[144:145]
	s_wait_loadcnt 0x4
	s_delay_alu instid0(VALU_DEP_1)
	v_fmac_f64_e32 v[152:153], v[140:141], v[146:147]
	scratch_load_b64 v[146:147], off, off offset:456
	s_wait_dscnt 0x0
	v_fmac_f64_e32 v[152:153], v[142:143], v[148:149]
	ds_load_b128 v[138:141], v2 offset:864
	ds_load_b128 v[142:145], v2 offset:880
	s_wait_loadcnt 0x4
	v_fmac_f64_e32 v[152:153], v[122:123], v[150:151]
	s_wait_dscnt 0x1
	s_delay_alu instid0(VALU_DEP_1) | instskip(SKIP_1) | instid1(VALU_DEP_1)
	v_fmac_f64_e32 v[152:153], v[124:125], v[138:139]
	s_wait_loadcnt 0x3
	v_fmac_f64_e32 v[152:153], v[126:127], v[140:141]
	s_wait_dscnt 0x0
	s_delay_alu instid0(VALU_DEP_1)
	v_fmac_f64_e32 v[152:153], v[128:129], v[142:143]
	ds_load_b128 v[122:125], v2 offset:896
	ds_load_b128 v[126:129], v2 offset:912
	s_wait_loadcnt 0x2
	v_fmac_f64_e32 v[152:153], v[130:131], v[144:145]
	s_wait_dscnt 0x1
	s_delay_alu instid0(VALU_DEP_1) | instskip(SKIP_1) | instid1(VALU_DEP_1)
	v_fmac_f64_e32 v[152:153], v[132:133], v[122:123]
	s_wait_loadcnt 0x1
	v_fmac_f64_e32 v[152:153], v[134:135], v[124:125]
	s_wait_dscnt 0x0
	s_delay_alu instid0(VALU_DEP_1) | instskip(SKIP_1) | instid1(VALU_DEP_1)
	v_fmac_f64_e32 v[152:153], v[136:137], v[126:127]
	s_wait_loadcnt 0x0
	v_fmac_f64_e32 v[152:153], v[146:147], v[128:129]
	s_delay_alu instid0(VALU_DEP_1)
	v_add_f64_e64 v[2:3], v[120:121], -v[152:153]
	scratch_store_b64 off, v[2:3], off offset:296
	s_wait_xcnt 0x0
	v_cmpx_lt_u32_e32 36, v0
	s_cbranch_execz .LBB121_285
; %bb.284:
	scratch_load_b64 v[2:3], off, off offset:288
	v_mov_b64_e32 v[120:121], 0
	scratch_store_b64 off, v[120:121], off offset:288
	s_wait_loadcnt 0x0
	ds_store_b64 v1, v[2:3]
.LBB121_285:
	s_wait_xcnt 0x0
	s_or_b32 exec_lo, exec_lo, s0
	s_wait_storecnt_dscnt 0x0
	s_barrier_signal -1
	s_barrier_wait -1
	s_clause 0x5
	scratch_load_b128 v[120:123], off, off offset:288
	scratch_load_b128 v[124:127], off, off offset:304
	;; [unrolled: 1-line block ×6, first 2 shown]
	v_mov_b32_e32 v2, 0
	ds_load_2addr_b64 v[144:147], v2 offset0:95 offset1:96
	ds_load_2addr_b64 v[148:151], v2 offset0:97 offset1:98
	s_mov_b32 s0, exec_lo
	s_wait_loadcnt_dscnt 0x501
	v_fma_f64 v[152:153], v[122:123], v[144:145], 0
	s_wait_loadcnt 0x4
	s_delay_alu instid0(VALU_DEP_1) | instskip(SKIP_4) | instid1(VALU_DEP_1)
	v_fmac_f64_e32 v[152:153], v[124:125], v[146:147]
	scratch_load_b128 v[122:125], off, off offset:384
	s_wait_dscnt 0x0
	v_fmac_f64_e32 v[152:153], v[126:127], v[148:149]
	s_wait_loadcnt 0x4
	v_fmac_f64_e32 v[152:153], v[128:129], v[150:151]
	scratch_load_b128 v[126:129], off, off offset:400
	ds_load_2addr_b64 v[144:147], v2 offset0:99 offset1:100
	ds_load_2addr_b64 v[148:151], v2 offset0:101 offset1:102
	s_wait_dscnt 0x1
	v_fmac_f64_e32 v[152:153], v[130:131], v[144:145]
	s_wait_loadcnt 0x4
	s_delay_alu instid0(VALU_DEP_1) | instskip(SKIP_4) | instid1(VALU_DEP_1)
	v_fmac_f64_e32 v[152:153], v[132:133], v[146:147]
	scratch_load_b128 v[130:133], off, off offset:416
	s_wait_dscnt 0x0
	v_fmac_f64_e32 v[152:153], v[134:135], v[148:149]
	s_wait_loadcnt 0x4
	v_fmac_f64_e32 v[152:153], v[136:137], v[150:151]
	scratch_load_b128 v[134:137], off, off offset:432
	ds_load_2addr_b64 v[144:147], v2 offset0:103 offset1:104
	ds_load_2addr_b64 v[148:151], v2 offset0:105 offset1:106
	s_wait_dscnt 0x1
	v_fmac_f64_e32 v[152:153], v[138:139], v[144:145]
	s_wait_loadcnt 0x4
	s_delay_alu instid0(VALU_DEP_1)
	v_fmac_f64_e32 v[152:153], v[140:141], v[146:147]
	scratch_load_b128 v[138:141], off, off offset:448
	s_wait_dscnt 0x0
	v_fmac_f64_e32 v[152:153], v[142:143], v[148:149]
	ds_load_2addr_b64 v[142:145], v2 offset0:107 offset1:108
	ds_load_2addr_b64 v[146:149], v2 offset0:109 offset1:110
	s_wait_loadcnt 0x4
	v_fmac_f64_e32 v[152:153], v[122:123], v[150:151]
	s_wait_dscnt 0x1
	s_delay_alu instid0(VALU_DEP_1) | instskip(SKIP_1) | instid1(VALU_DEP_1)
	v_fmac_f64_e32 v[152:153], v[124:125], v[142:143]
	s_wait_loadcnt 0x3
	v_fmac_f64_e32 v[152:153], v[126:127], v[144:145]
	s_wait_dscnt 0x0
	s_delay_alu instid0(VALU_DEP_1)
	v_fmac_f64_e32 v[152:153], v[128:129], v[146:147]
	ds_load_2addr_b64 v[122:125], v2 offset0:111 offset1:112
	ds_load_2addr_b64 v[126:129], v2 offset0:113 offset1:114
	s_wait_loadcnt 0x2
	v_fmac_f64_e32 v[152:153], v[130:131], v[148:149]
	s_wait_dscnt 0x1
	s_delay_alu instid0(VALU_DEP_1) | instskip(SKIP_4) | instid1(VALU_DEP_1)
	v_fmac_f64_e32 v[152:153], v[132:133], v[122:123]
	ds_load_b64 v[122:123], v2 offset:920
	s_wait_loadcnt 0x1
	v_fmac_f64_e32 v[152:153], v[134:135], v[124:125]
	s_wait_dscnt 0x1
	v_fmac_f64_e32 v[152:153], v[136:137], v[126:127]
	s_wait_loadcnt 0x0
	s_delay_alu instid0(VALU_DEP_1) | instskip(SKIP_1) | instid1(VALU_DEP_1)
	v_fmac_f64_e32 v[152:153], v[138:139], v[128:129]
	s_wait_dscnt 0x0
	v_fmac_f64_e32 v[152:153], v[140:141], v[122:123]
	s_delay_alu instid0(VALU_DEP_1)
	v_add_f64_e64 v[120:121], v[120:121], -v[152:153]
	scratch_store_b64 off, v[120:121], off offset:288
	s_wait_xcnt 0x0
	v_cmpx_lt_u32_e32 35, v0
	s_cbranch_execz .LBB121_287
; %bb.286:
	scratch_load_b64 v[120:121], off, off offset:280
	v_mov_b64_e32 v[122:123], 0
	scratch_store_b64 off, v[122:123], off offset:280
	s_wait_loadcnt 0x0
	ds_store_b64 v1, v[120:121]
.LBB121_287:
	s_wait_xcnt 0x0
	s_or_b32 exec_lo, exec_lo, s0
	s_wait_storecnt_dscnt 0x0
	s_barrier_signal -1
	s_barrier_wait -1
	s_clause 0x5
	scratch_load_b128 v[120:123], off, off offset:280
	scratch_load_b128 v[124:127], off, off offset:296
	;; [unrolled: 1-line block ×6, first 2 shown]
	ds_load_b128 v[144:147], v2 offset:752
	ds_load_b128 v[148:151], v2 offset:768
	scratch_load_b128 v[152:155], off, off offset:376
	s_mov_b32 s0, exec_lo
	s_wait_loadcnt_dscnt 0x601
	v_fma_f64 v[156:157], v[122:123], v[144:145], 0
	s_wait_loadcnt 0x5
	s_delay_alu instid0(VALU_DEP_1) | instskip(SKIP_4) | instid1(VALU_DEP_1)
	v_fmac_f64_e32 v[156:157], v[124:125], v[146:147]
	scratch_load_b128 v[122:125], off, off offset:392
	s_wait_dscnt 0x0
	v_fmac_f64_e32 v[156:157], v[126:127], v[148:149]
	s_wait_loadcnt 0x5
	v_fmac_f64_e32 v[156:157], v[128:129], v[150:151]
	ds_load_b128 v[126:129], v2 offset:784
	ds_load_b128 v[144:147], v2 offset:800
	s_wait_dscnt 0x1
	v_fmac_f64_e32 v[156:157], v[130:131], v[126:127]
	s_wait_loadcnt 0x4
	s_delay_alu instid0(VALU_DEP_1)
	v_fmac_f64_e32 v[156:157], v[132:133], v[128:129]
	s_clause 0x1
	scratch_load_b128 v[126:129], off, off offset:408
	scratch_load_b128 v[130:133], off, off offset:424
	s_wait_dscnt 0x0
	v_fmac_f64_e32 v[156:157], v[134:135], v[144:145]
	s_wait_loadcnt 0x5
	s_delay_alu instid0(VALU_DEP_1)
	v_fmac_f64_e32 v[156:157], v[136:137], v[146:147]
	ds_load_b128 v[134:137], v2 offset:816
	ds_load_b128 v[144:147], v2 offset:832
	s_wait_dscnt 0x1
	v_fmac_f64_e32 v[156:157], v[138:139], v[134:135]
	s_wait_loadcnt 0x4
	s_delay_alu instid0(VALU_DEP_1) | instskip(SKIP_4) | instid1(VALU_DEP_1)
	v_fmac_f64_e32 v[156:157], v[140:141], v[136:137]
	scratch_load_b128 v[134:137], off, off offset:440
	s_wait_dscnt 0x0
	v_fmac_f64_e32 v[156:157], v[142:143], v[144:145]
	s_wait_loadcnt 0x4
	v_fmac_f64_e32 v[156:157], v[152:153], v[146:147]
	scratch_load_b64 v[146:147], off, off offset:456
	ds_load_b128 v[138:141], v2 offset:848
	ds_load_b128 v[142:145], v2 offset:864
	s_wait_dscnt 0x1
	v_fmac_f64_e32 v[156:157], v[154:155], v[138:139]
	s_wait_loadcnt 0x4
	s_delay_alu instid0(VALU_DEP_1) | instskip(SKIP_1) | instid1(VALU_DEP_1)
	v_fmac_f64_e32 v[156:157], v[122:123], v[140:141]
	s_wait_dscnt 0x0
	v_fmac_f64_e32 v[156:157], v[124:125], v[142:143]
	ds_load_b128 v[122:125], v2 offset:880
	ds_load_b128 v[138:141], v2 offset:896
	s_wait_loadcnt 0x3
	v_fmac_f64_e32 v[156:157], v[126:127], v[144:145]
	s_wait_dscnt 0x1
	s_delay_alu instid0(VALU_DEP_1) | instskip(SKIP_1) | instid1(VALU_DEP_1)
	v_fmac_f64_e32 v[156:157], v[128:129], v[122:123]
	s_wait_loadcnt 0x2
	v_fmac_f64_e32 v[156:157], v[130:131], v[124:125]
	ds_load_b128 v[122:125], v2 offset:912
	s_wait_dscnt 0x1
	v_fmac_f64_e32 v[156:157], v[132:133], v[138:139]
	s_wait_loadcnt 0x1
	s_delay_alu instid0(VALU_DEP_1) | instskip(SKIP_1) | instid1(VALU_DEP_1)
	v_fmac_f64_e32 v[156:157], v[134:135], v[140:141]
	s_wait_dscnt 0x0
	v_fmac_f64_e32 v[156:157], v[136:137], v[122:123]
	s_wait_loadcnt 0x0
	s_delay_alu instid0(VALU_DEP_1) | instskip(NEXT) | instid1(VALU_DEP_1)
	v_fmac_f64_e32 v[156:157], v[146:147], v[124:125]
	v_add_f64_e64 v[2:3], v[120:121], -v[156:157]
	scratch_store_b64 off, v[2:3], off offset:280
	s_wait_xcnt 0x0
	v_cmpx_lt_u32_e32 34, v0
	s_cbranch_execz .LBB121_289
; %bb.288:
	scratch_load_b64 v[2:3], off, off offset:272
	v_mov_b64_e32 v[120:121], 0
	scratch_store_b64 off, v[120:121], off offset:272
	s_wait_loadcnt 0x0
	ds_store_b64 v1, v[2:3]
.LBB121_289:
	s_wait_xcnt 0x0
	s_or_b32 exec_lo, exec_lo, s0
	s_wait_storecnt_dscnt 0x0
	s_barrier_signal -1
	s_barrier_wait -1
	s_clause 0x5
	scratch_load_b128 v[120:123], off, off offset:272
	scratch_load_b128 v[124:127], off, off offset:288
	;; [unrolled: 1-line block ×6, first 2 shown]
	v_mov_b32_e32 v2, 0
	ds_load_2addr_b64 v[144:147], v2 offset0:93 offset1:94
	ds_load_2addr_b64 v[148:151], v2 offset0:95 offset1:96
	scratch_load_b128 v[152:155], off, off offset:368
	s_mov_b32 s0, exec_lo
	s_wait_loadcnt_dscnt 0x601
	v_fma_f64 v[156:157], v[122:123], v[144:145], 0
	s_wait_loadcnt 0x5
	s_delay_alu instid0(VALU_DEP_1) | instskip(SKIP_4) | instid1(VALU_DEP_1)
	v_fmac_f64_e32 v[156:157], v[124:125], v[146:147]
	scratch_load_b128 v[122:125], off, off offset:384
	s_wait_dscnt 0x0
	v_fmac_f64_e32 v[156:157], v[126:127], v[148:149]
	s_wait_loadcnt 0x5
	v_fmac_f64_e32 v[156:157], v[128:129], v[150:151]
	ds_load_2addr_b64 v[126:129], v2 offset0:97 offset1:98
	ds_load_2addr_b64 v[144:147], v2 offset0:99 offset1:100
	s_wait_dscnt 0x1
	v_fmac_f64_e32 v[156:157], v[130:131], v[126:127]
	s_wait_loadcnt 0x4
	s_delay_alu instid0(VALU_DEP_1)
	v_fmac_f64_e32 v[156:157], v[132:133], v[128:129]
	s_clause 0x1
	scratch_load_b128 v[126:129], off, off offset:400
	scratch_load_b128 v[130:133], off, off offset:416
	s_wait_dscnt 0x0
	v_fmac_f64_e32 v[156:157], v[134:135], v[144:145]
	s_wait_loadcnt 0x5
	s_delay_alu instid0(VALU_DEP_1)
	v_fmac_f64_e32 v[156:157], v[136:137], v[146:147]
	ds_load_2addr_b64 v[134:137], v2 offset0:101 offset1:102
	ds_load_2addr_b64 v[144:147], v2 offset0:103 offset1:104
	s_wait_dscnt 0x1
	v_fmac_f64_e32 v[156:157], v[138:139], v[134:135]
	s_wait_loadcnt 0x4
	s_delay_alu instid0(VALU_DEP_1)
	v_fmac_f64_e32 v[156:157], v[140:141], v[136:137]
	s_clause 0x1
	scratch_load_b128 v[134:137], off, off offset:432
	scratch_load_b128 v[138:141], off, off offset:448
	s_wait_dscnt 0x0
	v_fmac_f64_e32 v[156:157], v[142:143], v[144:145]
	s_wait_loadcnt 0x5
	s_delay_alu instid0(VALU_DEP_1)
	v_fmac_f64_e32 v[156:157], v[152:153], v[146:147]
	ds_load_2addr_b64 v[142:145], v2 offset0:105 offset1:106
	ds_load_2addr_b64 v[146:149], v2 offset0:107 offset1:108
	s_wait_dscnt 0x1
	v_fmac_f64_e32 v[156:157], v[154:155], v[142:143]
	s_wait_loadcnt 0x4
	s_delay_alu instid0(VALU_DEP_1) | instskip(SKIP_1) | instid1(VALU_DEP_1)
	v_fmac_f64_e32 v[156:157], v[122:123], v[144:145]
	s_wait_dscnt 0x0
	v_fmac_f64_e32 v[156:157], v[124:125], v[146:147]
	ds_load_2addr_b64 v[122:125], v2 offset0:109 offset1:110
	ds_load_2addr_b64 v[142:145], v2 offset0:111 offset1:112
	s_wait_loadcnt 0x3
	v_fmac_f64_e32 v[156:157], v[126:127], v[148:149]
	s_wait_dscnt 0x1
	s_delay_alu instid0(VALU_DEP_1) | instskip(SKIP_1) | instid1(VALU_DEP_1)
	v_fmac_f64_e32 v[156:157], v[128:129], v[122:123]
	s_wait_loadcnt 0x2
	v_fmac_f64_e32 v[156:157], v[130:131], v[124:125]
	ds_load_2addr_b64 v[122:125], v2 offset0:113 offset1:114
	ds_load_b64 v[126:127], v2 offset:920
	s_wait_dscnt 0x2
	v_fmac_f64_e32 v[156:157], v[132:133], v[142:143]
	s_wait_loadcnt 0x1
	s_delay_alu instid0(VALU_DEP_1) | instskip(SKIP_1) | instid1(VALU_DEP_1)
	v_fmac_f64_e32 v[156:157], v[134:135], v[144:145]
	s_wait_dscnt 0x1
	v_fmac_f64_e32 v[156:157], v[136:137], v[122:123]
	s_wait_loadcnt 0x0
	s_delay_alu instid0(VALU_DEP_1) | instskip(SKIP_1) | instid1(VALU_DEP_1)
	v_fmac_f64_e32 v[156:157], v[138:139], v[124:125]
	s_wait_dscnt 0x0
	v_fmac_f64_e32 v[156:157], v[140:141], v[126:127]
	s_delay_alu instid0(VALU_DEP_1)
	v_add_f64_e64 v[120:121], v[120:121], -v[156:157]
	scratch_store_b64 off, v[120:121], off offset:272
	s_wait_xcnt 0x0
	v_cmpx_lt_u32_e32 33, v0
	s_cbranch_execz .LBB121_291
; %bb.290:
	scratch_load_b64 v[120:121], off, off offset:264
	v_mov_b64_e32 v[122:123], 0
	scratch_store_b64 off, v[122:123], off offset:264
	s_wait_loadcnt 0x0
	ds_store_b64 v1, v[120:121]
.LBB121_291:
	s_wait_xcnt 0x0
	s_or_b32 exec_lo, exec_lo, s0
	s_wait_storecnt_dscnt 0x0
	s_barrier_signal -1
	s_barrier_wait -1
	s_clause 0x5
	scratch_load_b128 v[120:123], off, off offset:264
	scratch_load_b128 v[124:127], off, off offset:280
	;; [unrolled: 1-line block ×6, first 2 shown]
	ds_load_b128 v[144:147], v2 offset:736
	ds_load_b128 v[148:151], v2 offset:752
	scratch_load_b128 v[152:155], off, off offset:360
	s_mov_b32 s0, exec_lo
	s_wait_loadcnt_dscnt 0x601
	v_fma_f64 v[156:157], v[122:123], v[144:145], 0
	s_wait_loadcnt 0x5
	s_delay_alu instid0(VALU_DEP_1) | instskip(SKIP_4) | instid1(VALU_DEP_1)
	v_fmac_f64_e32 v[156:157], v[124:125], v[146:147]
	scratch_load_b128 v[122:125], off, off offset:376
	s_wait_dscnt 0x0
	v_fmac_f64_e32 v[156:157], v[126:127], v[148:149]
	s_wait_loadcnt 0x5
	v_fmac_f64_e32 v[156:157], v[128:129], v[150:151]
	ds_load_b128 v[126:129], v2 offset:768
	ds_load_b128 v[144:147], v2 offset:784
	s_wait_dscnt 0x1
	v_fmac_f64_e32 v[156:157], v[130:131], v[126:127]
	s_wait_loadcnt 0x4
	s_delay_alu instid0(VALU_DEP_1)
	v_fmac_f64_e32 v[156:157], v[132:133], v[128:129]
	s_clause 0x1
	scratch_load_b128 v[126:129], off, off offset:392
	scratch_load_b128 v[130:133], off, off offset:408
	s_wait_dscnt 0x0
	v_fmac_f64_e32 v[156:157], v[134:135], v[144:145]
	s_wait_loadcnt 0x5
	s_delay_alu instid0(VALU_DEP_1)
	v_fmac_f64_e32 v[156:157], v[136:137], v[146:147]
	ds_load_b128 v[134:137], v2 offset:800
	ds_load_b128 v[144:147], v2 offset:816
	s_wait_dscnt 0x1
	v_fmac_f64_e32 v[156:157], v[138:139], v[134:135]
	s_wait_loadcnt 0x4
	s_delay_alu instid0(VALU_DEP_1)
	v_fmac_f64_e32 v[156:157], v[140:141], v[136:137]
	s_clause 0x1
	scratch_load_b128 v[134:137], off, off offset:424
	scratch_load_b128 v[138:141], off, off offset:440
	s_wait_dscnt 0x0
	v_fmac_f64_e32 v[156:157], v[142:143], v[144:145]
	s_wait_loadcnt 0x5
	s_delay_alu instid0(VALU_DEP_1)
	v_fmac_f64_e32 v[156:157], v[152:153], v[146:147]
	ds_load_b128 v[142:145], v2 offset:832
	ds_load_b128 v[146:149], v2 offset:848
	scratch_load_b64 v[150:151], off, off offset:456
	s_wait_dscnt 0x1
	v_fmac_f64_e32 v[156:157], v[154:155], v[142:143]
	s_wait_loadcnt 0x5
	s_delay_alu instid0(VALU_DEP_1) | instskip(SKIP_1) | instid1(VALU_DEP_1)
	v_fmac_f64_e32 v[156:157], v[122:123], v[144:145]
	s_wait_dscnt 0x0
	v_fmac_f64_e32 v[156:157], v[124:125], v[146:147]
	ds_load_b128 v[122:125], v2 offset:864
	ds_load_b128 v[142:145], v2 offset:880
	s_wait_loadcnt 0x4
	v_fmac_f64_e32 v[156:157], v[126:127], v[148:149]
	s_wait_dscnt 0x1
	s_delay_alu instid0(VALU_DEP_1) | instskip(SKIP_1) | instid1(VALU_DEP_1)
	v_fmac_f64_e32 v[156:157], v[128:129], v[122:123]
	s_wait_loadcnt 0x3
	v_fmac_f64_e32 v[156:157], v[130:131], v[124:125]
	ds_load_b128 v[122:125], v2 offset:896
	ds_load_b128 v[126:129], v2 offset:912
	s_wait_dscnt 0x2
	v_fmac_f64_e32 v[156:157], v[132:133], v[142:143]
	s_wait_loadcnt 0x2
	s_delay_alu instid0(VALU_DEP_1) | instskip(SKIP_1) | instid1(VALU_DEP_1)
	v_fmac_f64_e32 v[156:157], v[134:135], v[144:145]
	s_wait_dscnt 0x1
	v_fmac_f64_e32 v[156:157], v[136:137], v[122:123]
	s_wait_loadcnt 0x1
	s_delay_alu instid0(VALU_DEP_1) | instskip(SKIP_1) | instid1(VALU_DEP_1)
	v_fmac_f64_e32 v[156:157], v[138:139], v[124:125]
	s_wait_dscnt 0x0
	v_fmac_f64_e32 v[156:157], v[140:141], v[126:127]
	s_wait_loadcnt 0x0
	s_delay_alu instid0(VALU_DEP_1) | instskip(NEXT) | instid1(VALU_DEP_1)
	v_fmac_f64_e32 v[156:157], v[150:151], v[128:129]
	v_add_f64_e64 v[2:3], v[120:121], -v[156:157]
	scratch_store_b64 off, v[2:3], off offset:264
	s_wait_xcnt 0x0
	v_cmpx_lt_u32_e32 32, v0
	s_cbranch_execz .LBB121_293
; %bb.292:
	scratch_load_b64 v[2:3], off, off offset:256
	v_mov_b64_e32 v[120:121], 0
	scratch_store_b64 off, v[120:121], off offset:256
	s_wait_loadcnt 0x0
	ds_store_b64 v1, v[2:3]
.LBB121_293:
	s_wait_xcnt 0x0
	s_or_b32 exec_lo, exec_lo, s0
	s_wait_storecnt_dscnt 0x0
	s_barrier_signal -1
	s_barrier_wait -1
	s_clause 0x5
	scratch_load_b128 v[120:123], off, off offset:256
	scratch_load_b128 v[124:127], off, off offset:272
	;; [unrolled: 1-line block ×6, first 2 shown]
	v_mov_b32_e32 v2, 0
	ds_load_2addr_b64 v[144:147], v2 offset0:91 offset1:92
	ds_load_2addr_b64 v[148:151], v2 offset0:93 offset1:94
	scratch_load_b128 v[152:155], off, off offset:352
	s_mov_b32 s0, exec_lo
	s_wait_loadcnt_dscnt 0x601
	v_fma_f64 v[156:157], v[122:123], v[144:145], 0
	s_wait_loadcnt 0x5
	s_delay_alu instid0(VALU_DEP_1) | instskip(SKIP_4) | instid1(VALU_DEP_1)
	v_fmac_f64_e32 v[156:157], v[124:125], v[146:147]
	scratch_load_b128 v[122:125], off, off offset:368
	s_wait_dscnt 0x0
	v_fmac_f64_e32 v[156:157], v[126:127], v[148:149]
	s_wait_loadcnt 0x5
	v_fmac_f64_e32 v[156:157], v[128:129], v[150:151]
	ds_load_2addr_b64 v[126:129], v2 offset0:95 offset1:96
	ds_load_2addr_b64 v[144:147], v2 offset0:97 offset1:98
	s_wait_dscnt 0x1
	v_fmac_f64_e32 v[156:157], v[130:131], v[126:127]
	s_wait_loadcnt 0x4
	s_delay_alu instid0(VALU_DEP_1)
	v_fmac_f64_e32 v[156:157], v[132:133], v[128:129]
	s_clause 0x1
	scratch_load_b128 v[126:129], off, off offset:384
	scratch_load_b128 v[130:133], off, off offset:400
	s_wait_dscnt 0x0
	v_fmac_f64_e32 v[156:157], v[134:135], v[144:145]
	s_wait_loadcnt 0x5
	s_delay_alu instid0(VALU_DEP_1)
	v_fmac_f64_e32 v[156:157], v[136:137], v[146:147]
	ds_load_2addr_b64 v[134:137], v2 offset0:99 offset1:100
	ds_load_2addr_b64 v[144:147], v2 offset0:101 offset1:102
	s_wait_dscnt 0x1
	v_fmac_f64_e32 v[156:157], v[138:139], v[134:135]
	s_wait_loadcnt 0x4
	s_delay_alu instid0(VALU_DEP_1)
	v_fmac_f64_e32 v[156:157], v[140:141], v[136:137]
	s_clause 0x1
	scratch_load_b128 v[134:137], off, off offset:416
	scratch_load_b128 v[138:141], off, off offset:432
	s_wait_dscnt 0x0
	v_fmac_f64_e32 v[156:157], v[142:143], v[144:145]
	s_wait_loadcnt 0x5
	s_delay_alu instid0(VALU_DEP_1)
	v_fmac_f64_e32 v[156:157], v[152:153], v[146:147]
	ds_load_2addr_b64 v[142:145], v2 offset0:103 offset1:104
	ds_load_2addr_b64 v[146:149], v2 offset0:105 offset1:106
	s_wait_dscnt 0x1
	v_fmac_f64_e32 v[156:157], v[154:155], v[142:143]
	s_wait_loadcnt 0x4
	s_delay_alu instid0(VALU_DEP_1) | instskip(SKIP_4) | instid1(VALU_DEP_1)
	v_fmac_f64_e32 v[156:157], v[122:123], v[144:145]
	scratch_load_b128 v[142:145], off, off offset:448
	s_wait_dscnt 0x0
	v_fmac_f64_e32 v[156:157], v[124:125], v[146:147]
	s_wait_loadcnt 0x4
	v_fmac_f64_e32 v[156:157], v[126:127], v[148:149]
	ds_load_2addr_b64 v[122:125], v2 offset0:107 offset1:108
	ds_load_2addr_b64 v[146:149], v2 offset0:109 offset1:110
	s_wait_dscnt 0x1
	v_fmac_f64_e32 v[156:157], v[128:129], v[122:123]
	s_wait_loadcnt 0x3
	s_delay_alu instid0(VALU_DEP_1)
	v_fmac_f64_e32 v[156:157], v[130:131], v[124:125]
	ds_load_2addr_b64 v[122:125], v2 offset0:111 offset1:112
	ds_load_2addr_b64 v[126:129], v2 offset0:113 offset1:114
	s_wait_dscnt 0x2
	v_fmac_f64_e32 v[156:157], v[132:133], v[146:147]
	s_wait_loadcnt 0x2
	s_delay_alu instid0(VALU_DEP_1) | instskip(SKIP_1) | instid1(VALU_DEP_1)
	v_fmac_f64_e32 v[156:157], v[134:135], v[148:149]
	s_wait_dscnt 0x1
	v_fmac_f64_e32 v[156:157], v[136:137], v[122:123]
	ds_load_b64 v[122:123], v2 offset:920
	s_wait_loadcnt 0x1
	v_fmac_f64_e32 v[156:157], v[138:139], v[124:125]
	s_wait_dscnt 0x1
	s_delay_alu instid0(VALU_DEP_1) | instskip(SKIP_1) | instid1(VALU_DEP_1)
	v_fmac_f64_e32 v[156:157], v[140:141], v[126:127]
	s_wait_loadcnt 0x0
	v_fmac_f64_e32 v[156:157], v[142:143], v[128:129]
	s_wait_dscnt 0x0
	s_delay_alu instid0(VALU_DEP_1) | instskip(NEXT) | instid1(VALU_DEP_1)
	v_fmac_f64_e32 v[156:157], v[144:145], v[122:123]
	v_add_f64_e64 v[120:121], v[120:121], -v[156:157]
	scratch_store_b64 off, v[120:121], off offset:256
	s_wait_xcnt 0x0
	v_cmpx_lt_u32_e32 31, v0
	s_cbranch_execz .LBB121_295
; %bb.294:
	scratch_load_b64 v[120:121], off, off offset:248
	v_mov_b64_e32 v[122:123], 0
	scratch_store_b64 off, v[122:123], off offset:248
	s_wait_loadcnt 0x0
	ds_store_b64 v1, v[120:121]
.LBB121_295:
	s_wait_xcnt 0x0
	s_or_b32 exec_lo, exec_lo, s0
	s_wait_storecnt_dscnt 0x0
	s_barrier_signal -1
	s_barrier_wait -1
	s_clause 0x5
	scratch_load_b128 v[120:123], off, off offset:248
	scratch_load_b128 v[124:127], off, off offset:264
	;; [unrolled: 1-line block ×6, first 2 shown]
	ds_load_b128 v[144:147], v2 offset:720
	ds_load_b128 v[148:151], v2 offset:736
	scratch_load_b128 v[152:155], off, off offset:344
	s_mov_b32 s0, exec_lo
	s_wait_loadcnt_dscnt 0x601
	v_fma_f64 v[156:157], v[122:123], v[144:145], 0
	s_wait_loadcnt 0x5
	s_delay_alu instid0(VALU_DEP_1) | instskip(SKIP_4) | instid1(VALU_DEP_1)
	v_fmac_f64_e32 v[156:157], v[124:125], v[146:147]
	scratch_load_b128 v[122:125], off, off offset:360
	s_wait_dscnt 0x0
	v_fmac_f64_e32 v[156:157], v[126:127], v[148:149]
	s_wait_loadcnt 0x5
	v_fmac_f64_e32 v[156:157], v[128:129], v[150:151]
	ds_load_b128 v[126:129], v2 offset:752
	ds_load_b128 v[144:147], v2 offset:768
	scratch_load_b128 v[148:151], off, off offset:376
	s_wait_dscnt 0x1
	v_fmac_f64_e32 v[156:157], v[130:131], v[126:127]
	s_wait_loadcnt 0x5
	s_delay_alu instid0(VALU_DEP_1) | instskip(SKIP_4) | instid1(VALU_DEP_1)
	v_fmac_f64_e32 v[156:157], v[132:133], v[128:129]
	scratch_load_b128 v[126:129], off, off offset:392
	s_wait_dscnt 0x0
	v_fmac_f64_e32 v[156:157], v[134:135], v[144:145]
	s_wait_loadcnt 0x5
	v_fmac_f64_e32 v[156:157], v[136:137], v[146:147]
	ds_load_b128 v[130:133], v2 offset:784
	ds_load_b128 v[134:137], v2 offset:800
	s_wait_dscnt 0x1
	v_fmac_f64_e32 v[156:157], v[138:139], v[130:131]
	s_wait_loadcnt 0x4
	s_delay_alu instid0(VALU_DEP_1) | instskip(SKIP_4) | instid1(VALU_DEP_1)
	v_fmac_f64_e32 v[156:157], v[140:141], v[132:133]
	scratch_load_b128 v[130:133], off, off offset:408
	s_wait_dscnt 0x0
	v_fmac_f64_e32 v[156:157], v[142:143], v[134:135]
	s_wait_loadcnt 0x4
	v_fmac_f64_e32 v[156:157], v[152:153], v[136:137]
	scratch_load_b128 v[134:137], off, off offset:424
	ds_load_b128 v[138:141], v2 offset:816
	ds_load_b128 v[142:145], v2 offset:832
	scratch_load_b64 v[146:147], off, off offset:456
	s_wait_dscnt 0x1
	v_fmac_f64_e32 v[156:157], v[154:155], v[138:139]
	s_wait_loadcnt 0x5
	s_delay_alu instid0(VALU_DEP_1) | instskip(SKIP_4) | instid1(VALU_DEP_1)
	v_fmac_f64_e32 v[156:157], v[122:123], v[140:141]
	scratch_load_b128 v[138:141], off, off offset:440
	s_wait_dscnt 0x0
	v_fmac_f64_e32 v[156:157], v[124:125], v[142:143]
	s_wait_loadcnt 0x5
	v_fmac_f64_e32 v[156:157], v[148:149], v[144:145]
	ds_load_b128 v[122:125], v2 offset:848
	ds_load_b128 v[142:145], v2 offset:864
	s_wait_dscnt 0x1
	v_fmac_f64_e32 v[156:157], v[150:151], v[122:123]
	s_wait_loadcnt 0x4
	s_delay_alu instid0(VALU_DEP_1) | instskip(SKIP_1) | instid1(VALU_DEP_1)
	v_fmac_f64_e32 v[156:157], v[126:127], v[124:125]
	s_wait_dscnt 0x0
	v_fmac_f64_e32 v[156:157], v[128:129], v[142:143]
	ds_load_b128 v[122:125], v2 offset:880
	ds_load_b128 v[126:129], v2 offset:896
	s_wait_loadcnt 0x3
	v_fmac_f64_e32 v[156:157], v[130:131], v[144:145]
	s_wait_dscnt 0x1
	s_delay_alu instid0(VALU_DEP_1) | instskip(SKIP_1) | instid1(VALU_DEP_1)
	v_fmac_f64_e32 v[156:157], v[132:133], v[122:123]
	s_wait_loadcnt 0x2
	v_fmac_f64_e32 v[156:157], v[134:135], v[124:125]
	ds_load_b128 v[122:125], v2 offset:912
	s_wait_dscnt 0x1
	v_fmac_f64_e32 v[156:157], v[136:137], v[126:127]
	s_wait_loadcnt 0x0
	s_delay_alu instid0(VALU_DEP_1) | instskip(SKIP_1) | instid1(VALU_DEP_1)
	v_fmac_f64_e32 v[156:157], v[138:139], v[128:129]
	s_wait_dscnt 0x0
	v_fmac_f64_e32 v[156:157], v[140:141], v[122:123]
	s_delay_alu instid0(VALU_DEP_1) | instskip(NEXT) | instid1(VALU_DEP_1)
	v_fmac_f64_e32 v[156:157], v[146:147], v[124:125]
	v_add_f64_e64 v[2:3], v[120:121], -v[156:157]
	scratch_store_b64 off, v[2:3], off offset:248
	s_wait_xcnt 0x0
	v_cmpx_lt_u32_e32 30, v0
	s_cbranch_execz .LBB121_297
; %bb.296:
	scratch_load_b64 v[2:3], off, off offset:240
	v_mov_b64_e32 v[120:121], 0
	scratch_store_b64 off, v[120:121], off offset:240
	s_wait_loadcnt 0x0
	ds_store_b64 v1, v[2:3]
.LBB121_297:
	s_wait_xcnt 0x0
	s_or_b32 exec_lo, exec_lo, s0
	s_wait_storecnt_dscnt 0x0
	s_barrier_signal -1
	s_barrier_wait -1
	s_clause 0x5
	scratch_load_b128 v[120:123], off, off offset:240
	scratch_load_b128 v[124:127], off, off offset:256
	;; [unrolled: 1-line block ×6, first 2 shown]
	v_mov_b32_e32 v2, 0
	ds_load_2addr_b64 v[144:147], v2 offset0:89 offset1:90
	ds_load_2addr_b64 v[148:151], v2 offset0:91 offset1:92
	scratch_load_b128 v[152:155], off, off offset:336
	s_mov_b32 s0, exec_lo
	s_wait_loadcnt_dscnt 0x601
	v_fma_f64 v[156:157], v[122:123], v[144:145], 0
	s_wait_loadcnt 0x5
	s_delay_alu instid0(VALU_DEP_1) | instskip(SKIP_4) | instid1(VALU_DEP_1)
	v_fmac_f64_e32 v[156:157], v[124:125], v[146:147]
	scratch_load_b128 v[122:125], off, off offset:352
	s_wait_dscnt 0x0
	v_fmac_f64_e32 v[156:157], v[126:127], v[148:149]
	s_wait_loadcnt 0x5
	v_fmac_f64_e32 v[156:157], v[128:129], v[150:151]
	ds_load_2addr_b64 v[126:129], v2 offset0:93 offset1:94
	ds_load_2addr_b64 v[144:147], v2 offset0:95 offset1:96
	scratch_load_b128 v[148:151], off, off offset:368
	s_wait_dscnt 0x1
	v_fmac_f64_e32 v[156:157], v[130:131], v[126:127]
	s_wait_loadcnt 0x5
	s_delay_alu instid0(VALU_DEP_1) | instskip(SKIP_4) | instid1(VALU_DEP_1)
	v_fmac_f64_e32 v[156:157], v[132:133], v[128:129]
	scratch_load_b128 v[126:129], off, off offset:384
	s_wait_dscnt 0x0
	v_fmac_f64_e32 v[156:157], v[134:135], v[144:145]
	s_wait_loadcnt 0x5
	v_fmac_f64_e32 v[156:157], v[136:137], v[146:147]
	ds_load_2addr_b64 v[130:133], v2 offset0:97 offset1:98
	ds_load_2addr_b64 v[134:137], v2 offset0:99 offset1:100
	s_wait_dscnt 0x1
	v_fmac_f64_e32 v[156:157], v[138:139], v[130:131]
	s_wait_loadcnt 0x4
	s_delay_alu instid0(VALU_DEP_1) | instskip(SKIP_4) | instid1(VALU_DEP_1)
	v_fmac_f64_e32 v[156:157], v[140:141], v[132:133]
	scratch_load_b128 v[130:133], off, off offset:400
	s_wait_dscnt 0x0
	v_fmac_f64_e32 v[156:157], v[142:143], v[134:135]
	s_wait_loadcnt 0x4
	v_fmac_f64_e32 v[156:157], v[152:153], v[136:137]
	scratch_load_b128 v[134:137], off, off offset:416
	ds_load_2addr_b64 v[138:141], v2 offset0:101 offset1:102
	ds_load_2addr_b64 v[142:145], v2 offset0:103 offset1:104
	s_wait_dscnt 0x1
	v_fmac_f64_e32 v[156:157], v[154:155], v[138:139]
	s_wait_loadcnt 0x4
	s_delay_alu instid0(VALU_DEP_1)
	v_fmac_f64_e32 v[156:157], v[122:123], v[140:141]
	scratch_load_b128 v[138:141], off, off offset:432
	s_wait_dscnt 0x0
	v_fmac_f64_e32 v[156:157], v[124:125], v[142:143]
	scratch_load_b128 v[122:125], off, off offset:448
	s_wait_loadcnt 0x5
	v_fmac_f64_e32 v[156:157], v[148:149], v[144:145]
	ds_load_2addr_b64 v[142:145], v2 offset0:105 offset1:106
	ds_load_2addr_b64 v[146:149], v2 offset0:107 offset1:108
	s_wait_dscnt 0x1
	v_fmac_f64_e32 v[156:157], v[150:151], v[142:143]
	s_wait_loadcnt 0x4
	s_delay_alu instid0(VALU_DEP_1) | instskip(SKIP_1) | instid1(VALU_DEP_1)
	v_fmac_f64_e32 v[156:157], v[126:127], v[144:145]
	s_wait_dscnt 0x0
	v_fmac_f64_e32 v[156:157], v[128:129], v[146:147]
	ds_load_2addr_b64 v[126:129], v2 offset0:109 offset1:110
	ds_load_2addr_b64 v[142:145], v2 offset0:111 offset1:112
	s_wait_loadcnt 0x3
	v_fmac_f64_e32 v[156:157], v[130:131], v[148:149]
	s_wait_dscnt 0x1
	s_delay_alu instid0(VALU_DEP_1) | instskip(SKIP_1) | instid1(VALU_DEP_1)
	v_fmac_f64_e32 v[156:157], v[132:133], v[126:127]
	s_wait_loadcnt 0x2
	v_fmac_f64_e32 v[156:157], v[134:135], v[128:129]
	ds_load_2addr_b64 v[126:129], v2 offset0:113 offset1:114
	ds_load_b64 v[130:131], v2 offset:920
	s_wait_dscnt 0x2
	v_fmac_f64_e32 v[156:157], v[136:137], v[142:143]
	s_wait_loadcnt 0x1
	s_delay_alu instid0(VALU_DEP_1) | instskip(SKIP_1) | instid1(VALU_DEP_1)
	v_fmac_f64_e32 v[156:157], v[138:139], v[144:145]
	s_wait_dscnt 0x1
	v_fmac_f64_e32 v[156:157], v[140:141], v[126:127]
	s_wait_loadcnt 0x0
	s_delay_alu instid0(VALU_DEP_1) | instskip(SKIP_1) | instid1(VALU_DEP_1)
	v_fmac_f64_e32 v[156:157], v[122:123], v[128:129]
	s_wait_dscnt 0x0
	v_fmac_f64_e32 v[156:157], v[124:125], v[130:131]
	s_delay_alu instid0(VALU_DEP_1)
	v_add_f64_e64 v[120:121], v[120:121], -v[156:157]
	scratch_store_b64 off, v[120:121], off offset:240
	s_wait_xcnt 0x0
	v_cmpx_lt_u32_e32 29, v0
	s_cbranch_execz .LBB121_299
; %bb.298:
	scratch_load_b64 v[120:121], off, off offset:232
	v_mov_b64_e32 v[122:123], 0
	scratch_store_b64 off, v[122:123], off offset:232
	s_wait_loadcnt 0x0
	ds_store_b64 v1, v[120:121]
.LBB121_299:
	s_wait_xcnt 0x0
	s_or_b32 exec_lo, exec_lo, s0
	s_wait_storecnt_dscnt 0x0
	s_barrier_signal -1
	s_barrier_wait -1
	s_clause 0x5
	scratch_load_b128 v[120:123], off, off offset:232
	scratch_load_b128 v[124:127], off, off offset:248
	;; [unrolled: 1-line block ×6, first 2 shown]
	ds_load_b128 v[144:147], v2 offset:704
	ds_load_b128 v[148:151], v2 offset:720
	scratch_load_b128 v[152:155], off, off offset:328
	s_mov_b32 s0, exec_lo
	s_wait_loadcnt_dscnt 0x601
	v_fma_f64 v[156:157], v[122:123], v[144:145], 0
	s_wait_loadcnt 0x5
	s_delay_alu instid0(VALU_DEP_1) | instskip(SKIP_4) | instid1(VALU_DEP_1)
	v_fmac_f64_e32 v[156:157], v[124:125], v[146:147]
	scratch_load_b128 v[122:125], off, off offset:344
	s_wait_dscnt 0x0
	v_fmac_f64_e32 v[156:157], v[126:127], v[148:149]
	s_wait_loadcnt 0x5
	v_fmac_f64_e32 v[156:157], v[128:129], v[150:151]
	ds_load_b128 v[126:129], v2 offset:736
	ds_load_b128 v[144:147], v2 offset:752
	scratch_load_b128 v[148:151], off, off offset:360
	s_wait_dscnt 0x1
	v_fmac_f64_e32 v[156:157], v[130:131], v[126:127]
	s_wait_loadcnt 0x5
	s_delay_alu instid0(VALU_DEP_1) | instskip(SKIP_4) | instid1(VALU_DEP_1)
	v_fmac_f64_e32 v[156:157], v[132:133], v[128:129]
	scratch_load_b128 v[126:129], off, off offset:376
	s_wait_dscnt 0x0
	v_fmac_f64_e32 v[156:157], v[134:135], v[144:145]
	s_wait_loadcnt 0x5
	v_fmac_f64_e32 v[156:157], v[136:137], v[146:147]
	ds_load_b128 v[130:133], v2 offset:768
	ds_load_b128 v[134:137], v2 offset:784
	s_wait_dscnt 0x1
	v_fmac_f64_e32 v[156:157], v[138:139], v[130:131]
	s_wait_loadcnt 0x4
	s_delay_alu instid0(VALU_DEP_1) | instskip(SKIP_4) | instid1(VALU_DEP_1)
	v_fmac_f64_e32 v[156:157], v[140:141], v[132:133]
	scratch_load_b128 v[130:133], off, off offset:392
	s_wait_dscnt 0x0
	v_fmac_f64_e32 v[156:157], v[142:143], v[134:135]
	s_wait_loadcnt 0x4
	v_fmac_f64_e32 v[156:157], v[152:153], v[136:137]
	scratch_load_b128 v[134:137], off, off offset:408
	ds_load_b128 v[138:141], v2 offset:800
	ds_load_b128 v[142:145], v2 offset:816
	s_wait_dscnt 0x1
	v_fmac_f64_e32 v[156:157], v[154:155], v[138:139]
	s_wait_loadcnt 0x4
	s_delay_alu instid0(VALU_DEP_1)
	v_fmac_f64_e32 v[156:157], v[122:123], v[140:141]
	scratch_load_b128 v[138:141], off, off offset:424
	s_wait_dscnt 0x0
	v_fmac_f64_e32 v[156:157], v[124:125], v[142:143]
	scratch_load_b128 v[122:125], off, off offset:440
	s_wait_loadcnt 0x5
	v_fmac_f64_e32 v[156:157], v[148:149], v[144:145]
	ds_load_b128 v[142:145], v2 offset:832
	ds_load_b128 v[146:149], v2 offset:848
	s_wait_dscnt 0x1
	v_fmac_f64_e32 v[156:157], v[150:151], v[142:143]
	scratch_load_b64 v[150:151], off, off offset:456
	s_wait_loadcnt 0x5
	v_fmac_f64_e32 v[156:157], v[126:127], v[144:145]
	s_wait_dscnt 0x0
	s_delay_alu instid0(VALU_DEP_1)
	v_fmac_f64_e32 v[156:157], v[128:129], v[146:147]
	ds_load_b128 v[126:129], v2 offset:864
	ds_load_b128 v[142:145], v2 offset:880
	s_wait_loadcnt 0x4
	v_fmac_f64_e32 v[156:157], v[130:131], v[148:149]
	s_wait_dscnt 0x1
	s_delay_alu instid0(VALU_DEP_1) | instskip(SKIP_1) | instid1(VALU_DEP_1)
	v_fmac_f64_e32 v[156:157], v[132:133], v[126:127]
	s_wait_loadcnt 0x3
	v_fmac_f64_e32 v[156:157], v[134:135], v[128:129]
	ds_load_b128 v[126:129], v2 offset:896
	ds_load_b128 v[130:133], v2 offset:912
	s_wait_dscnt 0x2
	v_fmac_f64_e32 v[156:157], v[136:137], v[142:143]
	s_wait_loadcnt 0x2
	s_delay_alu instid0(VALU_DEP_1) | instskip(SKIP_1) | instid1(VALU_DEP_1)
	v_fmac_f64_e32 v[156:157], v[138:139], v[144:145]
	s_wait_dscnt 0x1
	v_fmac_f64_e32 v[156:157], v[140:141], v[126:127]
	s_wait_loadcnt 0x1
	s_delay_alu instid0(VALU_DEP_1) | instskip(SKIP_1) | instid1(VALU_DEP_1)
	v_fmac_f64_e32 v[156:157], v[122:123], v[128:129]
	s_wait_dscnt 0x0
	v_fmac_f64_e32 v[156:157], v[124:125], v[130:131]
	s_wait_loadcnt 0x0
	s_delay_alu instid0(VALU_DEP_1) | instskip(NEXT) | instid1(VALU_DEP_1)
	v_fmac_f64_e32 v[156:157], v[150:151], v[132:133]
	v_add_f64_e64 v[2:3], v[120:121], -v[156:157]
	scratch_store_b64 off, v[2:3], off offset:232
	s_wait_xcnt 0x0
	v_cmpx_lt_u32_e32 28, v0
	s_cbranch_execz .LBB121_301
; %bb.300:
	scratch_load_b64 v[2:3], off, off offset:224
	v_mov_b64_e32 v[120:121], 0
	scratch_store_b64 off, v[120:121], off offset:224
	s_wait_loadcnt 0x0
	ds_store_b64 v1, v[2:3]
.LBB121_301:
	s_wait_xcnt 0x0
	s_or_b32 exec_lo, exec_lo, s0
	s_wait_storecnt_dscnt 0x0
	s_barrier_signal -1
	s_barrier_wait -1
	s_clause 0x5
	scratch_load_b128 v[120:123], off, off offset:224
	scratch_load_b128 v[124:127], off, off offset:240
	;; [unrolled: 1-line block ×6, first 2 shown]
	v_mov_b32_e32 v2, 0
	ds_load_2addr_b64 v[144:147], v2 offset0:87 offset1:88
	ds_load_2addr_b64 v[148:151], v2 offset0:89 offset1:90
	scratch_load_b128 v[152:155], off, off offset:320
	s_mov_b32 s0, exec_lo
	s_wait_loadcnt_dscnt 0x601
	v_fma_f64 v[156:157], v[122:123], v[144:145], 0
	s_wait_loadcnt 0x5
	s_delay_alu instid0(VALU_DEP_1) | instskip(SKIP_4) | instid1(VALU_DEP_1)
	v_fmac_f64_e32 v[156:157], v[124:125], v[146:147]
	scratch_load_b128 v[122:125], off, off offset:336
	s_wait_dscnt 0x0
	v_fmac_f64_e32 v[156:157], v[126:127], v[148:149]
	s_wait_loadcnt 0x5
	v_fmac_f64_e32 v[156:157], v[128:129], v[150:151]
	ds_load_2addr_b64 v[126:129], v2 offset0:91 offset1:92
	ds_load_2addr_b64 v[144:147], v2 offset0:93 offset1:94
	scratch_load_b128 v[148:151], off, off offset:352
	s_wait_dscnt 0x1
	v_fmac_f64_e32 v[156:157], v[130:131], v[126:127]
	s_wait_loadcnt 0x5
	s_delay_alu instid0(VALU_DEP_1) | instskip(SKIP_4) | instid1(VALU_DEP_1)
	v_fmac_f64_e32 v[156:157], v[132:133], v[128:129]
	scratch_load_b128 v[126:129], off, off offset:368
	s_wait_dscnt 0x0
	v_fmac_f64_e32 v[156:157], v[134:135], v[144:145]
	s_wait_loadcnt 0x5
	v_fmac_f64_e32 v[156:157], v[136:137], v[146:147]
	ds_load_2addr_b64 v[130:133], v2 offset0:95 offset1:96
	ds_load_2addr_b64 v[134:137], v2 offset0:97 offset1:98
	s_wait_dscnt 0x1
	v_fmac_f64_e32 v[156:157], v[138:139], v[130:131]
	s_wait_loadcnt 0x4
	s_delay_alu instid0(VALU_DEP_1) | instskip(SKIP_4) | instid1(VALU_DEP_1)
	v_fmac_f64_e32 v[156:157], v[140:141], v[132:133]
	scratch_load_b128 v[130:133], off, off offset:384
	s_wait_dscnt 0x0
	v_fmac_f64_e32 v[156:157], v[142:143], v[134:135]
	s_wait_loadcnt 0x4
	v_fmac_f64_e32 v[156:157], v[152:153], v[136:137]
	scratch_load_b128 v[134:137], off, off offset:400
	ds_load_2addr_b64 v[138:141], v2 offset0:99 offset1:100
	ds_load_2addr_b64 v[142:145], v2 offset0:101 offset1:102
	s_wait_dscnt 0x1
	v_fmac_f64_e32 v[156:157], v[154:155], v[138:139]
	s_wait_loadcnt 0x4
	s_delay_alu instid0(VALU_DEP_1)
	v_fmac_f64_e32 v[156:157], v[122:123], v[140:141]
	scratch_load_b128 v[138:141], off, off offset:416
	s_wait_dscnt 0x0
	v_fmac_f64_e32 v[156:157], v[124:125], v[142:143]
	scratch_load_b128 v[122:125], off, off offset:432
	s_wait_loadcnt 0x5
	v_fmac_f64_e32 v[156:157], v[148:149], v[144:145]
	ds_load_2addr_b64 v[142:145], v2 offset0:103 offset1:104
	ds_load_2addr_b64 v[146:149], v2 offset0:105 offset1:106
	s_wait_dscnt 0x1
	v_fmac_f64_e32 v[156:157], v[150:151], v[142:143]
	s_wait_loadcnt 0x4
	s_delay_alu instid0(VALU_DEP_1) | instskip(SKIP_4) | instid1(VALU_DEP_1)
	v_fmac_f64_e32 v[156:157], v[126:127], v[144:145]
	scratch_load_b128 v[142:145], off, off offset:448
	s_wait_dscnt 0x0
	v_fmac_f64_e32 v[156:157], v[128:129], v[146:147]
	s_wait_loadcnt 0x4
	v_fmac_f64_e32 v[156:157], v[130:131], v[148:149]
	ds_load_2addr_b64 v[126:129], v2 offset0:107 offset1:108
	ds_load_2addr_b64 v[146:149], v2 offset0:109 offset1:110
	s_wait_dscnt 0x1
	v_fmac_f64_e32 v[156:157], v[132:133], v[126:127]
	s_wait_loadcnt 0x3
	s_delay_alu instid0(VALU_DEP_1)
	v_fmac_f64_e32 v[156:157], v[134:135], v[128:129]
	ds_load_2addr_b64 v[126:129], v2 offset0:111 offset1:112
	ds_load_2addr_b64 v[130:133], v2 offset0:113 offset1:114
	s_wait_dscnt 0x2
	v_fmac_f64_e32 v[156:157], v[136:137], v[146:147]
	s_wait_loadcnt 0x2
	s_delay_alu instid0(VALU_DEP_1) | instskip(SKIP_1) | instid1(VALU_DEP_1)
	v_fmac_f64_e32 v[156:157], v[138:139], v[148:149]
	s_wait_dscnt 0x1
	v_fmac_f64_e32 v[156:157], v[140:141], v[126:127]
	s_wait_loadcnt 0x1
	s_delay_alu instid0(VALU_DEP_1) | instskip(SKIP_4) | instid1(VALU_DEP_1)
	v_fmac_f64_e32 v[156:157], v[122:123], v[128:129]
	ds_load_b64 v[122:123], v2 offset:920
	s_wait_dscnt 0x1
	v_fmac_f64_e32 v[156:157], v[124:125], v[130:131]
	s_wait_loadcnt 0x0
	v_fmac_f64_e32 v[156:157], v[142:143], v[132:133]
	s_wait_dscnt 0x0
	s_delay_alu instid0(VALU_DEP_1) | instskip(NEXT) | instid1(VALU_DEP_1)
	v_fmac_f64_e32 v[156:157], v[144:145], v[122:123]
	v_add_f64_e64 v[120:121], v[120:121], -v[156:157]
	scratch_store_b64 off, v[120:121], off offset:224
	s_wait_xcnt 0x0
	v_cmpx_lt_u32_e32 27, v0
	s_cbranch_execz .LBB121_303
; %bb.302:
	scratch_load_b64 v[120:121], off, off offset:216
	v_mov_b64_e32 v[122:123], 0
	scratch_store_b64 off, v[122:123], off offset:216
	s_wait_loadcnt 0x0
	ds_store_b64 v1, v[120:121]
.LBB121_303:
	s_wait_xcnt 0x0
	s_or_b32 exec_lo, exec_lo, s0
	s_wait_storecnt_dscnt 0x0
	s_barrier_signal -1
	s_barrier_wait -1
	s_clause 0x5
	scratch_load_b128 v[120:123], off, off offset:216
	scratch_load_b128 v[124:127], off, off offset:232
	;; [unrolled: 1-line block ×6, first 2 shown]
	ds_load_b128 v[144:147], v2 offset:688
	ds_load_b128 v[148:151], v2 offset:704
	scratch_load_b128 v[152:155], off, off offset:312
	s_mov_b32 s0, exec_lo
	s_wait_loadcnt_dscnt 0x601
	v_fma_f64 v[156:157], v[122:123], v[144:145], 0
	s_wait_loadcnt 0x5
	s_delay_alu instid0(VALU_DEP_1) | instskip(SKIP_4) | instid1(VALU_DEP_1)
	v_fmac_f64_e32 v[156:157], v[124:125], v[146:147]
	scratch_load_b128 v[122:125], off, off offset:328
	s_wait_dscnt 0x0
	v_fmac_f64_e32 v[156:157], v[126:127], v[148:149]
	s_wait_loadcnt 0x5
	v_fmac_f64_e32 v[156:157], v[128:129], v[150:151]
	ds_load_b128 v[126:129], v2 offset:720
	ds_load_b128 v[144:147], v2 offset:736
	scratch_load_b128 v[148:151], off, off offset:344
	s_wait_dscnt 0x1
	v_fmac_f64_e32 v[156:157], v[130:131], v[126:127]
	s_wait_loadcnt 0x5
	s_delay_alu instid0(VALU_DEP_1) | instskip(SKIP_4) | instid1(VALU_DEP_1)
	v_fmac_f64_e32 v[156:157], v[132:133], v[128:129]
	scratch_load_b128 v[126:129], off, off offset:360
	s_wait_dscnt 0x0
	v_fmac_f64_e32 v[156:157], v[134:135], v[144:145]
	s_wait_loadcnt 0x5
	v_fmac_f64_e32 v[156:157], v[136:137], v[146:147]
	ds_load_b128 v[130:133], v2 offset:752
	ds_load_b128 v[134:137], v2 offset:768
	scratch_load_b128 v[144:147], off, off offset:376
	s_wait_dscnt 0x1
	v_fmac_f64_e32 v[156:157], v[138:139], v[130:131]
	s_wait_loadcnt 0x5
	s_delay_alu instid0(VALU_DEP_1) | instskip(SKIP_4) | instid1(VALU_DEP_1)
	v_fmac_f64_e32 v[156:157], v[140:141], v[132:133]
	scratch_load_b128 v[130:133], off, off offset:392
	s_wait_dscnt 0x0
	v_fmac_f64_e32 v[156:157], v[142:143], v[134:135]
	s_wait_loadcnt 0x5
	v_fmac_f64_e32 v[156:157], v[152:153], v[136:137]
	ds_load_b128 v[134:137], v2 offset:784
	ds_load_b128 v[138:141], v2 offset:800
	s_wait_dscnt 0x1
	v_fmac_f64_e32 v[156:157], v[154:155], v[134:135]
	s_wait_loadcnt 0x4
	s_delay_alu instid0(VALU_DEP_1)
	v_fmac_f64_e32 v[156:157], v[122:123], v[136:137]
	scratch_load_b128 v[134:137], off, off offset:408
	s_wait_dscnt 0x0
	v_fmac_f64_e32 v[156:157], v[124:125], v[138:139]
	scratch_load_b128 v[122:125], off, off offset:424
	s_wait_loadcnt 0x5
	v_fmac_f64_e32 v[156:157], v[148:149], v[140:141]
	ds_load_b128 v[138:141], v2 offset:816
	ds_load_b128 v[152:155], v2 offset:832
	scratch_load_b64 v[148:149], off, off offset:456
	s_wait_dscnt 0x1
	v_fmac_f64_e32 v[156:157], v[150:151], v[138:139]
	s_wait_loadcnt 0x5
	s_delay_alu instid0(VALU_DEP_1) | instskip(SKIP_4) | instid1(VALU_DEP_1)
	v_fmac_f64_e32 v[156:157], v[126:127], v[140:141]
	scratch_load_b128 v[138:141], off, off offset:440
	s_wait_dscnt 0x0
	v_fmac_f64_e32 v[156:157], v[128:129], v[152:153]
	s_wait_loadcnt 0x5
	v_fmac_f64_e32 v[156:157], v[144:145], v[154:155]
	ds_load_b128 v[126:129], v2 offset:848
	ds_load_b128 v[142:145], v2 offset:864
	s_wait_dscnt 0x1
	v_fmac_f64_e32 v[156:157], v[146:147], v[126:127]
	s_wait_loadcnt 0x4
	s_delay_alu instid0(VALU_DEP_1) | instskip(SKIP_1) | instid1(VALU_DEP_1)
	v_fmac_f64_e32 v[156:157], v[130:131], v[128:129]
	s_wait_dscnt 0x0
	v_fmac_f64_e32 v[156:157], v[132:133], v[142:143]
	ds_load_b128 v[126:129], v2 offset:880
	ds_load_b128 v[130:133], v2 offset:896
	s_wait_loadcnt 0x3
	v_fmac_f64_e32 v[156:157], v[134:135], v[144:145]
	s_wait_dscnt 0x1
	s_delay_alu instid0(VALU_DEP_1) | instskip(SKIP_1) | instid1(VALU_DEP_1)
	v_fmac_f64_e32 v[156:157], v[136:137], v[126:127]
	s_wait_loadcnt 0x2
	v_fmac_f64_e32 v[156:157], v[122:123], v[128:129]
	s_wait_dscnt 0x0
	s_delay_alu instid0(VALU_DEP_1) | instskip(SKIP_4) | instid1(VALU_DEP_1)
	v_fmac_f64_e32 v[156:157], v[124:125], v[130:131]
	ds_load_b128 v[122:125], v2 offset:912
	s_wait_loadcnt 0x0
	v_fmac_f64_e32 v[156:157], v[138:139], v[132:133]
	s_wait_dscnt 0x0
	v_fmac_f64_e32 v[156:157], v[140:141], v[122:123]
	s_delay_alu instid0(VALU_DEP_1) | instskip(NEXT) | instid1(VALU_DEP_1)
	v_fmac_f64_e32 v[156:157], v[148:149], v[124:125]
	v_add_f64_e64 v[2:3], v[120:121], -v[156:157]
	scratch_store_b64 off, v[2:3], off offset:216
	s_wait_xcnt 0x0
	v_cmpx_lt_u32_e32 26, v0
	s_cbranch_execz .LBB121_305
; %bb.304:
	scratch_load_b64 v[2:3], off, off offset:208
	v_mov_b64_e32 v[120:121], 0
	scratch_store_b64 off, v[120:121], off offset:208
	s_wait_loadcnt 0x0
	ds_store_b64 v1, v[2:3]
.LBB121_305:
	s_wait_xcnt 0x0
	s_or_b32 exec_lo, exec_lo, s0
	s_wait_storecnt_dscnt 0x0
	s_barrier_signal -1
	s_barrier_wait -1
	s_clause 0x5
	scratch_load_b128 v[120:123], off, off offset:208
	scratch_load_b128 v[124:127], off, off offset:224
	;; [unrolled: 1-line block ×6, first 2 shown]
	v_mov_b32_e32 v2, 0
	ds_load_2addr_b64 v[144:147], v2 offset0:85 offset1:86
	ds_load_2addr_b64 v[148:151], v2 offset0:87 offset1:88
	scratch_load_b128 v[152:155], off, off offset:304
	s_mov_b32 s0, exec_lo
	s_wait_loadcnt_dscnt 0x601
	v_fma_f64 v[156:157], v[122:123], v[144:145], 0
	s_wait_loadcnt 0x5
	s_delay_alu instid0(VALU_DEP_1) | instskip(SKIP_4) | instid1(VALU_DEP_1)
	v_fmac_f64_e32 v[156:157], v[124:125], v[146:147]
	scratch_load_b128 v[122:125], off, off offset:320
	s_wait_dscnt 0x0
	v_fmac_f64_e32 v[156:157], v[126:127], v[148:149]
	s_wait_loadcnt 0x5
	v_fmac_f64_e32 v[156:157], v[128:129], v[150:151]
	ds_load_2addr_b64 v[126:129], v2 offset0:89 offset1:90
	ds_load_2addr_b64 v[144:147], v2 offset0:91 offset1:92
	scratch_load_b128 v[148:151], off, off offset:336
	s_wait_dscnt 0x1
	v_fmac_f64_e32 v[156:157], v[130:131], v[126:127]
	s_wait_loadcnt 0x5
	s_delay_alu instid0(VALU_DEP_1) | instskip(SKIP_4) | instid1(VALU_DEP_1)
	v_fmac_f64_e32 v[156:157], v[132:133], v[128:129]
	scratch_load_b128 v[126:129], off, off offset:352
	s_wait_dscnt 0x0
	v_fmac_f64_e32 v[156:157], v[134:135], v[144:145]
	s_wait_loadcnt 0x5
	v_fmac_f64_e32 v[156:157], v[136:137], v[146:147]
	ds_load_2addr_b64 v[130:133], v2 offset0:93 offset1:94
	ds_load_2addr_b64 v[134:137], v2 offset0:95 offset1:96
	scratch_load_b128 v[144:147], off, off offset:368
	s_wait_dscnt 0x1
	v_fmac_f64_e32 v[156:157], v[138:139], v[130:131]
	s_wait_loadcnt 0x5
	s_delay_alu instid0(VALU_DEP_1) | instskip(SKIP_4) | instid1(VALU_DEP_1)
	v_fmac_f64_e32 v[156:157], v[140:141], v[132:133]
	scratch_load_b128 v[130:133], off, off offset:384
	s_wait_dscnt 0x0
	v_fmac_f64_e32 v[156:157], v[142:143], v[134:135]
	s_wait_loadcnt 0x5
	v_fmac_f64_e32 v[156:157], v[152:153], v[136:137]
	ds_load_2addr_b64 v[134:137], v2 offset0:97 offset1:98
	ds_load_2addr_b64 v[138:141], v2 offset0:99 offset1:100
	s_wait_dscnt 0x1
	v_fmac_f64_e32 v[156:157], v[154:155], v[134:135]
	s_wait_loadcnt 0x4
	s_delay_alu instid0(VALU_DEP_1)
	v_fmac_f64_e32 v[156:157], v[122:123], v[136:137]
	scratch_load_b128 v[134:137], off, off offset:400
	s_wait_dscnt 0x0
	v_fmac_f64_e32 v[156:157], v[124:125], v[138:139]
	scratch_load_b128 v[122:125], off, off offset:416
	s_wait_loadcnt 0x5
	v_fmac_f64_e32 v[156:157], v[148:149], v[140:141]
	ds_load_2addr_b64 v[138:141], v2 offset0:101 offset1:102
	ds_load_2addr_b64 v[152:155], v2 offset0:103 offset1:104
	s_wait_dscnt 0x1
	v_fmac_f64_e32 v[156:157], v[150:151], v[138:139]
	s_wait_loadcnt 0x4
	s_delay_alu instid0(VALU_DEP_1)
	v_fmac_f64_e32 v[156:157], v[126:127], v[140:141]
	scratch_load_b128 v[138:141], off, off offset:432
	s_wait_dscnt 0x0
	v_fmac_f64_e32 v[156:157], v[128:129], v[152:153]
	scratch_load_b128 v[126:129], off, off offset:448
	s_wait_loadcnt 0x5
	v_fmac_f64_e32 v[156:157], v[144:145], v[154:155]
	ds_load_2addr_b64 v[142:145], v2 offset0:105 offset1:106
	ds_load_2addr_b64 v[148:151], v2 offset0:107 offset1:108
	s_wait_dscnt 0x1
	v_fmac_f64_e32 v[156:157], v[146:147], v[142:143]
	s_wait_loadcnt 0x4
	s_delay_alu instid0(VALU_DEP_1) | instskip(SKIP_1) | instid1(VALU_DEP_1)
	v_fmac_f64_e32 v[156:157], v[130:131], v[144:145]
	s_wait_dscnt 0x0
	v_fmac_f64_e32 v[156:157], v[132:133], v[148:149]
	ds_load_2addr_b64 v[130:133], v2 offset0:109 offset1:110
	ds_load_2addr_b64 v[142:145], v2 offset0:111 offset1:112
	s_wait_loadcnt 0x3
	v_fmac_f64_e32 v[156:157], v[134:135], v[150:151]
	s_wait_dscnt 0x1
	s_delay_alu instid0(VALU_DEP_1) | instskip(SKIP_1) | instid1(VALU_DEP_1)
	v_fmac_f64_e32 v[156:157], v[136:137], v[130:131]
	s_wait_loadcnt 0x2
	v_fmac_f64_e32 v[156:157], v[122:123], v[132:133]
	s_wait_dscnt 0x0
	s_delay_alu instid0(VALU_DEP_1)
	v_fmac_f64_e32 v[156:157], v[124:125], v[142:143]
	ds_load_2addr_b64 v[122:125], v2 offset0:113 offset1:114
	ds_load_b64 v[130:131], v2 offset:920
	s_wait_loadcnt 0x1
	v_fmac_f64_e32 v[156:157], v[138:139], v[144:145]
	s_wait_dscnt 0x1
	s_delay_alu instid0(VALU_DEP_1) | instskip(SKIP_1) | instid1(VALU_DEP_1)
	v_fmac_f64_e32 v[156:157], v[140:141], v[122:123]
	s_wait_loadcnt 0x0
	v_fmac_f64_e32 v[156:157], v[126:127], v[124:125]
	s_wait_dscnt 0x0
	s_delay_alu instid0(VALU_DEP_1) | instskip(NEXT) | instid1(VALU_DEP_1)
	v_fmac_f64_e32 v[156:157], v[128:129], v[130:131]
	v_add_f64_e64 v[120:121], v[120:121], -v[156:157]
	scratch_store_b64 off, v[120:121], off offset:208
	s_wait_xcnt 0x0
	v_cmpx_lt_u32_e32 25, v0
	s_cbranch_execz .LBB121_307
; %bb.306:
	scratch_load_b64 v[120:121], off, off offset:200
	v_mov_b64_e32 v[122:123], 0
	scratch_store_b64 off, v[122:123], off offset:200
	s_wait_loadcnt 0x0
	ds_store_b64 v1, v[120:121]
.LBB121_307:
	s_wait_xcnt 0x0
	s_or_b32 exec_lo, exec_lo, s0
	s_wait_storecnt_dscnt 0x0
	s_barrier_signal -1
	s_barrier_wait -1
	s_clause 0x5
	scratch_load_b128 v[120:123], off, off offset:200
	scratch_load_b128 v[124:127], off, off offset:216
	;; [unrolled: 1-line block ×6, first 2 shown]
	ds_load_b128 v[144:147], v2 offset:672
	ds_load_b128 v[148:151], v2 offset:688
	scratch_load_b128 v[152:155], off, off offset:296
	s_mov_b32 s0, exec_lo
	s_wait_loadcnt_dscnt 0x601
	v_fma_f64 v[156:157], v[122:123], v[144:145], 0
	s_wait_loadcnt 0x5
	s_delay_alu instid0(VALU_DEP_1) | instskip(SKIP_4) | instid1(VALU_DEP_1)
	v_fmac_f64_e32 v[156:157], v[124:125], v[146:147]
	scratch_load_b128 v[122:125], off, off offset:312
	s_wait_dscnt 0x0
	v_fmac_f64_e32 v[156:157], v[126:127], v[148:149]
	s_wait_loadcnt 0x5
	v_fmac_f64_e32 v[156:157], v[128:129], v[150:151]
	ds_load_b128 v[126:129], v2 offset:704
	ds_load_b128 v[144:147], v2 offset:720
	scratch_load_b128 v[148:151], off, off offset:328
	s_wait_dscnt 0x1
	v_fmac_f64_e32 v[156:157], v[130:131], v[126:127]
	s_wait_loadcnt 0x5
	s_delay_alu instid0(VALU_DEP_1) | instskip(SKIP_4) | instid1(VALU_DEP_1)
	v_fmac_f64_e32 v[156:157], v[132:133], v[128:129]
	scratch_load_b128 v[126:129], off, off offset:344
	s_wait_dscnt 0x0
	v_fmac_f64_e32 v[156:157], v[134:135], v[144:145]
	s_wait_loadcnt 0x5
	v_fmac_f64_e32 v[156:157], v[136:137], v[146:147]
	ds_load_b128 v[130:133], v2 offset:736
	ds_load_b128 v[134:137], v2 offset:752
	scratch_load_b128 v[144:147], off, off offset:360
	s_wait_dscnt 0x1
	v_fmac_f64_e32 v[156:157], v[138:139], v[130:131]
	s_wait_loadcnt 0x5
	s_delay_alu instid0(VALU_DEP_1) | instskip(SKIP_4) | instid1(VALU_DEP_1)
	v_fmac_f64_e32 v[156:157], v[140:141], v[132:133]
	scratch_load_b128 v[130:133], off, off offset:376
	s_wait_dscnt 0x0
	v_fmac_f64_e32 v[156:157], v[142:143], v[134:135]
	s_wait_loadcnt 0x5
	v_fmac_f64_e32 v[156:157], v[152:153], v[136:137]
	ds_load_b128 v[134:137], v2 offset:768
	ds_load_b128 v[138:141], v2 offset:784
	s_wait_dscnt 0x1
	v_fmac_f64_e32 v[156:157], v[154:155], v[134:135]
	s_wait_loadcnt 0x4
	s_delay_alu instid0(VALU_DEP_1)
	v_fmac_f64_e32 v[156:157], v[122:123], v[136:137]
	scratch_load_b128 v[134:137], off, off offset:392
	s_wait_dscnt 0x0
	v_fmac_f64_e32 v[156:157], v[124:125], v[138:139]
	scratch_load_b128 v[122:125], off, off offset:408
	s_wait_loadcnt 0x5
	v_fmac_f64_e32 v[156:157], v[148:149], v[140:141]
	ds_load_b128 v[138:141], v2 offset:800
	ds_load_b128 v[152:155], v2 offset:816
	s_wait_dscnt 0x1
	v_fmac_f64_e32 v[156:157], v[150:151], v[138:139]
	s_wait_loadcnt 0x4
	s_delay_alu instid0(VALU_DEP_1)
	v_fmac_f64_e32 v[156:157], v[126:127], v[140:141]
	scratch_load_b128 v[138:141], off, off offset:424
	s_wait_dscnt 0x0
	v_fmac_f64_e32 v[156:157], v[128:129], v[152:153]
	scratch_load_b128 v[126:129], off, off offset:440
	s_wait_loadcnt 0x5
	v_fmac_f64_e32 v[156:157], v[144:145], v[154:155]
	ds_load_b128 v[142:145], v2 offset:832
	ds_load_b128 v[148:151], v2 offset:848
	s_wait_dscnt 0x1
	v_fmac_f64_e32 v[156:157], v[146:147], v[142:143]
	scratch_load_b64 v[146:147], off, off offset:456
	s_wait_loadcnt 0x5
	v_fmac_f64_e32 v[156:157], v[130:131], v[144:145]
	s_wait_dscnt 0x0
	s_delay_alu instid0(VALU_DEP_1)
	v_fmac_f64_e32 v[156:157], v[132:133], v[148:149]
	ds_load_b128 v[130:133], v2 offset:864
	ds_load_b128 v[142:145], v2 offset:880
	s_wait_loadcnt 0x4
	v_fmac_f64_e32 v[156:157], v[134:135], v[150:151]
	s_wait_dscnt 0x1
	s_delay_alu instid0(VALU_DEP_1) | instskip(SKIP_1) | instid1(VALU_DEP_1)
	v_fmac_f64_e32 v[156:157], v[136:137], v[130:131]
	s_wait_loadcnt 0x3
	v_fmac_f64_e32 v[156:157], v[122:123], v[132:133]
	s_wait_dscnt 0x0
	s_delay_alu instid0(VALU_DEP_1)
	v_fmac_f64_e32 v[156:157], v[124:125], v[142:143]
	ds_load_b128 v[122:125], v2 offset:896
	ds_load_b128 v[130:133], v2 offset:912
	s_wait_loadcnt 0x2
	v_fmac_f64_e32 v[156:157], v[138:139], v[144:145]
	s_wait_dscnt 0x1
	s_delay_alu instid0(VALU_DEP_1) | instskip(SKIP_1) | instid1(VALU_DEP_1)
	v_fmac_f64_e32 v[156:157], v[140:141], v[122:123]
	s_wait_loadcnt 0x1
	v_fmac_f64_e32 v[156:157], v[126:127], v[124:125]
	s_wait_dscnt 0x0
	s_delay_alu instid0(VALU_DEP_1) | instskip(SKIP_1) | instid1(VALU_DEP_1)
	v_fmac_f64_e32 v[156:157], v[128:129], v[130:131]
	s_wait_loadcnt 0x0
	v_fmac_f64_e32 v[156:157], v[146:147], v[132:133]
	s_delay_alu instid0(VALU_DEP_1)
	v_add_f64_e64 v[2:3], v[120:121], -v[156:157]
	scratch_store_b64 off, v[2:3], off offset:200
	s_wait_xcnt 0x0
	v_cmpx_lt_u32_e32 24, v0
	s_cbranch_execz .LBB121_309
; %bb.308:
	scratch_load_b64 v[2:3], off, off offset:192
	v_mov_b64_e32 v[120:121], 0
	scratch_store_b64 off, v[120:121], off offset:192
	s_wait_loadcnt 0x0
	ds_store_b64 v1, v[2:3]
.LBB121_309:
	s_wait_xcnt 0x0
	s_or_b32 exec_lo, exec_lo, s0
	s_wait_storecnt_dscnt 0x0
	s_barrier_signal -1
	s_barrier_wait -1
	s_clause 0x5
	scratch_load_b128 v[120:123], off, off offset:192
	scratch_load_b128 v[124:127], off, off offset:208
	;; [unrolled: 1-line block ×6, first 2 shown]
	v_mov_b32_e32 v2, 0
	ds_load_2addr_b64 v[144:147], v2 offset0:83 offset1:84
	ds_load_2addr_b64 v[148:151], v2 offset0:85 offset1:86
	scratch_load_b128 v[152:155], off, off offset:288
	s_mov_b32 s0, exec_lo
	s_wait_loadcnt_dscnt 0x601
	v_fma_f64 v[156:157], v[122:123], v[144:145], 0
	s_wait_loadcnt 0x5
	s_delay_alu instid0(VALU_DEP_1) | instskip(SKIP_4) | instid1(VALU_DEP_1)
	v_fmac_f64_e32 v[156:157], v[124:125], v[146:147]
	scratch_load_b128 v[122:125], off, off offset:304
	s_wait_dscnt 0x0
	v_fmac_f64_e32 v[156:157], v[126:127], v[148:149]
	s_wait_loadcnt 0x5
	v_fmac_f64_e32 v[156:157], v[128:129], v[150:151]
	ds_load_2addr_b64 v[126:129], v2 offset0:87 offset1:88
	ds_load_2addr_b64 v[144:147], v2 offset0:89 offset1:90
	scratch_load_b128 v[148:151], off, off offset:320
	s_wait_dscnt 0x1
	v_fmac_f64_e32 v[156:157], v[130:131], v[126:127]
	s_wait_loadcnt 0x5
	s_delay_alu instid0(VALU_DEP_1) | instskip(SKIP_4) | instid1(VALU_DEP_1)
	v_fmac_f64_e32 v[156:157], v[132:133], v[128:129]
	scratch_load_b128 v[126:129], off, off offset:336
	s_wait_dscnt 0x0
	v_fmac_f64_e32 v[156:157], v[134:135], v[144:145]
	s_wait_loadcnt 0x5
	v_fmac_f64_e32 v[156:157], v[136:137], v[146:147]
	ds_load_2addr_b64 v[130:133], v2 offset0:91 offset1:92
	ds_load_2addr_b64 v[134:137], v2 offset0:93 offset1:94
	scratch_load_b128 v[144:147], off, off offset:352
	s_wait_dscnt 0x1
	v_fmac_f64_e32 v[156:157], v[138:139], v[130:131]
	s_wait_loadcnt 0x5
	s_delay_alu instid0(VALU_DEP_1) | instskip(SKIP_4) | instid1(VALU_DEP_1)
	v_fmac_f64_e32 v[156:157], v[140:141], v[132:133]
	scratch_load_b128 v[130:133], off, off offset:368
	s_wait_dscnt 0x0
	v_fmac_f64_e32 v[156:157], v[142:143], v[134:135]
	s_wait_loadcnt 0x5
	v_fmac_f64_e32 v[156:157], v[152:153], v[136:137]
	ds_load_2addr_b64 v[134:137], v2 offset0:95 offset1:96
	ds_load_2addr_b64 v[138:141], v2 offset0:97 offset1:98
	s_wait_dscnt 0x1
	v_fmac_f64_e32 v[156:157], v[154:155], v[134:135]
	s_wait_loadcnt 0x4
	s_delay_alu instid0(VALU_DEP_1)
	v_fmac_f64_e32 v[156:157], v[122:123], v[136:137]
	scratch_load_b128 v[134:137], off, off offset:384
	s_wait_dscnt 0x0
	v_fmac_f64_e32 v[156:157], v[124:125], v[138:139]
	scratch_load_b128 v[122:125], off, off offset:400
	s_wait_loadcnt 0x5
	v_fmac_f64_e32 v[156:157], v[148:149], v[140:141]
	ds_load_2addr_b64 v[138:141], v2 offset0:99 offset1:100
	ds_load_2addr_b64 v[152:155], v2 offset0:101 offset1:102
	s_wait_dscnt 0x1
	v_fmac_f64_e32 v[156:157], v[150:151], v[138:139]
	s_wait_loadcnt 0x4
	s_delay_alu instid0(VALU_DEP_1)
	v_fmac_f64_e32 v[156:157], v[126:127], v[140:141]
	scratch_load_b128 v[138:141], off, off offset:416
	s_wait_dscnt 0x0
	v_fmac_f64_e32 v[156:157], v[128:129], v[152:153]
	scratch_load_b128 v[126:129], off, off offset:432
	s_wait_loadcnt 0x5
	v_fmac_f64_e32 v[156:157], v[144:145], v[154:155]
	ds_load_2addr_b64 v[142:145], v2 offset0:103 offset1:104
	ds_load_2addr_b64 v[148:151], v2 offset0:105 offset1:106
	s_wait_dscnt 0x1
	v_fmac_f64_e32 v[156:157], v[146:147], v[142:143]
	s_wait_loadcnt 0x4
	s_delay_alu instid0(VALU_DEP_1)
	v_fmac_f64_e32 v[156:157], v[130:131], v[144:145]
	scratch_load_b128 v[142:145], off, off offset:448
	s_wait_dscnt 0x0
	v_fmac_f64_e32 v[156:157], v[132:133], v[148:149]
	ds_load_2addr_b64 v[130:133], v2 offset0:107 offset1:108
	ds_load_2addr_b64 v[146:149], v2 offset0:109 offset1:110
	s_wait_loadcnt 0x4
	v_fmac_f64_e32 v[156:157], v[134:135], v[150:151]
	s_wait_dscnt 0x1
	s_delay_alu instid0(VALU_DEP_1) | instskip(SKIP_1) | instid1(VALU_DEP_1)
	v_fmac_f64_e32 v[156:157], v[136:137], v[130:131]
	s_wait_loadcnt 0x3
	v_fmac_f64_e32 v[156:157], v[122:123], v[132:133]
	s_wait_dscnt 0x0
	s_delay_alu instid0(VALU_DEP_1)
	v_fmac_f64_e32 v[156:157], v[124:125], v[146:147]
	ds_load_2addr_b64 v[122:125], v2 offset0:111 offset1:112
	ds_load_2addr_b64 v[130:133], v2 offset0:113 offset1:114
	s_wait_loadcnt 0x2
	v_fmac_f64_e32 v[156:157], v[138:139], v[148:149]
	s_wait_dscnt 0x1
	s_delay_alu instid0(VALU_DEP_1) | instskip(SKIP_4) | instid1(VALU_DEP_1)
	v_fmac_f64_e32 v[156:157], v[140:141], v[122:123]
	ds_load_b64 v[122:123], v2 offset:920
	s_wait_loadcnt 0x1
	v_fmac_f64_e32 v[156:157], v[126:127], v[124:125]
	s_wait_dscnt 0x1
	v_fmac_f64_e32 v[156:157], v[128:129], v[130:131]
	s_wait_loadcnt 0x0
	s_delay_alu instid0(VALU_DEP_1) | instskip(SKIP_1) | instid1(VALU_DEP_1)
	v_fmac_f64_e32 v[156:157], v[142:143], v[132:133]
	s_wait_dscnt 0x0
	v_fmac_f64_e32 v[156:157], v[144:145], v[122:123]
	s_delay_alu instid0(VALU_DEP_1)
	v_add_f64_e64 v[120:121], v[120:121], -v[156:157]
	scratch_store_b64 off, v[120:121], off offset:192
	s_wait_xcnt 0x0
	v_cmpx_lt_u32_e32 23, v0
	s_cbranch_execz .LBB121_311
; %bb.310:
	scratch_load_b64 v[120:121], off, off offset:184
	v_mov_b64_e32 v[122:123], 0
	scratch_store_b64 off, v[122:123], off offset:184
	s_wait_loadcnt 0x0
	ds_store_b64 v1, v[120:121]
.LBB121_311:
	s_wait_xcnt 0x0
	s_or_b32 exec_lo, exec_lo, s0
	s_wait_storecnt_dscnt 0x0
	s_barrier_signal -1
	s_barrier_wait -1
	s_clause 0x5
	scratch_load_b128 v[120:123], off, off offset:184
	scratch_load_b128 v[124:127], off, off offset:200
	;; [unrolled: 1-line block ×6, first 2 shown]
	ds_load_b128 v[144:147], v2 offset:656
	ds_load_b128 v[148:151], v2 offset:672
	scratch_load_b128 v[152:155], off, off offset:280
	s_mov_b32 s0, exec_lo
	s_wait_loadcnt_dscnt 0x601
	v_fma_f64 v[156:157], v[122:123], v[144:145], 0
	s_wait_loadcnt 0x5
	s_delay_alu instid0(VALU_DEP_1) | instskip(SKIP_4) | instid1(VALU_DEP_1)
	v_fmac_f64_e32 v[156:157], v[124:125], v[146:147]
	scratch_load_b128 v[122:125], off, off offset:296
	s_wait_dscnt 0x0
	v_fmac_f64_e32 v[156:157], v[126:127], v[148:149]
	s_wait_loadcnt 0x5
	v_fmac_f64_e32 v[156:157], v[128:129], v[150:151]
	ds_load_b128 v[126:129], v2 offset:688
	ds_load_b128 v[144:147], v2 offset:704
	scratch_load_b128 v[148:151], off, off offset:312
	s_wait_dscnt 0x1
	v_fmac_f64_e32 v[156:157], v[130:131], v[126:127]
	s_wait_loadcnt 0x5
	s_delay_alu instid0(VALU_DEP_1) | instskip(SKIP_4) | instid1(VALU_DEP_1)
	v_fmac_f64_e32 v[156:157], v[132:133], v[128:129]
	scratch_load_b128 v[126:129], off, off offset:328
	s_wait_dscnt 0x0
	v_fmac_f64_e32 v[156:157], v[134:135], v[144:145]
	s_wait_loadcnt 0x5
	v_fmac_f64_e32 v[156:157], v[136:137], v[146:147]
	ds_load_b128 v[130:133], v2 offset:720
	ds_load_b128 v[134:137], v2 offset:736
	scratch_load_b128 v[144:147], off, off offset:344
	s_wait_dscnt 0x1
	v_fmac_f64_e32 v[156:157], v[138:139], v[130:131]
	s_wait_loadcnt 0x5
	s_delay_alu instid0(VALU_DEP_1) | instskip(SKIP_4) | instid1(VALU_DEP_1)
	v_fmac_f64_e32 v[156:157], v[140:141], v[132:133]
	scratch_load_b128 v[130:133], off, off offset:360
	s_wait_dscnt 0x0
	v_fmac_f64_e32 v[156:157], v[142:143], v[134:135]
	s_wait_loadcnt 0x5
	v_fmac_f64_e32 v[156:157], v[152:153], v[136:137]
	ds_load_b128 v[134:137], v2 offset:752
	ds_load_b128 v[138:141], v2 offset:768
	s_wait_dscnt 0x1
	v_fmac_f64_e32 v[156:157], v[154:155], v[134:135]
	scratch_load_b128 v[152:155], off, off offset:376
	s_wait_loadcnt 0x5
	v_fmac_f64_e32 v[156:157], v[122:123], v[136:137]
	s_wait_dscnt 0x0
	s_delay_alu instid0(VALU_DEP_1)
	v_fmac_f64_e32 v[156:157], v[124:125], v[138:139]
	scratch_load_b128 v[122:125], off, off offset:392
	s_wait_loadcnt 0x5
	v_fmac_f64_e32 v[156:157], v[148:149], v[140:141]
	ds_load_b128 v[134:137], v2 offset:784
	ds_load_b128 v[138:141], v2 offset:800
	s_wait_dscnt 0x1
	v_fmac_f64_e32 v[156:157], v[150:151], v[134:135]
	s_wait_loadcnt 0x4
	s_delay_alu instid0(VALU_DEP_1)
	v_fmac_f64_e32 v[156:157], v[126:127], v[136:137]
	scratch_load_b128 v[134:137], off, off offset:408
	s_wait_dscnt 0x0
	v_fmac_f64_e32 v[156:157], v[128:129], v[138:139]
	scratch_load_b128 v[126:129], off, off offset:424
	s_wait_loadcnt 0x5
	v_fmac_f64_e32 v[156:157], v[144:145], v[140:141]
	ds_load_b128 v[138:141], v2 offset:816
	ds_load_b128 v[142:145], v2 offset:832
	s_wait_dscnt 0x1
	v_fmac_f64_e32 v[156:157], v[146:147], v[138:139]
	scratch_load_b64 v[146:147], off, off offset:456
	s_wait_loadcnt 0x5
	v_fmac_f64_e32 v[156:157], v[130:131], v[140:141]
	scratch_load_b128 v[138:141], off, off offset:440
	s_wait_dscnt 0x0
	v_fmac_f64_e32 v[156:157], v[132:133], v[142:143]
	s_wait_loadcnt 0x5
	s_delay_alu instid0(VALU_DEP_1)
	v_fmac_f64_e32 v[156:157], v[152:153], v[144:145]
	ds_load_b128 v[130:133], v2 offset:848
	ds_load_b128 v[142:145], v2 offset:864
	s_wait_dscnt 0x1
	v_fmac_f64_e32 v[156:157], v[154:155], v[130:131]
	s_wait_loadcnt 0x4
	s_delay_alu instid0(VALU_DEP_1) | instskip(SKIP_1) | instid1(VALU_DEP_1)
	v_fmac_f64_e32 v[156:157], v[122:123], v[132:133]
	s_wait_dscnt 0x0
	v_fmac_f64_e32 v[156:157], v[124:125], v[142:143]
	ds_load_b128 v[122:125], v2 offset:880
	ds_load_b128 v[130:133], v2 offset:896
	s_wait_loadcnt 0x3
	v_fmac_f64_e32 v[156:157], v[134:135], v[144:145]
	s_wait_dscnt 0x1
	s_delay_alu instid0(VALU_DEP_1) | instskip(SKIP_1) | instid1(VALU_DEP_1)
	v_fmac_f64_e32 v[156:157], v[136:137], v[122:123]
	s_wait_loadcnt 0x2
	v_fmac_f64_e32 v[156:157], v[126:127], v[124:125]
	ds_load_b128 v[122:125], v2 offset:912
	s_wait_dscnt 0x1
	v_fmac_f64_e32 v[156:157], v[128:129], v[130:131]
	s_wait_loadcnt 0x0
	s_delay_alu instid0(VALU_DEP_1) | instskip(SKIP_1) | instid1(VALU_DEP_1)
	v_fmac_f64_e32 v[156:157], v[138:139], v[132:133]
	s_wait_dscnt 0x0
	v_fmac_f64_e32 v[156:157], v[140:141], v[122:123]
	s_delay_alu instid0(VALU_DEP_1) | instskip(NEXT) | instid1(VALU_DEP_1)
	v_fmac_f64_e32 v[156:157], v[146:147], v[124:125]
	v_add_f64_e64 v[2:3], v[120:121], -v[156:157]
	scratch_store_b64 off, v[2:3], off offset:184
	s_wait_xcnt 0x0
	v_cmpx_lt_u32_e32 22, v0
	s_cbranch_execz .LBB121_313
; %bb.312:
	scratch_load_b64 v[2:3], off, off offset:176
	v_mov_b64_e32 v[120:121], 0
	scratch_store_b64 off, v[120:121], off offset:176
	s_wait_loadcnt 0x0
	ds_store_b64 v1, v[2:3]
.LBB121_313:
	s_wait_xcnt 0x0
	s_or_b32 exec_lo, exec_lo, s0
	s_wait_storecnt_dscnt 0x0
	s_barrier_signal -1
	s_barrier_wait -1
	s_clause 0x5
	scratch_load_b128 v[120:123], off, off offset:176
	scratch_load_b128 v[124:127], off, off offset:192
	;; [unrolled: 1-line block ×6, first 2 shown]
	v_mov_b32_e32 v2, 0
	ds_load_2addr_b64 v[144:147], v2 offset0:81 offset1:82
	ds_load_2addr_b64 v[148:151], v2 offset0:83 offset1:84
	scratch_load_b128 v[152:155], off, off offset:272
	s_mov_b32 s0, exec_lo
	s_wait_loadcnt_dscnt 0x601
	v_fma_f64 v[156:157], v[122:123], v[144:145], 0
	s_wait_loadcnt 0x5
	s_delay_alu instid0(VALU_DEP_1) | instskip(SKIP_4) | instid1(VALU_DEP_1)
	v_fmac_f64_e32 v[156:157], v[124:125], v[146:147]
	scratch_load_b128 v[122:125], off, off offset:288
	s_wait_dscnt 0x0
	v_fmac_f64_e32 v[156:157], v[126:127], v[148:149]
	s_wait_loadcnt 0x5
	v_fmac_f64_e32 v[156:157], v[128:129], v[150:151]
	ds_load_2addr_b64 v[126:129], v2 offset0:85 offset1:86
	ds_load_2addr_b64 v[144:147], v2 offset0:87 offset1:88
	scratch_load_b128 v[148:151], off, off offset:304
	s_wait_dscnt 0x1
	v_fmac_f64_e32 v[156:157], v[130:131], v[126:127]
	s_wait_loadcnt 0x5
	s_delay_alu instid0(VALU_DEP_1) | instskip(SKIP_4) | instid1(VALU_DEP_1)
	v_fmac_f64_e32 v[156:157], v[132:133], v[128:129]
	scratch_load_b128 v[126:129], off, off offset:320
	s_wait_dscnt 0x0
	v_fmac_f64_e32 v[156:157], v[134:135], v[144:145]
	s_wait_loadcnt 0x5
	v_fmac_f64_e32 v[156:157], v[136:137], v[146:147]
	ds_load_2addr_b64 v[130:133], v2 offset0:89 offset1:90
	ds_load_2addr_b64 v[134:137], v2 offset0:91 offset1:92
	scratch_load_b128 v[144:147], off, off offset:336
	s_wait_dscnt 0x1
	v_fmac_f64_e32 v[156:157], v[138:139], v[130:131]
	s_wait_loadcnt 0x5
	s_delay_alu instid0(VALU_DEP_1) | instskip(SKIP_4) | instid1(VALU_DEP_1)
	v_fmac_f64_e32 v[156:157], v[140:141], v[132:133]
	scratch_load_b128 v[130:133], off, off offset:352
	s_wait_dscnt 0x0
	v_fmac_f64_e32 v[156:157], v[142:143], v[134:135]
	s_wait_loadcnt 0x5
	v_fmac_f64_e32 v[156:157], v[152:153], v[136:137]
	ds_load_2addr_b64 v[134:137], v2 offset0:93 offset1:94
	ds_load_2addr_b64 v[138:141], v2 offset0:95 offset1:96
	s_wait_dscnt 0x1
	v_fmac_f64_e32 v[156:157], v[154:155], v[134:135]
	scratch_load_b128 v[152:155], off, off offset:368
	s_wait_loadcnt 0x5
	v_fmac_f64_e32 v[156:157], v[122:123], v[136:137]
	s_wait_dscnt 0x0
	s_delay_alu instid0(VALU_DEP_1)
	v_fmac_f64_e32 v[156:157], v[124:125], v[138:139]
	scratch_load_b128 v[122:125], off, off offset:384
	s_wait_loadcnt 0x5
	v_fmac_f64_e32 v[156:157], v[148:149], v[140:141]
	ds_load_2addr_b64 v[134:137], v2 offset0:97 offset1:98
	ds_load_2addr_b64 v[138:141], v2 offset0:99 offset1:100
	s_wait_dscnt 0x1
	v_fmac_f64_e32 v[156:157], v[150:151], v[134:135]
	s_wait_loadcnt 0x4
	s_delay_alu instid0(VALU_DEP_1)
	v_fmac_f64_e32 v[156:157], v[126:127], v[136:137]
	scratch_load_b128 v[134:137], off, off offset:400
	s_wait_dscnt 0x0
	v_fmac_f64_e32 v[156:157], v[128:129], v[138:139]
	scratch_load_b128 v[126:129], off, off offset:416
	s_wait_loadcnt 0x5
	v_fmac_f64_e32 v[156:157], v[144:145], v[140:141]
	ds_load_2addr_b64 v[138:141], v2 offset0:101 offset1:102
	ds_load_2addr_b64 v[142:145], v2 offset0:103 offset1:104
	s_wait_dscnt 0x1
	v_fmac_f64_e32 v[156:157], v[146:147], v[138:139]
	s_wait_loadcnt 0x4
	s_delay_alu instid0(VALU_DEP_1)
	v_fmac_f64_e32 v[156:157], v[130:131], v[140:141]
	scratch_load_b128 v[138:141], off, off offset:432
	s_wait_dscnt 0x0
	v_fmac_f64_e32 v[156:157], v[132:133], v[142:143]
	scratch_load_b128 v[130:133], off, off offset:448
	s_wait_loadcnt 0x5
	v_fmac_f64_e32 v[156:157], v[152:153], v[144:145]
	ds_load_2addr_b64 v[142:145], v2 offset0:105 offset1:106
	ds_load_2addr_b64 v[146:149], v2 offset0:107 offset1:108
	s_wait_dscnt 0x1
	v_fmac_f64_e32 v[156:157], v[154:155], v[142:143]
	s_wait_loadcnt 0x4
	s_delay_alu instid0(VALU_DEP_1) | instskip(SKIP_1) | instid1(VALU_DEP_1)
	v_fmac_f64_e32 v[156:157], v[122:123], v[144:145]
	s_wait_dscnt 0x0
	v_fmac_f64_e32 v[156:157], v[124:125], v[146:147]
	ds_load_2addr_b64 v[122:125], v2 offset0:109 offset1:110
	ds_load_2addr_b64 v[142:145], v2 offset0:111 offset1:112
	s_wait_loadcnt 0x3
	v_fmac_f64_e32 v[156:157], v[134:135], v[148:149]
	s_wait_dscnt 0x1
	s_delay_alu instid0(VALU_DEP_1) | instskip(SKIP_1) | instid1(VALU_DEP_1)
	v_fmac_f64_e32 v[156:157], v[136:137], v[122:123]
	s_wait_loadcnt 0x2
	v_fmac_f64_e32 v[156:157], v[126:127], v[124:125]
	ds_load_2addr_b64 v[122:125], v2 offset0:113 offset1:114
	ds_load_b64 v[126:127], v2 offset:920
	s_wait_dscnt 0x2
	v_fmac_f64_e32 v[156:157], v[128:129], v[142:143]
	s_wait_loadcnt 0x1
	s_delay_alu instid0(VALU_DEP_1) | instskip(SKIP_1) | instid1(VALU_DEP_1)
	v_fmac_f64_e32 v[156:157], v[138:139], v[144:145]
	s_wait_dscnt 0x1
	v_fmac_f64_e32 v[156:157], v[140:141], v[122:123]
	s_wait_loadcnt 0x0
	s_delay_alu instid0(VALU_DEP_1) | instskip(SKIP_1) | instid1(VALU_DEP_1)
	v_fmac_f64_e32 v[156:157], v[130:131], v[124:125]
	s_wait_dscnt 0x0
	v_fmac_f64_e32 v[156:157], v[132:133], v[126:127]
	s_delay_alu instid0(VALU_DEP_1)
	v_add_f64_e64 v[120:121], v[120:121], -v[156:157]
	scratch_store_b64 off, v[120:121], off offset:176
	s_wait_xcnt 0x0
	v_cmpx_lt_u32_e32 21, v0
	s_cbranch_execz .LBB121_315
; %bb.314:
	scratch_load_b64 v[120:121], off, off offset:168
	v_mov_b64_e32 v[122:123], 0
	scratch_store_b64 off, v[122:123], off offset:168
	s_wait_loadcnt 0x0
	ds_store_b64 v1, v[120:121]
.LBB121_315:
	s_wait_xcnt 0x0
	s_or_b32 exec_lo, exec_lo, s0
	s_wait_storecnt_dscnt 0x0
	s_barrier_signal -1
	s_barrier_wait -1
	s_clause 0x5
	scratch_load_b128 v[120:123], off, off offset:168
	scratch_load_b128 v[124:127], off, off offset:184
	;; [unrolled: 1-line block ×6, first 2 shown]
	ds_load_b128 v[144:147], v2 offset:640
	ds_load_b128 v[148:151], v2 offset:656
	scratch_load_b128 v[152:155], off, off offset:264
	s_mov_b32 s0, exec_lo
	s_wait_loadcnt_dscnt 0x601
	v_fma_f64 v[156:157], v[122:123], v[144:145], 0
	s_wait_loadcnt 0x5
	s_delay_alu instid0(VALU_DEP_1) | instskip(SKIP_4) | instid1(VALU_DEP_1)
	v_fmac_f64_e32 v[156:157], v[124:125], v[146:147]
	scratch_load_b128 v[122:125], off, off offset:280
	s_wait_dscnt 0x0
	v_fmac_f64_e32 v[156:157], v[126:127], v[148:149]
	s_wait_loadcnt 0x5
	v_fmac_f64_e32 v[156:157], v[128:129], v[150:151]
	ds_load_b128 v[126:129], v2 offset:672
	ds_load_b128 v[144:147], v2 offset:688
	scratch_load_b128 v[148:151], off, off offset:296
	s_wait_dscnt 0x1
	v_fmac_f64_e32 v[156:157], v[130:131], v[126:127]
	s_wait_loadcnt 0x5
	s_delay_alu instid0(VALU_DEP_1) | instskip(SKIP_4) | instid1(VALU_DEP_1)
	v_fmac_f64_e32 v[156:157], v[132:133], v[128:129]
	scratch_load_b128 v[126:129], off, off offset:312
	s_wait_dscnt 0x0
	v_fmac_f64_e32 v[156:157], v[134:135], v[144:145]
	s_wait_loadcnt 0x5
	v_fmac_f64_e32 v[156:157], v[136:137], v[146:147]
	ds_load_b128 v[130:133], v2 offset:704
	ds_load_b128 v[134:137], v2 offset:720
	scratch_load_b128 v[144:147], off, off offset:328
	s_wait_dscnt 0x1
	v_fmac_f64_e32 v[156:157], v[138:139], v[130:131]
	s_wait_loadcnt 0x5
	s_delay_alu instid0(VALU_DEP_1) | instskip(SKIP_4) | instid1(VALU_DEP_1)
	v_fmac_f64_e32 v[156:157], v[140:141], v[132:133]
	scratch_load_b128 v[130:133], off, off offset:344
	s_wait_dscnt 0x0
	v_fmac_f64_e32 v[156:157], v[142:143], v[134:135]
	s_wait_loadcnt 0x5
	v_fmac_f64_e32 v[156:157], v[152:153], v[136:137]
	ds_load_b128 v[134:137], v2 offset:736
	ds_load_b128 v[138:141], v2 offset:752
	s_wait_dscnt 0x1
	v_fmac_f64_e32 v[156:157], v[154:155], v[134:135]
	scratch_load_b128 v[152:155], off, off offset:360
	s_wait_loadcnt 0x5
	v_fmac_f64_e32 v[156:157], v[122:123], v[136:137]
	s_wait_dscnt 0x0
	s_delay_alu instid0(VALU_DEP_1)
	v_fmac_f64_e32 v[156:157], v[124:125], v[138:139]
	scratch_load_b128 v[122:125], off, off offset:376
	s_wait_loadcnt 0x5
	v_fmac_f64_e32 v[156:157], v[148:149], v[140:141]
	ds_load_b128 v[134:137], v2 offset:768
	ds_load_b128 v[138:141], v2 offset:784
	s_wait_dscnt 0x1
	v_fmac_f64_e32 v[156:157], v[150:151], v[134:135]
	s_wait_loadcnt 0x4
	s_delay_alu instid0(VALU_DEP_1)
	v_fmac_f64_e32 v[156:157], v[126:127], v[136:137]
	scratch_load_b128 v[134:137], off, off offset:392
	s_wait_dscnt 0x0
	v_fmac_f64_e32 v[156:157], v[128:129], v[138:139]
	scratch_load_b128 v[126:129], off, off offset:408
	s_wait_loadcnt 0x5
	v_fmac_f64_e32 v[156:157], v[144:145], v[140:141]
	ds_load_b128 v[138:141], v2 offset:800
	ds_load_b128 v[142:145], v2 offset:816
	s_wait_dscnt 0x1
	v_fmac_f64_e32 v[156:157], v[146:147], v[138:139]
	s_wait_loadcnt 0x4
	s_delay_alu instid0(VALU_DEP_1)
	v_fmac_f64_e32 v[156:157], v[130:131], v[140:141]
	scratch_load_b128 v[138:141], off, off offset:424
	s_wait_dscnt 0x0
	v_fmac_f64_e32 v[156:157], v[132:133], v[142:143]
	scratch_load_b128 v[130:133], off, off offset:440
	s_wait_loadcnt 0x5
	v_fmac_f64_e32 v[156:157], v[152:153], v[144:145]
	ds_load_b128 v[142:145], v2 offset:832
	ds_load_b128 v[146:149], v2 offset:848
	scratch_load_b64 v[150:151], off, off offset:456
	s_wait_dscnt 0x1
	v_fmac_f64_e32 v[156:157], v[154:155], v[142:143]
	s_wait_loadcnt 0x5
	s_delay_alu instid0(VALU_DEP_1) | instskip(SKIP_1) | instid1(VALU_DEP_1)
	v_fmac_f64_e32 v[156:157], v[122:123], v[144:145]
	s_wait_dscnt 0x0
	v_fmac_f64_e32 v[156:157], v[124:125], v[146:147]
	ds_load_b128 v[122:125], v2 offset:864
	ds_load_b128 v[142:145], v2 offset:880
	s_wait_loadcnt 0x4
	v_fmac_f64_e32 v[156:157], v[134:135], v[148:149]
	s_wait_dscnt 0x1
	s_delay_alu instid0(VALU_DEP_1) | instskip(SKIP_1) | instid1(VALU_DEP_1)
	v_fmac_f64_e32 v[156:157], v[136:137], v[122:123]
	s_wait_loadcnt 0x3
	v_fmac_f64_e32 v[156:157], v[126:127], v[124:125]
	s_wait_dscnt 0x0
	s_delay_alu instid0(VALU_DEP_1)
	v_fmac_f64_e32 v[156:157], v[128:129], v[142:143]
	ds_load_b128 v[122:125], v2 offset:896
	ds_load_b128 v[126:129], v2 offset:912
	s_wait_loadcnt 0x2
	v_fmac_f64_e32 v[156:157], v[138:139], v[144:145]
	s_wait_dscnt 0x1
	s_delay_alu instid0(VALU_DEP_1) | instskip(SKIP_1) | instid1(VALU_DEP_1)
	v_fmac_f64_e32 v[156:157], v[140:141], v[122:123]
	s_wait_loadcnt 0x1
	v_fmac_f64_e32 v[156:157], v[130:131], v[124:125]
	s_wait_dscnt 0x0
	s_delay_alu instid0(VALU_DEP_1) | instskip(SKIP_1) | instid1(VALU_DEP_1)
	v_fmac_f64_e32 v[156:157], v[132:133], v[126:127]
	s_wait_loadcnt 0x0
	v_fmac_f64_e32 v[156:157], v[150:151], v[128:129]
	s_delay_alu instid0(VALU_DEP_1)
	v_add_f64_e64 v[2:3], v[120:121], -v[156:157]
	scratch_store_b64 off, v[2:3], off offset:168
	s_wait_xcnt 0x0
	v_cmpx_lt_u32_e32 20, v0
	s_cbranch_execz .LBB121_317
; %bb.316:
	scratch_load_b64 v[2:3], off, off offset:160
	v_mov_b64_e32 v[120:121], 0
	scratch_store_b64 off, v[120:121], off offset:160
	s_wait_loadcnt 0x0
	ds_store_b64 v1, v[2:3]
.LBB121_317:
	s_wait_xcnt 0x0
	s_or_b32 exec_lo, exec_lo, s0
	s_wait_storecnt_dscnt 0x0
	s_barrier_signal -1
	s_barrier_wait -1
	s_clause 0x5
	scratch_load_b128 v[120:123], off, off offset:160
	scratch_load_b128 v[124:127], off, off offset:176
	;; [unrolled: 1-line block ×6, first 2 shown]
	v_mov_b32_e32 v2, 0
	ds_load_2addr_b64 v[144:147], v2 offset0:79 offset1:80
	ds_load_2addr_b64 v[148:151], v2 offset0:81 offset1:82
	scratch_load_b128 v[152:155], off, off offset:256
	s_mov_b32 s0, exec_lo
	s_wait_loadcnt_dscnt 0x601
	v_fma_f64 v[156:157], v[122:123], v[144:145], 0
	s_wait_loadcnt 0x5
	s_delay_alu instid0(VALU_DEP_1) | instskip(SKIP_4) | instid1(VALU_DEP_1)
	v_fmac_f64_e32 v[156:157], v[124:125], v[146:147]
	scratch_load_b128 v[122:125], off, off offset:272
	s_wait_dscnt 0x0
	v_fmac_f64_e32 v[156:157], v[126:127], v[148:149]
	s_wait_loadcnt 0x5
	v_fmac_f64_e32 v[156:157], v[128:129], v[150:151]
	ds_load_2addr_b64 v[126:129], v2 offset0:83 offset1:84
	ds_load_2addr_b64 v[144:147], v2 offset0:85 offset1:86
	scratch_load_b128 v[148:151], off, off offset:288
	s_wait_dscnt 0x1
	v_fmac_f64_e32 v[156:157], v[130:131], v[126:127]
	s_wait_loadcnt 0x5
	s_delay_alu instid0(VALU_DEP_1) | instskip(SKIP_4) | instid1(VALU_DEP_1)
	v_fmac_f64_e32 v[156:157], v[132:133], v[128:129]
	scratch_load_b128 v[126:129], off, off offset:304
	s_wait_dscnt 0x0
	v_fmac_f64_e32 v[156:157], v[134:135], v[144:145]
	s_wait_loadcnt 0x5
	v_fmac_f64_e32 v[156:157], v[136:137], v[146:147]
	ds_load_2addr_b64 v[130:133], v2 offset0:87 offset1:88
	ds_load_2addr_b64 v[134:137], v2 offset0:89 offset1:90
	scratch_load_b128 v[144:147], off, off offset:320
	s_wait_dscnt 0x1
	v_fmac_f64_e32 v[156:157], v[138:139], v[130:131]
	s_wait_loadcnt 0x5
	s_delay_alu instid0(VALU_DEP_1) | instskip(SKIP_4) | instid1(VALU_DEP_1)
	v_fmac_f64_e32 v[156:157], v[140:141], v[132:133]
	scratch_load_b128 v[130:133], off, off offset:336
	s_wait_dscnt 0x0
	v_fmac_f64_e32 v[156:157], v[142:143], v[134:135]
	s_wait_loadcnt 0x5
	v_fmac_f64_e32 v[156:157], v[152:153], v[136:137]
	ds_load_2addr_b64 v[134:137], v2 offset0:91 offset1:92
	ds_load_2addr_b64 v[138:141], v2 offset0:93 offset1:94
	s_wait_dscnt 0x1
	v_fmac_f64_e32 v[156:157], v[154:155], v[134:135]
	scratch_load_b128 v[152:155], off, off offset:352
	s_wait_loadcnt 0x5
	v_fmac_f64_e32 v[156:157], v[122:123], v[136:137]
	s_wait_dscnt 0x0
	s_delay_alu instid0(VALU_DEP_1)
	v_fmac_f64_e32 v[156:157], v[124:125], v[138:139]
	scratch_load_b128 v[122:125], off, off offset:368
	s_wait_loadcnt 0x5
	v_fmac_f64_e32 v[156:157], v[148:149], v[140:141]
	ds_load_2addr_b64 v[134:137], v2 offset0:95 offset1:96
	ds_load_2addr_b64 v[138:141], v2 offset0:97 offset1:98
	s_wait_dscnt 0x1
	v_fmac_f64_e32 v[156:157], v[150:151], v[134:135]
	s_wait_loadcnt 0x4
	s_delay_alu instid0(VALU_DEP_1)
	v_fmac_f64_e32 v[156:157], v[126:127], v[136:137]
	scratch_load_b128 v[134:137], off, off offset:384
	s_wait_dscnt 0x0
	v_fmac_f64_e32 v[156:157], v[128:129], v[138:139]
	scratch_load_b128 v[126:129], off, off offset:400
	s_wait_loadcnt 0x5
	v_fmac_f64_e32 v[156:157], v[144:145], v[140:141]
	ds_load_2addr_b64 v[138:141], v2 offset0:99 offset1:100
	ds_load_2addr_b64 v[142:145], v2 offset0:101 offset1:102
	s_wait_dscnt 0x1
	v_fmac_f64_e32 v[156:157], v[146:147], v[138:139]
	s_wait_loadcnt 0x4
	s_delay_alu instid0(VALU_DEP_1)
	v_fmac_f64_e32 v[156:157], v[130:131], v[140:141]
	scratch_load_b128 v[138:141], off, off offset:416
	s_wait_dscnt 0x0
	v_fmac_f64_e32 v[156:157], v[132:133], v[142:143]
	scratch_load_b128 v[130:133], off, off offset:432
	s_wait_loadcnt 0x5
	v_fmac_f64_e32 v[156:157], v[152:153], v[144:145]
	ds_load_2addr_b64 v[142:145], v2 offset0:103 offset1:104
	ds_load_2addr_b64 v[146:149], v2 offset0:105 offset1:106
	s_wait_dscnt 0x1
	v_fmac_f64_e32 v[156:157], v[154:155], v[142:143]
	s_wait_loadcnt 0x4
	s_delay_alu instid0(VALU_DEP_1) | instskip(SKIP_4) | instid1(VALU_DEP_1)
	v_fmac_f64_e32 v[156:157], v[122:123], v[144:145]
	scratch_load_b128 v[142:145], off, off offset:448
	s_wait_dscnt 0x0
	v_fmac_f64_e32 v[156:157], v[124:125], v[146:147]
	s_wait_loadcnt 0x4
	v_fmac_f64_e32 v[156:157], v[134:135], v[148:149]
	ds_load_2addr_b64 v[122:125], v2 offset0:107 offset1:108
	ds_load_2addr_b64 v[146:149], v2 offset0:109 offset1:110
	s_wait_dscnt 0x1
	v_fmac_f64_e32 v[156:157], v[136:137], v[122:123]
	s_wait_loadcnt 0x3
	s_delay_alu instid0(VALU_DEP_1) | instskip(SKIP_1) | instid1(VALU_DEP_1)
	v_fmac_f64_e32 v[156:157], v[126:127], v[124:125]
	s_wait_dscnt 0x0
	v_fmac_f64_e32 v[156:157], v[128:129], v[146:147]
	ds_load_2addr_b64 v[122:125], v2 offset0:111 offset1:112
	ds_load_2addr_b64 v[126:129], v2 offset0:113 offset1:114
	s_wait_loadcnt 0x2
	v_fmac_f64_e32 v[156:157], v[138:139], v[148:149]
	s_wait_dscnt 0x1
	s_delay_alu instid0(VALU_DEP_1) | instskip(SKIP_4) | instid1(VALU_DEP_1)
	v_fmac_f64_e32 v[156:157], v[140:141], v[122:123]
	ds_load_b64 v[122:123], v2 offset:920
	s_wait_loadcnt 0x1
	v_fmac_f64_e32 v[156:157], v[130:131], v[124:125]
	s_wait_dscnt 0x1
	v_fmac_f64_e32 v[156:157], v[132:133], v[126:127]
	s_wait_loadcnt 0x0
	s_delay_alu instid0(VALU_DEP_1) | instskip(SKIP_1) | instid1(VALU_DEP_1)
	v_fmac_f64_e32 v[156:157], v[142:143], v[128:129]
	s_wait_dscnt 0x0
	v_fmac_f64_e32 v[156:157], v[144:145], v[122:123]
	s_delay_alu instid0(VALU_DEP_1)
	v_add_f64_e64 v[120:121], v[120:121], -v[156:157]
	scratch_store_b64 off, v[120:121], off offset:160
	s_wait_xcnt 0x0
	v_cmpx_lt_u32_e32 19, v0
	s_cbranch_execz .LBB121_319
; %bb.318:
	scratch_load_b64 v[120:121], off, off offset:152
	v_mov_b64_e32 v[122:123], 0
	scratch_store_b64 off, v[122:123], off offset:152
	s_wait_loadcnt 0x0
	ds_store_b64 v1, v[120:121]
.LBB121_319:
	s_wait_xcnt 0x0
	s_or_b32 exec_lo, exec_lo, s0
	s_wait_storecnt_dscnt 0x0
	s_barrier_signal -1
	s_barrier_wait -1
	s_clause 0x5
	scratch_load_b128 v[120:123], off, off offset:152
	scratch_load_b128 v[124:127], off, off offset:168
	;; [unrolled: 1-line block ×6, first 2 shown]
	ds_load_b128 v[144:147], v2 offset:624
	ds_load_b128 v[148:151], v2 offset:640
	scratch_load_b128 v[152:155], off, off offset:248
	s_mov_b32 s0, exec_lo
	s_wait_loadcnt_dscnt 0x601
	v_fma_f64 v[156:157], v[122:123], v[144:145], 0
	s_wait_loadcnt 0x5
	s_delay_alu instid0(VALU_DEP_1) | instskip(SKIP_4) | instid1(VALU_DEP_1)
	v_fmac_f64_e32 v[156:157], v[124:125], v[146:147]
	scratch_load_b128 v[122:125], off, off offset:264
	s_wait_dscnt 0x0
	v_fmac_f64_e32 v[156:157], v[126:127], v[148:149]
	s_wait_loadcnt 0x5
	v_fmac_f64_e32 v[156:157], v[128:129], v[150:151]
	ds_load_b128 v[126:129], v2 offset:656
	ds_load_b128 v[144:147], v2 offset:672
	scratch_load_b128 v[148:151], off, off offset:280
	s_wait_dscnt 0x1
	v_fmac_f64_e32 v[156:157], v[130:131], v[126:127]
	s_wait_loadcnt 0x5
	s_delay_alu instid0(VALU_DEP_1) | instskip(SKIP_4) | instid1(VALU_DEP_1)
	v_fmac_f64_e32 v[156:157], v[132:133], v[128:129]
	scratch_load_b128 v[126:129], off, off offset:296
	s_wait_dscnt 0x0
	v_fmac_f64_e32 v[156:157], v[134:135], v[144:145]
	s_wait_loadcnt 0x5
	v_fmac_f64_e32 v[156:157], v[136:137], v[146:147]
	ds_load_b128 v[130:133], v2 offset:688
	ds_load_b128 v[134:137], v2 offset:704
	scratch_load_b128 v[144:147], off, off offset:312
	s_wait_dscnt 0x1
	v_fmac_f64_e32 v[156:157], v[138:139], v[130:131]
	s_wait_loadcnt 0x5
	s_delay_alu instid0(VALU_DEP_1) | instskip(SKIP_4) | instid1(VALU_DEP_1)
	v_fmac_f64_e32 v[156:157], v[140:141], v[132:133]
	scratch_load_b128 v[130:133], off, off offset:328
	s_wait_dscnt 0x0
	v_fmac_f64_e32 v[156:157], v[142:143], v[134:135]
	s_wait_loadcnt 0x5
	v_fmac_f64_e32 v[156:157], v[152:153], v[136:137]
	ds_load_b128 v[134:137], v2 offset:720
	ds_load_b128 v[138:141], v2 offset:736
	s_wait_dscnt 0x1
	v_fmac_f64_e32 v[156:157], v[154:155], v[134:135]
	scratch_load_b128 v[152:155], off, off offset:344
	s_wait_loadcnt 0x5
	v_fmac_f64_e32 v[156:157], v[122:123], v[136:137]
	s_wait_dscnt 0x0
	s_delay_alu instid0(VALU_DEP_1)
	v_fmac_f64_e32 v[156:157], v[124:125], v[138:139]
	scratch_load_b128 v[122:125], off, off offset:360
	s_wait_loadcnt 0x5
	v_fmac_f64_e32 v[156:157], v[148:149], v[140:141]
	ds_load_b128 v[134:137], v2 offset:752
	ds_load_b128 v[138:141], v2 offset:768
	s_wait_dscnt 0x1
	v_fmac_f64_e32 v[156:157], v[150:151], v[134:135]
	scratch_load_b128 v[148:151], off, off offset:376
	s_wait_loadcnt 0x5
	v_fmac_f64_e32 v[156:157], v[126:127], v[136:137]
	s_wait_dscnt 0x0
	s_delay_alu instid0(VALU_DEP_1)
	v_fmac_f64_e32 v[156:157], v[128:129], v[138:139]
	scratch_load_b128 v[126:129], off, off offset:392
	s_wait_loadcnt 0x5
	v_fmac_f64_e32 v[156:157], v[144:145], v[140:141]
	ds_load_b128 v[134:137], v2 offset:784
	ds_load_b128 v[138:141], v2 offset:800
	s_wait_dscnt 0x1
	v_fmac_f64_e32 v[156:157], v[146:147], v[134:135]
	s_wait_loadcnt 0x4
	s_delay_alu instid0(VALU_DEP_1)
	v_fmac_f64_e32 v[156:157], v[130:131], v[136:137]
	scratch_load_b128 v[134:137], off, off offset:408
	s_wait_dscnt 0x0
	v_fmac_f64_e32 v[156:157], v[132:133], v[138:139]
	scratch_load_b128 v[130:133], off, off offset:424
	s_wait_loadcnt 0x5
	v_fmac_f64_e32 v[156:157], v[152:153], v[140:141]
	ds_load_b128 v[138:141], v2 offset:816
	ds_load_b128 v[142:145], v2 offset:832
	scratch_load_b64 v[146:147], off, off offset:456
	s_wait_dscnt 0x1
	v_fmac_f64_e32 v[156:157], v[154:155], v[138:139]
	s_wait_loadcnt 0x5
	s_delay_alu instid0(VALU_DEP_1) | instskip(SKIP_4) | instid1(VALU_DEP_1)
	v_fmac_f64_e32 v[156:157], v[122:123], v[140:141]
	scratch_load_b128 v[138:141], off, off offset:440
	s_wait_dscnt 0x0
	v_fmac_f64_e32 v[156:157], v[124:125], v[142:143]
	s_wait_loadcnt 0x5
	v_fmac_f64_e32 v[156:157], v[148:149], v[144:145]
	ds_load_b128 v[122:125], v2 offset:848
	ds_load_b128 v[142:145], v2 offset:864
	s_wait_dscnt 0x1
	v_fmac_f64_e32 v[156:157], v[150:151], v[122:123]
	s_wait_loadcnt 0x4
	s_delay_alu instid0(VALU_DEP_1) | instskip(SKIP_1) | instid1(VALU_DEP_1)
	v_fmac_f64_e32 v[156:157], v[126:127], v[124:125]
	s_wait_dscnt 0x0
	v_fmac_f64_e32 v[156:157], v[128:129], v[142:143]
	ds_load_b128 v[122:125], v2 offset:880
	ds_load_b128 v[126:129], v2 offset:896
	s_wait_loadcnt 0x3
	v_fmac_f64_e32 v[156:157], v[134:135], v[144:145]
	s_wait_dscnt 0x1
	s_delay_alu instid0(VALU_DEP_1) | instskip(SKIP_1) | instid1(VALU_DEP_1)
	v_fmac_f64_e32 v[156:157], v[136:137], v[122:123]
	s_wait_loadcnt 0x2
	v_fmac_f64_e32 v[156:157], v[130:131], v[124:125]
	ds_load_b128 v[122:125], v2 offset:912
	s_wait_dscnt 0x1
	v_fmac_f64_e32 v[156:157], v[132:133], v[126:127]
	s_wait_loadcnt 0x0
	s_delay_alu instid0(VALU_DEP_1) | instskip(SKIP_1) | instid1(VALU_DEP_1)
	v_fmac_f64_e32 v[156:157], v[138:139], v[128:129]
	s_wait_dscnt 0x0
	v_fmac_f64_e32 v[156:157], v[140:141], v[122:123]
	s_delay_alu instid0(VALU_DEP_1) | instskip(NEXT) | instid1(VALU_DEP_1)
	v_fmac_f64_e32 v[156:157], v[146:147], v[124:125]
	v_add_f64_e64 v[2:3], v[120:121], -v[156:157]
	scratch_store_b64 off, v[2:3], off offset:152
	s_wait_xcnt 0x0
	v_cmpx_lt_u32_e32 18, v0
	s_cbranch_execz .LBB121_321
; %bb.320:
	scratch_load_b64 v[2:3], off, off offset:144
	v_mov_b64_e32 v[120:121], 0
	scratch_store_b64 off, v[120:121], off offset:144
	s_wait_loadcnt 0x0
	ds_store_b64 v1, v[2:3]
.LBB121_321:
	s_wait_xcnt 0x0
	s_or_b32 exec_lo, exec_lo, s0
	s_wait_storecnt_dscnt 0x0
	s_barrier_signal -1
	s_barrier_wait -1
	s_clause 0x5
	scratch_load_b128 v[120:123], off, off offset:144
	scratch_load_b128 v[124:127], off, off offset:160
	;; [unrolled: 1-line block ×6, first 2 shown]
	v_mov_b32_e32 v2, 0
	ds_load_2addr_b64 v[144:147], v2 offset0:77 offset1:78
	ds_load_2addr_b64 v[148:151], v2 offset0:79 offset1:80
	scratch_load_b128 v[152:155], off, off offset:240
	s_mov_b32 s0, exec_lo
	s_wait_loadcnt_dscnt 0x601
	v_fma_f64 v[156:157], v[122:123], v[144:145], 0
	s_wait_loadcnt 0x5
	s_delay_alu instid0(VALU_DEP_1) | instskip(SKIP_4) | instid1(VALU_DEP_1)
	v_fmac_f64_e32 v[156:157], v[124:125], v[146:147]
	scratch_load_b128 v[122:125], off, off offset:256
	s_wait_dscnt 0x0
	v_fmac_f64_e32 v[156:157], v[126:127], v[148:149]
	s_wait_loadcnt 0x5
	v_fmac_f64_e32 v[156:157], v[128:129], v[150:151]
	ds_load_2addr_b64 v[126:129], v2 offset0:81 offset1:82
	ds_load_2addr_b64 v[144:147], v2 offset0:83 offset1:84
	scratch_load_b128 v[148:151], off, off offset:272
	s_wait_dscnt 0x1
	v_fmac_f64_e32 v[156:157], v[130:131], v[126:127]
	s_wait_loadcnt 0x5
	s_delay_alu instid0(VALU_DEP_1) | instskip(SKIP_4) | instid1(VALU_DEP_1)
	v_fmac_f64_e32 v[156:157], v[132:133], v[128:129]
	scratch_load_b128 v[126:129], off, off offset:288
	s_wait_dscnt 0x0
	v_fmac_f64_e32 v[156:157], v[134:135], v[144:145]
	s_wait_loadcnt 0x5
	v_fmac_f64_e32 v[156:157], v[136:137], v[146:147]
	ds_load_2addr_b64 v[130:133], v2 offset0:85 offset1:86
	ds_load_2addr_b64 v[134:137], v2 offset0:87 offset1:88
	scratch_load_b128 v[144:147], off, off offset:304
	s_wait_dscnt 0x1
	v_fmac_f64_e32 v[156:157], v[138:139], v[130:131]
	s_wait_loadcnt 0x5
	s_delay_alu instid0(VALU_DEP_1) | instskip(SKIP_4) | instid1(VALU_DEP_1)
	v_fmac_f64_e32 v[156:157], v[140:141], v[132:133]
	scratch_load_b128 v[130:133], off, off offset:320
	s_wait_dscnt 0x0
	v_fmac_f64_e32 v[156:157], v[142:143], v[134:135]
	s_wait_loadcnt 0x5
	v_fmac_f64_e32 v[156:157], v[152:153], v[136:137]
	ds_load_2addr_b64 v[134:137], v2 offset0:89 offset1:90
	ds_load_2addr_b64 v[138:141], v2 offset0:91 offset1:92
	s_wait_dscnt 0x1
	v_fmac_f64_e32 v[156:157], v[154:155], v[134:135]
	scratch_load_b128 v[152:155], off, off offset:336
	s_wait_loadcnt 0x5
	v_fmac_f64_e32 v[156:157], v[122:123], v[136:137]
	s_wait_dscnt 0x0
	s_delay_alu instid0(VALU_DEP_1)
	v_fmac_f64_e32 v[156:157], v[124:125], v[138:139]
	scratch_load_b128 v[122:125], off, off offset:352
	s_wait_loadcnt 0x5
	v_fmac_f64_e32 v[156:157], v[148:149], v[140:141]
	ds_load_2addr_b64 v[134:137], v2 offset0:93 offset1:94
	ds_load_2addr_b64 v[138:141], v2 offset0:95 offset1:96
	s_wait_dscnt 0x1
	v_fmac_f64_e32 v[156:157], v[150:151], v[134:135]
	scratch_load_b128 v[148:151], off, off offset:368
	s_wait_loadcnt 0x5
	v_fmac_f64_e32 v[156:157], v[126:127], v[136:137]
	s_wait_dscnt 0x0
	s_delay_alu instid0(VALU_DEP_1)
	v_fmac_f64_e32 v[156:157], v[128:129], v[138:139]
	scratch_load_b128 v[126:129], off, off offset:384
	s_wait_loadcnt 0x5
	v_fmac_f64_e32 v[156:157], v[144:145], v[140:141]
	ds_load_2addr_b64 v[134:137], v2 offset0:97 offset1:98
	ds_load_2addr_b64 v[138:141], v2 offset0:99 offset1:100
	s_wait_dscnt 0x1
	v_fmac_f64_e32 v[156:157], v[146:147], v[134:135]
	s_wait_loadcnt 0x4
	s_delay_alu instid0(VALU_DEP_1)
	v_fmac_f64_e32 v[156:157], v[130:131], v[136:137]
	scratch_load_b128 v[134:137], off, off offset:400
	s_wait_dscnt 0x0
	v_fmac_f64_e32 v[156:157], v[132:133], v[138:139]
	scratch_load_b128 v[130:133], off, off offset:416
	s_wait_loadcnt 0x5
	v_fmac_f64_e32 v[156:157], v[152:153], v[140:141]
	ds_load_2addr_b64 v[138:141], v2 offset0:101 offset1:102
	ds_load_2addr_b64 v[142:145], v2 offset0:103 offset1:104
	s_wait_dscnt 0x1
	v_fmac_f64_e32 v[156:157], v[154:155], v[138:139]
	s_wait_loadcnt 0x4
	s_delay_alu instid0(VALU_DEP_1)
	v_fmac_f64_e32 v[156:157], v[122:123], v[140:141]
	scratch_load_b128 v[138:141], off, off offset:432
	s_wait_dscnt 0x0
	v_fmac_f64_e32 v[156:157], v[124:125], v[142:143]
	scratch_load_b128 v[122:125], off, off offset:448
	s_wait_loadcnt 0x5
	v_fmac_f64_e32 v[156:157], v[148:149], v[144:145]
	ds_load_2addr_b64 v[142:145], v2 offset0:105 offset1:106
	ds_load_2addr_b64 v[146:149], v2 offset0:107 offset1:108
	s_wait_dscnt 0x1
	v_fmac_f64_e32 v[156:157], v[150:151], v[142:143]
	s_wait_loadcnt 0x4
	s_delay_alu instid0(VALU_DEP_1) | instskip(SKIP_1) | instid1(VALU_DEP_1)
	v_fmac_f64_e32 v[156:157], v[126:127], v[144:145]
	s_wait_dscnt 0x0
	v_fmac_f64_e32 v[156:157], v[128:129], v[146:147]
	ds_load_2addr_b64 v[126:129], v2 offset0:109 offset1:110
	ds_load_2addr_b64 v[142:145], v2 offset0:111 offset1:112
	s_wait_loadcnt 0x3
	v_fmac_f64_e32 v[156:157], v[134:135], v[148:149]
	s_wait_dscnt 0x1
	s_delay_alu instid0(VALU_DEP_1) | instskip(SKIP_1) | instid1(VALU_DEP_1)
	v_fmac_f64_e32 v[156:157], v[136:137], v[126:127]
	s_wait_loadcnt 0x2
	v_fmac_f64_e32 v[156:157], v[130:131], v[128:129]
	ds_load_2addr_b64 v[126:129], v2 offset0:113 offset1:114
	ds_load_b64 v[130:131], v2 offset:920
	s_wait_dscnt 0x2
	v_fmac_f64_e32 v[156:157], v[132:133], v[142:143]
	s_wait_loadcnt 0x1
	s_delay_alu instid0(VALU_DEP_1) | instskip(SKIP_1) | instid1(VALU_DEP_1)
	v_fmac_f64_e32 v[156:157], v[138:139], v[144:145]
	s_wait_dscnt 0x1
	v_fmac_f64_e32 v[156:157], v[140:141], v[126:127]
	s_wait_loadcnt 0x0
	s_delay_alu instid0(VALU_DEP_1) | instskip(SKIP_1) | instid1(VALU_DEP_1)
	v_fmac_f64_e32 v[156:157], v[122:123], v[128:129]
	s_wait_dscnt 0x0
	v_fmac_f64_e32 v[156:157], v[124:125], v[130:131]
	s_delay_alu instid0(VALU_DEP_1)
	v_add_f64_e64 v[120:121], v[120:121], -v[156:157]
	scratch_store_b64 off, v[120:121], off offset:144
	s_wait_xcnt 0x0
	v_cmpx_lt_u32_e32 17, v0
	s_cbranch_execz .LBB121_323
; %bb.322:
	scratch_load_b64 v[120:121], off, off offset:136
	v_mov_b64_e32 v[122:123], 0
	scratch_store_b64 off, v[122:123], off offset:136
	s_wait_loadcnt 0x0
	ds_store_b64 v1, v[120:121]
.LBB121_323:
	s_wait_xcnt 0x0
	s_or_b32 exec_lo, exec_lo, s0
	s_wait_storecnt_dscnt 0x0
	s_barrier_signal -1
	s_barrier_wait -1
	s_clause 0x5
	scratch_load_b128 v[120:123], off, off offset:136
	scratch_load_b128 v[124:127], off, off offset:152
	;; [unrolled: 1-line block ×6, first 2 shown]
	ds_load_b128 v[144:147], v2 offset:608
	ds_load_b128 v[148:151], v2 offset:624
	scratch_load_b128 v[152:155], off, off offset:232
	s_mov_b32 s0, exec_lo
	s_wait_loadcnt_dscnt 0x601
	v_fma_f64 v[156:157], v[122:123], v[144:145], 0
	s_wait_loadcnt 0x5
	s_delay_alu instid0(VALU_DEP_1) | instskip(SKIP_4) | instid1(VALU_DEP_1)
	v_fmac_f64_e32 v[156:157], v[124:125], v[146:147]
	scratch_load_b128 v[122:125], off, off offset:248
	s_wait_dscnt 0x0
	v_fmac_f64_e32 v[156:157], v[126:127], v[148:149]
	s_wait_loadcnt 0x5
	v_fmac_f64_e32 v[156:157], v[128:129], v[150:151]
	ds_load_b128 v[126:129], v2 offset:640
	ds_load_b128 v[144:147], v2 offset:656
	scratch_load_b128 v[148:151], off, off offset:264
	s_wait_dscnt 0x1
	v_fmac_f64_e32 v[156:157], v[130:131], v[126:127]
	s_wait_loadcnt 0x5
	s_delay_alu instid0(VALU_DEP_1) | instskip(SKIP_4) | instid1(VALU_DEP_1)
	v_fmac_f64_e32 v[156:157], v[132:133], v[128:129]
	scratch_load_b128 v[126:129], off, off offset:280
	s_wait_dscnt 0x0
	v_fmac_f64_e32 v[156:157], v[134:135], v[144:145]
	s_wait_loadcnt 0x5
	v_fmac_f64_e32 v[156:157], v[136:137], v[146:147]
	ds_load_b128 v[130:133], v2 offset:672
	ds_load_b128 v[134:137], v2 offset:688
	scratch_load_b128 v[144:147], off, off offset:296
	s_wait_dscnt 0x1
	v_fmac_f64_e32 v[156:157], v[138:139], v[130:131]
	s_wait_loadcnt 0x5
	s_delay_alu instid0(VALU_DEP_1) | instskip(SKIP_4) | instid1(VALU_DEP_1)
	v_fmac_f64_e32 v[156:157], v[140:141], v[132:133]
	scratch_load_b128 v[130:133], off, off offset:312
	s_wait_dscnt 0x0
	v_fmac_f64_e32 v[156:157], v[142:143], v[134:135]
	s_wait_loadcnt 0x5
	v_fmac_f64_e32 v[156:157], v[152:153], v[136:137]
	ds_load_b128 v[134:137], v2 offset:704
	ds_load_b128 v[138:141], v2 offset:720
	s_wait_dscnt 0x1
	v_fmac_f64_e32 v[156:157], v[154:155], v[134:135]
	scratch_load_b128 v[152:155], off, off offset:328
	s_wait_loadcnt 0x5
	v_fmac_f64_e32 v[156:157], v[122:123], v[136:137]
	s_wait_dscnt 0x0
	s_delay_alu instid0(VALU_DEP_1)
	v_fmac_f64_e32 v[156:157], v[124:125], v[138:139]
	scratch_load_b128 v[122:125], off, off offset:344
	s_wait_loadcnt 0x5
	v_fmac_f64_e32 v[156:157], v[148:149], v[140:141]
	ds_load_b128 v[134:137], v2 offset:736
	ds_load_b128 v[138:141], v2 offset:752
	s_wait_dscnt 0x1
	v_fmac_f64_e32 v[156:157], v[150:151], v[134:135]
	scratch_load_b128 v[148:151], off, off offset:360
	s_wait_loadcnt 0x5
	v_fmac_f64_e32 v[156:157], v[126:127], v[136:137]
	s_wait_dscnt 0x0
	s_delay_alu instid0(VALU_DEP_1)
	v_fmac_f64_e32 v[156:157], v[128:129], v[138:139]
	scratch_load_b128 v[126:129], off, off offset:376
	s_wait_loadcnt 0x5
	v_fmac_f64_e32 v[156:157], v[144:145], v[140:141]
	ds_load_b128 v[134:137], v2 offset:768
	ds_load_b128 v[138:141], v2 offset:784
	s_wait_dscnt 0x1
	v_fmac_f64_e32 v[156:157], v[146:147], v[134:135]
	s_wait_loadcnt 0x4
	s_delay_alu instid0(VALU_DEP_1)
	v_fmac_f64_e32 v[156:157], v[130:131], v[136:137]
	scratch_load_b128 v[134:137], off, off offset:392
	s_wait_dscnt 0x0
	v_fmac_f64_e32 v[156:157], v[132:133], v[138:139]
	scratch_load_b128 v[130:133], off, off offset:408
	s_wait_loadcnt 0x5
	v_fmac_f64_e32 v[156:157], v[152:153], v[140:141]
	ds_load_b128 v[138:141], v2 offset:800
	ds_load_b128 v[142:145], v2 offset:816
	s_wait_dscnt 0x1
	v_fmac_f64_e32 v[156:157], v[154:155], v[138:139]
	s_wait_loadcnt 0x4
	s_delay_alu instid0(VALU_DEP_1)
	v_fmac_f64_e32 v[156:157], v[122:123], v[140:141]
	scratch_load_b128 v[138:141], off, off offset:424
	s_wait_dscnt 0x0
	v_fmac_f64_e32 v[156:157], v[124:125], v[142:143]
	scratch_load_b128 v[122:125], off, off offset:440
	s_wait_loadcnt 0x5
	v_fmac_f64_e32 v[156:157], v[148:149], v[144:145]
	ds_load_b128 v[142:145], v2 offset:832
	ds_load_b128 v[146:149], v2 offset:848
	s_wait_dscnt 0x1
	v_fmac_f64_e32 v[156:157], v[150:151], v[142:143]
	scratch_load_b64 v[150:151], off, off offset:456
	s_wait_loadcnt 0x5
	v_fmac_f64_e32 v[156:157], v[126:127], v[144:145]
	s_wait_dscnt 0x0
	s_delay_alu instid0(VALU_DEP_1)
	v_fmac_f64_e32 v[156:157], v[128:129], v[146:147]
	ds_load_b128 v[126:129], v2 offset:864
	ds_load_b128 v[142:145], v2 offset:880
	s_wait_loadcnt 0x4
	v_fmac_f64_e32 v[156:157], v[134:135], v[148:149]
	s_wait_dscnt 0x1
	s_delay_alu instid0(VALU_DEP_1) | instskip(SKIP_1) | instid1(VALU_DEP_1)
	v_fmac_f64_e32 v[156:157], v[136:137], v[126:127]
	s_wait_loadcnt 0x3
	v_fmac_f64_e32 v[156:157], v[130:131], v[128:129]
	s_wait_dscnt 0x0
	s_delay_alu instid0(VALU_DEP_1)
	v_fmac_f64_e32 v[156:157], v[132:133], v[142:143]
	ds_load_b128 v[126:129], v2 offset:896
	ds_load_b128 v[130:133], v2 offset:912
	s_wait_loadcnt 0x2
	v_fmac_f64_e32 v[156:157], v[138:139], v[144:145]
	s_wait_dscnt 0x1
	s_delay_alu instid0(VALU_DEP_1) | instskip(SKIP_1) | instid1(VALU_DEP_1)
	v_fmac_f64_e32 v[156:157], v[140:141], v[126:127]
	s_wait_loadcnt 0x1
	v_fmac_f64_e32 v[156:157], v[122:123], v[128:129]
	s_wait_dscnt 0x0
	s_delay_alu instid0(VALU_DEP_1) | instskip(SKIP_1) | instid1(VALU_DEP_1)
	v_fmac_f64_e32 v[156:157], v[124:125], v[130:131]
	s_wait_loadcnt 0x0
	v_fmac_f64_e32 v[156:157], v[150:151], v[132:133]
	s_delay_alu instid0(VALU_DEP_1)
	v_add_f64_e64 v[2:3], v[120:121], -v[156:157]
	scratch_store_b64 off, v[2:3], off offset:136
	s_wait_xcnt 0x0
	v_cmpx_lt_u32_e32 16, v0
	s_cbranch_execz .LBB121_325
; %bb.324:
	scratch_load_b64 v[2:3], off, off offset:128
	v_mov_b64_e32 v[120:121], 0
	scratch_store_b64 off, v[120:121], off offset:128
	s_wait_loadcnt 0x0
	ds_store_b64 v1, v[2:3]
.LBB121_325:
	s_wait_xcnt 0x0
	s_or_b32 exec_lo, exec_lo, s0
	s_wait_storecnt_dscnt 0x0
	s_barrier_signal -1
	s_barrier_wait -1
	s_clause 0x5
	scratch_load_b128 v[120:123], off, off offset:128
	scratch_load_b128 v[124:127], off, off offset:144
	;; [unrolled: 1-line block ×6, first 2 shown]
	v_mov_b32_e32 v2, 0
	ds_load_2addr_b64 v[144:147], v2 offset0:75 offset1:76
	ds_load_2addr_b64 v[148:151], v2 offset0:77 offset1:78
	scratch_load_b128 v[152:155], off, off offset:224
	s_mov_b32 s0, exec_lo
	s_wait_loadcnt_dscnt 0x601
	v_fma_f64 v[156:157], v[122:123], v[144:145], 0
	s_wait_loadcnt 0x5
	s_delay_alu instid0(VALU_DEP_1) | instskip(SKIP_4) | instid1(VALU_DEP_1)
	v_fmac_f64_e32 v[156:157], v[124:125], v[146:147]
	scratch_load_b128 v[122:125], off, off offset:240
	s_wait_dscnt 0x0
	v_fmac_f64_e32 v[156:157], v[126:127], v[148:149]
	s_wait_loadcnt 0x5
	v_fmac_f64_e32 v[156:157], v[128:129], v[150:151]
	ds_load_2addr_b64 v[126:129], v2 offset0:79 offset1:80
	ds_load_2addr_b64 v[144:147], v2 offset0:81 offset1:82
	scratch_load_b128 v[148:151], off, off offset:256
	s_wait_dscnt 0x1
	v_fmac_f64_e32 v[156:157], v[130:131], v[126:127]
	s_wait_loadcnt 0x5
	s_delay_alu instid0(VALU_DEP_1) | instskip(SKIP_4) | instid1(VALU_DEP_1)
	v_fmac_f64_e32 v[156:157], v[132:133], v[128:129]
	scratch_load_b128 v[126:129], off, off offset:272
	s_wait_dscnt 0x0
	v_fmac_f64_e32 v[156:157], v[134:135], v[144:145]
	s_wait_loadcnt 0x5
	v_fmac_f64_e32 v[156:157], v[136:137], v[146:147]
	ds_load_2addr_b64 v[130:133], v2 offset0:83 offset1:84
	ds_load_2addr_b64 v[134:137], v2 offset0:85 offset1:86
	scratch_load_b128 v[144:147], off, off offset:288
	s_wait_dscnt 0x1
	v_fmac_f64_e32 v[156:157], v[138:139], v[130:131]
	s_wait_loadcnt 0x5
	s_delay_alu instid0(VALU_DEP_1) | instskip(SKIP_4) | instid1(VALU_DEP_1)
	v_fmac_f64_e32 v[156:157], v[140:141], v[132:133]
	scratch_load_b128 v[130:133], off, off offset:304
	s_wait_dscnt 0x0
	v_fmac_f64_e32 v[156:157], v[142:143], v[134:135]
	s_wait_loadcnt 0x5
	v_fmac_f64_e32 v[156:157], v[152:153], v[136:137]
	ds_load_2addr_b64 v[134:137], v2 offset0:87 offset1:88
	ds_load_2addr_b64 v[138:141], v2 offset0:89 offset1:90
	s_wait_dscnt 0x1
	v_fmac_f64_e32 v[156:157], v[154:155], v[134:135]
	scratch_load_b128 v[152:155], off, off offset:320
	s_wait_loadcnt 0x5
	v_fmac_f64_e32 v[156:157], v[122:123], v[136:137]
	s_wait_dscnt 0x0
	s_delay_alu instid0(VALU_DEP_1)
	v_fmac_f64_e32 v[156:157], v[124:125], v[138:139]
	scratch_load_b128 v[122:125], off, off offset:336
	s_wait_loadcnt 0x5
	v_fmac_f64_e32 v[156:157], v[148:149], v[140:141]
	ds_load_2addr_b64 v[134:137], v2 offset0:91 offset1:92
	ds_load_2addr_b64 v[138:141], v2 offset0:93 offset1:94
	s_wait_dscnt 0x1
	v_fmac_f64_e32 v[156:157], v[150:151], v[134:135]
	scratch_load_b128 v[148:151], off, off offset:352
	s_wait_loadcnt 0x5
	v_fmac_f64_e32 v[156:157], v[126:127], v[136:137]
	s_wait_dscnt 0x0
	s_delay_alu instid0(VALU_DEP_1)
	v_fmac_f64_e32 v[156:157], v[128:129], v[138:139]
	scratch_load_b128 v[126:129], off, off offset:368
	s_wait_loadcnt 0x5
	v_fmac_f64_e32 v[156:157], v[144:145], v[140:141]
	ds_load_2addr_b64 v[134:137], v2 offset0:95 offset1:96
	ds_load_2addr_b64 v[138:141], v2 offset0:97 offset1:98
	s_wait_dscnt 0x1
	v_fmac_f64_e32 v[156:157], v[146:147], v[134:135]
	s_wait_loadcnt 0x4
	s_delay_alu instid0(VALU_DEP_1)
	v_fmac_f64_e32 v[156:157], v[130:131], v[136:137]
	scratch_load_b128 v[134:137], off, off offset:384
	s_wait_dscnt 0x0
	v_fmac_f64_e32 v[156:157], v[132:133], v[138:139]
	scratch_load_b128 v[130:133], off, off offset:400
	s_wait_loadcnt 0x5
	v_fmac_f64_e32 v[156:157], v[152:153], v[140:141]
	ds_load_2addr_b64 v[138:141], v2 offset0:99 offset1:100
	ds_load_2addr_b64 v[142:145], v2 offset0:101 offset1:102
	s_wait_dscnt 0x1
	v_fmac_f64_e32 v[156:157], v[154:155], v[138:139]
	s_wait_loadcnt 0x4
	s_delay_alu instid0(VALU_DEP_1)
	v_fmac_f64_e32 v[156:157], v[122:123], v[140:141]
	scratch_load_b128 v[138:141], off, off offset:416
	s_wait_dscnt 0x0
	v_fmac_f64_e32 v[156:157], v[124:125], v[142:143]
	scratch_load_b128 v[122:125], off, off offset:432
	s_wait_loadcnt 0x5
	v_fmac_f64_e32 v[156:157], v[148:149], v[144:145]
	ds_load_2addr_b64 v[142:145], v2 offset0:103 offset1:104
	ds_load_2addr_b64 v[146:149], v2 offset0:105 offset1:106
	s_wait_dscnt 0x1
	v_fmac_f64_e32 v[156:157], v[150:151], v[142:143]
	s_wait_loadcnt 0x4
	s_delay_alu instid0(VALU_DEP_1) | instskip(SKIP_4) | instid1(VALU_DEP_1)
	v_fmac_f64_e32 v[156:157], v[126:127], v[144:145]
	scratch_load_b128 v[142:145], off, off offset:448
	s_wait_dscnt 0x0
	v_fmac_f64_e32 v[156:157], v[128:129], v[146:147]
	s_wait_loadcnt 0x4
	v_fmac_f64_e32 v[156:157], v[134:135], v[148:149]
	ds_load_2addr_b64 v[126:129], v2 offset0:107 offset1:108
	ds_load_2addr_b64 v[146:149], v2 offset0:109 offset1:110
	s_wait_dscnt 0x1
	v_fmac_f64_e32 v[156:157], v[136:137], v[126:127]
	s_wait_loadcnt 0x3
	s_delay_alu instid0(VALU_DEP_1) | instskip(SKIP_1) | instid1(VALU_DEP_1)
	v_fmac_f64_e32 v[156:157], v[130:131], v[128:129]
	s_wait_dscnt 0x0
	v_fmac_f64_e32 v[156:157], v[132:133], v[146:147]
	ds_load_2addr_b64 v[126:129], v2 offset0:111 offset1:112
	ds_load_2addr_b64 v[130:133], v2 offset0:113 offset1:114
	s_wait_loadcnt 0x2
	v_fmac_f64_e32 v[156:157], v[138:139], v[148:149]
	s_wait_dscnt 0x1
	s_delay_alu instid0(VALU_DEP_1) | instskip(SKIP_1) | instid1(VALU_DEP_1)
	v_fmac_f64_e32 v[156:157], v[140:141], v[126:127]
	s_wait_loadcnt 0x1
	v_fmac_f64_e32 v[156:157], v[122:123], v[128:129]
	ds_load_b64 v[122:123], v2 offset:920
	s_wait_dscnt 0x1
	v_fmac_f64_e32 v[156:157], v[124:125], v[130:131]
	s_wait_loadcnt 0x0
	s_delay_alu instid0(VALU_DEP_1) | instskip(SKIP_1) | instid1(VALU_DEP_1)
	v_fmac_f64_e32 v[156:157], v[142:143], v[132:133]
	s_wait_dscnt 0x0
	v_fmac_f64_e32 v[156:157], v[144:145], v[122:123]
	s_delay_alu instid0(VALU_DEP_1)
	v_add_f64_e64 v[120:121], v[120:121], -v[156:157]
	scratch_store_b64 off, v[120:121], off offset:128
	s_wait_xcnt 0x0
	v_cmpx_lt_u32_e32 15, v0
	s_cbranch_execz .LBB121_327
; %bb.326:
	scratch_load_b64 v[120:121], off, off offset:120
	v_mov_b64_e32 v[122:123], 0
	scratch_store_b64 off, v[122:123], off offset:120
	s_wait_loadcnt 0x0
	ds_store_b64 v1, v[120:121]
.LBB121_327:
	s_wait_xcnt 0x0
	s_or_b32 exec_lo, exec_lo, s0
	s_wait_storecnt_dscnt 0x0
	s_barrier_signal -1
	s_barrier_wait -1
	s_clause 0x5
	scratch_load_b128 v[120:123], off, off offset:120
	scratch_load_b128 v[124:127], off, off offset:136
	;; [unrolled: 1-line block ×6, first 2 shown]
	ds_load_b128 v[144:147], v2 offset:592
	ds_load_b128 v[148:151], v2 offset:608
	scratch_load_b128 v[152:155], off, off offset:216
	s_mov_b32 s0, exec_lo
	s_wait_loadcnt_dscnt 0x601
	v_fma_f64 v[156:157], v[122:123], v[144:145], 0
	s_wait_loadcnt 0x5
	s_delay_alu instid0(VALU_DEP_1) | instskip(SKIP_4) | instid1(VALU_DEP_1)
	v_fmac_f64_e32 v[156:157], v[124:125], v[146:147]
	scratch_load_b128 v[122:125], off, off offset:232
	s_wait_dscnt 0x0
	v_fmac_f64_e32 v[156:157], v[126:127], v[148:149]
	s_wait_loadcnt 0x5
	v_fmac_f64_e32 v[156:157], v[128:129], v[150:151]
	ds_load_b128 v[126:129], v2 offset:624
	ds_load_b128 v[144:147], v2 offset:640
	scratch_load_b128 v[148:151], off, off offset:248
	s_wait_dscnt 0x1
	v_fmac_f64_e32 v[156:157], v[130:131], v[126:127]
	s_wait_loadcnt 0x5
	s_delay_alu instid0(VALU_DEP_1) | instskip(SKIP_4) | instid1(VALU_DEP_1)
	v_fmac_f64_e32 v[156:157], v[132:133], v[128:129]
	scratch_load_b128 v[126:129], off, off offset:264
	s_wait_dscnt 0x0
	v_fmac_f64_e32 v[156:157], v[134:135], v[144:145]
	s_wait_loadcnt 0x5
	v_fmac_f64_e32 v[156:157], v[136:137], v[146:147]
	ds_load_b128 v[130:133], v2 offset:656
	ds_load_b128 v[134:137], v2 offset:672
	scratch_load_b128 v[144:147], off, off offset:280
	s_wait_dscnt 0x1
	v_fmac_f64_e32 v[156:157], v[138:139], v[130:131]
	s_wait_loadcnt 0x5
	s_delay_alu instid0(VALU_DEP_1) | instskip(SKIP_4) | instid1(VALU_DEP_1)
	v_fmac_f64_e32 v[156:157], v[140:141], v[132:133]
	scratch_load_b128 v[130:133], off, off offset:296
	s_wait_dscnt 0x0
	v_fmac_f64_e32 v[156:157], v[142:143], v[134:135]
	s_wait_loadcnt 0x5
	v_fmac_f64_e32 v[156:157], v[152:153], v[136:137]
	ds_load_b128 v[134:137], v2 offset:688
	ds_load_b128 v[138:141], v2 offset:704
	s_wait_dscnt 0x1
	v_fmac_f64_e32 v[156:157], v[154:155], v[134:135]
	scratch_load_b128 v[152:155], off, off offset:312
	s_wait_loadcnt 0x5
	v_fmac_f64_e32 v[156:157], v[122:123], v[136:137]
	s_wait_dscnt 0x0
	s_delay_alu instid0(VALU_DEP_1)
	v_fmac_f64_e32 v[156:157], v[124:125], v[138:139]
	scratch_load_b128 v[122:125], off, off offset:328
	s_wait_loadcnt 0x5
	v_fmac_f64_e32 v[156:157], v[148:149], v[140:141]
	ds_load_b128 v[134:137], v2 offset:720
	ds_load_b128 v[138:141], v2 offset:736
	s_wait_dscnt 0x1
	v_fmac_f64_e32 v[156:157], v[150:151], v[134:135]
	scratch_load_b128 v[148:151], off, off offset:344
	s_wait_loadcnt 0x5
	v_fmac_f64_e32 v[156:157], v[126:127], v[136:137]
	s_wait_dscnt 0x0
	s_delay_alu instid0(VALU_DEP_1)
	v_fmac_f64_e32 v[156:157], v[128:129], v[138:139]
	scratch_load_b128 v[126:129], off, off offset:360
	s_wait_loadcnt 0x5
	v_fmac_f64_e32 v[156:157], v[144:145], v[140:141]
	ds_load_b128 v[134:137], v2 offset:752
	ds_load_b128 v[138:141], v2 offset:768
	scratch_load_b128 v[142:145], off, off offset:376
	s_wait_dscnt 0x1
	v_fmac_f64_e32 v[156:157], v[146:147], v[134:135]
	s_wait_loadcnt 0x5
	s_delay_alu instid0(VALU_DEP_1) | instskip(SKIP_1) | instid1(VALU_DEP_1)
	v_fmac_f64_e32 v[156:157], v[130:131], v[136:137]
	s_wait_dscnt 0x0
	v_fmac_f64_e32 v[156:157], v[132:133], v[138:139]
	scratch_load_b128 v[130:133], off, off offset:392
	s_wait_loadcnt 0x5
	v_fmac_f64_e32 v[156:157], v[152:153], v[140:141]
	ds_load_b128 v[134:137], v2 offset:784
	ds_load_b128 v[138:141], v2 offset:800
	s_wait_dscnt 0x1
	v_fmac_f64_e32 v[156:157], v[154:155], v[134:135]
	s_wait_loadcnt 0x4
	s_delay_alu instid0(VALU_DEP_1)
	v_fmac_f64_e32 v[156:157], v[122:123], v[136:137]
	scratch_load_b128 v[134:137], off, off offset:408
	s_wait_dscnt 0x0
	v_fmac_f64_e32 v[156:157], v[124:125], v[138:139]
	scratch_load_b128 v[122:125], off, off offset:424
	s_wait_loadcnt 0x5
	v_fmac_f64_e32 v[156:157], v[148:149], v[140:141]
	ds_load_b128 v[138:141], v2 offset:816
	ds_load_b128 v[146:149], v2 offset:832
	s_wait_dscnt 0x1
	v_fmac_f64_e32 v[156:157], v[150:151], v[138:139]
	s_wait_loadcnt 0x4
	s_delay_alu instid0(VALU_DEP_1) | instskip(SKIP_4) | instid1(VALU_DEP_1)
	v_fmac_f64_e32 v[156:157], v[126:127], v[140:141]
	scratch_load_b128 v[138:141], off, off offset:440
	s_wait_dscnt 0x0
	v_fmac_f64_e32 v[156:157], v[128:129], v[146:147]
	s_wait_loadcnt 0x4
	v_fmac_f64_e32 v[156:157], v[142:143], v[148:149]
	scratch_load_b64 v[142:143], off, off offset:456
	ds_load_b128 v[126:129], v2 offset:848
	ds_load_b128 v[146:149], v2 offset:864
	s_wait_dscnt 0x1
	v_fmac_f64_e32 v[156:157], v[144:145], v[126:127]
	s_wait_loadcnt 0x4
	s_delay_alu instid0(VALU_DEP_1) | instskip(SKIP_1) | instid1(VALU_DEP_1)
	v_fmac_f64_e32 v[156:157], v[130:131], v[128:129]
	s_wait_dscnt 0x0
	v_fmac_f64_e32 v[156:157], v[132:133], v[146:147]
	ds_load_b128 v[126:129], v2 offset:880
	ds_load_b128 v[130:133], v2 offset:896
	s_wait_loadcnt 0x3
	v_fmac_f64_e32 v[156:157], v[134:135], v[148:149]
	s_wait_dscnt 0x1
	s_delay_alu instid0(VALU_DEP_1) | instskip(SKIP_1) | instid1(VALU_DEP_1)
	v_fmac_f64_e32 v[156:157], v[136:137], v[126:127]
	s_wait_loadcnt 0x2
	v_fmac_f64_e32 v[156:157], v[122:123], v[128:129]
	s_wait_dscnt 0x0
	s_delay_alu instid0(VALU_DEP_1) | instskip(SKIP_4) | instid1(VALU_DEP_1)
	v_fmac_f64_e32 v[156:157], v[124:125], v[130:131]
	ds_load_b128 v[122:125], v2 offset:912
	s_wait_loadcnt 0x1
	v_fmac_f64_e32 v[156:157], v[138:139], v[132:133]
	s_wait_dscnt 0x0
	v_fmac_f64_e32 v[156:157], v[140:141], v[122:123]
	s_wait_loadcnt 0x0
	s_delay_alu instid0(VALU_DEP_1) | instskip(NEXT) | instid1(VALU_DEP_1)
	v_fmac_f64_e32 v[156:157], v[142:143], v[124:125]
	v_add_f64_e64 v[2:3], v[120:121], -v[156:157]
	scratch_store_b64 off, v[2:3], off offset:120
	s_wait_xcnt 0x0
	v_cmpx_lt_u32_e32 14, v0
	s_cbranch_execz .LBB121_329
; %bb.328:
	scratch_load_b64 v[2:3], off, off offset:112
	v_mov_b64_e32 v[120:121], 0
	scratch_store_b64 off, v[120:121], off offset:112
	s_wait_loadcnt 0x0
	ds_store_b64 v1, v[2:3]
.LBB121_329:
	s_wait_xcnt 0x0
	s_or_b32 exec_lo, exec_lo, s0
	s_wait_storecnt_dscnt 0x0
	s_barrier_signal -1
	s_barrier_wait -1
	s_clause 0x5
	scratch_load_b128 v[120:123], off, off offset:112
	scratch_load_b128 v[124:127], off, off offset:128
	;; [unrolled: 1-line block ×6, first 2 shown]
	v_mov_b32_e32 v2, 0
	ds_load_2addr_b64 v[144:147], v2 offset0:73 offset1:74
	ds_load_2addr_b64 v[148:151], v2 offset0:75 offset1:76
	scratch_load_b128 v[152:155], off, off offset:208
	s_mov_b32 s0, exec_lo
	s_wait_loadcnt_dscnt 0x601
	v_fma_f64 v[156:157], v[122:123], v[144:145], 0
	s_wait_loadcnt 0x5
	s_delay_alu instid0(VALU_DEP_1) | instskip(SKIP_4) | instid1(VALU_DEP_1)
	v_fmac_f64_e32 v[156:157], v[124:125], v[146:147]
	scratch_load_b128 v[122:125], off, off offset:224
	s_wait_dscnt 0x0
	v_fmac_f64_e32 v[156:157], v[126:127], v[148:149]
	s_wait_loadcnt 0x5
	v_fmac_f64_e32 v[156:157], v[128:129], v[150:151]
	ds_load_2addr_b64 v[126:129], v2 offset0:77 offset1:78
	ds_load_2addr_b64 v[144:147], v2 offset0:79 offset1:80
	scratch_load_b128 v[148:151], off, off offset:240
	s_wait_dscnt 0x1
	v_fmac_f64_e32 v[156:157], v[130:131], v[126:127]
	s_wait_loadcnt 0x5
	s_delay_alu instid0(VALU_DEP_1) | instskip(SKIP_4) | instid1(VALU_DEP_1)
	v_fmac_f64_e32 v[156:157], v[132:133], v[128:129]
	scratch_load_b128 v[126:129], off, off offset:256
	s_wait_dscnt 0x0
	v_fmac_f64_e32 v[156:157], v[134:135], v[144:145]
	s_wait_loadcnt 0x5
	v_fmac_f64_e32 v[156:157], v[136:137], v[146:147]
	ds_load_2addr_b64 v[130:133], v2 offset0:81 offset1:82
	ds_load_2addr_b64 v[134:137], v2 offset0:83 offset1:84
	scratch_load_b128 v[144:147], off, off offset:272
	s_wait_dscnt 0x1
	v_fmac_f64_e32 v[156:157], v[138:139], v[130:131]
	s_wait_loadcnt 0x5
	s_delay_alu instid0(VALU_DEP_1) | instskip(SKIP_4) | instid1(VALU_DEP_1)
	v_fmac_f64_e32 v[156:157], v[140:141], v[132:133]
	scratch_load_b128 v[130:133], off, off offset:288
	s_wait_dscnt 0x0
	v_fmac_f64_e32 v[156:157], v[142:143], v[134:135]
	s_wait_loadcnt 0x5
	v_fmac_f64_e32 v[156:157], v[152:153], v[136:137]
	ds_load_2addr_b64 v[134:137], v2 offset0:85 offset1:86
	ds_load_2addr_b64 v[138:141], v2 offset0:87 offset1:88
	s_wait_dscnt 0x1
	v_fmac_f64_e32 v[156:157], v[154:155], v[134:135]
	scratch_load_b128 v[152:155], off, off offset:304
	s_wait_loadcnt 0x5
	v_fmac_f64_e32 v[156:157], v[122:123], v[136:137]
	s_wait_dscnt 0x0
	s_delay_alu instid0(VALU_DEP_1)
	v_fmac_f64_e32 v[156:157], v[124:125], v[138:139]
	scratch_load_b128 v[122:125], off, off offset:320
	s_wait_loadcnt 0x5
	v_fmac_f64_e32 v[156:157], v[148:149], v[140:141]
	ds_load_2addr_b64 v[134:137], v2 offset0:89 offset1:90
	ds_load_2addr_b64 v[138:141], v2 offset0:91 offset1:92
	s_wait_dscnt 0x1
	v_fmac_f64_e32 v[156:157], v[150:151], v[134:135]
	scratch_load_b128 v[148:151], off, off offset:336
	s_wait_loadcnt 0x5
	v_fmac_f64_e32 v[156:157], v[126:127], v[136:137]
	s_wait_dscnt 0x0
	s_delay_alu instid0(VALU_DEP_1)
	v_fmac_f64_e32 v[156:157], v[128:129], v[138:139]
	scratch_load_b128 v[126:129], off, off offset:352
	s_wait_loadcnt 0x5
	v_fmac_f64_e32 v[156:157], v[144:145], v[140:141]
	ds_load_2addr_b64 v[134:137], v2 offset0:93 offset1:94
	ds_load_2addr_b64 v[138:141], v2 offset0:95 offset1:96
	scratch_load_b128 v[142:145], off, off offset:368
	s_wait_dscnt 0x1
	v_fmac_f64_e32 v[156:157], v[146:147], v[134:135]
	s_wait_loadcnt 0x5
	s_delay_alu instid0(VALU_DEP_1) | instskip(SKIP_1) | instid1(VALU_DEP_1)
	v_fmac_f64_e32 v[156:157], v[130:131], v[136:137]
	s_wait_dscnt 0x0
	v_fmac_f64_e32 v[156:157], v[132:133], v[138:139]
	scratch_load_b128 v[130:133], off, off offset:384
	s_wait_loadcnt 0x5
	v_fmac_f64_e32 v[156:157], v[152:153], v[140:141]
	ds_load_2addr_b64 v[134:137], v2 offset0:97 offset1:98
	ds_load_2addr_b64 v[138:141], v2 offset0:99 offset1:100
	s_wait_dscnt 0x1
	v_fmac_f64_e32 v[156:157], v[154:155], v[134:135]
	s_wait_loadcnt 0x4
	s_delay_alu instid0(VALU_DEP_1)
	v_fmac_f64_e32 v[156:157], v[122:123], v[136:137]
	scratch_load_b128 v[134:137], off, off offset:400
	s_wait_dscnt 0x0
	v_fmac_f64_e32 v[156:157], v[124:125], v[138:139]
	scratch_load_b128 v[122:125], off, off offset:416
	s_wait_loadcnt 0x5
	v_fmac_f64_e32 v[156:157], v[148:149], v[140:141]
	ds_load_2addr_b64 v[138:141], v2 offset0:101 offset1:102
	ds_load_2addr_b64 v[146:149], v2 offset0:103 offset1:104
	s_wait_dscnt 0x1
	v_fmac_f64_e32 v[156:157], v[150:151], v[138:139]
	s_wait_loadcnt 0x4
	s_delay_alu instid0(VALU_DEP_1)
	v_fmac_f64_e32 v[156:157], v[126:127], v[140:141]
	scratch_load_b128 v[138:141], off, off offset:432
	s_wait_dscnt 0x0
	v_fmac_f64_e32 v[156:157], v[128:129], v[146:147]
	scratch_load_b128 v[126:129], off, off offset:448
	s_wait_loadcnt 0x5
	v_fmac_f64_e32 v[156:157], v[142:143], v[148:149]
	ds_load_2addr_b64 v[146:149], v2 offset0:105 offset1:106
	ds_load_2addr_b64 v[150:153], v2 offset0:107 offset1:108
	s_wait_dscnt 0x1
	v_fmac_f64_e32 v[156:157], v[144:145], v[146:147]
	s_wait_loadcnt 0x4
	s_delay_alu instid0(VALU_DEP_1) | instskip(SKIP_1) | instid1(VALU_DEP_1)
	v_fmac_f64_e32 v[156:157], v[130:131], v[148:149]
	s_wait_dscnt 0x0
	v_fmac_f64_e32 v[156:157], v[132:133], v[150:151]
	ds_load_2addr_b64 v[130:133], v2 offset0:109 offset1:110
	ds_load_2addr_b64 v[142:145], v2 offset0:111 offset1:112
	s_wait_loadcnt 0x3
	v_fmac_f64_e32 v[156:157], v[134:135], v[152:153]
	s_wait_dscnt 0x1
	s_delay_alu instid0(VALU_DEP_1) | instskip(SKIP_1) | instid1(VALU_DEP_1)
	v_fmac_f64_e32 v[156:157], v[136:137], v[130:131]
	s_wait_loadcnt 0x2
	v_fmac_f64_e32 v[156:157], v[122:123], v[132:133]
	s_wait_dscnt 0x0
	s_delay_alu instid0(VALU_DEP_1)
	v_fmac_f64_e32 v[156:157], v[124:125], v[142:143]
	ds_load_2addr_b64 v[122:125], v2 offset0:113 offset1:114
	ds_load_b64 v[130:131], v2 offset:920
	s_wait_loadcnt 0x1
	v_fmac_f64_e32 v[156:157], v[138:139], v[144:145]
	s_wait_dscnt 0x1
	s_delay_alu instid0(VALU_DEP_1) | instskip(SKIP_1) | instid1(VALU_DEP_1)
	v_fmac_f64_e32 v[156:157], v[140:141], v[122:123]
	s_wait_loadcnt 0x0
	v_fmac_f64_e32 v[156:157], v[126:127], v[124:125]
	s_wait_dscnt 0x0
	s_delay_alu instid0(VALU_DEP_1) | instskip(NEXT) | instid1(VALU_DEP_1)
	v_fmac_f64_e32 v[156:157], v[128:129], v[130:131]
	v_add_f64_e64 v[120:121], v[120:121], -v[156:157]
	scratch_store_b64 off, v[120:121], off offset:112
	s_wait_xcnt 0x0
	v_cmpx_lt_u32_e32 13, v0
	s_cbranch_execz .LBB121_331
; %bb.330:
	scratch_load_b64 v[120:121], off, off offset:104
	v_mov_b64_e32 v[122:123], 0
	scratch_store_b64 off, v[122:123], off offset:104
	s_wait_loadcnt 0x0
	ds_store_b64 v1, v[120:121]
.LBB121_331:
	s_wait_xcnt 0x0
	s_or_b32 exec_lo, exec_lo, s0
	s_wait_storecnt_dscnt 0x0
	s_barrier_signal -1
	s_barrier_wait -1
	s_clause 0x5
	scratch_load_b128 v[120:123], off, off offset:104
	scratch_load_b128 v[124:127], off, off offset:120
	;; [unrolled: 1-line block ×6, first 2 shown]
	ds_load_b128 v[144:147], v2 offset:576
	ds_load_b128 v[148:151], v2 offset:592
	scratch_load_b128 v[152:155], off, off offset:200
	s_mov_b32 s0, exec_lo
	s_wait_loadcnt_dscnt 0x601
	v_fma_f64 v[156:157], v[122:123], v[144:145], 0
	s_wait_loadcnt 0x5
	s_delay_alu instid0(VALU_DEP_1) | instskip(SKIP_4) | instid1(VALU_DEP_1)
	v_fmac_f64_e32 v[156:157], v[124:125], v[146:147]
	scratch_load_b128 v[122:125], off, off offset:216
	s_wait_dscnt 0x0
	v_fmac_f64_e32 v[156:157], v[126:127], v[148:149]
	s_wait_loadcnt 0x5
	v_fmac_f64_e32 v[156:157], v[128:129], v[150:151]
	ds_load_b128 v[126:129], v2 offset:608
	ds_load_b128 v[144:147], v2 offset:624
	scratch_load_b128 v[148:151], off, off offset:232
	s_wait_dscnt 0x1
	v_fmac_f64_e32 v[156:157], v[130:131], v[126:127]
	s_wait_loadcnt 0x5
	s_delay_alu instid0(VALU_DEP_1) | instskip(SKIP_4) | instid1(VALU_DEP_1)
	v_fmac_f64_e32 v[156:157], v[132:133], v[128:129]
	scratch_load_b128 v[126:129], off, off offset:248
	s_wait_dscnt 0x0
	v_fmac_f64_e32 v[156:157], v[134:135], v[144:145]
	s_wait_loadcnt 0x5
	v_fmac_f64_e32 v[156:157], v[136:137], v[146:147]
	ds_load_b128 v[130:133], v2 offset:640
	ds_load_b128 v[134:137], v2 offset:656
	scratch_load_b128 v[144:147], off, off offset:264
	s_wait_dscnt 0x1
	v_fmac_f64_e32 v[156:157], v[138:139], v[130:131]
	s_wait_loadcnt 0x5
	s_delay_alu instid0(VALU_DEP_1) | instskip(SKIP_4) | instid1(VALU_DEP_1)
	v_fmac_f64_e32 v[156:157], v[140:141], v[132:133]
	scratch_load_b128 v[130:133], off, off offset:280
	s_wait_dscnt 0x0
	v_fmac_f64_e32 v[156:157], v[142:143], v[134:135]
	s_wait_loadcnt 0x5
	v_fmac_f64_e32 v[156:157], v[152:153], v[136:137]
	ds_load_b128 v[134:137], v2 offset:672
	ds_load_b128 v[138:141], v2 offset:688
	s_wait_dscnt 0x1
	v_fmac_f64_e32 v[156:157], v[154:155], v[134:135]
	scratch_load_b128 v[152:155], off, off offset:296
	s_wait_loadcnt 0x5
	v_fmac_f64_e32 v[156:157], v[122:123], v[136:137]
	s_wait_dscnt 0x0
	s_delay_alu instid0(VALU_DEP_1)
	v_fmac_f64_e32 v[156:157], v[124:125], v[138:139]
	scratch_load_b128 v[122:125], off, off offset:312
	s_wait_loadcnt 0x5
	v_fmac_f64_e32 v[156:157], v[148:149], v[140:141]
	ds_load_b128 v[134:137], v2 offset:704
	ds_load_b128 v[138:141], v2 offset:720
	s_wait_dscnt 0x1
	v_fmac_f64_e32 v[156:157], v[150:151], v[134:135]
	scratch_load_b128 v[148:151], off, off offset:328
	s_wait_loadcnt 0x5
	v_fmac_f64_e32 v[156:157], v[126:127], v[136:137]
	s_wait_dscnt 0x0
	s_delay_alu instid0(VALU_DEP_1)
	v_fmac_f64_e32 v[156:157], v[128:129], v[138:139]
	scratch_load_b128 v[126:129], off, off offset:344
	s_wait_loadcnt 0x5
	v_fmac_f64_e32 v[156:157], v[144:145], v[140:141]
	ds_load_b128 v[134:137], v2 offset:736
	ds_load_b128 v[138:141], v2 offset:752
	scratch_load_b128 v[142:145], off, off offset:360
	s_wait_dscnt 0x1
	v_fmac_f64_e32 v[156:157], v[146:147], v[134:135]
	s_wait_loadcnt 0x5
	s_delay_alu instid0(VALU_DEP_1) | instskip(SKIP_1) | instid1(VALU_DEP_1)
	v_fmac_f64_e32 v[156:157], v[130:131], v[136:137]
	s_wait_dscnt 0x0
	v_fmac_f64_e32 v[156:157], v[132:133], v[138:139]
	scratch_load_b128 v[130:133], off, off offset:376
	s_wait_loadcnt 0x5
	v_fmac_f64_e32 v[156:157], v[152:153], v[140:141]
	ds_load_b128 v[134:137], v2 offset:768
	ds_load_b128 v[138:141], v2 offset:784
	s_wait_dscnt 0x1
	v_fmac_f64_e32 v[156:157], v[154:155], v[134:135]
	s_wait_loadcnt 0x4
	s_delay_alu instid0(VALU_DEP_1)
	v_fmac_f64_e32 v[156:157], v[122:123], v[136:137]
	scratch_load_b128 v[134:137], off, off offset:392
	s_wait_dscnt 0x0
	v_fmac_f64_e32 v[156:157], v[124:125], v[138:139]
	scratch_load_b128 v[122:125], off, off offset:408
	s_wait_loadcnt 0x5
	v_fmac_f64_e32 v[156:157], v[148:149], v[140:141]
	ds_load_b128 v[138:141], v2 offset:800
	ds_load_b128 v[146:149], v2 offset:816
	s_wait_dscnt 0x1
	v_fmac_f64_e32 v[156:157], v[150:151], v[138:139]
	s_wait_loadcnt 0x4
	s_delay_alu instid0(VALU_DEP_1)
	v_fmac_f64_e32 v[156:157], v[126:127], v[140:141]
	scratch_load_b128 v[138:141], off, off offset:424
	s_wait_dscnt 0x0
	v_fmac_f64_e32 v[156:157], v[128:129], v[146:147]
	scratch_load_b128 v[126:129], off, off offset:440
	s_wait_loadcnt 0x5
	v_fmac_f64_e32 v[156:157], v[142:143], v[148:149]
	ds_load_b128 v[146:149], v2 offset:832
	ds_load_b128 v[150:153], v2 offset:848
	s_wait_dscnt 0x1
	v_fmac_f64_e32 v[156:157], v[144:145], v[146:147]
	scratch_load_b64 v[146:147], off, off offset:456
	s_wait_loadcnt 0x5
	v_fmac_f64_e32 v[156:157], v[130:131], v[148:149]
	s_wait_dscnt 0x0
	s_delay_alu instid0(VALU_DEP_1)
	v_fmac_f64_e32 v[156:157], v[132:133], v[150:151]
	ds_load_b128 v[130:133], v2 offset:864
	ds_load_b128 v[142:145], v2 offset:880
	s_wait_loadcnt 0x4
	v_fmac_f64_e32 v[156:157], v[134:135], v[152:153]
	s_wait_dscnt 0x1
	s_delay_alu instid0(VALU_DEP_1) | instskip(SKIP_1) | instid1(VALU_DEP_1)
	v_fmac_f64_e32 v[156:157], v[136:137], v[130:131]
	s_wait_loadcnt 0x3
	v_fmac_f64_e32 v[156:157], v[122:123], v[132:133]
	s_wait_dscnt 0x0
	s_delay_alu instid0(VALU_DEP_1)
	v_fmac_f64_e32 v[156:157], v[124:125], v[142:143]
	ds_load_b128 v[122:125], v2 offset:896
	ds_load_b128 v[130:133], v2 offset:912
	s_wait_loadcnt 0x2
	v_fmac_f64_e32 v[156:157], v[138:139], v[144:145]
	s_wait_dscnt 0x1
	s_delay_alu instid0(VALU_DEP_1) | instskip(SKIP_1) | instid1(VALU_DEP_1)
	v_fmac_f64_e32 v[156:157], v[140:141], v[122:123]
	s_wait_loadcnt 0x1
	v_fmac_f64_e32 v[156:157], v[126:127], v[124:125]
	s_wait_dscnt 0x0
	s_delay_alu instid0(VALU_DEP_1) | instskip(SKIP_1) | instid1(VALU_DEP_1)
	v_fmac_f64_e32 v[156:157], v[128:129], v[130:131]
	s_wait_loadcnt 0x0
	v_fmac_f64_e32 v[156:157], v[146:147], v[132:133]
	s_delay_alu instid0(VALU_DEP_1)
	v_add_f64_e64 v[2:3], v[120:121], -v[156:157]
	scratch_store_b64 off, v[2:3], off offset:104
	s_wait_xcnt 0x0
	v_cmpx_lt_u32_e32 12, v0
	s_cbranch_execz .LBB121_333
; %bb.332:
	scratch_load_b64 v[2:3], off, off offset:96
	v_mov_b64_e32 v[120:121], 0
	scratch_store_b64 off, v[120:121], off offset:96
	s_wait_loadcnt 0x0
	ds_store_b64 v1, v[2:3]
.LBB121_333:
	s_wait_xcnt 0x0
	s_or_b32 exec_lo, exec_lo, s0
	s_wait_storecnt_dscnt 0x0
	s_barrier_signal -1
	s_barrier_wait -1
	s_clause 0x5
	scratch_load_b128 v[120:123], off, off offset:96
	scratch_load_b128 v[124:127], off, off offset:112
	;; [unrolled: 1-line block ×6, first 2 shown]
	v_mov_b32_e32 v2, 0
	ds_load_2addr_b64 v[144:147], v2 offset0:71 offset1:72
	ds_load_2addr_b64 v[148:151], v2 offset0:73 offset1:74
	scratch_load_b128 v[152:155], off, off offset:192
	s_mov_b32 s0, exec_lo
	s_wait_loadcnt_dscnt 0x601
	v_fma_f64 v[156:157], v[122:123], v[144:145], 0
	s_wait_loadcnt 0x5
	s_delay_alu instid0(VALU_DEP_1) | instskip(SKIP_4) | instid1(VALU_DEP_1)
	v_fmac_f64_e32 v[156:157], v[124:125], v[146:147]
	scratch_load_b128 v[122:125], off, off offset:208
	s_wait_dscnt 0x0
	v_fmac_f64_e32 v[156:157], v[126:127], v[148:149]
	s_wait_loadcnt 0x5
	v_fmac_f64_e32 v[156:157], v[128:129], v[150:151]
	ds_load_2addr_b64 v[126:129], v2 offset0:75 offset1:76
	ds_load_2addr_b64 v[144:147], v2 offset0:77 offset1:78
	scratch_load_b128 v[148:151], off, off offset:224
	s_wait_dscnt 0x1
	v_fmac_f64_e32 v[156:157], v[130:131], v[126:127]
	s_wait_loadcnt 0x5
	s_delay_alu instid0(VALU_DEP_1) | instskip(SKIP_4) | instid1(VALU_DEP_1)
	v_fmac_f64_e32 v[156:157], v[132:133], v[128:129]
	scratch_load_b128 v[126:129], off, off offset:240
	s_wait_dscnt 0x0
	v_fmac_f64_e32 v[156:157], v[134:135], v[144:145]
	s_wait_loadcnt 0x5
	v_fmac_f64_e32 v[156:157], v[136:137], v[146:147]
	ds_load_2addr_b64 v[130:133], v2 offset0:79 offset1:80
	ds_load_2addr_b64 v[134:137], v2 offset0:81 offset1:82
	scratch_load_b128 v[144:147], off, off offset:256
	s_wait_dscnt 0x1
	v_fmac_f64_e32 v[156:157], v[138:139], v[130:131]
	s_wait_loadcnt 0x5
	s_delay_alu instid0(VALU_DEP_1) | instskip(SKIP_4) | instid1(VALU_DEP_1)
	v_fmac_f64_e32 v[156:157], v[140:141], v[132:133]
	scratch_load_b128 v[130:133], off, off offset:272
	s_wait_dscnt 0x0
	v_fmac_f64_e32 v[156:157], v[142:143], v[134:135]
	s_wait_loadcnt 0x5
	v_fmac_f64_e32 v[156:157], v[152:153], v[136:137]
	ds_load_2addr_b64 v[134:137], v2 offset0:83 offset1:84
	ds_load_2addr_b64 v[138:141], v2 offset0:85 offset1:86
	s_wait_dscnt 0x1
	v_fmac_f64_e32 v[156:157], v[154:155], v[134:135]
	scratch_load_b128 v[152:155], off, off offset:288
	s_wait_loadcnt 0x5
	v_fmac_f64_e32 v[156:157], v[122:123], v[136:137]
	s_wait_dscnt 0x0
	s_delay_alu instid0(VALU_DEP_1)
	v_fmac_f64_e32 v[156:157], v[124:125], v[138:139]
	scratch_load_b128 v[122:125], off, off offset:304
	s_wait_loadcnt 0x5
	v_fmac_f64_e32 v[156:157], v[148:149], v[140:141]
	ds_load_2addr_b64 v[134:137], v2 offset0:87 offset1:88
	ds_load_2addr_b64 v[138:141], v2 offset0:89 offset1:90
	s_wait_dscnt 0x1
	v_fmac_f64_e32 v[156:157], v[150:151], v[134:135]
	scratch_load_b128 v[148:151], off, off offset:320
	s_wait_loadcnt 0x5
	v_fmac_f64_e32 v[156:157], v[126:127], v[136:137]
	s_wait_dscnt 0x0
	s_delay_alu instid0(VALU_DEP_1)
	v_fmac_f64_e32 v[156:157], v[128:129], v[138:139]
	scratch_load_b128 v[126:129], off, off offset:336
	s_wait_loadcnt 0x5
	v_fmac_f64_e32 v[156:157], v[144:145], v[140:141]
	ds_load_2addr_b64 v[134:137], v2 offset0:91 offset1:92
	ds_load_2addr_b64 v[138:141], v2 offset0:93 offset1:94
	scratch_load_b128 v[142:145], off, off offset:352
	s_wait_dscnt 0x1
	v_fmac_f64_e32 v[156:157], v[146:147], v[134:135]
	s_wait_loadcnt 0x5
	s_delay_alu instid0(VALU_DEP_1) | instskip(SKIP_1) | instid1(VALU_DEP_1)
	v_fmac_f64_e32 v[156:157], v[130:131], v[136:137]
	s_wait_dscnt 0x0
	v_fmac_f64_e32 v[156:157], v[132:133], v[138:139]
	scratch_load_b128 v[130:133], off, off offset:368
	s_wait_loadcnt 0x5
	v_fmac_f64_e32 v[156:157], v[152:153], v[140:141]
	ds_load_2addr_b64 v[134:137], v2 offset0:95 offset1:96
	ds_load_2addr_b64 v[138:141], v2 offset0:97 offset1:98
	s_wait_dscnt 0x1
	v_fmac_f64_e32 v[156:157], v[154:155], v[134:135]
	s_wait_loadcnt 0x4
	s_delay_alu instid0(VALU_DEP_1)
	v_fmac_f64_e32 v[156:157], v[122:123], v[136:137]
	scratch_load_b128 v[134:137], off, off offset:384
	s_wait_dscnt 0x0
	v_fmac_f64_e32 v[156:157], v[124:125], v[138:139]
	scratch_load_b128 v[122:125], off, off offset:400
	s_wait_loadcnt 0x5
	v_fmac_f64_e32 v[156:157], v[148:149], v[140:141]
	ds_load_2addr_b64 v[138:141], v2 offset0:99 offset1:100
	ds_load_2addr_b64 v[146:149], v2 offset0:101 offset1:102
	s_wait_dscnt 0x1
	v_fmac_f64_e32 v[156:157], v[150:151], v[138:139]
	s_wait_loadcnt 0x4
	s_delay_alu instid0(VALU_DEP_1)
	v_fmac_f64_e32 v[156:157], v[126:127], v[140:141]
	scratch_load_b128 v[138:141], off, off offset:416
	s_wait_dscnt 0x0
	v_fmac_f64_e32 v[156:157], v[128:129], v[146:147]
	scratch_load_b128 v[126:129], off, off offset:432
	s_wait_loadcnt 0x5
	v_fmac_f64_e32 v[156:157], v[142:143], v[148:149]
	ds_load_2addr_b64 v[146:149], v2 offset0:103 offset1:104
	ds_load_2addr_b64 v[150:153], v2 offset0:105 offset1:106
	s_wait_dscnt 0x1
	v_fmac_f64_e32 v[156:157], v[144:145], v[146:147]
	scratch_load_b128 v[142:145], off, off offset:448
	s_wait_loadcnt 0x5
	v_fmac_f64_e32 v[156:157], v[130:131], v[148:149]
	s_wait_dscnt 0x0
	s_delay_alu instid0(VALU_DEP_1)
	v_fmac_f64_e32 v[156:157], v[132:133], v[150:151]
	ds_load_2addr_b64 v[130:133], v2 offset0:107 offset1:108
	ds_load_2addr_b64 v[146:149], v2 offset0:109 offset1:110
	s_wait_loadcnt 0x4
	v_fmac_f64_e32 v[156:157], v[134:135], v[152:153]
	s_wait_dscnt 0x1
	s_delay_alu instid0(VALU_DEP_1) | instskip(SKIP_1) | instid1(VALU_DEP_1)
	v_fmac_f64_e32 v[156:157], v[136:137], v[130:131]
	s_wait_loadcnt 0x3
	v_fmac_f64_e32 v[156:157], v[122:123], v[132:133]
	s_wait_dscnt 0x0
	s_delay_alu instid0(VALU_DEP_1)
	v_fmac_f64_e32 v[156:157], v[124:125], v[146:147]
	ds_load_2addr_b64 v[122:125], v2 offset0:111 offset1:112
	ds_load_2addr_b64 v[130:133], v2 offset0:113 offset1:114
	s_wait_loadcnt 0x2
	v_fmac_f64_e32 v[156:157], v[138:139], v[148:149]
	s_wait_dscnt 0x1
	s_delay_alu instid0(VALU_DEP_1) | instskip(SKIP_4) | instid1(VALU_DEP_1)
	v_fmac_f64_e32 v[156:157], v[140:141], v[122:123]
	ds_load_b64 v[122:123], v2 offset:920
	s_wait_loadcnt 0x1
	v_fmac_f64_e32 v[156:157], v[126:127], v[124:125]
	s_wait_dscnt 0x1
	v_fmac_f64_e32 v[156:157], v[128:129], v[130:131]
	s_wait_loadcnt 0x0
	s_delay_alu instid0(VALU_DEP_1) | instskip(SKIP_1) | instid1(VALU_DEP_1)
	v_fmac_f64_e32 v[156:157], v[142:143], v[132:133]
	s_wait_dscnt 0x0
	v_fmac_f64_e32 v[156:157], v[144:145], v[122:123]
	s_delay_alu instid0(VALU_DEP_1)
	v_add_f64_e64 v[120:121], v[120:121], -v[156:157]
	scratch_store_b64 off, v[120:121], off offset:96
	s_wait_xcnt 0x0
	v_cmpx_lt_u32_e32 11, v0
	s_cbranch_execz .LBB121_335
; %bb.334:
	scratch_load_b64 v[120:121], off, off offset:88
	v_mov_b64_e32 v[122:123], 0
	scratch_store_b64 off, v[122:123], off offset:88
	s_wait_loadcnt 0x0
	ds_store_b64 v1, v[120:121]
.LBB121_335:
	s_wait_xcnt 0x0
	s_or_b32 exec_lo, exec_lo, s0
	s_wait_storecnt_dscnt 0x0
	s_barrier_signal -1
	s_barrier_wait -1
	s_clause 0x5
	scratch_load_b128 v[120:123], off, off offset:88
	scratch_load_b128 v[124:127], off, off offset:104
	;; [unrolled: 1-line block ×6, first 2 shown]
	ds_load_b128 v[144:147], v2 offset:560
	ds_load_b128 v[148:151], v2 offset:576
	scratch_load_b128 v[152:155], off, off offset:184
	s_mov_b32 s0, exec_lo
	s_wait_loadcnt_dscnt 0x601
	v_fma_f64 v[156:157], v[122:123], v[144:145], 0
	s_wait_loadcnt 0x5
	s_delay_alu instid0(VALU_DEP_1) | instskip(SKIP_4) | instid1(VALU_DEP_1)
	v_fmac_f64_e32 v[156:157], v[124:125], v[146:147]
	scratch_load_b128 v[122:125], off, off offset:200
	s_wait_dscnt 0x0
	v_fmac_f64_e32 v[156:157], v[126:127], v[148:149]
	s_wait_loadcnt 0x5
	v_fmac_f64_e32 v[156:157], v[128:129], v[150:151]
	ds_load_b128 v[126:129], v2 offset:592
	ds_load_b128 v[144:147], v2 offset:608
	scratch_load_b128 v[148:151], off, off offset:216
	s_wait_dscnt 0x1
	v_fmac_f64_e32 v[156:157], v[130:131], v[126:127]
	s_wait_loadcnt 0x5
	s_delay_alu instid0(VALU_DEP_1) | instskip(SKIP_4) | instid1(VALU_DEP_1)
	v_fmac_f64_e32 v[156:157], v[132:133], v[128:129]
	scratch_load_b128 v[126:129], off, off offset:232
	s_wait_dscnt 0x0
	v_fmac_f64_e32 v[156:157], v[134:135], v[144:145]
	s_wait_loadcnt 0x5
	v_fmac_f64_e32 v[156:157], v[136:137], v[146:147]
	ds_load_b128 v[130:133], v2 offset:624
	ds_load_b128 v[134:137], v2 offset:640
	scratch_load_b128 v[144:147], off, off offset:248
	s_wait_dscnt 0x1
	v_fmac_f64_e32 v[156:157], v[138:139], v[130:131]
	s_wait_loadcnt 0x5
	s_delay_alu instid0(VALU_DEP_1) | instskip(SKIP_4) | instid1(VALU_DEP_1)
	v_fmac_f64_e32 v[156:157], v[140:141], v[132:133]
	scratch_load_b128 v[130:133], off, off offset:264
	s_wait_dscnt 0x0
	v_fmac_f64_e32 v[156:157], v[142:143], v[134:135]
	s_wait_loadcnt 0x5
	v_fmac_f64_e32 v[156:157], v[152:153], v[136:137]
	ds_load_b128 v[134:137], v2 offset:656
	ds_load_b128 v[138:141], v2 offset:672
	s_wait_dscnt 0x1
	v_fmac_f64_e32 v[156:157], v[154:155], v[134:135]
	scratch_load_b128 v[152:155], off, off offset:280
	s_wait_loadcnt 0x5
	v_fmac_f64_e32 v[156:157], v[122:123], v[136:137]
	s_wait_dscnt 0x0
	s_delay_alu instid0(VALU_DEP_1)
	v_fmac_f64_e32 v[156:157], v[124:125], v[138:139]
	scratch_load_b128 v[122:125], off, off offset:296
	s_wait_loadcnt 0x5
	v_fmac_f64_e32 v[156:157], v[148:149], v[140:141]
	ds_load_b128 v[134:137], v2 offset:688
	ds_load_b128 v[138:141], v2 offset:704
	s_wait_dscnt 0x1
	v_fmac_f64_e32 v[156:157], v[150:151], v[134:135]
	scratch_load_b128 v[148:151], off, off offset:312
	s_wait_loadcnt 0x5
	v_fmac_f64_e32 v[156:157], v[126:127], v[136:137]
	s_wait_dscnt 0x0
	s_delay_alu instid0(VALU_DEP_1)
	v_fmac_f64_e32 v[156:157], v[128:129], v[138:139]
	scratch_load_b128 v[126:129], off, off offset:328
	s_wait_loadcnt 0x5
	v_fmac_f64_e32 v[156:157], v[144:145], v[140:141]
	ds_load_b128 v[134:137], v2 offset:720
	ds_load_b128 v[138:141], v2 offset:736
	scratch_load_b128 v[142:145], off, off offset:344
	s_wait_dscnt 0x1
	v_fmac_f64_e32 v[156:157], v[146:147], v[134:135]
	s_wait_loadcnt 0x5
	s_delay_alu instid0(VALU_DEP_1) | instskip(SKIP_1) | instid1(VALU_DEP_1)
	v_fmac_f64_e32 v[156:157], v[130:131], v[136:137]
	s_wait_dscnt 0x0
	v_fmac_f64_e32 v[156:157], v[132:133], v[138:139]
	scratch_load_b128 v[130:133], off, off offset:360
	s_wait_loadcnt 0x5
	v_fmac_f64_e32 v[156:157], v[152:153], v[140:141]
	ds_load_b128 v[134:137], v2 offset:752
	ds_load_b128 v[138:141], v2 offset:768
	s_wait_dscnt 0x1
	v_fmac_f64_e32 v[156:157], v[154:155], v[134:135]
	scratch_load_b128 v[152:155], off, off offset:376
	s_wait_loadcnt 0x5
	v_fmac_f64_e32 v[156:157], v[122:123], v[136:137]
	s_wait_dscnt 0x0
	s_delay_alu instid0(VALU_DEP_1)
	v_fmac_f64_e32 v[156:157], v[124:125], v[138:139]
	scratch_load_b128 v[122:125], off, off offset:392
	s_wait_loadcnt 0x5
	v_fmac_f64_e32 v[156:157], v[148:149], v[140:141]
	ds_load_b128 v[134:137], v2 offset:784
	ds_load_b128 v[138:141], v2 offset:800
	s_wait_dscnt 0x1
	v_fmac_f64_e32 v[156:157], v[150:151], v[134:135]
	s_wait_loadcnt 0x4
	s_delay_alu instid0(VALU_DEP_1)
	v_fmac_f64_e32 v[156:157], v[126:127], v[136:137]
	scratch_load_b128 v[134:137], off, off offset:408
	s_wait_dscnt 0x0
	v_fmac_f64_e32 v[156:157], v[128:129], v[138:139]
	scratch_load_b128 v[126:129], off, off offset:424
	s_wait_loadcnt 0x5
	v_fmac_f64_e32 v[156:157], v[142:143], v[140:141]
	ds_load_b128 v[138:141], v2 offset:816
	ds_load_b128 v[146:149], v2 offset:832
	s_wait_dscnt 0x1
	v_fmac_f64_e32 v[156:157], v[144:145], v[138:139]
	s_wait_loadcnt 0x4
	s_delay_alu instid0(VALU_DEP_1)
	v_fmac_f64_e32 v[156:157], v[130:131], v[140:141]
	scratch_load_b128 v[138:141], off, off offset:440
	s_wait_dscnt 0x0
	v_fmac_f64_e32 v[156:157], v[132:133], v[146:147]
	scratch_load_b64 v[146:147], off, off offset:456
	ds_load_b128 v[130:133], v2 offset:848
	ds_load_b128 v[142:145], v2 offset:864
	s_wait_loadcnt 0x5
	v_fmac_f64_e32 v[156:157], v[152:153], v[148:149]
	s_wait_dscnt 0x1
	s_delay_alu instid0(VALU_DEP_1) | instskip(SKIP_1) | instid1(VALU_DEP_1)
	v_fmac_f64_e32 v[156:157], v[154:155], v[130:131]
	s_wait_loadcnt 0x4
	v_fmac_f64_e32 v[156:157], v[122:123], v[132:133]
	s_wait_dscnt 0x0
	s_delay_alu instid0(VALU_DEP_1)
	v_fmac_f64_e32 v[156:157], v[124:125], v[142:143]
	ds_load_b128 v[122:125], v2 offset:880
	ds_load_b128 v[130:133], v2 offset:896
	s_wait_loadcnt 0x3
	v_fmac_f64_e32 v[156:157], v[134:135], v[144:145]
	s_wait_dscnt 0x1
	s_delay_alu instid0(VALU_DEP_1) | instskip(SKIP_1) | instid1(VALU_DEP_1)
	v_fmac_f64_e32 v[156:157], v[136:137], v[122:123]
	s_wait_loadcnt 0x2
	v_fmac_f64_e32 v[156:157], v[126:127], v[124:125]
	ds_load_b128 v[122:125], v2 offset:912
	s_wait_dscnt 0x1
	v_fmac_f64_e32 v[156:157], v[128:129], v[130:131]
	s_wait_loadcnt 0x1
	s_delay_alu instid0(VALU_DEP_1) | instskip(SKIP_1) | instid1(VALU_DEP_1)
	v_fmac_f64_e32 v[156:157], v[138:139], v[132:133]
	s_wait_dscnt 0x0
	v_fmac_f64_e32 v[156:157], v[140:141], v[122:123]
	s_wait_loadcnt 0x0
	s_delay_alu instid0(VALU_DEP_1) | instskip(NEXT) | instid1(VALU_DEP_1)
	v_fmac_f64_e32 v[156:157], v[146:147], v[124:125]
	v_add_f64_e64 v[2:3], v[120:121], -v[156:157]
	scratch_store_b64 off, v[2:3], off offset:88
	s_wait_xcnt 0x0
	v_cmpx_lt_u32_e32 10, v0
	s_cbranch_execz .LBB121_337
; %bb.336:
	scratch_load_b64 v[2:3], off, off offset:80
	v_mov_b64_e32 v[120:121], 0
	scratch_store_b64 off, v[120:121], off offset:80
	s_wait_loadcnt 0x0
	ds_store_b64 v1, v[2:3]
.LBB121_337:
	s_wait_xcnt 0x0
	s_or_b32 exec_lo, exec_lo, s0
	s_wait_storecnt_dscnt 0x0
	s_barrier_signal -1
	s_barrier_wait -1
	s_clause 0x5
	scratch_load_b128 v[120:123], off, off offset:80
	scratch_load_b128 v[124:127], off, off offset:96
	;; [unrolled: 1-line block ×6, first 2 shown]
	v_mov_b32_e32 v2, 0
	ds_load_2addr_b64 v[144:147], v2 offset0:69 offset1:70
	ds_load_2addr_b64 v[148:151], v2 offset0:71 offset1:72
	scratch_load_b128 v[152:155], off, off offset:176
	s_mov_b32 s0, exec_lo
	s_wait_loadcnt_dscnt 0x601
	v_fma_f64 v[156:157], v[122:123], v[144:145], 0
	s_wait_loadcnt 0x5
	s_delay_alu instid0(VALU_DEP_1) | instskip(SKIP_4) | instid1(VALU_DEP_1)
	v_fmac_f64_e32 v[156:157], v[124:125], v[146:147]
	scratch_load_b128 v[122:125], off, off offset:192
	s_wait_dscnt 0x0
	v_fmac_f64_e32 v[156:157], v[126:127], v[148:149]
	s_wait_loadcnt 0x5
	v_fmac_f64_e32 v[156:157], v[128:129], v[150:151]
	ds_load_2addr_b64 v[126:129], v2 offset0:73 offset1:74
	ds_load_2addr_b64 v[144:147], v2 offset0:75 offset1:76
	scratch_load_b128 v[148:151], off, off offset:208
	s_wait_dscnt 0x1
	v_fmac_f64_e32 v[156:157], v[130:131], v[126:127]
	s_wait_loadcnt 0x5
	s_delay_alu instid0(VALU_DEP_1) | instskip(SKIP_4) | instid1(VALU_DEP_1)
	v_fmac_f64_e32 v[156:157], v[132:133], v[128:129]
	scratch_load_b128 v[126:129], off, off offset:224
	s_wait_dscnt 0x0
	v_fmac_f64_e32 v[156:157], v[134:135], v[144:145]
	s_wait_loadcnt 0x5
	v_fmac_f64_e32 v[156:157], v[136:137], v[146:147]
	ds_load_2addr_b64 v[130:133], v2 offset0:77 offset1:78
	ds_load_2addr_b64 v[134:137], v2 offset0:79 offset1:80
	scratch_load_b128 v[144:147], off, off offset:240
	s_wait_dscnt 0x1
	v_fmac_f64_e32 v[156:157], v[138:139], v[130:131]
	s_wait_loadcnt 0x5
	s_delay_alu instid0(VALU_DEP_1) | instskip(SKIP_4) | instid1(VALU_DEP_1)
	v_fmac_f64_e32 v[156:157], v[140:141], v[132:133]
	scratch_load_b128 v[130:133], off, off offset:256
	s_wait_dscnt 0x0
	v_fmac_f64_e32 v[156:157], v[142:143], v[134:135]
	s_wait_loadcnt 0x5
	v_fmac_f64_e32 v[156:157], v[152:153], v[136:137]
	ds_load_2addr_b64 v[134:137], v2 offset0:81 offset1:82
	ds_load_2addr_b64 v[138:141], v2 offset0:83 offset1:84
	s_wait_dscnt 0x1
	v_fmac_f64_e32 v[156:157], v[154:155], v[134:135]
	scratch_load_b128 v[152:155], off, off offset:272
	s_wait_loadcnt 0x5
	v_fmac_f64_e32 v[156:157], v[122:123], v[136:137]
	s_wait_dscnt 0x0
	s_delay_alu instid0(VALU_DEP_1)
	v_fmac_f64_e32 v[156:157], v[124:125], v[138:139]
	scratch_load_b128 v[122:125], off, off offset:288
	s_wait_loadcnt 0x5
	v_fmac_f64_e32 v[156:157], v[148:149], v[140:141]
	ds_load_2addr_b64 v[134:137], v2 offset0:85 offset1:86
	ds_load_2addr_b64 v[138:141], v2 offset0:87 offset1:88
	s_wait_dscnt 0x1
	v_fmac_f64_e32 v[156:157], v[150:151], v[134:135]
	scratch_load_b128 v[148:151], off, off offset:304
	s_wait_loadcnt 0x5
	v_fmac_f64_e32 v[156:157], v[126:127], v[136:137]
	s_wait_dscnt 0x0
	s_delay_alu instid0(VALU_DEP_1)
	v_fmac_f64_e32 v[156:157], v[128:129], v[138:139]
	scratch_load_b128 v[126:129], off, off offset:320
	s_wait_loadcnt 0x5
	v_fmac_f64_e32 v[156:157], v[144:145], v[140:141]
	ds_load_2addr_b64 v[134:137], v2 offset0:89 offset1:90
	ds_load_2addr_b64 v[138:141], v2 offset0:91 offset1:92
	scratch_load_b128 v[142:145], off, off offset:336
	s_wait_dscnt 0x1
	v_fmac_f64_e32 v[156:157], v[146:147], v[134:135]
	s_wait_loadcnt 0x5
	s_delay_alu instid0(VALU_DEP_1) | instskip(SKIP_1) | instid1(VALU_DEP_1)
	v_fmac_f64_e32 v[156:157], v[130:131], v[136:137]
	s_wait_dscnt 0x0
	v_fmac_f64_e32 v[156:157], v[132:133], v[138:139]
	scratch_load_b128 v[130:133], off, off offset:352
	s_wait_loadcnt 0x5
	v_fmac_f64_e32 v[156:157], v[152:153], v[140:141]
	ds_load_2addr_b64 v[134:137], v2 offset0:93 offset1:94
	ds_load_2addr_b64 v[138:141], v2 offset0:95 offset1:96
	s_wait_dscnt 0x1
	v_fmac_f64_e32 v[156:157], v[154:155], v[134:135]
	scratch_load_b128 v[152:155], off, off offset:368
	s_wait_loadcnt 0x5
	v_fmac_f64_e32 v[156:157], v[122:123], v[136:137]
	s_wait_dscnt 0x0
	s_delay_alu instid0(VALU_DEP_1)
	v_fmac_f64_e32 v[156:157], v[124:125], v[138:139]
	scratch_load_b128 v[122:125], off, off offset:384
	s_wait_loadcnt 0x5
	v_fmac_f64_e32 v[156:157], v[148:149], v[140:141]
	ds_load_2addr_b64 v[134:137], v2 offset0:97 offset1:98
	ds_load_2addr_b64 v[138:141], v2 offset0:99 offset1:100
	s_wait_dscnt 0x1
	v_fmac_f64_e32 v[156:157], v[150:151], v[134:135]
	s_wait_loadcnt 0x4
	s_delay_alu instid0(VALU_DEP_1)
	v_fmac_f64_e32 v[156:157], v[126:127], v[136:137]
	scratch_load_b128 v[134:137], off, off offset:400
	s_wait_dscnt 0x0
	v_fmac_f64_e32 v[156:157], v[128:129], v[138:139]
	scratch_load_b128 v[126:129], off, off offset:416
	s_wait_loadcnt 0x5
	v_fmac_f64_e32 v[156:157], v[142:143], v[140:141]
	ds_load_2addr_b64 v[138:141], v2 offset0:101 offset1:102
	ds_load_2addr_b64 v[146:149], v2 offset0:103 offset1:104
	s_wait_dscnt 0x1
	v_fmac_f64_e32 v[156:157], v[144:145], v[138:139]
	s_wait_loadcnt 0x4
	s_delay_alu instid0(VALU_DEP_1)
	v_fmac_f64_e32 v[156:157], v[130:131], v[140:141]
	scratch_load_b128 v[138:141], off, off offset:432
	s_wait_dscnt 0x0
	v_fmac_f64_e32 v[156:157], v[132:133], v[146:147]
	scratch_load_b128 v[130:133], off, off offset:448
	s_wait_loadcnt 0x5
	v_fmac_f64_e32 v[156:157], v[152:153], v[148:149]
	ds_load_2addr_b64 v[142:145], v2 offset0:105 offset1:106
	ds_load_2addr_b64 v[146:149], v2 offset0:107 offset1:108
	s_wait_dscnt 0x1
	v_fmac_f64_e32 v[156:157], v[154:155], v[142:143]
	s_wait_loadcnt 0x4
	s_delay_alu instid0(VALU_DEP_1) | instskip(SKIP_1) | instid1(VALU_DEP_1)
	v_fmac_f64_e32 v[156:157], v[122:123], v[144:145]
	s_wait_dscnt 0x0
	v_fmac_f64_e32 v[156:157], v[124:125], v[146:147]
	ds_load_2addr_b64 v[122:125], v2 offset0:109 offset1:110
	ds_load_2addr_b64 v[142:145], v2 offset0:111 offset1:112
	s_wait_loadcnt 0x3
	v_fmac_f64_e32 v[156:157], v[134:135], v[148:149]
	s_wait_dscnt 0x1
	s_delay_alu instid0(VALU_DEP_1) | instskip(SKIP_1) | instid1(VALU_DEP_1)
	v_fmac_f64_e32 v[156:157], v[136:137], v[122:123]
	s_wait_loadcnt 0x2
	v_fmac_f64_e32 v[156:157], v[126:127], v[124:125]
	ds_load_2addr_b64 v[122:125], v2 offset0:113 offset1:114
	ds_load_b64 v[126:127], v2 offset:920
	s_wait_dscnt 0x2
	v_fmac_f64_e32 v[156:157], v[128:129], v[142:143]
	s_wait_loadcnt 0x1
	s_delay_alu instid0(VALU_DEP_1) | instskip(SKIP_1) | instid1(VALU_DEP_1)
	v_fmac_f64_e32 v[156:157], v[138:139], v[144:145]
	s_wait_dscnt 0x1
	v_fmac_f64_e32 v[156:157], v[140:141], v[122:123]
	s_wait_loadcnt 0x0
	s_delay_alu instid0(VALU_DEP_1) | instskip(SKIP_1) | instid1(VALU_DEP_1)
	v_fmac_f64_e32 v[156:157], v[130:131], v[124:125]
	s_wait_dscnt 0x0
	v_fmac_f64_e32 v[156:157], v[132:133], v[126:127]
	s_delay_alu instid0(VALU_DEP_1)
	v_add_f64_e64 v[120:121], v[120:121], -v[156:157]
	scratch_store_b64 off, v[120:121], off offset:80
	s_wait_xcnt 0x0
	v_cmpx_lt_u32_e32 9, v0
	s_cbranch_execz .LBB121_339
; %bb.338:
	scratch_load_b64 v[120:121], off, off offset:72
	v_mov_b64_e32 v[122:123], 0
	scratch_store_b64 off, v[122:123], off offset:72
	s_wait_loadcnt 0x0
	ds_store_b64 v1, v[120:121]
.LBB121_339:
	s_wait_xcnt 0x0
	s_or_b32 exec_lo, exec_lo, s0
	s_wait_storecnt_dscnt 0x0
	s_barrier_signal -1
	s_barrier_wait -1
	s_clause 0x5
	scratch_load_b128 v[120:123], off, off offset:72
	scratch_load_b128 v[124:127], off, off offset:88
	;; [unrolled: 1-line block ×6, first 2 shown]
	ds_load_b128 v[144:147], v2 offset:544
	ds_load_b128 v[148:151], v2 offset:560
	scratch_load_b128 v[152:155], off, off offset:168
	s_mov_b32 s0, exec_lo
	s_wait_loadcnt_dscnt 0x601
	v_fma_f64 v[156:157], v[122:123], v[144:145], 0
	s_wait_loadcnt 0x5
	s_delay_alu instid0(VALU_DEP_1) | instskip(SKIP_4) | instid1(VALU_DEP_1)
	v_fmac_f64_e32 v[156:157], v[124:125], v[146:147]
	scratch_load_b128 v[122:125], off, off offset:184
	s_wait_dscnt 0x0
	v_fmac_f64_e32 v[156:157], v[126:127], v[148:149]
	s_wait_loadcnt 0x5
	v_fmac_f64_e32 v[156:157], v[128:129], v[150:151]
	ds_load_b128 v[126:129], v2 offset:576
	ds_load_b128 v[144:147], v2 offset:592
	scratch_load_b128 v[148:151], off, off offset:200
	s_wait_dscnt 0x1
	v_fmac_f64_e32 v[156:157], v[130:131], v[126:127]
	s_wait_loadcnt 0x5
	s_delay_alu instid0(VALU_DEP_1) | instskip(SKIP_4) | instid1(VALU_DEP_1)
	v_fmac_f64_e32 v[156:157], v[132:133], v[128:129]
	scratch_load_b128 v[126:129], off, off offset:216
	s_wait_dscnt 0x0
	v_fmac_f64_e32 v[156:157], v[134:135], v[144:145]
	s_wait_loadcnt 0x5
	v_fmac_f64_e32 v[156:157], v[136:137], v[146:147]
	ds_load_b128 v[130:133], v2 offset:608
	ds_load_b128 v[134:137], v2 offset:624
	scratch_load_b128 v[144:147], off, off offset:232
	s_wait_dscnt 0x1
	v_fmac_f64_e32 v[156:157], v[138:139], v[130:131]
	s_wait_loadcnt 0x5
	s_delay_alu instid0(VALU_DEP_1) | instskip(SKIP_4) | instid1(VALU_DEP_1)
	v_fmac_f64_e32 v[156:157], v[140:141], v[132:133]
	scratch_load_b128 v[130:133], off, off offset:248
	s_wait_dscnt 0x0
	v_fmac_f64_e32 v[156:157], v[142:143], v[134:135]
	s_wait_loadcnt 0x5
	v_fmac_f64_e32 v[156:157], v[152:153], v[136:137]
	ds_load_b128 v[134:137], v2 offset:640
	ds_load_b128 v[138:141], v2 offset:656
	s_wait_dscnt 0x1
	v_fmac_f64_e32 v[156:157], v[154:155], v[134:135]
	scratch_load_b128 v[152:155], off, off offset:264
	s_wait_loadcnt 0x5
	v_fmac_f64_e32 v[156:157], v[122:123], v[136:137]
	s_wait_dscnt 0x0
	s_delay_alu instid0(VALU_DEP_1)
	v_fmac_f64_e32 v[156:157], v[124:125], v[138:139]
	scratch_load_b128 v[122:125], off, off offset:280
	s_wait_loadcnt 0x5
	v_fmac_f64_e32 v[156:157], v[148:149], v[140:141]
	ds_load_b128 v[134:137], v2 offset:672
	ds_load_b128 v[138:141], v2 offset:688
	s_wait_dscnt 0x1
	v_fmac_f64_e32 v[156:157], v[150:151], v[134:135]
	scratch_load_b128 v[148:151], off, off offset:296
	s_wait_loadcnt 0x5
	v_fmac_f64_e32 v[156:157], v[126:127], v[136:137]
	s_wait_dscnt 0x0
	s_delay_alu instid0(VALU_DEP_1)
	v_fmac_f64_e32 v[156:157], v[128:129], v[138:139]
	scratch_load_b128 v[126:129], off, off offset:312
	s_wait_loadcnt 0x5
	v_fmac_f64_e32 v[156:157], v[144:145], v[140:141]
	ds_load_b128 v[134:137], v2 offset:704
	ds_load_b128 v[138:141], v2 offset:720
	scratch_load_b128 v[142:145], off, off offset:328
	s_wait_dscnt 0x1
	v_fmac_f64_e32 v[156:157], v[146:147], v[134:135]
	s_wait_loadcnt 0x5
	s_delay_alu instid0(VALU_DEP_1) | instskip(SKIP_1) | instid1(VALU_DEP_1)
	v_fmac_f64_e32 v[156:157], v[130:131], v[136:137]
	s_wait_dscnt 0x0
	v_fmac_f64_e32 v[156:157], v[132:133], v[138:139]
	scratch_load_b128 v[130:133], off, off offset:344
	s_wait_loadcnt 0x5
	v_fmac_f64_e32 v[156:157], v[152:153], v[140:141]
	ds_load_b128 v[134:137], v2 offset:736
	ds_load_b128 v[138:141], v2 offset:752
	s_wait_dscnt 0x1
	v_fmac_f64_e32 v[156:157], v[154:155], v[134:135]
	scratch_load_b128 v[152:155], off, off offset:360
	s_wait_loadcnt 0x5
	v_fmac_f64_e32 v[156:157], v[122:123], v[136:137]
	s_wait_dscnt 0x0
	s_delay_alu instid0(VALU_DEP_1)
	v_fmac_f64_e32 v[156:157], v[124:125], v[138:139]
	scratch_load_b128 v[122:125], off, off offset:376
	s_wait_loadcnt 0x5
	v_fmac_f64_e32 v[156:157], v[148:149], v[140:141]
	ds_load_b128 v[134:137], v2 offset:768
	ds_load_b128 v[138:141], v2 offset:784
	s_wait_dscnt 0x1
	v_fmac_f64_e32 v[156:157], v[150:151], v[134:135]
	s_wait_loadcnt 0x4
	s_delay_alu instid0(VALU_DEP_1)
	v_fmac_f64_e32 v[156:157], v[126:127], v[136:137]
	scratch_load_b128 v[134:137], off, off offset:392
	s_wait_dscnt 0x0
	v_fmac_f64_e32 v[156:157], v[128:129], v[138:139]
	scratch_load_b128 v[126:129], off, off offset:408
	s_wait_loadcnt 0x5
	v_fmac_f64_e32 v[156:157], v[142:143], v[140:141]
	ds_load_b128 v[138:141], v2 offset:800
	ds_load_b128 v[146:149], v2 offset:816
	s_wait_dscnt 0x1
	v_fmac_f64_e32 v[156:157], v[144:145], v[138:139]
	s_wait_loadcnt 0x4
	s_delay_alu instid0(VALU_DEP_1)
	v_fmac_f64_e32 v[156:157], v[130:131], v[140:141]
	scratch_load_b128 v[138:141], off, off offset:424
	s_wait_dscnt 0x0
	v_fmac_f64_e32 v[156:157], v[132:133], v[146:147]
	scratch_load_b128 v[130:133], off, off offset:440
	s_wait_loadcnt 0x5
	v_fmac_f64_e32 v[156:157], v[152:153], v[148:149]
	ds_load_b128 v[142:145], v2 offset:832
	ds_load_b128 v[146:149], v2 offset:848
	scratch_load_b64 v[150:151], off, off offset:456
	s_wait_dscnt 0x1
	v_fmac_f64_e32 v[156:157], v[154:155], v[142:143]
	s_wait_loadcnt 0x5
	s_delay_alu instid0(VALU_DEP_1) | instskip(SKIP_1) | instid1(VALU_DEP_1)
	v_fmac_f64_e32 v[156:157], v[122:123], v[144:145]
	s_wait_dscnt 0x0
	v_fmac_f64_e32 v[156:157], v[124:125], v[146:147]
	ds_load_b128 v[122:125], v2 offset:864
	ds_load_b128 v[142:145], v2 offset:880
	s_wait_loadcnt 0x4
	v_fmac_f64_e32 v[156:157], v[134:135], v[148:149]
	s_wait_dscnt 0x1
	s_delay_alu instid0(VALU_DEP_1) | instskip(SKIP_1) | instid1(VALU_DEP_1)
	v_fmac_f64_e32 v[156:157], v[136:137], v[122:123]
	s_wait_loadcnt 0x3
	v_fmac_f64_e32 v[156:157], v[126:127], v[124:125]
	s_wait_dscnt 0x0
	s_delay_alu instid0(VALU_DEP_1)
	v_fmac_f64_e32 v[156:157], v[128:129], v[142:143]
	ds_load_b128 v[122:125], v2 offset:896
	ds_load_b128 v[126:129], v2 offset:912
	s_wait_loadcnt 0x2
	v_fmac_f64_e32 v[156:157], v[138:139], v[144:145]
	s_wait_dscnt 0x1
	s_delay_alu instid0(VALU_DEP_1) | instskip(SKIP_1) | instid1(VALU_DEP_1)
	v_fmac_f64_e32 v[156:157], v[140:141], v[122:123]
	s_wait_loadcnt 0x1
	v_fmac_f64_e32 v[156:157], v[130:131], v[124:125]
	s_wait_dscnt 0x0
	s_delay_alu instid0(VALU_DEP_1) | instskip(SKIP_1) | instid1(VALU_DEP_1)
	v_fmac_f64_e32 v[156:157], v[132:133], v[126:127]
	s_wait_loadcnt 0x0
	v_fmac_f64_e32 v[156:157], v[150:151], v[128:129]
	s_delay_alu instid0(VALU_DEP_1)
	v_add_f64_e64 v[2:3], v[120:121], -v[156:157]
	scratch_store_b64 off, v[2:3], off offset:72
	s_wait_xcnt 0x0
	v_cmpx_lt_u32_e32 8, v0
	s_cbranch_execz .LBB121_341
; %bb.340:
	scratch_load_b64 v[2:3], off, off offset:64
	v_mov_b64_e32 v[120:121], 0
	scratch_store_b64 off, v[120:121], off offset:64
	s_wait_loadcnt 0x0
	ds_store_b64 v1, v[2:3]
.LBB121_341:
	s_wait_xcnt 0x0
	s_or_b32 exec_lo, exec_lo, s0
	s_wait_storecnt_dscnt 0x0
	s_barrier_signal -1
	s_barrier_wait -1
	s_clause 0x5
	scratch_load_b128 v[120:123], off, off offset:64
	scratch_load_b128 v[124:127], off, off offset:80
	;; [unrolled: 1-line block ×6, first 2 shown]
	v_mov_b32_e32 v2, 0
	ds_load_2addr_b64 v[144:147], v2 offset0:67 offset1:68
	ds_load_2addr_b64 v[148:151], v2 offset0:69 offset1:70
	scratch_load_b128 v[152:155], off, off offset:160
	s_mov_b32 s0, exec_lo
	s_wait_loadcnt_dscnt 0x601
	v_fma_f64 v[156:157], v[122:123], v[144:145], 0
	s_wait_loadcnt 0x5
	s_delay_alu instid0(VALU_DEP_1) | instskip(SKIP_4) | instid1(VALU_DEP_1)
	v_fmac_f64_e32 v[156:157], v[124:125], v[146:147]
	scratch_load_b128 v[122:125], off, off offset:176
	s_wait_dscnt 0x0
	v_fmac_f64_e32 v[156:157], v[126:127], v[148:149]
	s_wait_loadcnt 0x5
	v_fmac_f64_e32 v[156:157], v[128:129], v[150:151]
	ds_load_2addr_b64 v[126:129], v2 offset0:71 offset1:72
	ds_load_2addr_b64 v[144:147], v2 offset0:73 offset1:74
	scratch_load_b128 v[148:151], off, off offset:192
	s_wait_dscnt 0x1
	v_fmac_f64_e32 v[156:157], v[130:131], v[126:127]
	s_wait_loadcnt 0x5
	s_delay_alu instid0(VALU_DEP_1) | instskip(SKIP_4) | instid1(VALU_DEP_1)
	v_fmac_f64_e32 v[156:157], v[132:133], v[128:129]
	scratch_load_b128 v[126:129], off, off offset:208
	s_wait_dscnt 0x0
	v_fmac_f64_e32 v[156:157], v[134:135], v[144:145]
	s_wait_loadcnt 0x5
	v_fmac_f64_e32 v[156:157], v[136:137], v[146:147]
	ds_load_2addr_b64 v[130:133], v2 offset0:75 offset1:76
	ds_load_2addr_b64 v[134:137], v2 offset0:77 offset1:78
	scratch_load_b128 v[144:147], off, off offset:224
	s_wait_dscnt 0x1
	v_fmac_f64_e32 v[156:157], v[138:139], v[130:131]
	s_wait_loadcnt 0x5
	s_delay_alu instid0(VALU_DEP_1) | instskip(SKIP_4) | instid1(VALU_DEP_1)
	v_fmac_f64_e32 v[156:157], v[140:141], v[132:133]
	scratch_load_b128 v[130:133], off, off offset:240
	s_wait_dscnt 0x0
	v_fmac_f64_e32 v[156:157], v[142:143], v[134:135]
	s_wait_loadcnt 0x5
	v_fmac_f64_e32 v[156:157], v[152:153], v[136:137]
	ds_load_2addr_b64 v[134:137], v2 offset0:79 offset1:80
	ds_load_2addr_b64 v[138:141], v2 offset0:81 offset1:82
	s_wait_dscnt 0x1
	v_fmac_f64_e32 v[156:157], v[154:155], v[134:135]
	scratch_load_b128 v[152:155], off, off offset:256
	s_wait_loadcnt 0x5
	v_fmac_f64_e32 v[156:157], v[122:123], v[136:137]
	s_wait_dscnt 0x0
	s_delay_alu instid0(VALU_DEP_1)
	v_fmac_f64_e32 v[156:157], v[124:125], v[138:139]
	scratch_load_b128 v[122:125], off, off offset:272
	s_wait_loadcnt 0x5
	v_fmac_f64_e32 v[156:157], v[148:149], v[140:141]
	ds_load_2addr_b64 v[134:137], v2 offset0:83 offset1:84
	ds_load_2addr_b64 v[138:141], v2 offset0:85 offset1:86
	s_wait_dscnt 0x1
	v_fmac_f64_e32 v[156:157], v[150:151], v[134:135]
	scratch_load_b128 v[148:151], off, off offset:288
	s_wait_loadcnt 0x5
	v_fmac_f64_e32 v[156:157], v[126:127], v[136:137]
	s_wait_dscnt 0x0
	s_delay_alu instid0(VALU_DEP_1)
	v_fmac_f64_e32 v[156:157], v[128:129], v[138:139]
	scratch_load_b128 v[126:129], off, off offset:304
	s_wait_loadcnt 0x5
	v_fmac_f64_e32 v[156:157], v[144:145], v[140:141]
	ds_load_2addr_b64 v[134:137], v2 offset0:87 offset1:88
	ds_load_2addr_b64 v[138:141], v2 offset0:89 offset1:90
	scratch_load_b128 v[142:145], off, off offset:320
	s_wait_dscnt 0x1
	v_fmac_f64_e32 v[156:157], v[146:147], v[134:135]
	s_wait_loadcnt 0x5
	s_delay_alu instid0(VALU_DEP_1) | instskip(SKIP_1) | instid1(VALU_DEP_1)
	v_fmac_f64_e32 v[156:157], v[130:131], v[136:137]
	s_wait_dscnt 0x0
	v_fmac_f64_e32 v[156:157], v[132:133], v[138:139]
	scratch_load_b128 v[130:133], off, off offset:336
	s_wait_loadcnt 0x5
	v_fmac_f64_e32 v[156:157], v[152:153], v[140:141]
	ds_load_2addr_b64 v[134:137], v2 offset0:91 offset1:92
	ds_load_2addr_b64 v[138:141], v2 offset0:93 offset1:94
	s_wait_dscnt 0x1
	v_fmac_f64_e32 v[156:157], v[154:155], v[134:135]
	scratch_load_b128 v[152:155], off, off offset:352
	s_wait_loadcnt 0x5
	v_fmac_f64_e32 v[156:157], v[122:123], v[136:137]
	s_wait_dscnt 0x0
	s_delay_alu instid0(VALU_DEP_1)
	v_fmac_f64_e32 v[156:157], v[124:125], v[138:139]
	scratch_load_b128 v[122:125], off, off offset:368
	s_wait_loadcnt 0x5
	v_fmac_f64_e32 v[156:157], v[148:149], v[140:141]
	ds_load_2addr_b64 v[134:137], v2 offset0:95 offset1:96
	ds_load_2addr_b64 v[138:141], v2 offset0:97 offset1:98
	s_wait_dscnt 0x1
	v_fmac_f64_e32 v[156:157], v[150:151], v[134:135]
	s_wait_loadcnt 0x4
	s_delay_alu instid0(VALU_DEP_1)
	v_fmac_f64_e32 v[156:157], v[126:127], v[136:137]
	scratch_load_b128 v[134:137], off, off offset:384
	s_wait_dscnt 0x0
	v_fmac_f64_e32 v[156:157], v[128:129], v[138:139]
	scratch_load_b128 v[126:129], off, off offset:400
	s_wait_loadcnt 0x5
	v_fmac_f64_e32 v[156:157], v[142:143], v[140:141]
	ds_load_2addr_b64 v[138:141], v2 offset0:99 offset1:100
	ds_load_2addr_b64 v[146:149], v2 offset0:101 offset1:102
	s_wait_dscnt 0x1
	v_fmac_f64_e32 v[156:157], v[144:145], v[138:139]
	s_wait_loadcnt 0x4
	s_delay_alu instid0(VALU_DEP_1)
	v_fmac_f64_e32 v[156:157], v[130:131], v[140:141]
	scratch_load_b128 v[138:141], off, off offset:416
	s_wait_dscnt 0x0
	v_fmac_f64_e32 v[156:157], v[132:133], v[146:147]
	scratch_load_b128 v[130:133], off, off offset:432
	s_wait_loadcnt 0x5
	v_fmac_f64_e32 v[156:157], v[152:153], v[148:149]
	ds_load_2addr_b64 v[142:145], v2 offset0:103 offset1:104
	ds_load_2addr_b64 v[146:149], v2 offset0:105 offset1:106
	s_wait_dscnt 0x1
	v_fmac_f64_e32 v[156:157], v[154:155], v[142:143]
	s_wait_loadcnt 0x4
	s_delay_alu instid0(VALU_DEP_1) | instskip(SKIP_4) | instid1(VALU_DEP_1)
	v_fmac_f64_e32 v[156:157], v[122:123], v[144:145]
	scratch_load_b128 v[142:145], off, off offset:448
	s_wait_dscnt 0x0
	v_fmac_f64_e32 v[156:157], v[124:125], v[146:147]
	s_wait_loadcnt 0x4
	v_fmac_f64_e32 v[156:157], v[134:135], v[148:149]
	ds_load_2addr_b64 v[122:125], v2 offset0:107 offset1:108
	ds_load_2addr_b64 v[146:149], v2 offset0:109 offset1:110
	s_wait_dscnt 0x1
	v_fmac_f64_e32 v[156:157], v[136:137], v[122:123]
	s_wait_loadcnt 0x3
	s_delay_alu instid0(VALU_DEP_1) | instskip(SKIP_1) | instid1(VALU_DEP_1)
	v_fmac_f64_e32 v[156:157], v[126:127], v[124:125]
	s_wait_dscnt 0x0
	v_fmac_f64_e32 v[156:157], v[128:129], v[146:147]
	ds_load_2addr_b64 v[122:125], v2 offset0:111 offset1:112
	ds_load_2addr_b64 v[126:129], v2 offset0:113 offset1:114
	s_wait_loadcnt 0x2
	v_fmac_f64_e32 v[156:157], v[138:139], v[148:149]
	s_wait_dscnt 0x1
	s_delay_alu instid0(VALU_DEP_1) | instskip(SKIP_4) | instid1(VALU_DEP_1)
	v_fmac_f64_e32 v[156:157], v[140:141], v[122:123]
	ds_load_b64 v[122:123], v2 offset:920
	s_wait_loadcnt 0x1
	v_fmac_f64_e32 v[156:157], v[130:131], v[124:125]
	s_wait_dscnt 0x1
	v_fmac_f64_e32 v[156:157], v[132:133], v[126:127]
	s_wait_loadcnt 0x0
	s_delay_alu instid0(VALU_DEP_1) | instskip(SKIP_1) | instid1(VALU_DEP_1)
	v_fmac_f64_e32 v[156:157], v[142:143], v[128:129]
	s_wait_dscnt 0x0
	v_fmac_f64_e32 v[156:157], v[144:145], v[122:123]
	s_delay_alu instid0(VALU_DEP_1)
	v_add_f64_e64 v[120:121], v[120:121], -v[156:157]
	scratch_store_b64 off, v[120:121], off offset:64
	s_wait_xcnt 0x0
	v_cmpx_lt_u32_e32 7, v0
	s_cbranch_execz .LBB121_343
; %bb.342:
	scratch_load_b64 v[120:121], off, off offset:56
	v_mov_b64_e32 v[122:123], 0
	scratch_store_b64 off, v[122:123], off offset:56
	s_wait_loadcnt 0x0
	ds_store_b64 v1, v[120:121]
.LBB121_343:
	s_wait_xcnt 0x0
	s_or_b32 exec_lo, exec_lo, s0
	s_wait_storecnt_dscnt 0x0
	s_barrier_signal -1
	s_barrier_wait -1
	s_clause 0x5
	scratch_load_b128 v[120:123], off, off offset:56
	scratch_load_b128 v[124:127], off, off offset:72
	;; [unrolled: 1-line block ×6, first 2 shown]
	ds_load_b128 v[144:147], v2 offset:528
	ds_load_b128 v[148:151], v2 offset:544
	scratch_load_b128 v[152:155], off, off offset:152
	s_mov_b32 s0, exec_lo
	s_wait_loadcnt_dscnt 0x601
	v_fma_f64 v[156:157], v[122:123], v[144:145], 0
	s_wait_loadcnt 0x5
	s_delay_alu instid0(VALU_DEP_1) | instskip(SKIP_4) | instid1(VALU_DEP_1)
	v_fmac_f64_e32 v[156:157], v[124:125], v[146:147]
	scratch_load_b128 v[122:125], off, off offset:168
	s_wait_dscnt 0x0
	v_fmac_f64_e32 v[156:157], v[126:127], v[148:149]
	s_wait_loadcnt 0x5
	v_fmac_f64_e32 v[156:157], v[128:129], v[150:151]
	ds_load_b128 v[126:129], v2 offset:560
	ds_load_b128 v[144:147], v2 offset:576
	scratch_load_b128 v[148:151], off, off offset:184
	s_wait_dscnt 0x1
	v_fmac_f64_e32 v[156:157], v[130:131], v[126:127]
	s_wait_loadcnt 0x5
	s_delay_alu instid0(VALU_DEP_1) | instskip(SKIP_4) | instid1(VALU_DEP_1)
	v_fmac_f64_e32 v[156:157], v[132:133], v[128:129]
	scratch_load_b128 v[126:129], off, off offset:200
	s_wait_dscnt 0x0
	v_fmac_f64_e32 v[156:157], v[134:135], v[144:145]
	s_wait_loadcnt 0x5
	v_fmac_f64_e32 v[156:157], v[136:137], v[146:147]
	ds_load_b128 v[130:133], v2 offset:592
	ds_load_b128 v[134:137], v2 offset:608
	scratch_load_b128 v[144:147], off, off offset:216
	s_wait_dscnt 0x1
	v_fmac_f64_e32 v[156:157], v[138:139], v[130:131]
	s_wait_loadcnt 0x5
	s_delay_alu instid0(VALU_DEP_1) | instskip(SKIP_4) | instid1(VALU_DEP_1)
	v_fmac_f64_e32 v[156:157], v[140:141], v[132:133]
	scratch_load_b128 v[130:133], off, off offset:232
	s_wait_dscnt 0x0
	v_fmac_f64_e32 v[156:157], v[142:143], v[134:135]
	s_wait_loadcnt 0x5
	v_fmac_f64_e32 v[156:157], v[152:153], v[136:137]
	ds_load_b128 v[134:137], v2 offset:624
	ds_load_b128 v[138:141], v2 offset:640
	s_wait_dscnt 0x1
	v_fmac_f64_e32 v[156:157], v[154:155], v[134:135]
	scratch_load_b128 v[152:155], off, off offset:248
	s_wait_loadcnt 0x5
	v_fmac_f64_e32 v[156:157], v[122:123], v[136:137]
	s_wait_dscnt 0x0
	s_delay_alu instid0(VALU_DEP_1)
	v_fmac_f64_e32 v[156:157], v[124:125], v[138:139]
	scratch_load_b128 v[122:125], off, off offset:264
	s_wait_loadcnt 0x5
	v_fmac_f64_e32 v[156:157], v[148:149], v[140:141]
	ds_load_b128 v[134:137], v2 offset:656
	ds_load_b128 v[138:141], v2 offset:672
	s_wait_dscnt 0x1
	v_fmac_f64_e32 v[156:157], v[150:151], v[134:135]
	scratch_load_b128 v[148:151], off, off offset:280
	s_wait_loadcnt 0x5
	v_fmac_f64_e32 v[156:157], v[126:127], v[136:137]
	s_wait_dscnt 0x0
	s_delay_alu instid0(VALU_DEP_1)
	v_fmac_f64_e32 v[156:157], v[128:129], v[138:139]
	scratch_load_b128 v[126:129], off, off offset:296
	s_wait_loadcnt 0x5
	v_fmac_f64_e32 v[156:157], v[144:145], v[140:141]
	ds_load_b128 v[134:137], v2 offset:688
	ds_load_b128 v[138:141], v2 offset:704
	scratch_load_b128 v[142:145], off, off offset:312
	s_wait_dscnt 0x1
	v_fmac_f64_e32 v[156:157], v[146:147], v[134:135]
	s_wait_loadcnt 0x5
	s_delay_alu instid0(VALU_DEP_1) | instskip(SKIP_1) | instid1(VALU_DEP_1)
	v_fmac_f64_e32 v[156:157], v[130:131], v[136:137]
	s_wait_dscnt 0x0
	v_fmac_f64_e32 v[156:157], v[132:133], v[138:139]
	scratch_load_b128 v[130:133], off, off offset:328
	s_wait_loadcnt 0x5
	v_fmac_f64_e32 v[156:157], v[152:153], v[140:141]
	ds_load_b128 v[134:137], v2 offset:720
	ds_load_b128 v[138:141], v2 offset:736
	s_wait_dscnt 0x1
	v_fmac_f64_e32 v[156:157], v[154:155], v[134:135]
	scratch_load_b128 v[152:155], off, off offset:344
	s_wait_loadcnt 0x5
	v_fmac_f64_e32 v[156:157], v[122:123], v[136:137]
	s_wait_dscnt 0x0
	s_delay_alu instid0(VALU_DEP_1)
	v_fmac_f64_e32 v[156:157], v[124:125], v[138:139]
	scratch_load_b128 v[122:125], off, off offset:360
	s_wait_loadcnt 0x5
	v_fmac_f64_e32 v[156:157], v[148:149], v[140:141]
	ds_load_b128 v[134:137], v2 offset:752
	ds_load_b128 v[138:141], v2 offset:768
	scratch_load_b128 v[146:149], off, off offset:376
	s_wait_dscnt 0x1
	v_fmac_f64_e32 v[156:157], v[150:151], v[134:135]
	s_wait_loadcnt 0x5
	s_delay_alu instid0(VALU_DEP_1) | instskip(SKIP_1) | instid1(VALU_DEP_1)
	v_fmac_f64_e32 v[156:157], v[126:127], v[136:137]
	s_wait_dscnt 0x0
	v_fmac_f64_e32 v[156:157], v[128:129], v[138:139]
	scratch_load_b128 v[126:129], off, off offset:392
	s_wait_loadcnt 0x5
	v_fmac_f64_e32 v[156:157], v[142:143], v[140:141]
	ds_load_b128 v[134:137], v2 offset:784
	ds_load_b128 v[138:141], v2 offset:800
	s_wait_dscnt 0x1
	v_fmac_f64_e32 v[156:157], v[144:145], v[134:135]
	s_wait_loadcnt 0x4
	s_delay_alu instid0(VALU_DEP_1)
	v_fmac_f64_e32 v[156:157], v[130:131], v[136:137]
	scratch_load_b128 v[134:137], off, off offset:408
	s_wait_dscnt 0x0
	v_fmac_f64_e32 v[156:157], v[132:133], v[138:139]
	scratch_load_b128 v[130:133], off, off offset:424
	s_wait_loadcnt 0x5
	v_fmac_f64_e32 v[156:157], v[152:153], v[140:141]
	ds_load_b128 v[138:141], v2 offset:816
	ds_load_b128 v[142:145], v2 offset:832
	s_wait_dscnt 0x1
	v_fmac_f64_e32 v[156:157], v[154:155], v[138:139]
	s_wait_loadcnt 0x4
	s_delay_alu instid0(VALU_DEP_1) | instskip(SKIP_4) | instid1(VALU_DEP_1)
	v_fmac_f64_e32 v[156:157], v[122:123], v[140:141]
	scratch_load_b128 v[138:141], off, off offset:440
	s_wait_dscnt 0x0
	v_fmac_f64_e32 v[156:157], v[124:125], v[142:143]
	s_wait_loadcnt 0x4
	v_fmac_f64_e32 v[156:157], v[146:147], v[144:145]
	scratch_load_b64 v[146:147], off, off offset:456
	ds_load_b128 v[122:125], v2 offset:848
	ds_load_b128 v[142:145], v2 offset:864
	s_wait_dscnt 0x1
	v_fmac_f64_e32 v[156:157], v[148:149], v[122:123]
	s_wait_loadcnt 0x4
	s_delay_alu instid0(VALU_DEP_1) | instskip(SKIP_1) | instid1(VALU_DEP_1)
	v_fmac_f64_e32 v[156:157], v[126:127], v[124:125]
	s_wait_dscnt 0x0
	v_fmac_f64_e32 v[156:157], v[128:129], v[142:143]
	ds_load_b128 v[122:125], v2 offset:880
	ds_load_b128 v[126:129], v2 offset:896
	s_wait_loadcnt 0x3
	v_fmac_f64_e32 v[156:157], v[134:135], v[144:145]
	s_wait_dscnt 0x1
	s_delay_alu instid0(VALU_DEP_1) | instskip(SKIP_1) | instid1(VALU_DEP_1)
	v_fmac_f64_e32 v[156:157], v[136:137], v[122:123]
	s_wait_loadcnt 0x2
	v_fmac_f64_e32 v[156:157], v[130:131], v[124:125]
	ds_load_b128 v[122:125], v2 offset:912
	s_wait_dscnt 0x1
	v_fmac_f64_e32 v[156:157], v[132:133], v[126:127]
	s_wait_loadcnt 0x1
	s_delay_alu instid0(VALU_DEP_1) | instskip(SKIP_1) | instid1(VALU_DEP_1)
	v_fmac_f64_e32 v[156:157], v[138:139], v[128:129]
	s_wait_dscnt 0x0
	v_fmac_f64_e32 v[156:157], v[140:141], v[122:123]
	s_wait_loadcnt 0x0
	s_delay_alu instid0(VALU_DEP_1) | instskip(NEXT) | instid1(VALU_DEP_1)
	v_fmac_f64_e32 v[156:157], v[146:147], v[124:125]
	v_add_f64_e64 v[2:3], v[120:121], -v[156:157]
	scratch_store_b64 off, v[2:3], off offset:56
	s_wait_xcnt 0x0
	v_cmpx_lt_u32_e32 6, v0
	s_cbranch_execz .LBB121_345
; %bb.344:
	scratch_load_b64 v[2:3], off, off offset:48
	v_mov_b64_e32 v[120:121], 0
	scratch_store_b64 off, v[120:121], off offset:48
	s_wait_loadcnt 0x0
	ds_store_b64 v1, v[2:3]
.LBB121_345:
	s_wait_xcnt 0x0
	s_or_b32 exec_lo, exec_lo, s0
	s_wait_storecnt_dscnt 0x0
	s_barrier_signal -1
	s_barrier_wait -1
	s_clause 0x5
	scratch_load_b128 v[120:123], off, off offset:48
	scratch_load_b128 v[124:127], off, off offset:64
	;; [unrolled: 1-line block ×6, first 2 shown]
	v_mov_b32_e32 v2, 0
	ds_load_2addr_b64 v[144:147], v2 offset0:65 offset1:66
	ds_load_2addr_b64 v[148:151], v2 offset0:67 offset1:68
	scratch_load_b128 v[152:155], off, off offset:144
	s_mov_b32 s0, exec_lo
	s_wait_loadcnt_dscnt 0x601
	v_fma_f64 v[156:157], v[122:123], v[144:145], 0
	s_wait_loadcnt 0x5
	s_delay_alu instid0(VALU_DEP_1) | instskip(SKIP_4) | instid1(VALU_DEP_1)
	v_fmac_f64_e32 v[156:157], v[124:125], v[146:147]
	scratch_load_b128 v[122:125], off, off offset:160
	s_wait_dscnt 0x0
	v_fmac_f64_e32 v[156:157], v[126:127], v[148:149]
	s_wait_loadcnt 0x5
	v_fmac_f64_e32 v[156:157], v[128:129], v[150:151]
	ds_load_2addr_b64 v[126:129], v2 offset0:69 offset1:70
	ds_load_2addr_b64 v[144:147], v2 offset0:71 offset1:72
	scratch_load_b128 v[148:151], off, off offset:176
	s_wait_dscnt 0x1
	v_fmac_f64_e32 v[156:157], v[130:131], v[126:127]
	s_wait_loadcnt 0x5
	s_delay_alu instid0(VALU_DEP_1) | instskip(SKIP_4) | instid1(VALU_DEP_1)
	v_fmac_f64_e32 v[156:157], v[132:133], v[128:129]
	scratch_load_b128 v[126:129], off, off offset:192
	s_wait_dscnt 0x0
	v_fmac_f64_e32 v[156:157], v[134:135], v[144:145]
	s_wait_loadcnt 0x5
	v_fmac_f64_e32 v[156:157], v[136:137], v[146:147]
	ds_load_2addr_b64 v[130:133], v2 offset0:73 offset1:74
	ds_load_2addr_b64 v[134:137], v2 offset0:75 offset1:76
	scratch_load_b128 v[144:147], off, off offset:208
	s_wait_dscnt 0x1
	v_fmac_f64_e32 v[156:157], v[138:139], v[130:131]
	s_wait_loadcnt 0x5
	s_delay_alu instid0(VALU_DEP_1) | instskip(SKIP_4) | instid1(VALU_DEP_1)
	v_fmac_f64_e32 v[156:157], v[140:141], v[132:133]
	scratch_load_b128 v[130:133], off, off offset:224
	s_wait_dscnt 0x0
	v_fmac_f64_e32 v[156:157], v[142:143], v[134:135]
	s_wait_loadcnt 0x5
	v_fmac_f64_e32 v[156:157], v[152:153], v[136:137]
	ds_load_2addr_b64 v[134:137], v2 offset0:77 offset1:78
	ds_load_2addr_b64 v[138:141], v2 offset0:79 offset1:80
	s_wait_dscnt 0x1
	v_fmac_f64_e32 v[156:157], v[154:155], v[134:135]
	scratch_load_b128 v[152:155], off, off offset:240
	s_wait_loadcnt 0x5
	v_fmac_f64_e32 v[156:157], v[122:123], v[136:137]
	s_wait_dscnt 0x0
	s_delay_alu instid0(VALU_DEP_1)
	v_fmac_f64_e32 v[156:157], v[124:125], v[138:139]
	scratch_load_b128 v[122:125], off, off offset:256
	s_wait_loadcnt 0x5
	v_fmac_f64_e32 v[156:157], v[148:149], v[140:141]
	ds_load_2addr_b64 v[134:137], v2 offset0:81 offset1:82
	ds_load_2addr_b64 v[138:141], v2 offset0:83 offset1:84
	s_wait_dscnt 0x1
	v_fmac_f64_e32 v[156:157], v[150:151], v[134:135]
	scratch_load_b128 v[148:151], off, off offset:272
	s_wait_loadcnt 0x5
	v_fmac_f64_e32 v[156:157], v[126:127], v[136:137]
	s_wait_dscnt 0x0
	s_delay_alu instid0(VALU_DEP_1)
	v_fmac_f64_e32 v[156:157], v[128:129], v[138:139]
	scratch_load_b128 v[126:129], off, off offset:288
	s_wait_loadcnt 0x5
	v_fmac_f64_e32 v[156:157], v[144:145], v[140:141]
	ds_load_2addr_b64 v[134:137], v2 offset0:85 offset1:86
	ds_load_2addr_b64 v[138:141], v2 offset0:87 offset1:88
	scratch_load_b128 v[142:145], off, off offset:304
	s_wait_dscnt 0x1
	v_fmac_f64_e32 v[156:157], v[146:147], v[134:135]
	s_wait_loadcnt 0x5
	s_delay_alu instid0(VALU_DEP_1) | instskip(SKIP_1) | instid1(VALU_DEP_1)
	v_fmac_f64_e32 v[156:157], v[130:131], v[136:137]
	s_wait_dscnt 0x0
	v_fmac_f64_e32 v[156:157], v[132:133], v[138:139]
	scratch_load_b128 v[130:133], off, off offset:320
	s_wait_loadcnt 0x5
	v_fmac_f64_e32 v[156:157], v[152:153], v[140:141]
	ds_load_2addr_b64 v[134:137], v2 offset0:89 offset1:90
	ds_load_2addr_b64 v[138:141], v2 offset0:91 offset1:92
	s_wait_dscnt 0x1
	v_fmac_f64_e32 v[156:157], v[154:155], v[134:135]
	scratch_load_b128 v[152:155], off, off offset:336
	s_wait_loadcnt 0x5
	v_fmac_f64_e32 v[156:157], v[122:123], v[136:137]
	s_wait_dscnt 0x0
	s_delay_alu instid0(VALU_DEP_1)
	v_fmac_f64_e32 v[156:157], v[124:125], v[138:139]
	scratch_load_b128 v[122:125], off, off offset:352
	s_wait_loadcnt 0x5
	v_fmac_f64_e32 v[156:157], v[148:149], v[140:141]
	ds_load_2addr_b64 v[134:137], v2 offset0:93 offset1:94
	ds_load_2addr_b64 v[138:141], v2 offset0:95 offset1:96
	scratch_load_b128 v[146:149], off, off offset:368
	s_wait_dscnt 0x1
	v_fmac_f64_e32 v[156:157], v[150:151], v[134:135]
	s_wait_loadcnt 0x5
	s_delay_alu instid0(VALU_DEP_1) | instskip(SKIP_1) | instid1(VALU_DEP_1)
	v_fmac_f64_e32 v[156:157], v[126:127], v[136:137]
	s_wait_dscnt 0x0
	v_fmac_f64_e32 v[156:157], v[128:129], v[138:139]
	scratch_load_b128 v[126:129], off, off offset:384
	s_wait_loadcnt 0x5
	v_fmac_f64_e32 v[156:157], v[142:143], v[140:141]
	ds_load_2addr_b64 v[134:137], v2 offset0:97 offset1:98
	ds_load_2addr_b64 v[138:141], v2 offset0:99 offset1:100
	s_wait_dscnt 0x1
	v_fmac_f64_e32 v[156:157], v[144:145], v[134:135]
	s_wait_loadcnt 0x4
	s_delay_alu instid0(VALU_DEP_1)
	v_fmac_f64_e32 v[156:157], v[130:131], v[136:137]
	scratch_load_b128 v[134:137], off, off offset:400
	s_wait_dscnt 0x0
	v_fmac_f64_e32 v[156:157], v[132:133], v[138:139]
	scratch_load_b128 v[130:133], off, off offset:416
	s_wait_loadcnt 0x5
	v_fmac_f64_e32 v[156:157], v[152:153], v[140:141]
	ds_load_2addr_b64 v[138:141], v2 offset0:101 offset1:102
	ds_load_2addr_b64 v[142:145], v2 offset0:103 offset1:104
	s_wait_dscnt 0x1
	v_fmac_f64_e32 v[156:157], v[154:155], v[138:139]
	s_wait_loadcnt 0x4
	s_delay_alu instid0(VALU_DEP_1)
	v_fmac_f64_e32 v[156:157], v[122:123], v[140:141]
	scratch_load_b128 v[138:141], off, off offset:432
	s_wait_dscnt 0x0
	v_fmac_f64_e32 v[156:157], v[124:125], v[142:143]
	scratch_load_b128 v[122:125], off, off offset:448
	s_wait_loadcnt 0x5
	v_fmac_f64_e32 v[156:157], v[146:147], v[144:145]
	ds_load_2addr_b64 v[142:145], v2 offset0:105 offset1:106
	ds_load_2addr_b64 v[150:153], v2 offset0:107 offset1:108
	s_wait_dscnt 0x1
	v_fmac_f64_e32 v[156:157], v[148:149], v[142:143]
	s_wait_loadcnt 0x4
	s_delay_alu instid0(VALU_DEP_1) | instskip(SKIP_1) | instid1(VALU_DEP_1)
	v_fmac_f64_e32 v[156:157], v[126:127], v[144:145]
	s_wait_dscnt 0x0
	v_fmac_f64_e32 v[156:157], v[128:129], v[150:151]
	ds_load_2addr_b64 v[126:129], v2 offset0:109 offset1:110
	ds_load_2addr_b64 v[142:145], v2 offset0:111 offset1:112
	s_wait_loadcnt 0x3
	v_fmac_f64_e32 v[156:157], v[134:135], v[152:153]
	s_wait_dscnt 0x1
	s_delay_alu instid0(VALU_DEP_1) | instskip(SKIP_1) | instid1(VALU_DEP_1)
	v_fmac_f64_e32 v[156:157], v[136:137], v[126:127]
	s_wait_loadcnt 0x2
	v_fmac_f64_e32 v[156:157], v[130:131], v[128:129]
	ds_load_2addr_b64 v[126:129], v2 offset0:113 offset1:114
	ds_load_b64 v[130:131], v2 offset:920
	s_wait_dscnt 0x2
	v_fmac_f64_e32 v[156:157], v[132:133], v[142:143]
	s_wait_loadcnt 0x1
	s_delay_alu instid0(VALU_DEP_1) | instskip(SKIP_1) | instid1(VALU_DEP_1)
	v_fmac_f64_e32 v[156:157], v[138:139], v[144:145]
	s_wait_dscnt 0x1
	v_fmac_f64_e32 v[156:157], v[140:141], v[126:127]
	s_wait_loadcnt 0x0
	s_delay_alu instid0(VALU_DEP_1) | instskip(SKIP_1) | instid1(VALU_DEP_1)
	v_fmac_f64_e32 v[156:157], v[122:123], v[128:129]
	s_wait_dscnt 0x0
	v_fmac_f64_e32 v[156:157], v[124:125], v[130:131]
	s_delay_alu instid0(VALU_DEP_1)
	v_add_f64_e64 v[120:121], v[120:121], -v[156:157]
	scratch_store_b64 off, v[120:121], off offset:48
	s_wait_xcnt 0x0
	v_cmpx_lt_u32_e32 5, v0
	s_cbranch_execz .LBB121_347
; %bb.346:
	scratch_load_b64 v[120:121], off, off offset:40
	v_mov_b64_e32 v[122:123], 0
	scratch_store_b64 off, v[122:123], off offset:40
	s_wait_loadcnt 0x0
	ds_store_b64 v1, v[120:121]
.LBB121_347:
	s_wait_xcnt 0x0
	s_or_b32 exec_lo, exec_lo, s0
	s_wait_storecnt_dscnt 0x0
	s_barrier_signal -1
	s_barrier_wait -1
	s_clause 0x5
	scratch_load_b128 v[120:123], off, off offset:40
	scratch_load_b128 v[124:127], off, off offset:56
	;; [unrolled: 1-line block ×6, first 2 shown]
	ds_load_b128 v[144:147], v2 offset:512
	ds_load_b128 v[148:151], v2 offset:528
	scratch_load_b128 v[152:155], off, off offset:136
	s_mov_b32 s0, exec_lo
	s_wait_loadcnt_dscnt 0x601
	v_fma_f64 v[156:157], v[122:123], v[144:145], 0
	s_wait_loadcnt 0x5
	s_delay_alu instid0(VALU_DEP_1) | instskip(SKIP_4) | instid1(VALU_DEP_1)
	v_fmac_f64_e32 v[156:157], v[124:125], v[146:147]
	scratch_load_b128 v[122:125], off, off offset:152
	s_wait_dscnt 0x0
	v_fmac_f64_e32 v[156:157], v[126:127], v[148:149]
	s_wait_loadcnt 0x5
	v_fmac_f64_e32 v[156:157], v[128:129], v[150:151]
	ds_load_b128 v[126:129], v2 offset:544
	ds_load_b128 v[144:147], v2 offset:560
	scratch_load_b128 v[148:151], off, off offset:168
	s_wait_dscnt 0x1
	v_fmac_f64_e32 v[156:157], v[130:131], v[126:127]
	s_wait_loadcnt 0x5
	s_delay_alu instid0(VALU_DEP_1) | instskip(SKIP_4) | instid1(VALU_DEP_1)
	v_fmac_f64_e32 v[156:157], v[132:133], v[128:129]
	scratch_load_b128 v[126:129], off, off offset:184
	s_wait_dscnt 0x0
	v_fmac_f64_e32 v[156:157], v[134:135], v[144:145]
	s_wait_loadcnt 0x5
	v_fmac_f64_e32 v[156:157], v[136:137], v[146:147]
	ds_load_b128 v[130:133], v2 offset:576
	ds_load_b128 v[134:137], v2 offset:592
	scratch_load_b128 v[144:147], off, off offset:200
	s_wait_dscnt 0x1
	v_fmac_f64_e32 v[156:157], v[138:139], v[130:131]
	s_wait_loadcnt 0x5
	s_delay_alu instid0(VALU_DEP_1) | instskip(SKIP_4) | instid1(VALU_DEP_1)
	v_fmac_f64_e32 v[156:157], v[140:141], v[132:133]
	scratch_load_b128 v[130:133], off, off offset:216
	s_wait_dscnt 0x0
	v_fmac_f64_e32 v[156:157], v[142:143], v[134:135]
	s_wait_loadcnt 0x5
	v_fmac_f64_e32 v[156:157], v[152:153], v[136:137]
	ds_load_b128 v[134:137], v2 offset:608
	ds_load_b128 v[138:141], v2 offset:624
	s_wait_dscnt 0x1
	v_fmac_f64_e32 v[156:157], v[154:155], v[134:135]
	scratch_load_b128 v[152:155], off, off offset:232
	s_wait_loadcnt 0x5
	v_fmac_f64_e32 v[156:157], v[122:123], v[136:137]
	s_wait_dscnt 0x0
	s_delay_alu instid0(VALU_DEP_1)
	v_fmac_f64_e32 v[156:157], v[124:125], v[138:139]
	scratch_load_b128 v[122:125], off, off offset:248
	s_wait_loadcnt 0x5
	v_fmac_f64_e32 v[156:157], v[148:149], v[140:141]
	ds_load_b128 v[134:137], v2 offset:640
	ds_load_b128 v[138:141], v2 offset:656
	s_wait_dscnt 0x1
	v_fmac_f64_e32 v[156:157], v[150:151], v[134:135]
	scratch_load_b128 v[148:151], off, off offset:264
	s_wait_loadcnt 0x5
	v_fmac_f64_e32 v[156:157], v[126:127], v[136:137]
	s_wait_dscnt 0x0
	s_delay_alu instid0(VALU_DEP_1)
	v_fmac_f64_e32 v[156:157], v[128:129], v[138:139]
	scratch_load_b128 v[126:129], off, off offset:280
	s_wait_loadcnt 0x5
	v_fmac_f64_e32 v[156:157], v[144:145], v[140:141]
	ds_load_b128 v[134:137], v2 offset:672
	ds_load_b128 v[138:141], v2 offset:688
	scratch_load_b128 v[142:145], off, off offset:296
	s_wait_dscnt 0x1
	v_fmac_f64_e32 v[156:157], v[146:147], v[134:135]
	s_wait_loadcnt 0x5
	s_delay_alu instid0(VALU_DEP_1) | instskip(SKIP_1) | instid1(VALU_DEP_1)
	v_fmac_f64_e32 v[156:157], v[130:131], v[136:137]
	s_wait_dscnt 0x0
	v_fmac_f64_e32 v[156:157], v[132:133], v[138:139]
	scratch_load_b128 v[130:133], off, off offset:312
	s_wait_loadcnt 0x5
	v_fmac_f64_e32 v[156:157], v[152:153], v[140:141]
	ds_load_b128 v[134:137], v2 offset:704
	ds_load_b128 v[138:141], v2 offset:720
	s_wait_dscnt 0x1
	v_fmac_f64_e32 v[156:157], v[154:155], v[134:135]
	scratch_load_b128 v[152:155], off, off offset:328
	s_wait_loadcnt 0x5
	v_fmac_f64_e32 v[156:157], v[122:123], v[136:137]
	s_wait_dscnt 0x0
	s_delay_alu instid0(VALU_DEP_1)
	v_fmac_f64_e32 v[156:157], v[124:125], v[138:139]
	scratch_load_b128 v[122:125], off, off offset:344
	s_wait_loadcnt 0x5
	v_fmac_f64_e32 v[156:157], v[148:149], v[140:141]
	ds_load_b128 v[134:137], v2 offset:736
	ds_load_b128 v[138:141], v2 offset:752
	scratch_load_b128 v[146:149], off, off offset:360
	s_wait_dscnt 0x1
	v_fmac_f64_e32 v[156:157], v[150:151], v[134:135]
	s_wait_loadcnt 0x5
	s_delay_alu instid0(VALU_DEP_1) | instskip(SKIP_1) | instid1(VALU_DEP_1)
	v_fmac_f64_e32 v[156:157], v[126:127], v[136:137]
	s_wait_dscnt 0x0
	v_fmac_f64_e32 v[156:157], v[128:129], v[138:139]
	scratch_load_b128 v[126:129], off, off offset:376
	s_wait_loadcnt 0x5
	v_fmac_f64_e32 v[156:157], v[142:143], v[140:141]
	ds_load_b128 v[134:137], v2 offset:768
	ds_load_b128 v[138:141], v2 offset:784
	s_wait_dscnt 0x1
	v_fmac_f64_e32 v[156:157], v[144:145], v[134:135]
	s_wait_loadcnt 0x4
	s_delay_alu instid0(VALU_DEP_1)
	v_fmac_f64_e32 v[156:157], v[130:131], v[136:137]
	scratch_load_b128 v[134:137], off, off offset:392
	s_wait_dscnt 0x0
	v_fmac_f64_e32 v[156:157], v[132:133], v[138:139]
	scratch_load_b128 v[130:133], off, off offset:408
	s_wait_loadcnt 0x5
	v_fmac_f64_e32 v[156:157], v[152:153], v[140:141]
	ds_load_b128 v[138:141], v2 offset:800
	ds_load_b128 v[142:145], v2 offset:816
	s_wait_dscnt 0x1
	v_fmac_f64_e32 v[156:157], v[154:155], v[138:139]
	s_wait_loadcnt 0x4
	s_delay_alu instid0(VALU_DEP_1)
	v_fmac_f64_e32 v[156:157], v[122:123], v[140:141]
	scratch_load_b128 v[138:141], off, off offset:424
	s_wait_dscnt 0x0
	v_fmac_f64_e32 v[156:157], v[124:125], v[142:143]
	scratch_load_b128 v[122:125], off, off offset:440
	s_wait_loadcnt 0x5
	v_fmac_f64_e32 v[156:157], v[146:147], v[144:145]
	ds_load_b128 v[142:145], v2 offset:832
	ds_load_b128 v[150:153], v2 offset:848
	scratch_load_b64 v[146:147], off, off offset:456
	s_wait_dscnt 0x1
	v_fmac_f64_e32 v[156:157], v[148:149], v[142:143]
	s_wait_loadcnt 0x5
	s_delay_alu instid0(VALU_DEP_1) | instskip(SKIP_1) | instid1(VALU_DEP_1)
	v_fmac_f64_e32 v[156:157], v[126:127], v[144:145]
	s_wait_dscnt 0x0
	v_fmac_f64_e32 v[156:157], v[128:129], v[150:151]
	ds_load_b128 v[126:129], v2 offset:864
	ds_load_b128 v[142:145], v2 offset:880
	s_wait_loadcnt 0x4
	v_fmac_f64_e32 v[156:157], v[134:135], v[152:153]
	s_wait_dscnt 0x1
	s_delay_alu instid0(VALU_DEP_1) | instskip(SKIP_1) | instid1(VALU_DEP_1)
	v_fmac_f64_e32 v[156:157], v[136:137], v[126:127]
	s_wait_loadcnt 0x3
	v_fmac_f64_e32 v[156:157], v[130:131], v[128:129]
	s_wait_dscnt 0x0
	s_delay_alu instid0(VALU_DEP_1)
	v_fmac_f64_e32 v[156:157], v[132:133], v[142:143]
	ds_load_b128 v[126:129], v2 offset:896
	ds_load_b128 v[130:133], v2 offset:912
	s_wait_loadcnt 0x2
	v_fmac_f64_e32 v[156:157], v[138:139], v[144:145]
	s_wait_dscnt 0x1
	s_delay_alu instid0(VALU_DEP_1) | instskip(SKIP_1) | instid1(VALU_DEP_1)
	v_fmac_f64_e32 v[156:157], v[140:141], v[126:127]
	s_wait_loadcnt 0x1
	v_fmac_f64_e32 v[156:157], v[122:123], v[128:129]
	s_wait_dscnt 0x0
	s_delay_alu instid0(VALU_DEP_1) | instskip(SKIP_1) | instid1(VALU_DEP_1)
	v_fmac_f64_e32 v[156:157], v[124:125], v[130:131]
	s_wait_loadcnt 0x0
	v_fmac_f64_e32 v[156:157], v[146:147], v[132:133]
	s_delay_alu instid0(VALU_DEP_1)
	v_add_f64_e64 v[2:3], v[120:121], -v[156:157]
	scratch_store_b64 off, v[2:3], off offset:40
	s_wait_xcnt 0x0
	v_cmpx_lt_u32_e32 4, v0
	s_cbranch_execz .LBB121_349
; %bb.348:
	scratch_load_b64 v[2:3], off, off offset:32
	v_mov_b64_e32 v[120:121], 0
	scratch_store_b64 off, v[120:121], off offset:32
	s_wait_loadcnt 0x0
	ds_store_b64 v1, v[2:3]
.LBB121_349:
	s_wait_xcnt 0x0
	s_or_b32 exec_lo, exec_lo, s0
	s_wait_storecnt_dscnt 0x0
	s_barrier_signal -1
	s_barrier_wait -1
	s_clause 0x5
	scratch_load_b128 v[120:123], off, off offset:32
	scratch_load_b128 v[124:127], off, off offset:48
	;; [unrolled: 1-line block ×6, first 2 shown]
	v_mov_b32_e32 v2, 0
	ds_load_2addr_b64 v[144:147], v2 offset0:63 offset1:64
	ds_load_2addr_b64 v[148:151], v2 offset0:65 offset1:66
	scratch_load_b128 v[152:155], off, off offset:128
	s_mov_b32 s0, exec_lo
	s_wait_loadcnt_dscnt 0x601
	v_fma_f64 v[156:157], v[122:123], v[144:145], 0
	s_wait_loadcnt 0x5
	s_delay_alu instid0(VALU_DEP_1) | instskip(SKIP_4) | instid1(VALU_DEP_1)
	v_fmac_f64_e32 v[156:157], v[124:125], v[146:147]
	scratch_load_b128 v[122:125], off, off offset:144
	s_wait_dscnt 0x0
	v_fmac_f64_e32 v[156:157], v[126:127], v[148:149]
	s_wait_loadcnt 0x5
	v_fmac_f64_e32 v[156:157], v[128:129], v[150:151]
	ds_load_2addr_b64 v[126:129], v2 offset0:67 offset1:68
	ds_load_2addr_b64 v[144:147], v2 offset0:69 offset1:70
	scratch_load_b128 v[148:151], off, off offset:160
	s_wait_dscnt 0x1
	v_fmac_f64_e32 v[156:157], v[130:131], v[126:127]
	s_wait_loadcnt 0x5
	s_delay_alu instid0(VALU_DEP_1) | instskip(SKIP_4) | instid1(VALU_DEP_1)
	v_fmac_f64_e32 v[156:157], v[132:133], v[128:129]
	scratch_load_b128 v[126:129], off, off offset:176
	s_wait_dscnt 0x0
	v_fmac_f64_e32 v[156:157], v[134:135], v[144:145]
	s_wait_loadcnt 0x5
	v_fmac_f64_e32 v[156:157], v[136:137], v[146:147]
	ds_load_2addr_b64 v[130:133], v2 offset0:71 offset1:72
	ds_load_2addr_b64 v[134:137], v2 offset0:73 offset1:74
	scratch_load_b128 v[144:147], off, off offset:192
	s_wait_dscnt 0x1
	v_fmac_f64_e32 v[156:157], v[138:139], v[130:131]
	s_wait_loadcnt 0x5
	s_delay_alu instid0(VALU_DEP_1) | instskip(SKIP_4) | instid1(VALU_DEP_1)
	v_fmac_f64_e32 v[156:157], v[140:141], v[132:133]
	scratch_load_b128 v[130:133], off, off offset:208
	s_wait_dscnt 0x0
	v_fmac_f64_e32 v[156:157], v[142:143], v[134:135]
	s_wait_loadcnt 0x5
	v_fmac_f64_e32 v[156:157], v[152:153], v[136:137]
	ds_load_2addr_b64 v[134:137], v2 offset0:75 offset1:76
	ds_load_2addr_b64 v[138:141], v2 offset0:77 offset1:78
	s_wait_dscnt 0x1
	v_fmac_f64_e32 v[156:157], v[154:155], v[134:135]
	scratch_load_b128 v[152:155], off, off offset:224
	s_wait_loadcnt 0x5
	v_fmac_f64_e32 v[156:157], v[122:123], v[136:137]
	s_wait_dscnt 0x0
	s_delay_alu instid0(VALU_DEP_1)
	v_fmac_f64_e32 v[156:157], v[124:125], v[138:139]
	scratch_load_b128 v[122:125], off, off offset:240
	s_wait_loadcnt 0x5
	v_fmac_f64_e32 v[156:157], v[148:149], v[140:141]
	ds_load_2addr_b64 v[134:137], v2 offset0:79 offset1:80
	ds_load_2addr_b64 v[138:141], v2 offset0:81 offset1:82
	s_wait_dscnt 0x1
	v_fmac_f64_e32 v[156:157], v[150:151], v[134:135]
	scratch_load_b128 v[148:151], off, off offset:256
	s_wait_loadcnt 0x5
	v_fmac_f64_e32 v[156:157], v[126:127], v[136:137]
	s_wait_dscnt 0x0
	s_delay_alu instid0(VALU_DEP_1)
	v_fmac_f64_e32 v[156:157], v[128:129], v[138:139]
	scratch_load_b128 v[126:129], off, off offset:272
	s_wait_loadcnt 0x5
	v_fmac_f64_e32 v[156:157], v[144:145], v[140:141]
	ds_load_2addr_b64 v[134:137], v2 offset0:83 offset1:84
	ds_load_2addr_b64 v[138:141], v2 offset0:85 offset1:86
	scratch_load_b128 v[142:145], off, off offset:288
	s_wait_dscnt 0x1
	v_fmac_f64_e32 v[156:157], v[146:147], v[134:135]
	s_wait_loadcnt 0x5
	s_delay_alu instid0(VALU_DEP_1) | instskip(SKIP_1) | instid1(VALU_DEP_1)
	v_fmac_f64_e32 v[156:157], v[130:131], v[136:137]
	s_wait_dscnt 0x0
	v_fmac_f64_e32 v[156:157], v[132:133], v[138:139]
	scratch_load_b128 v[130:133], off, off offset:304
	s_wait_loadcnt 0x5
	v_fmac_f64_e32 v[156:157], v[152:153], v[140:141]
	ds_load_2addr_b64 v[134:137], v2 offset0:87 offset1:88
	ds_load_2addr_b64 v[138:141], v2 offset0:89 offset1:90
	s_wait_dscnt 0x1
	v_fmac_f64_e32 v[156:157], v[154:155], v[134:135]
	scratch_load_b128 v[152:155], off, off offset:320
	s_wait_loadcnt 0x5
	v_fmac_f64_e32 v[156:157], v[122:123], v[136:137]
	s_wait_dscnt 0x0
	s_delay_alu instid0(VALU_DEP_1)
	v_fmac_f64_e32 v[156:157], v[124:125], v[138:139]
	scratch_load_b128 v[122:125], off, off offset:336
	s_wait_loadcnt 0x5
	v_fmac_f64_e32 v[156:157], v[148:149], v[140:141]
	ds_load_2addr_b64 v[134:137], v2 offset0:91 offset1:92
	ds_load_2addr_b64 v[138:141], v2 offset0:93 offset1:94
	scratch_load_b128 v[146:149], off, off offset:352
	s_wait_dscnt 0x1
	v_fmac_f64_e32 v[156:157], v[150:151], v[134:135]
	s_wait_loadcnt 0x5
	s_delay_alu instid0(VALU_DEP_1) | instskip(SKIP_1) | instid1(VALU_DEP_1)
	v_fmac_f64_e32 v[156:157], v[126:127], v[136:137]
	s_wait_dscnt 0x0
	v_fmac_f64_e32 v[156:157], v[128:129], v[138:139]
	scratch_load_b128 v[126:129], off, off offset:368
	s_wait_loadcnt 0x5
	v_fmac_f64_e32 v[156:157], v[142:143], v[140:141]
	ds_load_2addr_b64 v[134:137], v2 offset0:95 offset1:96
	ds_load_2addr_b64 v[138:141], v2 offset0:97 offset1:98
	s_wait_dscnt 0x1
	v_fmac_f64_e32 v[156:157], v[144:145], v[134:135]
	s_wait_loadcnt 0x4
	s_delay_alu instid0(VALU_DEP_1)
	v_fmac_f64_e32 v[156:157], v[130:131], v[136:137]
	scratch_load_b128 v[134:137], off, off offset:384
	s_wait_dscnt 0x0
	v_fmac_f64_e32 v[156:157], v[132:133], v[138:139]
	scratch_load_b128 v[130:133], off, off offset:400
	s_wait_loadcnt 0x5
	v_fmac_f64_e32 v[156:157], v[152:153], v[140:141]
	ds_load_2addr_b64 v[138:141], v2 offset0:99 offset1:100
	ds_load_2addr_b64 v[142:145], v2 offset0:101 offset1:102
	s_wait_dscnt 0x1
	v_fmac_f64_e32 v[156:157], v[154:155], v[138:139]
	s_wait_loadcnt 0x4
	s_delay_alu instid0(VALU_DEP_1)
	v_fmac_f64_e32 v[156:157], v[122:123], v[140:141]
	scratch_load_b128 v[138:141], off, off offset:416
	;; [unrolled: 13-line block ×3, first 2 shown]
	s_wait_dscnt 0x0
	v_fmac_f64_e32 v[156:157], v[128:129], v[150:151]
	ds_load_2addr_b64 v[126:129], v2 offset0:107 offset1:108
	ds_load_2addr_b64 v[146:149], v2 offset0:109 offset1:110
	s_wait_loadcnt 0x4
	v_fmac_f64_e32 v[156:157], v[134:135], v[152:153]
	s_wait_dscnt 0x1
	s_delay_alu instid0(VALU_DEP_1) | instskip(SKIP_1) | instid1(VALU_DEP_1)
	v_fmac_f64_e32 v[156:157], v[136:137], v[126:127]
	s_wait_loadcnt 0x3
	v_fmac_f64_e32 v[156:157], v[130:131], v[128:129]
	s_wait_dscnt 0x0
	s_delay_alu instid0(VALU_DEP_1)
	v_fmac_f64_e32 v[156:157], v[132:133], v[146:147]
	ds_load_2addr_b64 v[126:129], v2 offset0:111 offset1:112
	ds_load_2addr_b64 v[130:133], v2 offset0:113 offset1:114
	s_wait_loadcnt 0x2
	v_fmac_f64_e32 v[156:157], v[138:139], v[148:149]
	s_wait_dscnt 0x1
	s_delay_alu instid0(VALU_DEP_1) | instskip(SKIP_1) | instid1(VALU_DEP_1)
	v_fmac_f64_e32 v[156:157], v[140:141], v[126:127]
	s_wait_loadcnt 0x1
	v_fmac_f64_e32 v[156:157], v[122:123], v[128:129]
	ds_load_b64 v[122:123], v2 offset:920
	s_wait_dscnt 0x1
	v_fmac_f64_e32 v[156:157], v[124:125], v[130:131]
	s_wait_loadcnt 0x0
	s_delay_alu instid0(VALU_DEP_1) | instskip(SKIP_1) | instid1(VALU_DEP_1)
	v_fmac_f64_e32 v[156:157], v[142:143], v[132:133]
	s_wait_dscnt 0x0
	v_fmac_f64_e32 v[156:157], v[144:145], v[122:123]
	s_delay_alu instid0(VALU_DEP_1)
	v_add_f64_e64 v[120:121], v[120:121], -v[156:157]
	scratch_store_b64 off, v[120:121], off offset:32
	s_wait_xcnt 0x0
	v_cmpx_lt_u32_e32 3, v0
	s_cbranch_execz .LBB121_351
; %bb.350:
	scratch_load_b64 v[120:121], off, off offset:24
	v_mov_b64_e32 v[122:123], 0
	scratch_store_b64 off, v[122:123], off offset:24
	s_wait_loadcnt 0x0
	ds_store_b64 v1, v[120:121]
.LBB121_351:
	s_wait_xcnt 0x0
	s_or_b32 exec_lo, exec_lo, s0
	s_wait_storecnt_dscnt 0x0
	s_barrier_signal -1
	s_barrier_wait -1
	s_clause 0x5
	scratch_load_b128 v[120:123], off, off offset:24
	scratch_load_b128 v[124:127], off, off offset:40
	scratch_load_b128 v[128:131], off, off offset:56
	scratch_load_b128 v[132:135], off, off offset:72
	scratch_load_b128 v[136:139], off, off offset:88
	scratch_load_b128 v[140:143], off, off offset:104
	ds_load_b128 v[144:147], v2 offset:496
	ds_load_b128 v[148:151], v2 offset:512
	scratch_load_b128 v[152:155], off, off offset:120
	s_mov_b32 s0, exec_lo
	s_wait_loadcnt_dscnt 0x601
	v_fma_f64 v[156:157], v[122:123], v[144:145], 0
	s_wait_loadcnt 0x5
	s_delay_alu instid0(VALU_DEP_1) | instskip(SKIP_4) | instid1(VALU_DEP_1)
	v_fmac_f64_e32 v[156:157], v[124:125], v[146:147]
	scratch_load_b128 v[122:125], off, off offset:136
	s_wait_dscnt 0x0
	v_fmac_f64_e32 v[156:157], v[126:127], v[148:149]
	s_wait_loadcnt 0x5
	v_fmac_f64_e32 v[156:157], v[128:129], v[150:151]
	ds_load_b128 v[126:129], v2 offset:528
	ds_load_b128 v[144:147], v2 offset:544
	scratch_load_b128 v[148:151], off, off offset:152
	s_wait_dscnt 0x1
	v_fmac_f64_e32 v[156:157], v[130:131], v[126:127]
	s_wait_loadcnt 0x5
	s_delay_alu instid0(VALU_DEP_1) | instskip(SKIP_4) | instid1(VALU_DEP_1)
	v_fmac_f64_e32 v[156:157], v[132:133], v[128:129]
	scratch_load_b128 v[126:129], off, off offset:168
	s_wait_dscnt 0x0
	v_fmac_f64_e32 v[156:157], v[134:135], v[144:145]
	s_wait_loadcnt 0x5
	v_fmac_f64_e32 v[156:157], v[136:137], v[146:147]
	ds_load_b128 v[130:133], v2 offset:560
	ds_load_b128 v[134:137], v2 offset:576
	scratch_load_b128 v[144:147], off, off offset:184
	s_wait_dscnt 0x1
	v_fmac_f64_e32 v[156:157], v[138:139], v[130:131]
	s_wait_loadcnt 0x5
	s_delay_alu instid0(VALU_DEP_1) | instskip(SKIP_4) | instid1(VALU_DEP_1)
	v_fmac_f64_e32 v[156:157], v[140:141], v[132:133]
	scratch_load_b128 v[130:133], off, off offset:200
	s_wait_dscnt 0x0
	v_fmac_f64_e32 v[156:157], v[142:143], v[134:135]
	s_wait_loadcnt 0x5
	v_fmac_f64_e32 v[156:157], v[152:153], v[136:137]
	ds_load_b128 v[134:137], v2 offset:592
	ds_load_b128 v[138:141], v2 offset:608
	s_wait_dscnt 0x1
	v_fmac_f64_e32 v[156:157], v[154:155], v[134:135]
	scratch_load_b128 v[152:155], off, off offset:216
	s_wait_loadcnt 0x5
	v_fmac_f64_e32 v[156:157], v[122:123], v[136:137]
	s_wait_dscnt 0x0
	s_delay_alu instid0(VALU_DEP_1)
	v_fmac_f64_e32 v[156:157], v[124:125], v[138:139]
	scratch_load_b128 v[122:125], off, off offset:232
	s_wait_loadcnt 0x5
	v_fmac_f64_e32 v[156:157], v[148:149], v[140:141]
	ds_load_b128 v[134:137], v2 offset:624
	ds_load_b128 v[138:141], v2 offset:640
	s_wait_dscnt 0x1
	v_fmac_f64_e32 v[156:157], v[150:151], v[134:135]
	scratch_load_b128 v[148:151], off, off offset:248
	s_wait_loadcnt 0x5
	v_fmac_f64_e32 v[156:157], v[126:127], v[136:137]
	s_wait_dscnt 0x0
	s_delay_alu instid0(VALU_DEP_1)
	v_fmac_f64_e32 v[156:157], v[128:129], v[138:139]
	scratch_load_b128 v[126:129], off, off offset:264
	s_wait_loadcnt 0x5
	v_fmac_f64_e32 v[156:157], v[144:145], v[140:141]
	ds_load_b128 v[134:137], v2 offset:656
	ds_load_b128 v[138:141], v2 offset:672
	scratch_load_b128 v[142:145], off, off offset:280
	s_wait_dscnt 0x1
	v_fmac_f64_e32 v[156:157], v[146:147], v[134:135]
	s_wait_loadcnt 0x5
	s_delay_alu instid0(VALU_DEP_1) | instskip(SKIP_1) | instid1(VALU_DEP_1)
	v_fmac_f64_e32 v[156:157], v[130:131], v[136:137]
	s_wait_dscnt 0x0
	v_fmac_f64_e32 v[156:157], v[132:133], v[138:139]
	scratch_load_b128 v[130:133], off, off offset:296
	s_wait_loadcnt 0x5
	v_fmac_f64_e32 v[156:157], v[152:153], v[140:141]
	ds_load_b128 v[134:137], v2 offset:688
	ds_load_b128 v[138:141], v2 offset:704
	s_wait_dscnt 0x1
	v_fmac_f64_e32 v[156:157], v[154:155], v[134:135]
	scratch_load_b128 v[152:155], off, off offset:312
	s_wait_loadcnt 0x5
	v_fmac_f64_e32 v[156:157], v[122:123], v[136:137]
	s_wait_dscnt 0x0
	s_delay_alu instid0(VALU_DEP_1)
	v_fmac_f64_e32 v[156:157], v[124:125], v[138:139]
	scratch_load_b128 v[122:125], off, off offset:328
	s_wait_loadcnt 0x5
	v_fmac_f64_e32 v[156:157], v[148:149], v[140:141]
	ds_load_b128 v[134:137], v2 offset:720
	ds_load_b128 v[138:141], v2 offset:736
	scratch_load_b128 v[146:149], off, off offset:344
	s_wait_dscnt 0x1
	v_fmac_f64_e32 v[156:157], v[150:151], v[134:135]
	s_wait_loadcnt 0x5
	s_delay_alu instid0(VALU_DEP_1) | instskip(SKIP_1) | instid1(VALU_DEP_1)
	v_fmac_f64_e32 v[156:157], v[126:127], v[136:137]
	s_wait_dscnt 0x0
	v_fmac_f64_e32 v[156:157], v[128:129], v[138:139]
	scratch_load_b128 v[126:129], off, off offset:360
	s_wait_loadcnt 0x5
	v_fmac_f64_e32 v[156:157], v[142:143], v[140:141]
	ds_load_b128 v[134:137], v2 offset:752
	ds_load_b128 v[138:141], v2 offset:768
	s_wait_dscnt 0x1
	v_fmac_f64_e32 v[156:157], v[144:145], v[134:135]
	scratch_load_b128 v[142:145], off, off offset:376
	s_wait_loadcnt 0x5
	v_fmac_f64_e32 v[156:157], v[130:131], v[136:137]
	s_wait_dscnt 0x0
	s_delay_alu instid0(VALU_DEP_1)
	v_fmac_f64_e32 v[156:157], v[132:133], v[138:139]
	scratch_load_b128 v[130:133], off, off offset:392
	s_wait_loadcnt 0x5
	v_fmac_f64_e32 v[156:157], v[152:153], v[140:141]
	ds_load_b128 v[134:137], v2 offset:784
	ds_load_b128 v[138:141], v2 offset:800
	s_wait_dscnt 0x1
	v_fmac_f64_e32 v[156:157], v[154:155], v[134:135]
	s_wait_loadcnt 0x4
	s_delay_alu instid0(VALU_DEP_1)
	v_fmac_f64_e32 v[156:157], v[122:123], v[136:137]
	scratch_load_b128 v[134:137], off, off offset:408
	s_wait_dscnt 0x0
	v_fmac_f64_e32 v[156:157], v[124:125], v[138:139]
	scratch_load_b128 v[122:125], off, off offset:424
	s_wait_loadcnt 0x5
	v_fmac_f64_e32 v[156:157], v[146:147], v[140:141]
	ds_load_b128 v[138:141], v2 offset:816
	ds_load_b128 v[150:153], v2 offset:832
	s_wait_dscnt 0x1
	v_fmac_f64_e32 v[156:157], v[148:149], v[138:139]
	s_wait_loadcnt 0x4
	s_delay_alu instid0(VALU_DEP_1) | instskip(SKIP_4) | instid1(VALU_DEP_1)
	v_fmac_f64_e32 v[156:157], v[126:127], v[140:141]
	scratch_load_b128 v[138:141], off, off offset:440
	s_wait_dscnt 0x0
	v_fmac_f64_e32 v[156:157], v[128:129], v[150:151]
	s_wait_loadcnt 0x4
	v_fmac_f64_e32 v[156:157], v[142:143], v[152:153]
	scratch_load_b64 v[142:143], off, off offset:456
	ds_load_b128 v[126:129], v2 offset:848
	ds_load_b128 v[146:149], v2 offset:864
	s_wait_dscnt 0x1
	v_fmac_f64_e32 v[156:157], v[144:145], v[126:127]
	s_wait_loadcnt 0x4
	s_delay_alu instid0(VALU_DEP_1) | instskip(SKIP_1) | instid1(VALU_DEP_1)
	v_fmac_f64_e32 v[156:157], v[130:131], v[128:129]
	s_wait_dscnt 0x0
	v_fmac_f64_e32 v[156:157], v[132:133], v[146:147]
	ds_load_b128 v[126:129], v2 offset:880
	ds_load_b128 v[130:133], v2 offset:896
	s_wait_loadcnt 0x3
	v_fmac_f64_e32 v[156:157], v[134:135], v[148:149]
	s_wait_dscnt 0x1
	s_delay_alu instid0(VALU_DEP_1) | instskip(SKIP_1) | instid1(VALU_DEP_1)
	v_fmac_f64_e32 v[156:157], v[136:137], v[126:127]
	s_wait_loadcnt 0x2
	v_fmac_f64_e32 v[156:157], v[122:123], v[128:129]
	s_wait_dscnt 0x0
	s_delay_alu instid0(VALU_DEP_1) | instskip(SKIP_4) | instid1(VALU_DEP_1)
	v_fmac_f64_e32 v[156:157], v[124:125], v[130:131]
	ds_load_b128 v[122:125], v2 offset:912
	s_wait_loadcnt 0x1
	v_fmac_f64_e32 v[156:157], v[138:139], v[132:133]
	s_wait_dscnt 0x0
	v_fmac_f64_e32 v[156:157], v[140:141], v[122:123]
	s_wait_loadcnt 0x0
	s_delay_alu instid0(VALU_DEP_1) | instskip(NEXT) | instid1(VALU_DEP_1)
	v_fmac_f64_e32 v[156:157], v[142:143], v[124:125]
	v_add_f64_e64 v[2:3], v[120:121], -v[156:157]
	scratch_store_b64 off, v[2:3], off offset:24
	s_wait_xcnt 0x0
	v_cmpx_lt_u32_e32 2, v0
	s_cbranch_execz .LBB121_353
; %bb.352:
	scratch_load_b64 v[2:3], off, off offset:16
	v_mov_b64_e32 v[120:121], 0
	scratch_store_b64 off, v[120:121], off offset:16
	s_wait_loadcnt 0x0
	ds_store_b64 v1, v[2:3]
.LBB121_353:
	s_wait_xcnt 0x0
	s_or_b32 exec_lo, exec_lo, s0
	s_wait_storecnt_dscnt 0x0
	s_barrier_signal -1
	s_barrier_wait -1
	s_clause 0x5
	scratch_load_b128 v[120:123], off, off offset:16
	scratch_load_b128 v[124:127], off, off offset:32
	;; [unrolled: 1-line block ×6, first 2 shown]
	v_mov_b32_e32 v2, 0
	ds_load_2addr_b64 v[144:147], v2 offset0:61 offset1:62
	ds_load_2addr_b64 v[148:151], v2 offset0:63 offset1:64
	scratch_load_b128 v[152:155], off, off offset:112
	s_mov_b32 s0, exec_lo
	s_wait_loadcnt_dscnt 0x601
	v_fma_f64 v[156:157], v[122:123], v[144:145], 0
	s_wait_loadcnt 0x5
	s_delay_alu instid0(VALU_DEP_1) | instskip(SKIP_4) | instid1(VALU_DEP_1)
	v_fmac_f64_e32 v[156:157], v[124:125], v[146:147]
	scratch_load_b128 v[122:125], off, off offset:128
	s_wait_dscnt 0x0
	v_fmac_f64_e32 v[156:157], v[126:127], v[148:149]
	s_wait_loadcnt 0x5
	v_fmac_f64_e32 v[156:157], v[128:129], v[150:151]
	ds_load_2addr_b64 v[126:129], v2 offset0:65 offset1:66
	ds_load_2addr_b64 v[144:147], v2 offset0:67 offset1:68
	scratch_load_b128 v[148:151], off, off offset:144
	s_wait_dscnt 0x1
	v_fmac_f64_e32 v[156:157], v[130:131], v[126:127]
	s_wait_loadcnt 0x5
	s_delay_alu instid0(VALU_DEP_1) | instskip(SKIP_4) | instid1(VALU_DEP_1)
	v_fmac_f64_e32 v[156:157], v[132:133], v[128:129]
	scratch_load_b128 v[126:129], off, off offset:160
	s_wait_dscnt 0x0
	v_fmac_f64_e32 v[156:157], v[134:135], v[144:145]
	s_wait_loadcnt 0x5
	v_fmac_f64_e32 v[156:157], v[136:137], v[146:147]
	ds_load_2addr_b64 v[130:133], v2 offset0:69 offset1:70
	ds_load_2addr_b64 v[134:137], v2 offset0:71 offset1:72
	scratch_load_b128 v[144:147], off, off offset:176
	s_wait_dscnt 0x1
	v_fmac_f64_e32 v[156:157], v[138:139], v[130:131]
	s_wait_loadcnt 0x5
	s_delay_alu instid0(VALU_DEP_1) | instskip(SKIP_4) | instid1(VALU_DEP_1)
	v_fmac_f64_e32 v[156:157], v[140:141], v[132:133]
	scratch_load_b128 v[130:133], off, off offset:192
	s_wait_dscnt 0x0
	v_fmac_f64_e32 v[156:157], v[142:143], v[134:135]
	s_wait_loadcnt 0x5
	v_fmac_f64_e32 v[156:157], v[152:153], v[136:137]
	ds_load_2addr_b64 v[134:137], v2 offset0:73 offset1:74
	ds_load_2addr_b64 v[138:141], v2 offset0:75 offset1:76
	s_wait_dscnt 0x1
	v_fmac_f64_e32 v[156:157], v[154:155], v[134:135]
	scratch_load_b128 v[152:155], off, off offset:208
	s_wait_loadcnt 0x5
	v_fmac_f64_e32 v[156:157], v[122:123], v[136:137]
	s_wait_dscnt 0x0
	s_delay_alu instid0(VALU_DEP_1)
	v_fmac_f64_e32 v[156:157], v[124:125], v[138:139]
	scratch_load_b128 v[122:125], off, off offset:224
	s_wait_loadcnt 0x5
	v_fmac_f64_e32 v[156:157], v[148:149], v[140:141]
	ds_load_2addr_b64 v[134:137], v2 offset0:77 offset1:78
	ds_load_2addr_b64 v[138:141], v2 offset0:79 offset1:80
	s_wait_dscnt 0x1
	v_fmac_f64_e32 v[156:157], v[150:151], v[134:135]
	scratch_load_b128 v[148:151], off, off offset:240
	s_wait_loadcnt 0x5
	v_fmac_f64_e32 v[156:157], v[126:127], v[136:137]
	s_wait_dscnt 0x0
	s_delay_alu instid0(VALU_DEP_1)
	v_fmac_f64_e32 v[156:157], v[128:129], v[138:139]
	scratch_load_b128 v[126:129], off, off offset:256
	s_wait_loadcnt 0x5
	v_fmac_f64_e32 v[156:157], v[144:145], v[140:141]
	ds_load_2addr_b64 v[134:137], v2 offset0:81 offset1:82
	ds_load_2addr_b64 v[138:141], v2 offset0:83 offset1:84
	scratch_load_b128 v[142:145], off, off offset:272
	s_wait_dscnt 0x1
	v_fmac_f64_e32 v[156:157], v[146:147], v[134:135]
	s_wait_loadcnt 0x5
	s_delay_alu instid0(VALU_DEP_1) | instskip(SKIP_1) | instid1(VALU_DEP_1)
	v_fmac_f64_e32 v[156:157], v[130:131], v[136:137]
	s_wait_dscnt 0x0
	v_fmac_f64_e32 v[156:157], v[132:133], v[138:139]
	scratch_load_b128 v[130:133], off, off offset:288
	s_wait_loadcnt 0x5
	v_fmac_f64_e32 v[156:157], v[152:153], v[140:141]
	ds_load_2addr_b64 v[134:137], v2 offset0:85 offset1:86
	ds_load_2addr_b64 v[138:141], v2 offset0:87 offset1:88
	s_wait_dscnt 0x1
	v_fmac_f64_e32 v[156:157], v[154:155], v[134:135]
	scratch_load_b128 v[152:155], off, off offset:304
	s_wait_loadcnt 0x5
	v_fmac_f64_e32 v[156:157], v[122:123], v[136:137]
	s_wait_dscnt 0x0
	s_delay_alu instid0(VALU_DEP_1)
	v_fmac_f64_e32 v[156:157], v[124:125], v[138:139]
	scratch_load_b128 v[122:125], off, off offset:320
	s_wait_loadcnt 0x5
	v_fmac_f64_e32 v[156:157], v[148:149], v[140:141]
	ds_load_2addr_b64 v[134:137], v2 offset0:89 offset1:90
	ds_load_2addr_b64 v[138:141], v2 offset0:91 offset1:92
	scratch_load_b128 v[146:149], off, off offset:336
	s_wait_dscnt 0x1
	v_fmac_f64_e32 v[156:157], v[150:151], v[134:135]
	s_wait_loadcnt 0x5
	s_delay_alu instid0(VALU_DEP_1) | instskip(SKIP_1) | instid1(VALU_DEP_1)
	v_fmac_f64_e32 v[156:157], v[126:127], v[136:137]
	s_wait_dscnt 0x0
	v_fmac_f64_e32 v[156:157], v[128:129], v[138:139]
	scratch_load_b128 v[126:129], off, off offset:352
	s_wait_loadcnt 0x5
	v_fmac_f64_e32 v[156:157], v[142:143], v[140:141]
	ds_load_2addr_b64 v[134:137], v2 offset0:93 offset1:94
	ds_load_2addr_b64 v[138:141], v2 offset0:95 offset1:96
	s_wait_dscnt 0x1
	v_fmac_f64_e32 v[156:157], v[144:145], v[134:135]
	scratch_load_b128 v[142:145], off, off offset:368
	s_wait_loadcnt 0x5
	v_fmac_f64_e32 v[156:157], v[130:131], v[136:137]
	s_wait_dscnt 0x0
	s_delay_alu instid0(VALU_DEP_1)
	v_fmac_f64_e32 v[156:157], v[132:133], v[138:139]
	scratch_load_b128 v[130:133], off, off offset:384
	s_wait_loadcnt 0x5
	v_fmac_f64_e32 v[156:157], v[152:153], v[140:141]
	ds_load_2addr_b64 v[134:137], v2 offset0:97 offset1:98
	ds_load_2addr_b64 v[138:141], v2 offset0:99 offset1:100
	s_wait_dscnt 0x1
	v_fmac_f64_e32 v[156:157], v[154:155], v[134:135]
	s_wait_loadcnt 0x4
	s_delay_alu instid0(VALU_DEP_1)
	v_fmac_f64_e32 v[156:157], v[122:123], v[136:137]
	scratch_load_b128 v[134:137], off, off offset:400
	s_wait_dscnt 0x0
	v_fmac_f64_e32 v[156:157], v[124:125], v[138:139]
	scratch_load_b128 v[122:125], off, off offset:416
	s_wait_loadcnt 0x5
	v_fmac_f64_e32 v[156:157], v[146:147], v[140:141]
	ds_load_2addr_b64 v[138:141], v2 offset0:101 offset1:102
	ds_load_2addr_b64 v[150:153], v2 offset0:103 offset1:104
	s_wait_dscnt 0x1
	v_fmac_f64_e32 v[156:157], v[148:149], v[138:139]
	s_wait_loadcnt 0x4
	s_delay_alu instid0(VALU_DEP_1)
	v_fmac_f64_e32 v[156:157], v[126:127], v[140:141]
	scratch_load_b128 v[138:141], off, off offset:432
	s_wait_dscnt 0x0
	v_fmac_f64_e32 v[156:157], v[128:129], v[150:151]
	scratch_load_b128 v[126:129], off, off offset:448
	s_wait_loadcnt 0x5
	v_fmac_f64_e32 v[156:157], v[142:143], v[152:153]
	ds_load_2addr_b64 v[146:149], v2 offset0:105 offset1:106
	ds_load_2addr_b64 v[150:153], v2 offset0:107 offset1:108
	s_wait_dscnt 0x1
	v_fmac_f64_e32 v[156:157], v[144:145], v[146:147]
	s_wait_loadcnt 0x4
	s_delay_alu instid0(VALU_DEP_1) | instskip(SKIP_1) | instid1(VALU_DEP_1)
	v_fmac_f64_e32 v[156:157], v[130:131], v[148:149]
	s_wait_dscnt 0x0
	v_fmac_f64_e32 v[156:157], v[132:133], v[150:151]
	ds_load_2addr_b64 v[130:133], v2 offset0:109 offset1:110
	ds_load_2addr_b64 v[142:145], v2 offset0:111 offset1:112
	s_wait_loadcnt 0x3
	v_fmac_f64_e32 v[156:157], v[134:135], v[152:153]
	s_wait_dscnt 0x1
	s_delay_alu instid0(VALU_DEP_1) | instskip(SKIP_1) | instid1(VALU_DEP_1)
	v_fmac_f64_e32 v[156:157], v[136:137], v[130:131]
	s_wait_loadcnt 0x2
	v_fmac_f64_e32 v[156:157], v[122:123], v[132:133]
	s_wait_dscnt 0x0
	s_delay_alu instid0(VALU_DEP_1)
	v_fmac_f64_e32 v[156:157], v[124:125], v[142:143]
	ds_load_2addr_b64 v[122:125], v2 offset0:113 offset1:114
	ds_load_b64 v[130:131], v2 offset:920
	s_wait_loadcnt 0x1
	v_fmac_f64_e32 v[156:157], v[138:139], v[144:145]
	s_wait_dscnt 0x1
	s_delay_alu instid0(VALU_DEP_1) | instskip(SKIP_1) | instid1(VALU_DEP_1)
	v_fmac_f64_e32 v[156:157], v[140:141], v[122:123]
	s_wait_loadcnt 0x0
	v_fmac_f64_e32 v[156:157], v[126:127], v[124:125]
	s_wait_dscnt 0x0
	s_delay_alu instid0(VALU_DEP_1) | instskip(NEXT) | instid1(VALU_DEP_1)
	v_fmac_f64_e32 v[156:157], v[128:129], v[130:131]
	v_add_f64_e64 v[120:121], v[120:121], -v[156:157]
	scratch_store_b64 off, v[120:121], off offset:16
	s_wait_xcnt 0x0
	v_cmpx_lt_u32_e32 1, v0
	s_cbranch_execz .LBB121_355
; %bb.354:
	scratch_load_b64 v[120:121], off, off offset:8
	v_mov_b64_e32 v[122:123], 0
	scratch_store_b64 off, v[122:123], off offset:8
	s_wait_loadcnt 0x0
	ds_store_b64 v1, v[120:121]
.LBB121_355:
	s_wait_xcnt 0x0
	s_or_b32 exec_lo, exec_lo, s0
	s_wait_storecnt_dscnt 0x0
	s_barrier_signal -1
	s_barrier_wait -1
	s_clause 0x5
	scratch_load_b128 v[120:123], off, off offset:8
	scratch_load_b128 v[124:127], off, off offset:24
	;; [unrolled: 1-line block ×6, first 2 shown]
	ds_load_b128 v[144:147], v2 offset:480
	ds_load_b128 v[148:151], v2 offset:496
	scratch_load_b128 v[152:155], off, off offset:104
	v_dual_ashrrev_i32 v9, 31, v8 :: v_dual_ashrrev_i32 v11, 31, v10
	v_dual_ashrrev_i32 v13, 31, v12 :: v_dual_ashrrev_i32 v15, 31, v14
	;; [unrolled: 1-line block ×27, first 2 shown]
	v_ashrrev_i32_e32 v117, 31, v116
	s_mov_b32 s0, exec_lo
	v_ashrrev_i32_e32 v71, 31, v70
	s_wait_loadcnt_dscnt 0x601
	v_fma_f64 v[156:157], v[122:123], v[144:145], 0
	s_wait_loadcnt 0x5
	s_delay_alu instid0(VALU_DEP_1) | instskip(SKIP_4) | instid1(VALU_DEP_1)
	v_fmac_f64_e32 v[156:157], v[124:125], v[146:147]
	scratch_load_b128 v[122:125], off, off offset:120
	s_wait_dscnt 0x0
	v_fmac_f64_e32 v[156:157], v[126:127], v[148:149]
	s_wait_loadcnt 0x5
	v_fmac_f64_e32 v[156:157], v[128:129], v[150:151]
	ds_load_b128 v[126:129], v2 offset:512
	ds_load_b128 v[144:147], v2 offset:528
	scratch_load_b128 v[148:151], off, off offset:136
	s_wait_dscnt 0x1
	v_fmac_f64_e32 v[156:157], v[130:131], v[126:127]
	s_wait_loadcnt 0x5
	s_delay_alu instid0(VALU_DEP_1) | instskip(SKIP_4) | instid1(VALU_DEP_1)
	v_fmac_f64_e32 v[156:157], v[132:133], v[128:129]
	scratch_load_b128 v[126:129], off, off offset:152
	s_wait_dscnt 0x0
	v_fmac_f64_e32 v[156:157], v[134:135], v[144:145]
	s_wait_loadcnt 0x5
	v_fmac_f64_e32 v[156:157], v[136:137], v[146:147]
	ds_load_b128 v[130:133], v2 offset:544
	ds_load_b128 v[134:137], v2 offset:560
	scratch_load_b128 v[144:147], off, off offset:168
	s_wait_dscnt 0x1
	v_fmac_f64_e32 v[156:157], v[138:139], v[130:131]
	s_wait_loadcnt 0x5
	s_delay_alu instid0(VALU_DEP_1) | instskip(SKIP_4) | instid1(VALU_DEP_1)
	v_fmac_f64_e32 v[156:157], v[140:141], v[132:133]
	scratch_load_b128 v[130:133], off, off offset:184
	s_wait_dscnt 0x0
	v_fmac_f64_e32 v[156:157], v[142:143], v[134:135]
	s_wait_loadcnt 0x5
	v_fmac_f64_e32 v[156:157], v[152:153], v[136:137]
	ds_load_b128 v[134:137], v2 offset:576
	ds_load_b128 v[138:141], v2 offset:592
	s_wait_dscnt 0x1
	v_fmac_f64_e32 v[156:157], v[154:155], v[134:135]
	scratch_load_b128 v[152:155], off, off offset:200
	s_wait_loadcnt 0x5
	v_fmac_f64_e32 v[156:157], v[122:123], v[136:137]
	s_wait_dscnt 0x0
	s_delay_alu instid0(VALU_DEP_1)
	v_fmac_f64_e32 v[156:157], v[124:125], v[138:139]
	scratch_load_b128 v[122:125], off, off offset:216
	s_wait_loadcnt 0x5
	v_fmac_f64_e32 v[156:157], v[148:149], v[140:141]
	ds_load_b128 v[134:137], v2 offset:608
	ds_load_b128 v[138:141], v2 offset:624
	s_wait_dscnt 0x1
	v_fmac_f64_e32 v[156:157], v[150:151], v[134:135]
	scratch_load_b128 v[148:151], off, off offset:232
	s_wait_loadcnt 0x5
	v_fmac_f64_e32 v[156:157], v[126:127], v[136:137]
	s_wait_dscnt 0x0
	s_delay_alu instid0(VALU_DEP_1)
	v_fmac_f64_e32 v[156:157], v[128:129], v[138:139]
	scratch_load_b128 v[126:129], off, off offset:248
	s_wait_loadcnt 0x5
	v_fmac_f64_e32 v[156:157], v[144:145], v[140:141]
	ds_load_b128 v[134:137], v2 offset:640
	ds_load_b128 v[138:141], v2 offset:656
	scratch_load_b128 v[142:145], off, off offset:264
	s_wait_dscnt 0x1
	v_fmac_f64_e32 v[156:157], v[146:147], v[134:135]
	s_wait_loadcnt 0x5
	s_delay_alu instid0(VALU_DEP_1) | instskip(SKIP_1) | instid1(VALU_DEP_1)
	v_fmac_f64_e32 v[156:157], v[130:131], v[136:137]
	s_wait_dscnt 0x0
	v_fmac_f64_e32 v[156:157], v[132:133], v[138:139]
	scratch_load_b128 v[130:133], off, off offset:280
	s_wait_loadcnt 0x5
	v_fmac_f64_e32 v[156:157], v[152:153], v[140:141]
	ds_load_b128 v[134:137], v2 offset:672
	ds_load_b128 v[138:141], v2 offset:688
	s_wait_dscnt 0x1
	v_fmac_f64_e32 v[156:157], v[154:155], v[134:135]
	scratch_load_b128 v[152:155], off, off offset:296
	s_wait_loadcnt 0x5
	v_fmac_f64_e32 v[156:157], v[122:123], v[136:137]
	s_wait_dscnt 0x0
	s_delay_alu instid0(VALU_DEP_1)
	v_fmac_f64_e32 v[156:157], v[124:125], v[138:139]
	scratch_load_b128 v[122:125], off, off offset:312
	s_wait_loadcnt 0x5
	v_fmac_f64_e32 v[156:157], v[148:149], v[140:141]
	ds_load_b128 v[134:137], v2 offset:704
	ds_load_b128 v[138:141], v2 offset:720
	scratch_load_b128 v[146:149], off, off offset:328
	s_wait_dscnt 0x1
	v_fmac_f64_e32 v[156:157], v[150:151], v[134:135]
	s_wait_loadcnt 0x5
	s_delay_alu instid0(VALU_DEP_1) | instskip(SKIP_1) | instid1(VALU_DEP_1)
	v_fmac_f64_e32 v[156:157], v[126:127], v[136:137]
	s_wait_dscnt 0x0
	v_fmac_f64_e32 v[156:157], v[128:129], v[138:139]
	scratch_load_b128 v[126:129], off, off offset:344
	s_wait_loadcnt 0x5
	v_fmac_f64_e32 v[156:157], v[142:143], v[140:141]
	ds_load_b128 v[134:137], v2 offset:736
	ds_load_b128 v[138:141], v2 offset:752
	s_wait_dscnt 0x1
	v_fmac_f64_e32 v[156:157], v[144:145], v[134:135]
	scratch_load_b128 v[142:145], off, off offset:360
	s_wait_loadcnt 0x5
	v_fmac_f64_e32 v[156:157], v[130:131], v[136:137]
	s_wait_dscnt 0x0
	s_delay_alu instid0(VALU_DEP_1)
	v_fmac_f64_e32 v[156:157], v[132:133], v[138:139]
	scratch_load_b128 v[130:133], off, off offset:376
	s_wait_loadcnt 0x5
	v_fmac_f64_e32 v[156:157], v[152:153], v[140:141]
	ds_load_b128 v[134:137], v2 offset:768
	ds_load_b128 v[138:141], v2 offset:784
	s_wait_dscnt 0x1
	v_fmac_f64_e32 v[156:157], v[154:155], v[134:135]
	s_wait_loadcnt 0x4
	s_delay_alu instid0(VALU_DEP_1)
	v_fmac_f64_e32 v[156:157], v[122:123], v[136:137]
	scratch_load_b128 v[134:137], off, off offset:392
	s_wait_dscnt 0x0
	v_fmac_f64_e32 v[156:157], v[124:125], v[138:139]
	scratch_load_b128 v[122:125], off, off offset:408
	s_wait_loadcnt 0x5
	v_fmac_f64_e32 v[156:157], v[146:147], v[140:141]
	ds_load_b128 v[138:141], v2 offset:800
	ds_load_b128 v[150:153], v2 offset:816
	s_wait_dscnt 0x1
	v_fmac_f64_e32 v[156:157], v[148:149], v[138:139]
	s_wait_loadcnt 0x4
	s_delay_alu instid0(VALU_DEP_1)
	v_fmac_f64_e32 v[156:157], v[126:127], v[140:141]
	scratch_load_b128 v[138:141], off, off offset:424
	s_wait_dscnt 0x0
	v_fmac_f64_e32 v[156:157], v[128:129], v[150:151]
	scratch_load_b128 v[126:129], off, off offset:440
	s_wait_loadcnt 0x5
	v_fmac_f64_e32 v[156:157], v[142:143], v[152:153]
	ds_load_b128 v[146:149], v2 offset:832
	ds_load_b128 v[150:153], v2 offset:848
	s_wait_dscnt 0x1
	v_fmac_f64_e32 v[156:157], v[144:145], v[146:147]
	scratch_load_b64 v[146:147], off, off offset:456
	s_wait_loadcnt 0x5
	v_fmac_f64_e32 v[156:157], v[130:131], v[148:149]
	s_wait_dscnt 0x0
	s_delay_alu instid0(VALU_DEP_1)
	v_fmac_f64_e32 v[156:157], v[132:133], v[150:151]
	ds_load_b128 v[130:133], v2 offset:864
	ds_load_b128 v[142:145], v2 offset:880
	s_wait_loadcnt 0x4
	v_fmac_f64_e32 v[156:157], v[134:135], v[152:153]
	s_wait_dscnt 0x1
	s_delay_alu instid0(VALU_DEP_1) | instskip(SKIP_1) | instid1(VALU_DEP_1)
	v_fmac_f64_e32 v[156:157], v[136:137], v[130:131]
	s_wait_loadcnt 0x3
	v_fmac_f64_e32 v[156:157], v[122:123], v[132:133]
	s_wait_dscnt 0x0
	s_delay_alu instid0(VALU_DEP_1)
	v_fmac_f64_e32 v[156:157], v[124:125], v[142:143]
	ds_load_b128 v[122:125], v2 offset:896
	ds_load_b128 v[130:133], v2 offset:912
	s_wait_loadcnt 0x2
	v_fmac_f64_e32 v[156:157], v[138:139], v[144:145]
	s_wait_dscnt 0x1
	s_delay_alu instid0(VALU_DEP_1) | instskip(SKIP_1) | instid1(VALU_DEP_1)
	v_fmac_f64_e32 v[156:157], v[140:141], v[122:123]
	s_wait_loadcnt 0x1
	v_fmac_f64_e32 v[156:157], v[126:127], v[124:125]
	s_wait_dscnt 0x0
	s_delay_alu instid0(VALU_DEP_1) | instskip(SKIP_1) | instid1(VALU_DEP_1)
	v_fmac_f64_e32 v[156:157], v[128:129], v[130:131]
	s_wait_loadcnt 0x0
	v_fmac_f64_e32 v[156:157], v[146:147], v[132:133]
	s_delay_alu instid0(VALU_DEP_1)
	v_add_f64_e64 v[2:3], v[120:121], -v[156:157]
	scratch_store_b64 off, v[2:3], off offset:8
	s_wait_xcnt 0x0
	v_cmpx_ne_u32_e32 0, v0
	s_cbranch_execz .LBB121_357
; %bb.356:
	scratch_load_b64 v[2:3], off, off
	v_mov_b64_e32 v[120:121], 0
	scratch_store_b64 off, v[120:121], off
	s_wait_loadcnt 0x0
	ds_store_b64 v1, v[2:3]
.LBB121_357:
	s_wait_xcnt 0x0
	s_or_b32 exec_lo, exec_lo, s0
	s_wait_storecnt_dscnt 0x0
	s_barrier_signal -1
	s_barrier_wait -1
	s_clause 0x5
	scratch_load_b128 v[122:125], off, off
	scratch_load_b128 v[0:3], off, off offset:16
	scratch_load_b128 v[126:129], off, off offset:32
	;; [unrolled: 1-line block ×5, first 2 shown]
	v_mov_b32_e32 v120, 0
	scratch_load_b128 v[146:149], off, off offset:96
	s_and_b32 vcc_lo, exec_lo, s12
	ds_load_2addr_b64 v[142:145], v120 offset0:59 offset1:60
	s_wait_loadcnt_dscnt 0x600
	v_fma_f64 v[152:153], v[124:125], v[142:143], 0
	s_wait_loadcnt 0x5
	s_delay_alu instid0(VALU_DEP_1)
	v_fmac_f64_e32 v[152:153], v[0:1], v[144:145]
	ds_load_2addr_b64 v[142:145], v120 offset0:61 offset1:62
	s_wait_dscnt 0x0
	v_fmac_f64_e32 v[152:153], v[2:3], v[142:143]
	scratch_load_b128 v[0:3], off, off offset:112
	s_wait_loadcnt 0x5
	v_fmac_f64_e32 v[152:153], v[126:127], v[144:145]
	ds_load_2addr_b64 v[124:127], v120 offset0:63 offset1:64
	scratch_load_b128 v[142:145], off, off offset:128
	s_wait_dscnt 0x0
	v_fmac_f64_e32 v[152:153], v[128:129], v[124:125]
	s_wait_loadcnt 0x5
	s_delay_alu instid0(VALU_DEP_1)
	v_fmac_f64_e32 v[152:153], v[130:131], v[126:127]
	ds_load_2addr_b64 v[124:127], v120 offset0:65 offset1:66
	scratch_load_b128 v[128:131], off, off offset:144
	s_wait_dscnt 0x0
	v_fmac_f64_e32 v[152:153], v[132:133], v[124:125]
	s_wait_loadcnt 0x5
	s_delay_alu instid0(VALU_DEP_1)
	;; [unrolled: 7-line block ×4, first 2 shown]
	v_fmac_f64_e32 v[152:153], v[146:147], v[126:127]
	ds_load_2addr_b64 v[124:127], v120 offset0:71 offset1:72
	s_wait_dscnt 0x0
	v_fmac_f64_e32 v[152:153], v[148:149], v[124:125]
	scratch_load_b128 v[146:149], off, off offset:192
	s_wait_loadcnt 0x5
	v_fmac_f64_e32 v[152:153], v[0:1], v[126:127]
	ds_load_2addr_b64 v[124:127], v120 offset0:73 offset1:74
	s_wait_dscnt 0x0
	v_fmac_f64_e32 v[152:153], v[2:3], v[124:125]
	scratch_load_b128 v[0:3], off, off offset:208
	s_wait_loadcnt 0x5
	v_fmac_f64_e32 v[152:153], v[142:143], v[126:127]
	ds_load_2addr_b64 v[124:127], v120 offset0:75 offset1:76
	scratch_load_b128 v[140:143], off, off offset:224
	s_wait_dscnt 0x0
	v_fmac_f64_e32 v[152:153], v[144:145], v[124:125]
	s_wait_loadcnt 0x5
	s_delay_alu instid0(VALU_DEP_1)
	v_fmac_f64_e32 v[152:153], v[128:129], v[126:127]
	ds_load_2addr_b64 v[124:127], v120 offset0:77 offset1:78
	s_wait_dscnt 0x0
	v_fmac_f64_e32 v[152:153], v[130:131], v[124:125]
	scratch_load_b128 v[128:131], off, off offset:240
	s_wait_loadcnt 0x5
	v_fmac_f64_e32 v[152:153], v[132:133], v[126:127]
	ds_load_2addr_b64 v[124:127], v120 offset0:79 offset1:80
	s_wait_dscnt 0x0
	v_fmac_f64_e32 v[152:153], v[134:135], v[124:125]
	scratch_load_b128 v[132:135], off, off offset:256
	s_wait_loadcnt 0x5
	;; [unrolled: 6-line block ×3, first 2 shown]
	v_fmac_f64_e32 v[152:153], v[146:147], v[126:127]
	ds_load_2addr_b64 v[124:127], v120 offset0:83 offset1:84
	scratch_load_b128 v[144:147], off, off offset:288
	s_wait_dscnt 0x0
	v_fmac_f64_e32 v[152:153], v[148:149], v[124:125]
	scratch_load_b128 v[148:151], off, off offset:400
	s_wait_loadcnt 0x6
	v_fmac_f64_e32 v[152:153], v[0:1], v[126:127]
	ds_load_2addr_b64 v[124:127], v120 offset0:85 offset1:86
	s_wait_dscnt 0x0
	v_fmac_f64_e32 v[152:153], v[2:3], v[124:125]
	scratch_load_b128 v[0:3], off, off offset:304
	s_wait_loadcnt 0x6
	v_fmac_f64_e32 v[152:153], v[140:141], v[126:127]
	ds_load_2addr_b64 v[124:127], v120 offset0:87 offset1:88
	;; [unrolled: 6-line block ×7, first 2 shown]
	s_wait_dscnt 0x0
	v_fmac_f64_e32 v[152:153], v[2:3], v[124:125]
	ds_load_2addr_b64 v[0:3], v120 offset0:99 offset1:100
	s_wait_loadcnt 0x4
	v_fmac_f64_e32 v[152:153], v[140:141], v[126:127]
	scratch_load_b128 v[124:127], off, off offset:416
	s_wait_dscnt 0x0
	v_fmac_f64_e32 v[152:153], v[142:143], v[0:1]
	ds_load_2addr_b64 v[140:143], v120 offset0:103 offset1:104
	s_wait_loadcnt 0x4
	v_fmac_f64_e32 v[152:153], v[128:129], v[2:3]
	ds_load_2addr_b64 v[0:3], v120 offset0:101 offset1:102
	s_wait_dscnt 0x0
	v_fmac_f64_e32 v[152:153], v[130:131], v[0:1]
	scratch_load_b128 v[128:131], off, off offset:432
	s_wait_loadcnt 0x4
	v_fmac_f64_e32 v[152:153], v[132:133], v[2:3]
	scratch_load_b128 v[0:3], off, off offset:448
	v_fmac_f64_e32 v[152:153], v[134:135], v[140:141]
	ds_load_2addr_b64 v[132:135], v120 offset0:105 offset1:106
	s_wait_loadcnt 0x4
	v_fmac_f64_e32 v[152:153], v[136:137], v[142:143]
	s_wait_dscnt 0x0
	s_delay_alu instid0(VALU_DEP_1) | instskip(SKIP_1) | instid1(VALU_DEP_1)
	v_fmac_f64_e32 v[152:153], v[138:139], v[132:133]
	s_wait_loadcnt 0x3
	v_fmac_f64_e32 v[152:153], v[144:145], v[134:135]
	ds_load_2addr_b64 v[132:135], v120 offset0:107 offset1:108
	s_wait_dscnt 0x0
	v_fmac_f64_e32 v[152:153], v[146:147], v[132:133]
	s_delay_alu instid0(VALU_DEP_1) | instskip(SKIP_4) | instid1(VALU_DEP_1)
	v_fmac_f64_e32 v[152:153], v[148:149], v[134:135]
	ds_load_2addr_b64 v[132:135], v120 offset0:109 offset1:110
	s_wait_dscnt 0x0
	v_fmac_f64_e32 v[152:153], v[150:151], v[132:133]
	s_wait_loadcnt 0x2
	v_fmac_f64_e32 v[152:153], v[124:125], v[134:135]
	ds_load_2addr_b64 v[132:135], v120 offset0:111 offset1:112
	s_wait_dscnt 0x0
	v_fmac_f64_e32 v[152:153], v[126:127], v[132:133]
	ds_load_2addr_b64 v[124:127], v120 offset0:113 offset1:114
	s_wait_loadcnt 0x1
	v_fmac_f64_e32 v[152:153], v[128:129], v[134:135]
	s_wait_dscnt 0x0
	s_delay_alu instid0(VALU_DEP_1) | instskip(SKIP_4) | instid1(VALU_DEP_1)
	v_fmac_f64_e32 v[152:153], v[130:131], v[124:125]
	ds_load_b64 v[124:125], v120 offset:920
	s_wait_loadcnt 0x0
	v_fmac_f64_e32 v[152:153], v[0:1], v[126:127]
	s_wait_dscnt 0x0
	v_fmac_f64_e32 v[152:153], v[2:3], v[124:125]
	s_delay_alu instid0(VALU_DEP_1)
	v_add_f64_e64 v[126:127], v[122:123], -v[152:153]
	scratch_store_b64 off, v[126:127], off
	s_cbranch_vccz .LBB121_472
; %bb.358:
	global_load_b32 v2, v120, s[8:9] offset:224
	s_wait_loadcnt 0x0
	v_cmp_ne_u32_e32 vcc_lo, 57, v2
	s_cbranch_vccz .LBB121_360
; %bb.359:
	v_lshlrev_b32_e32 v2, 3, v2
	s_wait_xcnt 0x0
	s_delay_alu instid0(VALU_DEP_1)
	v_mov_b32_e32 v120, v2
	scratch_load_b64 v[2:3], v120, off offset:-8
	s_wait_loadcnt 0x0
	scratch_store_b64 off, v[2:3], off offset:448
	scratch_store_b64 v120, v[0:1], off offset:-8
.LBB121_360:
	s_wait_xcnt 0x0
	v_mov_b32_e32 v0, 0
	global_load_b32 v1, v0, s[8:9] offset:220
	s_wait_loadcnt 0x0
	v_cmp_eq_u32_e32 vcc_lo, 56, v1
	s_cbranch_vccnz .LBB121_362
; %bb.361:
	v_lshlrev_b32_e32 v1, 3, v1
	scratch_load_b64 v[2:3], v1, off offset:-8
	scratch_load_b64 v[120:121], off, off offset:440
	s_wait_loadcnt 0x1
	scratch_store_b64 off, v[2:3], off offset:440
	s_wait_loadcnt 0x0
	scratch_store_b64 v1, v[120:121], off offset:-8
.LBB121_362:
	global_load_b32 v0, v0, s[8:9] offset:216
	s_wait_loadcnt 0x0
	v_cmp_eq_u32_e32 vcc_lo, 55, v0
	s_cbranch_vccnz .LBB121_364
; %bb.363:
	s_wait_xcnt 0x0
	v_lshlrev_b32_e32 v0, 3, v0
	s_delay_alu instid0(VALU_DEP_1)
	v_mov_b32_e32 v120, v0
	scratch_load_b64 v[0:1], v120, off offset:-8
	scratch_load_b64 v[2:3], off, off offset:432
	s_wait_loadcnt 0x1
	scratch_store_b64 off, v[0:1], off offset:432
	s_wait_loadcnt 0x0
	scratch_store_b64 v120, v[2:3], off offset:-8
.LBB121_364:
	s_wait_xcnt 0x0
	v_mov_b32_e32 v0, 0
	global_load_b32 v1, v0, s[8:9] offset:212
	s_wait_loadcnt 0x0
	v_cmp_eq_u32_e32 vcc_lo, 54, v1
	s_cbranch_vccnz .LBB121_366
; %bb.365:
	v_lshlrev_b32_e32 v1, 3, v1
	scratch_load_b64 v[2:3], v1, off offset:-8
	scratch_load_b64 v[120:121], off, off offset:424
	s_wait_loadcnt 0x1
	scratch_store_b64 off, v[2:3], off offset:424
	s_wait_loadcnt 0x0
	scratch_store_b64 v1, v[120:121], off offset:-8
.LBB121_366:
	global_load_b32 v0, v0, s[8:9] offset:208
	s_wait_loadcnt 0x0
	v_cmp_eq_u32_e32 vcc_lo, 53, v0
	s_cbranch_vccnz .LBB121_368
; %bb.367:
	s_wait_xcnt 0x0
	v_lshlrev_b32_e32 v0, 3, v0
	s_delay_alu instid0(VALU_DEP_1)
	v_mov_b32_e32 v120, v0
	scratch_load_b64 v[0:1], v120, off offset:-8
	scratch_load_b64 v[2:3], off, off offset:416
	s_wait_loadcnt 0x1
	scratch_store_b64 off, v[0:1], off offset:416
	s_wait_loadcnt 0x0
	scratch_store_b64 v120, v[2:3], off offset:-8
.LBB121_368:
	s_wait_xcnt 0x0
	v_mov_b32_e32 v0, 0
	global_load_b32 v1, v0, s[8:9] offset:204
	s_wait_loadcnt 0x0
	v_cmp_eq_u32_e32 vcc_lo, 52, v1
	s_cbranch_vccnz .LBB121_370
; %bb.369:
	v_lshlrev_b32_e32 v1, 3, v1
	scratch_load_b64 v[2:3], v1, off offset:-8
	scratch_load_b64 v[120:121], off, off offset:408
	s_wait_loadcnt 0x1
	scratch_store_b64 off, v[2:3], off offset:408
	s_wait_loadcnt 0x0
	scratch_store_b64 v1, v[120:121], off offset:-8
.LBB121_370:
	global_load_b32 v0, v0, s[8:9] offset:200
	s_wait_loadcnt 0x0
	v_cmp_eq_u32_e32 vcc_lo, 51, v0
	s_cbranch_vccnz .LBB121_372
; %bb.371:
	s_wait_xcnt 0x0
	v_lshlrev_b32_e32 v0, 3, v0
	s_delay_alu instid0(VALU_DEP_1)
	v_mov_b32_e32 v120, v0
	scratch_load_b64 v[0:1], v120, off offset:-8
	scratch_load_b64 v[2:3], off, off offset:400
	s_wait_loadcnt 0x1
	scratch_store_b64 off, v[0:1], off offset:400
	s_wait_loadcnt 0x0
	scratch_store_b64 v120, v[2:3], off offset:-8
.LBB121_372:
	s_wait_xcnt 0x0
	v_mov_b32_e32 v0, 0
	global_load_b32 v1, v0, s[8:9] offset:196
	s_wait_loadcnt 0x0
	v_cmp_eq_u32_e32 vcc_lo, 50, v1
	s_cbranch_vccnz .LBB121_374
; %bb.373:
	v_lshlrev_b32_e32 v1, 3, v1
	scratch_load_b64 v[2:3], v1, off offset:-8
	scratch_load_b64 v[120:121], off, off offset:392
	s_wait_loadcnt 0x1
	scratch_store_b64 off, v[2:3], off offset:392
	s_wait_loadcnt 0x0
	scratch_store_b64 v1, v[120:121], off offset:-8
.LBB121_374:
	global_load_b32 v0, v0, s[8:9] offset:192
	s_wait_loadcnt 0x0
	v_cmp_eq_u32_e32 vcc_lo, 49, v0
	s_cbranch_vccnz .LBB121_376
; %bb.375:
	s_wait_xcnt 0x0
	v_lshlrev_b32_e32 v0, 3, v0
	s_delay_alu instid0(VALU_DEP_1)
	v_mov_b32_e32 v120, v0
	scratch_load_b64 v[0:1], v120, off offset:-8
	scratch_load_b64 v[2:3], off, off offset:384
	s_wait_loadcnt 0x1
	scratch_store_b64 off, v[0:1], off offset:384
	s_wait_loadcnt 0x0
	scratch_store_b64 v120, v[2:3], off offset:-8
.LBB121_376:
	s_wait_xcnt 0x0
	v_mov_b32_e32 v0, 0
	global_load_b32 v1, v0, s[8:9] offset:188
	s_wait_loadcnt 0x0
	v_cmp_eq_u32_e32 vcc_lo, 48, v1
	s_cbranch_vccnz .LBB121_378
; %bb.377:
	v_lshlrev_b32_e32 v1, 3, v1
	scratch_load_b64 v[2:3], v1, off offset:-8
	scratch_load_b64 v[120:121], off, off offset:376
	s_wait_loadcnt 0x1
	scratch_store_b64 off, v[2:3], off offset:376
	s_wait_loadcnt 0x0
	scratch_store_b64 v1, v[120:121], off offset:-8
.LBB121_378:
	global_load_b32 v0, v0, s[8:9] offset:184
	s_wait_loadcnt 0x0
	v_cmp_eq_u32_e32 vcc_lo, 47, v0
	s_cbranch_vccnz .LBB121_380
; %bb.379:
	s_wait_xcnt 0x0
	v_lshlrev_b32_e32 v0, 3, v0
	s_delay_alu instid0(VALU_DEP_1)
	v_mov_b32_e32 v120, v0
	scratch_load_b64 v[0:1], v120, off offset:-8
	scratch_load_b64 v[2:3], off, off offset:368
	s_wait_loadcnt 0x1
	scratch_store_b64 off, v[0:1], off offset:368
	s_wait_loadcnt 0x0
	scratch_store_b64 v120, v[2:3], off offset:-8
.LBB121_380:
	s_wait_xcnt 0x0
	v_mov_b32_e32 v0, 0
	global_load_b32 v1, v0, s[8:9] offset:180
	s_wait_loadcnt 0x0
	v_cmp_eq_u32_e32 vcc_lo, 46, v1
	s_cbranch_vccnz .LBB121_382
; %bb.381:
	v_lshlrev_b32_e32 v1, 3, v1
	scratch_load_b64 v[2:3], v1, off offset:-8
	scratch_load_b64 v[120:121], off, off offset:360
	s_wait_loadcnt 0x1
	scratch_store_b64 off, v[2:3], off offset:360
	s_wait_loadcnt 0x0
	scratch_store_b64 v1, v[120:121], off offset:-8
.LBB121_382:
	global_load_b32 v0, v0, s[8:9] offset:176
	s_wait_loadcnt 0x0
	v_cmp_eq_u32_e32 vcc_lo, 45, v0
	s_cbranch_vccnz .LBB121_384
; %bb.383:
	s_wait_xcnt 0x0
	v_lshlrev_b32_e32 v0, 3, v0
	s_delay_alu instid0(VALU_DEP_1)
	v_mov_b32_e32 v120, v0
	scratch_load_b64 v[0:1], v120, off offset:-8
	scratch_load_b64 v[2:3], off, off offset:352
	s_wait_loadcnt 0x1
	scratch_store_b64 off, v[0:1], off offset:352
	s_wait_loadcnt 0x0
	scratch_store_b64 v120, v[2:3], off offset:-8
.LBB121_384:
	s_wait_xcnt 0x0
	v_mov_b32_e32 v0, 0
	global_load_b32 v1, v0, s[8:9] offset:172
	s_wait_loadcnt 0x0
	v_cmp_eq_u32_e32 vcc_lo, 44, v1
	s_cbranch_vccnz .LBB121_386
; %bb.385:
	v_lshlrev_b32_e32 v1, 3, v1
	scratch_load_b64 v[2:3], v1, off offset:-8
	scratch_load_b64 v[120:121], off, off offset:344
	s_wait_loadcnt 0x1
	scratch_store_b64 off, v[2:3], off offset:344
	s_wait_loadcnt 0x0
	scratch_store_b64 v1, v[120:121], off offset:-8
.LBB121_386:
	global_load_b32 v0, v0, s[8:9] offset:168
	s_wait_loadcnt 0x0
	v_cmp_eq_u32_e32 vcc_lo, 43, v0
	s_cbranch_vccnz .LBB121_388
; %bb.387:
	s_wait_xcnt 0x0
	v_lshlrev_b32_e32 v0, 3, v0
	s_delay_alu instid0(VALU_DEP_1)
	v_mov_b32_e32 v120, v0
	scratch_load_b64 v[0:1], v120, off offset:-8
	scratch_load_b64 v[2:3], off, off offset:336
	s_wait_loadcnt 0x1
	scratch_store_b64 off, v[0:1], off offset:336
	s_wait_loadcnt 0x0
	scratch_store_b64 v120, v[2:3], off offset:-8
.LBB121_388:
	s_wait_xcnt 0x0
	v_mov_b32_e32 v0, 0
	global_load_b32 v1, v0, s[8:9] offset:164
	s_wait_loadcnt 0x0
	v_cmp_eq_u32_e32 vcc_lo, 42, v1
	s_cbranch_vccnz .LBB121_390
; %bb.389:
	v_lshlrev_b32_e32 v1, 3, v1
	scratch_load_b64 v[2:3], v1, off offset:-8
	scratch_load_b64 v[120:121], off, off offset:328
	s_wait_loadcnt 0x1
	scratch_store_b64 off, v[2:3], off offset:328
	s_wait_loadcnt 0x0
	scratch_store_b64 v1, v[120:121], off offset:-8
.LBB121_390:
	global_load_b32 v0, v0, s[8:9] offset:160
	s_wait_loadcnt 0x0
	v_cmp_eq_u32_e32 vcc_lo, 41, v0
	s_cbranch_vccnz .LBB121_392
; %bb.391:
	s_wait_xcnt 0x0
	v_lshlrev_b32_e32 v0, 3, v0
	s_delay_alu instid0(VALU_DEP_1)
	v_mov_b32_e32 v120, v0
	scratch_load_b64 v[0:1], v120, off offset:-8
	scratch_load_b64 v[2:3], off, off offset:320
	s_wait_loadcnt 0x1
	scratch_store_b64 off, v[0:1], off offset:320
	s_wait_loadcnt 0x0
	scratch_store_b64 v120, v[2:3], off offset:-8
.LBB121_392:
	s_wait_xcnt 0x0
	v_mov_b32_e32 v0, 0
	global_load_b32 v1, v0, s[8:9] offset:156
	s_wait_loadcnt 0x0
	v_cmp_eq_u32_e32 vcc_lo, 40, v1
	s_cbranch_vccnz .LBB121_394
; %bb.393:
	v_lshlrev_b32_e32 v1, 3, v1
	scratch_load_b64 v[2:3], v1, off offset:-8
	scratch_load_b64 v[120:121], off, off offset:312
	s_wait_loadcnt 0x1
	scratch_store_b64 off, v[2:3], off offset:312
	s_wait_loadcnt 0x0
	scratch_store_b64 v1, v[120:121], off offset:-8
.LBB121_394:
	global_load_b32 v0, v0, s[8:9] offset:152
	s_wait_loadcnt 0x0
	v_cmp_eq_u32_e32 vcc_lo, 39, v0
	s_cbranch_vccnz .LBB121_396
; %bb.395:
	s_wait_xcnt 0x0
	v_lshlrev_b32_e32 v0, 3, v0
	s_delay_alu instid0(VALU_DEP_1)
	v_mov_b32_e32 v120, v0
	scratch_load_b64 v[0:1], v120, off offset:-8
	scratch_load_b64 v[2:3], off, off offset:304
	s_wait_loadcnt 0x1
	scratch_store_b64 off, v[0:1], off offset:304
	s_wait_loadcnt 0x0
	scratch_store_b64 v120, v[2:3], off offset:-8
.LBB121_396:
	s_wait_xcnt 0x0
	v_mov_b32_e32 v0, 0
	global_load_b32 v1, v0, s[8:9] offset:148
	s_wait_loadcnt 0x0
	v_cmp_eq_u32_e32 vcc_lo, 38, v1
	s_cbranch_vccnz .LBB121_398
; %bb.397:
	v_lshlrev_b32_e32 v1, 3, v1
	scratch_load_b64 v[2:3], v1, off offset:-8
	scratch_load_b64 v[120:121], off, off offset:296
	s_wait_loadcnt 0x1
	scratch_store_b64 off, v[2:3], off offset:296
	s_wait_loadcnt 0x0
	scratch_store_b64 v1, v[120:121], off offset:-8
.LBB121_398:
	global_load_b32 v0, v0, s[8:9] offset:144
	s_wait_loadcnt 0x0
	v_cmp_eq_u32_e32 vcc_lo, 37, v0
	s_cbranch_vccnz .LBB121_400
; %bb.399:
	s_wait_xcnt 0x0
	v_lshlrev_b32_e32 v0, 3, v0
	s_delay_alu instid0(VALU_DEP_1)
	v_mov_b32_e32 v120, v0
	scratch_load_b64 v[0:1], v120, off offset:-8
	scratch_load_b64 v[2:3], off, off offset:288
	s_wait_loadcnt 0x1
	scratch_store_b64 off, v[0:1], off offset:288
	s_wait_loadcnt 0x0
	scratch_store_b64 v120, v[2:3], off offset:-8
.LBB121_400:
	s_wait_xcnt 0x0
	v_mov_b32_e32 v0, 0
	global_load_b32 v1, v0, s[8:9] offset:140
	s_wait_loadcnt 0x0
	v_cmp_eq_u32_e32 vcc_lo, 36, v1
	s_cbranch_vccnz .LBB121_402
; %bb.401:
	v_lshlrev_b32_e32 v1, 3, v1
	scratch_load_b64 v[2:3], v1, off offset:-8
	scratch_load_b64 v[120:121], off, off offset:280
	s_wait_loadcnt 0x1
	scratch_store_b64 off, v[2:3], off offset:280
	s_wait_loadcnt 0x0
	scratch_store_b64 v1, v[120:121], off offset:-8
.LBB121_402:
	global_load_b32 v0, v0, s[8:9] offset:136
	s_wait_loadcnt 0x0
	v_cmp_eq_u32_e32 vcc_lo, 35, v0
	s_cbranch_vccnz .LBB121_404
; %bb.403:
	s_wait_xcnt 0x0
	v_lshlrev_b32_e32 v0, 3, v0
	s_delay_alu instid0(VALU_DEP_1)
	v_mov_b32_e32 v120, v0
	scratch_load_b64 v[0:1], v120, off offset:-8
	scratch_load_b64 v[2:3], off, off offset:272
	s_wait_loadcnt 0x1
	scratch_store_b64 off, v[0:1], off offset:272
	s_wait_loadcnt 0x0
	scratch_store_b64 v120, v[2:3], off offset:-8
.LBB121_404:
	s_wait_xcnt 0x0
	v_mov_b32_e32 v0, 0
	global_load_b32 v1, v0, s[8:9] offset:132
	s_wait_loadcnt 0x0
	v_cmp_eq_u32_e32 vcc_lo, 34, v1
	s_cbranch_vccnz .LBB121_406
; %bb.405:
	v_lshlrev_b32_e32 v1, 3, v1
	scratch_load_b64 v[2:3], v1, off offset:-8
	scratch_load_b64 v[120:121], off, off offset:264
	s_wait_loadcnt 0x1
	scratch_store_b64 off, v[2:3], off offset:264
	s_wait_loadcnt 0x0
	scratch_store_b64 v1, v[120:121], off offset:-8
.LBB121_406:
	global_load_b32 v0, v0, s[8:9] offset:128
	s_wait_loadcnt 0x0
	v_cmp_eq_u32_e32 vcc_lo, 33, v0
	s_cbranch_vccnz .LBB121_408
; %bb.407:
	s_wait_xcnt 0x0
	v_lshlrev_b32_e32 v0, 3, v0
	s_delay_alu instid0(VALU_DEP_1)
	v_mov_b32_e32 v120, v0
	scratch_load_b64 v[0:1], v120, off offset:-8
	scratch_load_b64 v[2:3], off, off offset:256
	s_wait_loadcnt 0x1
	scratch_store_b64 off, v[0:1], off offset:256
	s_wait_loadcnt 0x0
	scratch_store_b64 v120, v[2:3], off offset:-8
.LBB121_408:
	s_wait_xcnt 0x0
	v_mov_b32_e32 v0, 0
	global_load_b32 v1, v0, s[8:9] offset:124
	s_wait_loadcnt 0x0
	v_cmp_eq_u32_e32 vcc_lo, 32, v1
	s_cbranch_vccnz .LBB121_410
; %bb.409:
	v_lshlrev_b32_e32 v1, 3, v1
	scratch_load_b64 v[2:3], v1, off offset:-8
	scratch_load_b64 v[120:121], off, off offset:248
	s_wait_loadcnt 0x1
	scratch_store_b64 off, v[2:3], off offset:248
	s_wait_loadcnt 0x0
	scratch_store_b64 v1, v[120:121], off offset:-8
.LBB121_410:
	global_load_b32 v0, v0, s[8:9] offset:120
	s_wait_loadcnt 0x0
	v_cmp_eq_u32_e32 vcc_lo, 31, v0
	s_cbranch_vccnz .LBB121_412
; %bb.411:
	s_wait_xcnt 0x0
	v_lshlrev_b32_e32 v0, 3, v0
	s_delay_alu instid0(VALU_DEP_1)
	v_mov_b32_e32 v120, v0
	scratch_load_b64 v[0:1], v120, off offset:-8
	scratch_load_b64 v[2:3], off, off offset:240
	s_wait_loadcnt 0x1
	scratch_store_b64 off, v[0:1], off offset:240
	s_wait_loadcnt 0x0
	scratch_store_b64 v120, v[2:3], off offset:-8
.LBB121_412:
	s_wait_xcnt 0x0
	v_mov_b32_e32 v0, 0
	global_load_b32 v1, v0, s[8:9] offset:116
	s_wait_loadcnt 0x0
	v_cmp_eq_u32_e32 vcc_lo, 30, v1
	s_cbranch_vccnz .LBB121_414
; %bb.413:
	v_lshlrev_b32_e32 v1, 3, v1
	scratch_load_b64 v[2:3], v1, off offset:-8
	scratch_load_b64 v[120:121], off, off offset:232
	s_wait_loadcnt 0x1
	scratch_store_b64 off, v[2:3], off offset:232
	s_wait_loadcnt 0x0
	scratch_store_b64 v1, v[120:121], off offset:-8
.LBB121_414:
	global_load_b32 v0, v0, s[8:9] offset:112
	s_wait_loadcnt 0x0
	v_cmp_eq_u32_e32 vcc_lo, 29, v0
	s_cbranch_vccnz .LBB121_416
; %bb.415:
	s_wait_xcnt 0x0
	v_lshlrev_b32_e32 v0, 3, v0
	s_delay_alu instid0(VALU_DEP_1)
	v_mov_b32_e32 v120, v0
	scratch_load_b64 v[0:1], v120, off offset:-8
	scratch_load_b64 v[2:3], off, off offset:224
	s_wait_loadcnt 0x1
	scratch_store_b64 off, v[0:1], off offset:224
	s_wait_loadcnt 0x0
	scratch_store_b64 v120, v[2:3], off offset:-8
.LBB121_416:
	s_wait_xcnt 0x0
	v_mov_b32_e32 v0, 0
	global_load_b32 v1, v0, s[8:9] offset:108
	s_wait_loadcnt 0x0
	v_cmp_eq_u32_e32 vcc_lo, 28, v1
	s_cbranch_vccnz .LBB121_418
; %bb.417:
	v_lshlrev_b32_e32 v1, 3, v1
	scratch_load_b64 v[2:3], v1, off offset:-8
	scratch_load_b64 v[120:121], off, off offset:216
	s_wait_loadcnt 0x1
	scratch_store_b64 off, v[2:3], off offset:216
	s_wait_loadcnt 0x0
	scratch_store_b64 v1, v[120:121], off offset:-8
.LBB121_418:
	global_load_b32 v0, v0, s[8:9] offset:104
	s_wait_loadcnt 0x0
	v_cmp_eq_u32_e32 vcc_lo, 27, v0
	s_cbranch_vccnz .LBB121_420
; %bb.419:
	s_wait_xcnt 0x0
	v_lshlrev_b32_e32 v0, 3, v0
	s_delay_alu instid0(VALU_DEP_1)
	v_mov_b32_e32 v120, v0
	scratch_load_b64 v[0:1], v120, off offset:-8
	scratch_load_b64 v[2:3], off, off offset:208
	s_wait_loadcnt 0x1
	scratch_store_b64 off, v[0:1], off offset:208
	s_wait_loadcnt 0x0
	scratch_store_b64 v120, v[2:3], off offset:-8
.LBB121_420:
	s_wait_xcnt 0x0
	v_mov_b32_e32 v0, 0
	global_load_b32 v1, v0, s[8:9] offset:100
	s_wait_loadcnt 0x0
	v_cmp_eq_u32_e32 vcc_lo, 26, v1
	s_cbranch_vccnz .LBB121_422
; %bb.421:
	v_lshlrev_b32_e32 v1, 3, v1
	scratch_load_b64 v[2:3], v1, off offset:-8
	scratch_load_b64 v[120:121], off, off offset:200
	s_wait_loadcnt 0x1
	scratch_store_b64 off, v[2:3], off offset:200
	s_wait_loadcnt 0x0
	scratch_store_b64 v1, v[120:121], off offset:-8
.LBB121_422:
	global_load_b32 v0, v0, s[8:9] offset:96
	s_wait_loadcnt 0x0
	v_cmp_eq_u32_e32 vcc_lo, 25, v0
	s_cbranch_vccnz .LBB121_424
; %bb.423:
	s_wait_xcnt 0x0
	v_lshlrev_b32_e32 v0, 3, v0
	s_delay_alu instid0(VALU_DEP_1)
	v_mov_b32_e32 v120, v0
	scratch_load_b64 v[0:1], v120, off offset:-8
	scratch_load_b64 v[2:3], off, off offset:192
	s_wait_loadcnt 0x1
	scratch_store_b64 off, v[0:1], off offset:192
	s_wait_loadcnt 0x0
	scratch_store_b64 v120, v[2:3], off offset:-8
.LBB121_424:
	s_wait_xcnt 0x0
	v_mov_b32_e32 v0, 0
	global_load_b32 v1, v0, s[8:9] offset:92
	s_wait_loadcnt 0x0
	v_cmp_eq_u32_e32 vcc_lo, 24, v1
	s_cbranch_vccnz .LBB121_426
; %bb.425:
	v_lshlrev_b32_e32 v1, 3, v1
	scratch_load_b64 v[2:3], v1, off offset:-8
	scratch_load_b64 v[120:121], off, off offset:184
	s_wait_loadcnt 0x1
	scratch_store_b64 off, v[2:3], off offset:184
	s_wait_loadcnt 0x0
	scratch_store_b64 v1, v[120:121], off offset:-8
.LBB121_426:
	global_load_b32 v0, v0, s[8:9] offset:88
	s_wait_loadcnt 0x0
	v_cmp_eq_u32_e32 vcc_lo, 23, v0
	s_cbranch_vccnz .LBB121_428
; %bb.427:
	s_wait_xcnt 0x0
	v_lshlrev_b32_e32 v0, 3, v0
	s_delay_alu instid0(VALU_DEP_1)
	v_mov_b32_e32 v120, v0
	scratch_load_b64 v[0:1], v120, off offset:-8
	scratch_load_b64 v[2:3], off, off offset:176
	s_wait_loadcnt 0x1
	scratch_store_b64 off, v[0:1], off offset:176
	s_wait_loadcnt 0x0
	scratch_store_b64 v120, v[2:3], off offset:-8
.LBB121_428:
	s_wait_xcnt 0x0
	v_mov_b32_e32 v0, 0
	global_load_b32 v1, v0, s[8:9] offset:84
	s_wait_loadcnt 0x0
	v_cmp_eq_u32_e32 vcc_lo, 22, v1
	s_cbranch_vccnz .LBB121_430
; %bb.429:
	v_lshlrev_b32_e32 v1, 3, v1
	scratch_load_b64 v[2:3], v1, off offset:-8
	scratch_load_b64 v[120:121], off, off offset:168
	s_wait_loadcnt 0x1
	scratch_store_b64 off, v[2:3], off offset:168
	s_wait_loadcnt 0x0
	scratch_store_b64 v1, v[120:121], off offset:-8
.LBB121_430:
	global_load_b32 v0, v0, s[8:9] offset:80
	s_wait_loadcnt 0x0
	v_cmp_eq_u32_e32 vcc_lo, 21, v0
	s_cbranch_vccnz .LBB121_432
; %bb.431:
	s_wait_xcnt 0x0
	v_lshlrev_b32_e32 v0, 3, v0
	s_delay_alu instid0(VALU_DEP_1)
	v_mov_b32_e32 v120, v0
	scratch_load_b64 v[0:1], v120, off offset:-8
	scratch_load_b64 v[2:3], off, off offset:160
	s_wait_loadcnt 0x1
	scratch_store_b64 off, v[0:1], off offset:160
	s_wait_loadcnt 0x0
	scratch_store_b64 v120, v[2:3], off offset:-8
.LBB121_432:
	s_wait_xcnt 0x0
	v_mov_b32_e32 v0, 0
	global_load_b32 v1, v0, s[8:9] offset:76
	s_wait_loadcnt 0x0
	v_cmp_eq_u32_e32 vcc_lo, 20, v1
	s_cbranch_vccnz .LBB121_434
; %bb.433:
	v_lshlrev_b32_e32 v1, 3, v1
	scratch_load_b64 v[2:3], v1, off offset:-8
	scratch_load_b64 v[120:121], off, off offset:152
	s_wait_loadcnt 0x1
	scratch_store_b64 off, v[2:3], off offset:152
	s_wait_loadcnt 0x0
	scratch_store_b64 v1, v[120:121], off offset:-8
.LBB121_434:
	global_load_b32 v0, v0, s[8:9] offset:72
	s_wait_loadcnt 0x0
	v_cmp_eq_u32_e32 vcc_lo, 19, v0
	s_cbranch_vccnz .LBB121_436
; %bb.435:
	s_wait_xcnt 0x0
	v_lshlrev_b32_e32 v0, 3, v0
	s_delay_alu instid0(VALU_DEP_1)
	v_mov_b32_e32 v120, v0
	scratch_load_b64 v[0:1], v120, off offset:-8
	scratch_load_b64 v[2:3], off, off offset:144
	s_wait_loadcnt 0x1
	scratch_store_b64 off, v[0:1], off offset:144
	s_wait_loadcnt 0x0
	scratch_store_b64 v120, v[2:3], off offset:-8
.LBB121_436:
	s_wait_xcnt 0x0
	v_mov_b32_e32 v0, 0
	global_load_b32 v1, v0, s[8:9] offset:68
	s_wait_loadcnt 0x0
	v_cmp_eq_u32_e32 vcc_lo, 18, v1
	s_cbranch_vccnz .LBB121_438
; %bb.437:
	v_lshlrev_b32_e32 v1, 3, v1
	scratch_load_b64 v[2:3], v1, off offset:-8
	scratch_load_b64 v[120:121], off, off offset:136
	s_wait_loadcnt 0x1
	scratch_store_b64 off, v[2:3], off offset:136
	s_wait_loadcnt 0x0
	scratch_store_b64 v1, v[120:121], off offset:-8
.LBB121_438:
	global_load_b32 v0, v0, s[8:9] offset:64
	s_wait_loadcnt 0x0
	v_cmp_eq_u32_e32 vcc_lo, 17, v0
	s_cbranch_vccnz .LBB121_440
; %bb.439:
	s_wait_xcnt 0x0
	v_lshlrev_b32_e32 v0, 3, v0
	s_delay_alu instid0(VALU_DEP_1)
	v_mov_b32_e32 v120, v0
	scratch_load_b64 v[0:1], v120, off offset:-8
	scratch_load_b64 v[2:3], off, off offset:128
	s_wait_loadcnt 0x1
	scratch_store_b64 off, v[0:1], off offset:128
	s_wait_loadcnt 0x0
	scratch_store_b64 v120, v[2:3], off offset:-8
.LBB121_440:
	s_wait_xcnt 0x0
	v_mov_b32_e32 v0, 0
	global_load_b32 v1, v0, s[8:9] offset:60
	s_wait_loadcnt 0x0
	v_cmp_eq_u32_e32 vcc_lo, 16, v1
	s_cbranch_vccnz .LBB121_442
; %bb.441:
	v_lshlrev_b32_e32 v1, 3, v1
	scratch_load_b64 v[2:3], v1, off offset:-8
	scratch_load_b64 v[120:121], off, off offset:120
	s_wait_loadcnt 0x1
	scratch_store_b64 off, v[2:3], off offset:120
	s_wait_loadcnt 0x0
	scratch_store_b64 v1, v[120:121], off offset:-8
.LBB121_442:
	global_load_b32 v0, v0, s[8:9] offset:56
	s_wait_loadcnt 0x0
	v_cmp_eq_u32_e32 vcc_lo, 15, v0
	s_cbranch_vccnz .LBB121_444
; %bb.443:
	s_wait_xcnt 0x0
	v_lshlrev_b32_e32 v0, 3, v0
	s_delay_alu instid0(VALU_DEP_1)
	v_mov_b32_e32 v120, v0
	scratch_load_b64 v[0:1], v120, off offset:-8
	scratch_load_b64 v[2:3], off, off offset:112
	s_wait_loadcnt 0x1
	scratch_store_b64 off, v[0:1], off offset:112
	s_wait_loadcnt 0x0
	scratch_store_b64 v120, v[2:3], off offset:-8
.LBB121_444:
	s_wait_xcnt 0x0
	v_mov_b32_e32 v0, 0
	global_load_b32 v1, v0, s[8:9] offset:52
	s_wait_loadcnt 0x0
	v_cmp_eq_u32_e32 vcc_lo, 14, v1
	s_cbranch_vccnz .LBB121_446
; %bb.445:
	v_lshlrev_b32_e32 v1, 3, v1
	scratch_load_b64 v[2:3], v1, off offset:-8
	scratch_load_b64 v[120:121], off, off offset:104
	s_wait_loadcnt 0x1
	scratch_store_b64 off, v[2:3], off offset:104
	s_wait_loadcnt 0x0
	scratch_store_b64 v1, v[120:121], off offset:-8
.LBB121_446:
	global_load_b32 v0, v0, s[8:9] offset:48
	s_wait_loadcnt 0x0
	v_cmp_eq_u32_e32 vcc_lo, 13, v0
	s_cbranch_vccnz .LBB121_448
; %bb.447:
	s_wait_xcnt 0x0
	v_lshlrev_b32_e32 v0, 3, v0
	s_delay_alu instid0(VALU_DEP_1)
	v_mov_b32_e32 v120, v0
	scratch_load_b64 v[0:1], v120, off offset:-8
	scratch_load_b64 v[2:3], off, off offset:96
	s_wait_loadcnt 0x1
	scratch_store_b64 off, v[0:1], off offset:96
	s_wait_loadcnt 0x0
	scratch_store_b64 v120, v[2:3], off offset:-8
.LBB121_448:
	s_wait_xcnt 0x0
	v_mov_b32_e32 v0, 0
	global_load_b32 v1, v0, s[8:9] offset:44
	s_wait_loadcnt 0x0
	v_cmp_eq_u32_e32 vcc_lo, 12, v1
	s_cbranch_vccnz .LBB121_450
; %bb.449:
	v_lshlrev_b32_e32 v1, 3, v1
	scratch_load_b64 v[2:3], v1, off offset:-8
	scratch_load_b64 v[120:121], off, off offset:88
	s_wait_loadcnt 0x1
	scratch_store_b64 off, v[2:3], off offset:88
	s_wait_loadcnt 0x0
	scratch_store_b64 v1, v[120:121], off offset:-8
.LBB121_450:
	global_load_b32 v0, v0, s[8:9] offset:40
	s_wait_loadcnt 0x0
	v_cmp_eq_u32_e32 vcc_lo, 11, v0
	s_cbranch_vccnz .LBB121_452
; %bb.451:
	s_wait_xcnt 0x0
	v_lshlrev_b32_e32 v0, 3, v0
	s_delay_alu instid0(VALU_DEP_1)
	v_mov_b32_e32 v120, v0
	scratch_load_b64 v[0:1], v120, off offset:-8
	scratch_load_b64 v[2:3], off, off offset:80
	s_wait_loadcnt 0x1
	scratch_store_b64 off, v[0:1], off offset:80
	s_wait_loadcnt 0x0
	scratch_store_b64 v120, v[2:3], off offset:-8
.LBB121_452:
	s_wait_xcnt 0x0
	v_mov_b32_e32 v0, 0
	global_load_b32 v1, v0, s[8:9] offset:36
	s_wait_loadcnt 0x0
	v_cmp_eq_u32_e32 vcc_lo, 10, v1
	s_cbranch_vccnz .LBB121_454
; %bb.453:
	v_lshlrev_b32_e32 v1, 3, v1
	scratch_load_b64 v[2:3], v1, off offset:-8
	scratch_load_b64 v[120:121], off, off offset:72
	s_wait_loadcnt 0x1
	scratch_store_b64 off, v[2:3], off offset:72
	s_wait_loadcnt 0x0
	scratch_store_b64 v1, v[120:121], off offset:-8
.LBB121_454:
	global_load_b32 v0, v0, s[8:9] offset:32
	s_wait_loadcnt 0x0
	v_cmp_eq_u32_e32 vcc_lo, 9, v0
	s_cbranch_vccnz .LBB121_456
; %bb.455:
	s_wait_xcnt 0x0
	v_lshlrev_b32_e32 v0, 3, v0
	s_delay_alu instid0(VALU_DEP_1)
	v_mov_b32_e32 v120, v0
	scratch_load_b64 v[0:1], v120, off offset:-8
	scratch_load_b64 v[2:3], off, off offset:64
	s_wait_loadcnt 0x1
	scratch_store_b64 off, v[0:1], off offset:64
	s_wait_loadcnt 0x0
	scratch_store_b64 v120, v[2:3], off offset:-8
.LBB121_456:
	s_wait_xcnt 0x0
	v_mov_b32_e32 v0, 0
	global_load_b32 v1, v0, s[8:9] offset:28
	s_wait_loadcnt 0x0
	v_cmp_eq_u32_e32 vcc_lo, 8, v1
	s_cbranch_vccnz .LBB121_458
; %bb.457:
	v_lshlrev_b32_e32 v1, 3, v1
	scratch_load_b64 v[2:3], v1, off offset:-8
	scratch_load_b64 v[120:121], off, off offset:56
	s_wait_loadcnt 0x1
	scratch_store_b64 off, v[2:3], off offset:56
	s_wait_loadcnt 0x0
	scratch_store_b64 v1, v[120:121], off offset:-8
.LBB121_458:
	global_load_b32 v0, v0, s[8:9] offset:24
	s_wait_loadcnt 0x0
	v_cmp_eq_u32_e32 vcc_lo, 7, v0
	s_cbranch_vccnz .LBB121_460
; %bb.459:
	s_wait_xcnt 0x0
	v_lshlrev_b32_e32 v0, 3, v0
	s_delay_alu instid0(VALU_DEP_1)
	v_mov_b32_e32 v120, v0
	scratch_load_b64 v[0:1], v120, off offset:-8
	scratch_load_b64 v[2:3], off, off offset:48
	s_wait_loadcnt 0x1
	scratch_store_b64 off, v[0:1], off offset:48
	s_wait_loadcnt 0x0
	scratch_store_b64 v120, v[2:3], off offset:-8
.LBB121_460:
	s_wait_xcnt 0x0
	v_mov_b32_e32 v0, 0
	global_load_b32 v1, v0, s[8:9] offset:20
	s_wait_loadcnt 0x0
	v_cmp_eq_u32_e32 vcc_lo, 6, v1
	s_cbranch_vccnz .LBB121_462
; %bb.461:
	v_lshlrev_b32_e32 v1, 3, v1
	scratch_load_b64 v[2:3], v1, off offset:-8
	scratch_load_b64 v[120:121], off, off offset:40
	s_wait_loadcnt 0x1
	scratch_store_b64 off, v[2:3], off offset:40
	s_wait_loadcnt 0x0
	scratch_store_b64 v1, v[120:121], off offset:-8
.LBB121_462:
	global_load_b32 v0, v0, s[8:9] offset:16
	s_wait_loadcnt 0x0
	v_cmp_eq_u32_e32 vcc_lo, 5, v0
	s_cbranch_vccnz .LBB121_464
; %bb.463:
	s_wait_xcnt 0x0
	v_lshlrev_b32_e32 v0, 3, v0
	s_delay_alu instid0(VALU_DEP_1)
	v_mov_b32_e32 v120, v0
	scratch_load_b64 v[0:1], v120, off offset:-8
	scratch_load_b64 v[2:3], off, off offset:32
	s_wait_loadcnt 0x1
	scratch_store_b64 off, v[0:1], off offset:32
	s_wait_loadcnt 0x0
	scratch_store_b64 v120, v[2:3], off offset:-8
.LBB121_464:
	s_wait_xcnt 0x0
	v_mov_b32_e32 v0, 0
	global_load_b32 v1, v0, s[8:9] offset:12
	s_wait_loadcnt 0x0
	v_cmp_eq_u32_e32 vcc_lo, 4, v1
	s_cbranch_vccnz .LBB121_466
; %bb.465:
	v_lshlrev_b32_e32 v1, 3, v1
	scratch_load_b64 v[2:3], v1, off offset:-8
	scratch_load_b64 v[120:121], off, off offset:24
	s_wait_loadcnt 0x1
	scratch_store_b64 off, v[2:3], off offset:24
	s_wait_loadcnt 0x0
	scratch_store_b64 v1, v[120:121], off offset:-8
.LBB121_466:
	global_load_b32 v0, v0, s[8:9] offset:8
	s_wait_loadcnt 0x0
	v_cmp_eq_u32_e32 vcc_lo, 3, v0
	s_cbranch_vccnz .LBB121_468
; %bb.467:
	s_wait_xcnt 0x0
	v_lshlrev_b32_e32 v0, 3, v0
	s_delay_alu instid0(VALU_DEP_1)
	v_mov_b32_e32 v120, v0
	scratch_load_b64 v[0:1], v120, off offset:-8
	scratch_load_b64 v[2:3], off, off offset:16
	s_wait_loadcnt 0x1
	scratch_store_b64 off, v[0:1], off offset:16
	s_wait_loadcnt 0x0
	scratch_store_b64 v120, v[2:3], off offset:-8
.LBB121_468:
	s_wait_xcnt 0x0
	v_mov_b32_e32 v0, 0
	global_load_b32 v1, v0, s[8:9] offset:4
	s_wait_loadcnt 0x0
	v_cmp_eq_u32_e32 vcc_lo, 2, v1
	s_cbranch_vccnz .LBB121_470
; %bb.469:
	v_lshlrev_b32_e32 v1, 3, v1
	scratch_load_b64 v[2:3], v1, off offset:-8
	scratch_load_b64 v[120:121], off, off offset:8
	s_wait_loadcnt 0x1
	scratch_store_b64 off, v[2:3], off offset:8
	s_wait_loadcnt 0x0
	scratch_store_b64 v1, v[120:121], off offset:-8
.LBB121_470:
	global_load_b32 v0, v0, s[8:9]
	scratch_load_b64 v[126:127], off, off
	s_wait_loadcnt 0x1
	v_cmp_eq_u32_e32 vcc_lo, 1, v0
	s_cbranch_vccnz .LBB121_472
; %bb.471:
	s_wait_xcnt 0x1
	v_lshlrev_b32_e32 v0, 3, v0
	s_delay_alu instid0(VALU_DEP_1)
	v_mov_b32_e32 v2, v0
	scratch_load_b64 v[0:1], v2, off offset:-8
	s_wait_loadcnt 0x0
	scratch_store_b64 off, v[0:1], off
	scratch_store_b64 v2, v[126:127], off offset:-8
	scratch_load_b64 v[126:127], off, off
.LBB121_472:
	s_wait_loadcnt 0x0
	flat_store_b64 v[4:5], v[126:127]
	scratch_load_b64 v[4:5], off, off offset:8
	v_lshl_add_u64 v[174:175], v[8:9], 3, s[2:3]
	v_lshl_add_u64 v[172:173], v[10:11], 3, s[2:3]
	v_lshl_add_u64 v[170:171], v[12:13], 3, s[2:3]
	v_lshl_add_u64 v[168:169], v[14:15], 3, s[2:3]
	v_lshl_add_u64 v[166:167], v[16:17], 3, s[2:3]
	v_lshl_add_u64 v[164:165], v[18:19], 3, s[2:3]
	v_lshl_add_u64 v[162:163], v[20:21], 3, s[2:3]
	v_lshl_add_u64 v[160:161], v[22:23], 3, s[2:3]
	v_lshl_add_u64 v[158:159], v[24:25], 3, s[2:3]
	v_lshl_add_u64 v[156:157], v[26:27], 3, s[2:3]
	v_lshl_add_u64 v[154:155], v[28:29], 3, s[2:3]
	v_lshl_add_u64 v[152:153], v[30:31], 3, s[2:3]
	v_lshl_add_u64 v[150:151], v[32:33], 3, s[2:3]
	v_lshl_add_u64 v[148:149], v[34:35], 3, s[2:3]
	v_lshl_add_u64 v[146:147], v[36:37], 3, s[2:3]
	v_lshl_add_u64 v[144:145], v[38:39], 3, s[2:3]
	v_lshl_add_u64 v[142:143], v[40:41], 3, s[2:3]
	v_lshl_add_u64 v[140:141], v[42:43], 3, s[2:3]
	v_lshl_add_u64 v[138:139], v[44:45], 3, s[2:3]
	v_lshl_add_u64 v[136:137], v[46:47], 3, s[2:3]
	v_lshl_add_u64 v[134:135], v[48:49], 3, s[2:3]
	v_lshl_add_u64 v[132:133], v[50:51], 3, s[2:3]
	v_lshl_add_u64 v[130:131], v[52:53], 3, s[2:3]
	v_lshl_add_u64 v[128:129], v[54:55], 3, s[2:3]
	v_lshl_add_u64 v[124:125], v[56:57], 3, s[2:3]
	v_lshl_add_u64 v[122:123], v[58:59], 3, s[2:3]
	v_lshl_add_u64 v[120:121], v[60:61], 3, s[2:3]
	v_lshl_add_u64 v[60:61], v[62:63], 3, s[2:3]
	v_lshl_add_u64 v[58:59], v[64:65], 3, s[2:3]
	v_lshl_add_u64 v[56:57], v[66:67], 3, s[2:3]
	v_lshl_add_u64 v[54:55], v[68:69], 3, s[2:3]
	v_lshl_add_u64 v[52:53], v[70:71], 3, s[2:3]
	v_lshl_add_u64 v[50:51], v[72:73], 3, s[2:3]
	v_lshl_add_u64 v[48:49], v[74:75], 3, s[2:3]
	v_lshl_add_u64 v[46:47], v[76:77], 3, s[2:3]
	v_lshl_add_u64 v[44:45], v[78:79], 3, s[2:3]
	v_lshl_add_u64 v[42:43], v[80:81], 3, s[2:3]
	v_lshl_add_u64 v[40:41], v[82:83], 3, s[2:3]
	v_lshl_add_u64 v[38:39], v[84:85], 3, s[2:3]
	v_lshl_add_u64 v[36:37], v[86:87], 3, s[2:3]
	v_lshl_add_u64 v[34:35], v[88:89], 3, s[2:3]
	v_lshl_add_u64 v[32:33], v[90:91], 3, s[2:3]
	v_lshl_add_u64 v[30:31], v[92:93], 3, s[2:3]
	v_lshl_add_u64 v[28:29], v[94:95], 3, s[2:3]
	v_lshl_add_u64 v[26:27], v[96:97], 3, s[2:3]
	v_lshl_add_u64 v[24:25], v[98:99], 3, s[2:3]
	v_lshl_add_u64 v[22:23], v[100:101], 3, s[2:3]
	v_lshl_add_u64 v[20:21], v[102:103], 3, s[2:3]
	v_lshl_add_u64 v[18:19], v[104:105], 3, s[2:3]
	v_lshl_add_u64 v[16:17], v[106:107], 3, s[2:3]
	v_lshl_add_u64 v[14:15], v[108:109], 3, s[2:3]
	v_lshl_add_u64 v[12:13], v[110:111], 3, s[2:3]
	v_lshl_add_u64 v[10:11], v[112:113], 3, s[2:3]
	v_lshl_add_u64 v[8:9], v[114:115], 3, s[2:3]
	v_lshl_add_u64 v[2:3], v[116:117], 3, s[2:3]
	v_lshl_add_u64 v[0:1], v[118:119], 3, s[2:3]
	s_wait_loadcnt 0x0
	flat_store_b64 v[6:7], v[4:5]
	scratch_load_b64 v[4:5], off, off offset:16
	s_wait_loadcnt 0x0
	flat_store_b64 v[174:175], v[4:5]
	scratch_load_b64 v[4:5], off, off offset:24
	;; [unrolled: 3-line block ×56, first 2 shown]
	s_wait_loadcnt 0x0
	flat_store_b64 v[0:1], v[2:3]
	s_sendmsg sendmsg(MSG_DEALLOC_VGPRS)
	s_endpgm
	.section	.rodata,"a",@progbits
	.p2align	6, 0x0
	.amdhsa_kernel _ZN9rocsolver6v33100L18getri_kernel_smallILi58EdPKPdEEvT1_iilPiilS6_bb
		.amdhsa_group_segment_fixed_size 936
		.amdhsa_private_segment_fixed_size 480
		.amdhsa_kernarg_size 60
		.amdhsa_user_sgpr_count 2
		.amdhsa_user_sgpr_dispatch_ptr 0
		.amdhsa_user_sgpr_queue_ptr 0
		.amdhsa_user_sgpr_kernarg_segment_ptr 1
		.amdhsa_user_sgpr_dispatch_id 0
		.amdhsa_user_sgpr_kernarg_preload_length 0
		.amdhsa_user_sgpr_kernarg_preload_offset 0
		.amdhsa_user_sgpr_private_segment_size 0
		.amdhsa_wavefront_size32 1
		.amdhsa_uses_dynamic_stack 0
		.amdhsa_enable_private_segment 1
		.amdhsa_system_sgpr_workgroup_id_x 1
		.amdhsa_system_sgpr_workgroup_id_y 0
		.amdhsa_system_sgpr_workgroup_id_z 0
		.amdhsa_system_sgpr_workgroup_info 0
		.amdhsa_system_vgpr_workitem_id 0
		.amdhsa_next_free_vgpr 176
		.amdhsa_next_free_sgpr 19
		.amdhsa_named_barrier_count 0
		.amdhsa_reserve_vcc 1
		.amdhsa_float_round_mode_32 0
		.amdhsa_float_round_mode_16_64 0
		.amdhsa_float_denorm_mode_32 3
		.amdhsa_float_denorm_mode_16_64 3
		.amdhsa_fp16_overflow 0
		.amdhsa_memory_ordered 1
		.amdhsa_forward_progress 1
		.amdhsa_inst_pref_size 255
		.amdhsa_round_robin_scheduling 0
		.amdhsa_exception_fp_ieee_invalid_op 0
		.amdhsa_exception_fp_denorm_src 0
		.amdhsa_exception_fp_ieee_div_zero 0
		.amdhsa_exception_fp_ieee_overflow 0
		.amdhsa_exception_fp_ieee_underflow 0
		.amdhsa_exception_fp_ieee_inexact 0
		.amdhsa_exception_int_div_zero 0
	.end_amdhsa_kernel
	.section	.text._ZN9rocsolver6v33100L18getri_kernel_smallILi58EdPKPdEEvT1_iilPiilS6_bb,"axG",@progbits,_ZN9rocsolver6v33100L18getri_kernel_smallILi58EdPKPdEEvT1_iilPiilS6_bb,comdat
.Lfunc_end121:
	.size	_ZN9rocsolver6v33100L18getri_kernel_smallILi58EdPKPdEEvT1_iilPiilS6_bb, .Lfunc_end121-_ZN9rocsolver6v33100L18getri_kernel_smallILi58EdPKPdEEvT1_iilPiilS6_bb
                                        ; -- End function
	.set _ZN9rocsolver6v33100L18getri_kernel_smallILi58EdPKPdEEvT1_iilPiilS6_bb.num_vgpr, 176
	.set _ZN9rocsolver6v33100L18getri_kernel_smallILi58EdPKPdEEvT1_iilPiilS6_bb.num_agpr, 0
	.set _ZN9rocsolver6v33100L18getri_kernel_smallILi58EdPKPdEEvT1_iilPiilS6_bb.numbered_sgpr, 19
	.set _ZN9rocsolver6v33100L18getri_kernel_smallILi58EdPKPdEEvT1_iilPiilS6_bb.num_named_barrier, 0
	.set _ZN9rocsolver6v33100L18getri_kernel_smallILi58EdPKPdEEvT1_iilPiilS6_bb.private_seg_size, 480
	.set _ZN9rocsolver6v33100L18getri_kernel_smallILi58EdPKPdEEvT1_iilPiilS6_bb.uses_vcc, 1
	.set _ZN9rocsolver6v33100L18getri_kernel_smallILi58EdPKPdEEvT1_iilPiilS6_bb.uses_flat_scratch, 1
	.set _ZN9rocsolver6v33100L18getri_kernel_smallILi58EdPKPdEEvT1_iilPiilS6_bb.has_dyn_sized_stack, 0
	.set _ZN9rocsolver6v33100L18getri_kernel_smallILi58EdPKPdEEvT1_iilPiilS6_bb.has_recursion, 0
	.set _ZN9rocsolver6v33100L18getri_kernel_smallILi58EdPKPdEEvT1_iilPiilS6_bb.has_indirect_call, 0
	.section	.AMDGPU.csdata,"",@progbits
; Kernel info:
; codeLenInByte = 60444
; TotalNumSgprs: 21
; NumVgprs: 176
; ScratchSize: 480
; MemoryBound: 0
; FloatMode: 240
; IeeeMode: 1
; LDSByteSize: 936 bytes/workgroup (compile time only)
; SGPRBlocks: 0
; VGPRBlocks: 10
; NumSGPRsForWavesPerEU: 21
; NumVGPRsForWavesPerEU: 176
; NamedBarCnt: 0
; Occupancy: 5
; WaveLimiterHint : 1
; COMPUTE_PGM_RSRC2:SCRATCH_EN: 1
; COMPUTE_PGM_RSRC2:USER_SGPR: 2
; COMPUTE_PGM_RSRC2:TRAP_HANDLER: 0
; COMPUTE_PGM_RSRC2:TGID_X_EN: 1
; COMPUTE_PGM_RSRC2:TGID_Y_EN: 0
; COMPUTE_PGM_RSRC2:TGID_Z_EN: 0
; COMPUTE_PGM_RSRC2:TIDIG_COMP_CNT: 0
	.section	.text._ZN9rocsolver6v33100L18getri_kernel_smallILi59EdPKPdEEvT1_iilPiilS6_bb,"axG",@progbits,_ZN9rocsolver6v33100L18getri_kernel_smallILi59EdPKPdEEvT1_iilPiilS6_bb,comdat
	.globl	_ZN9rocsolver6v33100L18getri_kernel_smallILi59EdPKPdEEvT1_iilPiilS6_bb ; -- Begin function _ZN9rocsolver6v33100L18getri_kernel_smallILi59EdPKPdEEvT1_iilPiilS6_bb
	.p2align	8
	.type	_ZN9rocsolver6v33100L18getri_kernel_smallILi59EdPKPdEEvT1_iilPiilS6_bb,@function
_ZN9rocsolver6v33100L18getri_kernel_smallILi59EdPKPdEEvT1_iilPiilS6_bb: ; @_ZN9rocsolver6v33100L18getri_kernel_smallILi59EdPKPdEEvT1_iilPiilS6_bb
; %bb.0:
	s_mov_b32 s2, exec_lo
	v_cmpx_gt_u32_e32 59, v0
	s_cbranch_execz .LBB122_246
; %bb.1:
	s_clause 0x1
	s_load_b32 s13, s[0:1], 0x38
	s_load_b64 s[2:3], s[0:1], 0x0
	s_getreg_b32 s6, hwreg(HW_REG_IB_STS2, 6, 4)
	s_wait_kmcnt 0x0
	s_bitcmp1_b32 s13, 8
	s_cselect_b32 s12, -1, 0
	s_bfe_u32 s4, ttmp6, 0x4000c
	s_and_b32 s5, ttmp6, 15
	s_add_co_i32 s4, s4, 1
	s_delay_alu instid0(SALU_CYCLE_1) | instskip(NEXT) | instid1(SALU_CYCLE_1)
	s_mul_i32 s4, ttmp9, s4
	s_add_co_i32 s5, s5, s4
	s_cmp_eq_u32 s6, 0
	s_cselect_b32 s10, ttmp9, s5
	s_load_b128 s[4:7], s[0:1], 0x28
	s_ashr_i32 s11, s10, 31
	s_delay_alu instid0(SALU_CYCLE_1) | instskip(NEXT) | instid1(SALU_CYCLE_1)
	s_lshl_b64 s[8:9], s[10:11], 3
	s_add_nc_u64 s[2:3], s[2:3], s[8:9]
	s_bfe_u32 s8, s13, 0x10008
	s_load_b64 s[2:3], s[2:3], 0x0
	s_cmp_eq_u32 s8, 0
                                        ; implicit-def: $sgpr8_sgpr9
	s_cbranch_scc1 .LBB122_3
; %bb.2:
	s_load_b96 s[16:18], s[0:1], 0x18
	s_wait_kmcnt 0x0
	s_mul_u64 s[4:5], s[4:5], s[10:11]
	s_delay_alu instid0(SALU_CYCLE_1) | instskip(SKIP_4) | instid1(SALU_CYCLE_1)
	s_lshl_b64 s[4:5], s[4:5], 2
	s_ashr_i32 s9, s18, 31
	s_mov_b32 s8, s18
	s_add_nc_u64 s[4:5], s[16:17], s[4:5]
	s_lshl_b64 s[8:9], s[8:9], 2
	s_add_nc_u64 s[8:9], s[4:5], s[8:9]
.LBB122_3:
	s_wait_kmcnt 0x0
	s_clause 0x1
	s_load_b64 s[4:5], s[0:1], 0x8
	s_load_b32 s13, s[0:1], 0x38
	v_dual_mov_b32 v3, 0 :: v_dual_lshlrev_b32 v2, 3, v0
	s_wait_kmcnt 0x0
	s_ashr_i32 s1, s4, 31
	s_mov_b32 s0, s4
	s_delay_alu instid0(SALU_CYCLE_1) | instskip(NEXT) | instid1(SALU_CYCLE_1)
	s_lshl_b64 s[0:1], s[0:1], 3
	s_add_nc_u64 s[2:3], s[2:3], s[0:1]
	s_ashr_i32 s1, s5, 31
	flat_load_b64 v[8:9], v0, s[2:3] scale_offset
	v_add_nc_u64_e32 v[4:5], s[2:3], v[2:3]
	s_mov_b32 s0, s5
	s_bitcmp0_b32 s13, 0
	s_delay_alu instid0(VALU_DEP_1)
	v_lshl_add_u64 v[6:7], s[0:1], 3, v[4:5]
	s_mov_b32 s1, -1
	s_wait_loadcnt_dscnt 0x0
	scratch_store_b64 off, v[8:9], off
	flat_load_b64 v[10:11], v[6:7]
	s_wait_xcnt 0x1
	v_add3_u32 v8, s5, s5, v0
	s_wait_loadcnt_dscnt 0x0
	scratch_store_b64 off, v[10:11], off offset:8
	flat_load_b64 v[12:13], v8, s[2:3] scale_offset
	s_wait_xcnt 0x1
	v_add_nc_u32_e32 v10, s5, v8
	s_wait_loadcnt_dscnt 0x0
	scratch_store_b64 off, v[12:13], off offset:16
	flat_load_b64 v[14:15], v10, s[2:3] scale_offset
	s_wait_xcnt 0x1
	v_add_nc_u32_e32 v12, s5, v10
	;; [unrolled: 5-line block ×56, first 2 shown]
	s_wait_loadcnt_dscnt 0x0
	scratch_store_b64 off, v[122:123], off offset:456
	flat_load_b64 v[122:123], v120, s[2:3] scale_offset
	s_wait_loadcnt_dscnt 0x0
	scratch_store_b64 off, v[122:123], off offset:464
	s_cbranch_scc1 .LBB122_244
; %bb.4:
	v_cmp_eq_u32_e64 s0, 0, v0
	s_wait_xcnt 0x0
	s_and_saveexec_b32 s1, s0
; %bb.5:
	v_mov_b32_e32 v1, 0
	ds_store_b32 v1, v1 offset:472
; %bb.6:
	s_or_b32 exec_lo, exec_lo, s1
	s_wait_storecnt_dscnt 0x0
	s_barrier_signal -1
	s_barrier_wait -1
	scratch_load_b64 v[122:123], v0, off scale_offset
	s_mov_b32 s4, exec_lo
	s_wait_loadcnt 0x0
	v_cmpx_eq_f64_e32 0, v[122:123]
	s_cbranch_execz .LBB122_10
; %bb.7:
	v_mov_b32_e32 v1, 0
	s_mov_b32 s5, 0
	ds_load_b32 v3, v1 offset:472
	s_wait_dscnt 0x0
	v_readfirstlane_b32 s1, v3
	v_add_nc_u32_e32 v3, 1, v0
	s_cmp_eq_u32 s1, 0
	s_delay_alu instid0(VALU_DEP_1) | instskip(SKIP_1) | instid1(SALU_CYCLE_1)
	v_cmp_gt_i32_e32 vcc_lo, s1, v3
	s_cselect_b32 s13, -1, 0
	s_or_b32 s13, s13, vcc_lo
	s_delay_alu instid0(SALU_CYCLE_1)
	s_and_b32 exec_lo, exec_lo, s13
	s_cbranch_execz .LBB122_10
; %bb.8:
	v_mov_b32_e32 v9, s1
.LBB122_9:                              ; =>This Inner Loop Header: Depth=1
	ds_cmpstore_rtn_b32 v9, v1, v3, v9 offset:472
	s_wait_dscnt 0x0
	v_cmp_ne_u32_e32 vcc_lo, 0, v9
	v_cmp_le_i32_e64 s1, v9, v3
	s_and_b32 s1, vcc_lo, s1
	s_delay_alu instid0(SALU_CYCLE_1) | instskip(NEXT) | instid1(SALU_CYCLE_1)
	s_and_b32 s1, exec_lo, s1
	s_or_b32 s5, s1, s5
	s_delay_alu instid0(SALU_CYCLE_1)
	s_and_not1_b32 exec_lo, exec_lo, s5
	s_cbranch_execnz .LBB122_9
.LBB122_10:
	s_or_b32 exec_lo, exec_lo, s4
	v_mov_b32_e32 v1, 0
	s_barrier_signal -1
	s_barrier_wait -1
	ds_load_b32 v3, v1 offset:472
	s_and_saveexec_b32 s1, s0
	s_cbranch_execz .LBB122_12
; %bb.11:
	s_lshl_b64 s[4:5], s[10:11], 2
	s_delay_alu instid0(SALU_CYCLE_1)
	s_add_nc_u64 s[4:5], s[6:7], s[4:5]
	s_wait_dscnt 0x0
	global_store_b32 v1, v3, s[4:5]
.LBB122_12:
	s_wait_xcnt 0x0
	s_or_b32 exec_lo, exec_lo, s1
	s_wait_dscnt 0x0
	v_cmp_ne_u32_e32 vcc_lo, 0, v3
	s_mov_b32 s1, 0
	s_cbranch_vccnz .LBB122_244
; %bb.13:
	v_lshl_add_u32 v3, v0, 3, 0
	v_add_nc_u32_e32 v1, 0x1e0, v2
	scratch_load_b64 v[122:123], v3, off
	s_wait_loadcnt 0x0
	v_div_scale_f64 v[124:125], null, v[122:123], v[122:123], 1.0
	v_div_scale_f64 v[130:131], vcc_lo, 1.0, v[122:123], 1.0
	s_delay_alu instid0(VALU_DEP_2) | instskip(SKIP_1) | instid1(TRANS32_DEP_1)
	v_rcp_f64_e32 v[126:127], v[124:125]
	v_nop
	v_fma_f64 v[128:129], -v[124:125], v[126:127], 1.0
	s_delay_alu instid0(VALU_DEP_1) | instskip(NEXT) | instid1(VALU_DEP_1)
	v_fmac_f64_e32 v[126:127], v[126:127], v[128:129]
	v_fma_f64 v[128:129], -v[124:125], v[126:127], 1.0
	s_delay_alu instid0(VALU_DEP_1) | instskip(NEXT) | instid1(VALU_DEP_1)
	v_fmac_f64_e32 v[126:127], v[126:127], v[128:129]
	v_mul_f64_e32 v[128:129], v[130:131], v[126:127]
	s_delay_alu instid0(VALU_DEP_1) | instskip(NEXT) | instid1(VALU_DEP_1)
	v_fma_f64 v[124:125], -v[124:125], v[128:129], v[130:131]
	v_div_fmas_f64 v[124:125], v[124:125], v[126:127], v[128:129]
	s_delay_alu instid0(VALU_DEP_1)
	v_div_fixup_f64 v[122:123], v[124:125], v[122:123], 1.0
	scratch_store_b64 v3, v[122:123], off
	scratch_load_b64 v[124:125], off, off offset:8
	s_wait_xcnt 0x1
	v_xor_b32_e32 v123, 0x80000000, v123
	s_wait_loadcnt 0x0
	ds_store_2addr_b64 v2, v[122:123], v[124:125] offset1:60
	s_wait_storecnt_dscnt 0x0
	s_barrier_signal -1
	s_barrier_wait -1
	s_wait_xcnt 0x0
	s_and_saveexec_b32 s1, s0
	s_cbranch_execz .LBB122_15
; %bb.14:
	scratch_load_b64 v[122:123], v3, off
	ds_load_b64 v[124:125], v1
	s_wait_loadcnt_dscnt 0x0
	v_fma_f64 v[122:123], v[122:123], v[124:125], 0
	v_mov_b32_e32 v9, 0
	ds_load_b64 v[126:127], v9 offset:8
	s_wait_dscnt 0x0
	v_mul_f64_e32 v[122:123], v[122:123], v[126:127]
	scratch_store_b64 off, v[122:123], off offset:8
.LBB122_15:
	s_wait_xcnt 0x0
	s_or_b32 exec_lo, exec_lo, s1
	s_wait_storecnt 0x0
	s_barrier_signal -1
	s_barrier_wait -1
	scratch_load_b64 v[122:123], off, off offset:16
	s_mov_b32 s1, exec_lo
	s_wait_loadcnt 0x0
	ds_store_b64 v1, v[122:123]
	s_wait_dscnt 0x0
	s_barrier_signal -1
	s_barrier_wait -1
	v_cmpx_gt_u32_e32 2, v0
	s_cbranch_execz .LBB122_19
; %bb.16:
	scratch_load_b64 v[122:123], v3, off
	ds_load_b64 v[124:125], v1
	s_wait_loadcnt_dscnt 0x0
	v_fma_f64 v[122:123], v[122:123], v[124:125], 0
	s_and_saveexec_b32 s4, s0
	s_cbranch_execz .LBB122_18
; %bb.17:
	scratch_load_b64 v[124:125], off, off offset:8
	v_mov_b32_e32 v3, 0
	ds_load_b64 v[126:127], v3 offset:488
	s_wait_loadcnt_dscnt 0x0
	v_fmac_f64_e32 v[122:123], v[124:125], v[126:127]
.LBB122_18:
	s_or_b32 exec_lo, exec_lo, s4
	v_mov_b32_e32 v3, 0
	ds_load_b64 v[124:125], v3 offset:16
	s_wait_dscnt 0x0
	v_mul_f64_e32 v[122:123], v[122:123], v[124:125]
	scratch_store_b64 off, v[122:123], off offset:16
.LBB122_19:
	s_wait_xcnt 0x0
	s_or_b32 exec_lo, exec_lo, s1
	s_wait_storecnt 0x0
	s_barrier_signal -1
	s_barrier_wait -1
	scratch_load_b64 v[122:123], off, off offset:24
	v_add_nc_u32_e32 v3, -1, v0
	s_mov_b32 s0, exec_lo
	s_wait_loadcnt 0x0
	ds_store_b64 v1, v[122:123]
	s_wait_dscnt 0x0
	s_barrier_signal -1
	s_barrier_wait -1
	v_cmpx_gt_u32_e32 3, v0
	s_cbranch_execz .LBB122_23
; %bb.20:
	v_mov_b64_e32 v[122:123], 0
	v_dual_add_nc_u32 v9, -1, v0 :: v_dual_mov_b32 v13, v2
	v_add_nc_u32_e32 v11, 0x1e0, v2
	s_mov_b32 s1, 0
.LBB122_21:                             ; =>This Inner Loop Header: Depth=1
	scratch_load_b64 v[124:125], v13, off
	ds_load_b64 v[126:127], v11
	v_dual_add_nc_u32 v9, 1, v9 :: v_dual_add_nc_u32 v11, 8, v11
	s_wait_xcnt 0x0
	v_add_nc_u32_e32 v13, 8, v13
	s_delay_alu instid0(VALU_DEP_2)
	v_cmp_lt_u32_e32 vcc_lo, 1, v9
	s_or_b32 s1, vcc_lo, s1
	s_wait_loadcnt_dscnt 0x0
	v_fmac_f64_e32 v[122:123], v[124:125], v[126:127]
	s_and_not1_b32 exec_lo, exec_lo, s1
	s_cbranch_execnz .LBB122_21
; %bb.22:
	s_or_b32 exec_lo, exec_lo, s1
	v_mov_b32_e32 v9, 0
	ds_load_b64 v[124:125], v9 offset:24
	s_wait_dscnt 0x0
	v_mul_f64_e32 v[122:123], v[122:123], v[124:125]
	scratch_store_b64 off, v[122:123], off offset:24
.LBB122_23:
	s_wait_xcnt 0x0
	s_or_b32 exec_lo, exec_lo, s0
	s_wait_storecnt 0x0
	s_barrier_signal -1
	s_barrier_wait -1
	scratch_load_b64 v[122:123], off, off offset:32
	s_mov_b32 s0, exec_lo
	s_wait_loadcnt 0x0
	ds_store_b64 v1, v[122:123]
	s_wait_dscnt 0x0
	s_barrier_signal -1
	s_barrier_wait -1
	v_cmpx_gt_u32_e32 4, v0
	s_cbranch_execz .LBB122_27
; %bb.24:
	v_mov_b64_e32 v[122:123], 0
	v_dual_add_nc_u32 v9, -1, v0 :: v_dual_mov_b32 v13, v2
	v_add_nc_u32_e32 v11, 0x1e0, v2
	s_mov_b32 s1, 0
.LBB122_25:                             ; =>This Inner Loop Header: Depth=1
	scratch_load_b64 v[124:125], v13, off
	ds_load_b64 v[126:127], v11
	v_dual_add_nc_u32 v9, 1, v9 :: v_dual_add_nc_u32 v11, 8, v11
	s_wait_xcnt 0x0
	v_add_nc_u32_e32 v13, 8, v13
	s_delay_alu instid0(VALU_DEP_2)
	v_cmp_lt_u32_e32 vcc_lo, 2, v9
	s_or_b32 s1, vcc_lo, s1
	s_wait_loadcnt_dscnt 0x0
	v_fmac_f64_e32 v[122:123], v[124:125], v[126:127]
	s_and_not1_b32 exec_lo, exec_lo, s1
	s_cbranch_execnz .LBB122_25
; %bb.26:
	s_or_b32 exec_lo, exec_lo, s1
	v_mov_b32_e32 v9, 0
	ds_load_b64 v[124:125], v9 offset:32
	s_wait_dscnt 0x0
	v_mul_f64_e32 v[122:123], v[122:123], v[124:125]
	scratch_store_b64 off, v[122:123], off offset:32
.LBB122_27:
	s_wait_xcnt 0x0
	s_or_b32 exec_lo, exec_lo, s0
	s_wait_storecnt 0x0
	s_barrier_signal -1
	s_barrier_wait -1
	scratch_load_b64 v[122:123], off, off offset:40
	;; [unrolled: 40-line block ×20, first 2 shown]
	s_mov_b32 s0, exec_lo
	s_wait_loadcnt 0x0
	ds_store_b64 v1, v[122:123]
	s_wait_dscnt 0x0
	s_barrier_signal -1
	s_barrier_wait -1
	v_cmpx_gt_u32_e32 23, v0
	s_cbranch_execz .LBB122_103
; %bb.100:
	v_mov_b64_e32 v[122:123], 0
	v_dual_add_nc_u32 v9, -1, v0 :: v_dual_mov_b32 v13, v2
	v_add_nc_u32_e32 v11, 0x1e0, v2
	s_mov_b32 s1, 0
.LBB122_101:                            ; =>This Inner Loop Header: Depth=1
	scratch_load_b64 v[124:125], v13, off
	ds_load_b64 v[126:127], v11
	v_dual_add_nc_u32 v9, 1, v9 :: v_dual_add_nc_u32 v11, 8, v11
	s_wait_xcnt 0x0
	v_add_nc_u32_e32 v13, 8, v13
	s_delay_alu instid0(VALU_DEP_2)
	v_cmp_lt_u32_e32 vcc_lo, 21, v9
	s_or_b32 s1, vcc_lo, s1
	s_wait_loadcnt_dscnt 0x0
	v_fmac_f64_e32 v[122:123], v[124:125], v[126:127]
	s_and_not1_b32 exec_lo, exec_lo, s1
	s_cbranch_execnz .LBB122_101
; %bb.102:
	s_or_b32 exec_lo, exec_lo, s1
	v_mov_b32_e32 v9, 0
	ds_load_b64 v[124:125], v9 offset:184
	s_wait_dscnt 0x0
	v_mul_f64_e32 v[122:123], v[122:123], v[124:125]
	scratch_store_b64 off, v[122:123], off offset:184
.LBB122_103:
	s_wait_xcnt 0x0
	s_or_b32 exec_lo, exec_lo, s0
	s_wait_storecnt 0x0
	s_barrier_signal -1
	s_barrier_wait -1
	scratch_load_b64 v[122:123], off, off offset:192
	s_mov_b32 s0, exec_lo
	s_wait_loadcnt 0x0
	ds_store_b64 v1, v[122:123]
	s_wait_dscnt 0x0
	s_barrier_signal -1
	s_barrier_wait -1
	v_cmpx_gt_u32_e32 24, v0
	s_cbranch_execz .LBB122_107
; %bb.104:
	v_mov_b64_e32 v[122:123], 0
	v_dual_add_nc_u32 v9, -1, v0 :: v_dual_mov_b32 v13, v2
	v_add_nc_u32_e32 v11, 0x1e0, v2
	s_mov_b32 s1, 0
.LBB122_105:                            ; =>This Inner Loop Header: Depth=1
	scratch_load_b64 v[124:125], v13, off
	ds_load_b64 v[126:127], v11
	v_dual_add_nc_u32 v9, 1, v9 :: v_dual_add_nc_u32 v11, 8, v11
	s_wait_xcnt 0x0
	v_add_nc_u32_e32 v13, 8, v13
	s_delay_alu instid0(VALU_DEP_2)
	v_cmp_lt_u32_e32 vcc_lo, 22, v9
	s_or_b32 s1, vcc_lo, s1
	s_wait_loadcnt_dscnt 0x0
	v_fmac_f64_e32 v[122:123], v[124:125], v[126:127]
	s_and_not1_b32 exec_lo, exec_lo, s1
	s_cbranch_execnz .LBB122_105
; %bb.106:
	s_or_b32 exec_lo, exec_lo, s1
	v_mov_b32_e32 v9, 0
	ds_load_b64 v[124:125], v9 offset:192
	s_wait_dscnt 0x0
	v_mul_f64_e32 v[122:123], v[122:123], v[124:125]
	scratch_store_b64 off, v[122:123], off offset:192
.LBB122_107:
	s_wait_xcnt 0x0
	s_or_b32 exec_lo, exec_lo, s0
	s_wait_storecnt 0x0
	s_barrier_signal -1
	s_barrier_wait -1
	scratch_load_b64 v[122:123], off, off offset:200
	;; [unrolled: 40-line block ×35, first 2 shown]
	s_mov_b32 s0, exec_lo
	s_wait_loadcnt 0x0
	ds_store_b64 v1, v[122:123]
	s_wait_dscnt 0x0
	s_barrier_signal -1
	s_barrier_wait -1
	v_cmpx_ne_u32_e32 58, v0
	s_cbranch_execz .LBB122_243
; %bb.240:
	v_mov_b64_e32 v[122:123], 0
	s_mov_b32 s1, 0
.LBB122_241:                            ; =>This Inner Loop Header: Depth=1
	scratch_load_b64 v[124:125], v2, off
	ds_load_b64 v[126:127], v1
	v_dual_add_nc_u32 v3, 1, v3 :: v_dual_add_nc_u32 v1, 8, v1
	s_wait_xcnt 0x0
	v_add_nc_u32_e32 v2, 8, v2
	s_delay_alu instid0(VALU_DEP_2)
	v_cmp_lt_u32_e32 vcc_lo, 56, v3
	s_or_b32 s1, vcc_lo, s1
	s_wait_loadcnt_dscnt 0x0
	v_fmac_f64_e32 v[122:123], v[124:125], v[126:127]
	s_and_not1_b32 exec_lo, exec_lo, s1
	s_cbranch_execnz .LBB122_241
; %bb.242:
	s_or_b32 exec_lo, exec_lo, s1
	v_mov_b32_e32 v1, 0
	ds_load_b64 v[2:3], v1 offset:464
	s_wait_dscnt 0x0
	v_mul_f64_e32 v[2:3], v[122:123], v[2:3]
	scratch_store_b64 off, v[2:3], off offset:464
.LBB122_243:
	s_wait_xcnt 0x0
	s_or_b32 exec_lo, exec_lo, s0
	s_mov_b32 s1, -1
	s_wait_storecnt 0x0
	s_barrier_signal -1
	s_barrier_wait -1
.LBB122_244:
	s_and_b32 vcc_lo, exec_lo, s1
	s_cbranch_vccz .LBB122_246
; %bb.245:
	v_mov_b32_e32 v1, 0
	s_lshl_b64 s[0:1], s[10:11], 2
	s_delay_alu instid0(SALU_CYCLE_1)
	s_add_nc_u64 s[0:1], s[6:7], s[0:1]
	global_load_b32 v1, v1, s[0:1]
	s_wait_loadcnt 0x0
	v_cmp_ne_u32_e32 vcc_lo, 0, v1
	s_cbranch_vccz .LBB122_247
.LBB122_246:
	s_sendmsg sendmsg(MSG_DEALLOC_VGPRS)
	s_endpgm
.LBB122_247:
	s_wait_xcnt 0x0
	v_lshl_add_u32 v1, v0, 3, 0x1e0
	s_mov_b32 s0, exec_lo
	v_cmpx_eq_u32_e32 58, v0
	s_cbranch_execz .LBB122_249
; %bb.248:
	scratch_load_b64 v[2:3], off, off offset:456
	v_mov_b64_e32 v[122:123], 0
	scratch_store_b64 off, v[122:123], off offset:456
	s_wait_loadcnt 0x0
	ds_store_b64 v1, v[2:3]
.LBB122_249:
	s_wait_xcnt 0x0
	s_or_b32 exec_lo, exec_lo, s0
	s_wait_storecnt_dscnt 0x0
	s_barrier_signal -1
	s_barrier_wait -1
	scratch_load_b128 v[122:125], off, off offset:456
	v_mov_b32_e32 v2, 0
	s_mov_b32 s0, exec_lo
	ds_load_b64 v[126:127], v2 offset:944
	s_wait_loadcnt_dscnt 0x0
	v_fma_f64 v[124:125], v[124:125], v[126:127], 0
	s_delay_alu instid0(VALU_DEP_1)
	v_add_f64_e64 v[122:123], v[122:123], -v[124:125]
	scratch_store_b64 off, v[122:123], off offset:456
	s_wait_xcnt 0x0
	v_cmpx_lt_u32_e32 56, v0
	s_cbranch_execz .LBB122_251
; %bb.250:
	scratch_load_b64 v[122:123], off, off offset:448
	v_mov_b64_e32 v[124:125], 0
	scratch_store_b64 off, v[124:125], off offset:448
	s_wait_loadcnt 0x0
	ds_store_b64 v1, v[122:123]
.LBB122_251:
	s_wait_xcnt 0x0
	s_or_b32 exec_lo, exec_lo, s0
	s_wait_storecnt_dscnt 0x0
	s_barrier_signal -1
	s_barrier_wait -1
	s_clause 0x1
	scratch_load_b128 v[122:125], off, off offset:448
	scratch_load_b64 v[130:131], off, off offset:464
	ds_load_2addr_b64 v[126:129], v2 offset0:117 offset1:118
	s_mov_b32 s0, exec_lo
	s_wait_loadcnt_dscnt 0x100
	v_fma_f64 v[2:3], v[124:125], v[126:127], 0
	s_wait_loadcnt 0x0
	s_delay_alu instid0(VALU_DEP_1) | instskip(NEXT) | instid1(VALU_DEP_1)
	v_fmac_f64_e32 v[2:3], v[130:131], v[128:129]
	v_add_f64_e64 v[2:3], v[122:123], -v[2:3]
	scratch_store_b64 off, v[2:3], off offset:448
	s_wait_xcnt 0x0
	v_cmpx_lt_u32_e32 55, v0
	s_cbranch_execz .LBB122_253
; %bb.252:
	scratch_load_b64 v[2:3], off, off offset:440
	v_mov_b64_e32 v[122:123], 0
	scratch_store_b64 off, v[122:123], off offset:440
	s_wait_loadcnt 0x0
	ds_store_b64 v1, v[2:3]
.LBB122_253:
	s_wait_xcnt 0x0
	s_or_b32 exec_lo, exec_lo, s0
	s_wait_storecnt_dscnt 0x0
	s_barrier_signal -1
	s_barrier_wait -1
	s_clause 0x1
	scratch_load_b128 v[122:125], off, off offset:440
	scratch_load_b128 v[126:129], off, off offset:456
	v_mov_b32_e32 v2, 0
	ds_load_b128 v[130:133], v2 offset:928
	ds_load_b64 v[134:135], v2 offset:944
	s_mov_b32 s0, exec_lo
	s_wait_loadcnt_dscnt 0x101
	v_fma_f64 v[124:125], v[124:125], v[130:131], 0
	s_wait_loadcnt 0x0
	s_delay_alu instid0(VALU_DEP_1) | instskip(SKIP_1) | instid1(VALU_DEP_1)
	v_fmac_f64_e32 v[124:125], v[126:127], v[132:133]
	s_wait_dscnt 0x0
	v_fmac_f64_e32 v[124:125], v[128:129], v[134:135]
	s_delay_alu instid0(VALU_DEP_1)
	v_add_f64_e64 v[122:123], v[122:123], -v[124:125]
	scratch_store_b64 off, v[122:123], off offset:440
	s_wait_xcnt 0x0
	v_cmpx_lt_u32_e32 54, v0
	s_cbranch_execz .LBB122_255
; %bb.254:
	scratch_load_b64 v[122:123], off, off offset:432
	v_mov_b64_e32 v[124:125], 0
	scratch_store_b64 off, v[124:125], off offset:432
	s_wait_loadcnt 0x0
	ds_store_b64 v1, v[122:123]
.LBB122_255:
	s_wait_xcnt 0x0
	s_or_b32 exec_lo, exec_lo, s0
	s_wait_storecnt_dscnt 0x0
	s_barrier_signal -1
	s_barrier_wait -1
	s_clause 0x2
	scratch_load_b128 v[122:125], off, off offset:432
	scratch_load_b128 v[126:129], off, off offset:448
	scratch_load_b64 v[138:139], off, off offset:464
	ds_load_2addr_b64 v[130:133], v2 offset0:115 offset1:116
	ds_load_2addr_b64 v[134:137], v2 offset0:117 offset1:118
	s_mov_b32 s0, exec_lo
	s_wait_loadcnt_dscnt 0x201
	v_fma_f64 v[2:3], v[124:125], v[130:131], 0
	s_wait_loadcnt 0x1
	s_delay_alu instid0(VALU_DEP_1) | instskip(SKIP_1) | instid1(VALU_DEP_1)
	v_fmac_f64_e32 v[2:3], v[126:127], v[132:133]
	s_wait_dscnt 0x0
	v_fmac_f64_e32 v[2:3], v[128:129], v[134:135]
	s_wait_loadcnt 0x0
	s_delay_alu instid0(VALU_DEP_1) | instskip(NEXT) | instid1(VALU_DEP_1)
	v_fmac_f64_e32 v[2:3], v[138:139], v[136:137]
	v_add_f64_e64 v[2:3], v[122:123], -v[2:3]
	scratch_store_b64 off, v[2:3], off offset:432
	s_wait_xcnt 0x0
	v_cmpx_lt_u32_e32 53, v0
	s_cbranch_execz .LBB122_257
; %bb.256:
	scratch_load_b64 v[2:3], off, off offset:424
	v_mov_b64_e32 v[122:123], 0
	scratch_store_b64 off, v[122:123], off offset:424
	s_wait_loadcnt 0x0
	ds_store_b64 v1, v[2:3]
.LBB122_257:
	s_wait_xcnt 0x0
	s_or_b32 exec_lo, exec_lo, s0
	s_wait_storecnt_dscnt 0x0
	s_barrier_signal -1
	s_barrier_wait -1
	s_clause 0x2
	scratch_load_b128 v[122:125], off, off offset:424
	scratch_load_b128 v[126:129], off, off offset:440
	;; [unrolled: 1-line block ×3, first 2 shown]
	v_mov_b32_e32 v2, 0
	ds_load_b128 v[134:137], v2 offset:912
	ds_load_b128 v[138:141], v2 offset:928
	s_mov_b32 s0, exec_lo
	s_wait_loadcnt_dscnt 0x201
	v_fma_f64 v[124:125], v[124:125], v[134:135], 0
	s_wait_loadcnt 0x1
	s_delay_alu instid0(VALU_DEP_1) | instskip(SKIP_4) | instid1(VALU_DEP_1)
	v_fmac_f64_e32 v[124:125], v[126:127], v[136:137]
	ds_load_b64 v[126:127], v2 offset:944
	s_wait_dscnt 0x1
	v_fmac_f64_e32 v[124:125], v[128:129], v[138:139]
	s_wait_loadcnt 0x0
	v_fmac_f64_e32 v[124:125], v[130:131], v[140:141]
	s_wait_dscnt 0x0
	s_delay_alu instid0(VALU_DEP_1) | instskip(NEXT) | instid1(VALU_DEP_1)
	v_fmac_f64_e32 v[124:125], v[132:133], v[126:127]
	v_add_f64_e64 v[122:123], v[122:123], -v[124:125]
	scratch_store_b64 off, v[122:123], off offset:424
	s_wait_xcnt 0x0
	v_cmpx_lt_u32_e32 52, v0
	s_cbranch_execz .LBB122_259
; %bb.258:
	scratch_load_b64 v[122:123], off, off offset:416
	v_mov_b64_e32 v[124:125], 0
	scratch_store_b64 off, v[124:125], off offset:416
	s_wait_loadcnt 0x0
	ds_store_b64 v1, v[122:123]
.LBB122_259:
	s_wait_xcnt 0x0
	s_or_b32 exec_lo, exec_lo, s0
	s_wait_storecnt_dscnt 0x0
	s_barrier_signal -1
	s_barrier_wait -1
	s_clause 0x3
	scratch_load_b128 v[122:125], off, off offset:416
	scratch_load_b128 v[126:129], off, off offset:432
	;; [unrolled: 1-line block ×3, first 2 shown]
	scratch_load_b64 v[142:143], off, off offset:464
	ds_load_2addr_b64 v[134:137], v2 offset0:113 offset1:114
	ds_load_2addr_b64 v[138:141], v2 offset0:115 offset1:116
	s_mov_b32 s0, exec_lo
	s_wait_loadcnt_dscnt 0x301
	v_fma_f64 v[134:135], v[124:125], v[134:135], 0
	s_wait_loadcnt 0x2
	s_delay_alu instid0(VALU_DEP_1) | instskip(SKIP_4) | instid1(VALU_DEP_1)
	v_fmac_f64_e32 v[134:135], v[126:127], v[136:137]
	ds_load_2addr_b64 v[124:127], v2 offset0:117 offset1:118
	s_wait_dscnt 0x1
	v_fmac_f64_e32 v[134:135], v[128:129], v[138:139]
	s_wait_loadcnt 0x1
	v_fmac_f64_e32 v[134:135], v[130:131], v[140:141]
	s_wait_dscnt 0x0
	s_delay_alu instid0(VALU_DEP_1) | instskip(SKIP_1) | instid1(VALU_DEP_1)
	v_fmac_f64_e32 v[134:135], v[132:133], v[124:125]
	s_wait_loadcnt 0x0
	v_fmac_f64_e32 v[134:135], v[142:143], v[126:127]
	s_delay_alu instid0(VALU_DEP_1)
	v_add_f64_e64 v[2:3], v[122:123], -v[134:135]
	scratch_store_b64 off, v[2:3], off offset:416
	s_wait_xcnt 0x0
	v_cmpx_lt_u32_e32 51, v0
	s_cbranch_execz .LBB122_261
; %bb.260:
	scratch_load_b64 v[2:3], off, off offset:408
	v_mov_b64_e32 v[122:123], 0
	scratch_store_b64 off, v[122:123], off offset:408
	s_wait_loadcnt 0x0
	ds_store_b64 v1, v[2:3]
.LBB122_261:
	s_wait_xcnt 0x0
	s_or_b32 exec_lo, exec_lo, s0
	s_wait_storecnt_dscnt 0x0
	s_barrier_signal -1
	s_barrier_wait -1
	s_clause 0x3
	scratch_load_b128 v[122:125], off, off offset:408
	scratch_load_b128 v[126:129], off, off offset:424
	;; [unrolled: 1-line block ×4, first 2 shown]
	v_mov_b32_e32 v2, 0
	ds_load_b128 v[138:141], v2 offset:896
	ds_load_b128 v[142:145], v2 offset:912
	s_mov_b32 s0, exec_lo
	s_wait_loadcnt_dscnt 0x301
	v_fma_f64 v[138:139], v[124:125], v[138:139], 0
	s_wait_loadcnt 0x2
	s_delay_alu instid0(VALU_DEP_1) | instskip(SKIP_1) | instid1(VALU_DEP_1)
	v_fmac_f64_e32 v[138:139], v[126:127], v[140:141]
	s_wait_dscnt 0x0
	v_fmac_f64_e32 v[138:139], v[128:129], v[142:143]
	ds_load_b128 v[124:127], v2 offset:928
	ds_load_b64 v[128:129], v2 offset:944
	s_wait_loadcnt 0x1
	v_fmac_f64_e32 v[138:139], v[130:131], v[144:145]
	s_wait_dscnt 0x1
	s_delay_alu instid0(VALU_DEP_1) | instskip(SKIP_1) | instid1(VALU_DEP_1)
	v_fmac_f64_e32 v[138:139], v[132:133], v[124:125]
	s_wait_loadcnt 0x0
	v_fmac_f64_e32 v[138:139], v[134:135], v[126:127]
	s_wait_dscnt 0x0
	s_delay_alu instid0(VALU_DEP_1) | instskip(NEXT) | instid1(VALU_DEP_1)
	v_fmac_f64_e32 v[138:139], v[136:137], v[128:129]
	v_add_f64_e64 v[122:123], v[122:123], -v[138:139]
	scratch_store_b64 off, v[122:123], off offset:408
	s_wait_xcnt 0x0
	v_cmpx_lt_u32_e32 50, v0
	s_cbranch_execz .LBB122_263
; %bb.262:
	scratch_load_b64 v[122:123], off, off offset:400
	v_mov_b64_e32 v[124:125], 0
	scratch_store_b64 off, v[124:125], off offset:400
	s_wait_loadcnt 0x0
	ds_store_b64 v1, v[122:123]
.LBB122_263:
	s_wait_xcnt 0x0
	s_or_b32 exec_lo, exec_lo, s0
	s_wait_storecnt_dscnt 0x0
	s_barrier_signal -1
	s_barrier_wait -1
	s_clause 0x4
	scratch_load_b128 v[122:125], off, off offset:400
	scratch_load_b128 v[126:129], off, off offset:416
	;; [unrolled: 1-line block ×4, first 2 shown]
	scratch_load_b64 v[146:147], off, off offset:464
	ds_load_2addr_b64 v[138:141], v2 offset0:111 offset1:112
	ds_load_2addr_b64 v[142:145], v2 offset0:113 offset1:114
	s_mov_b32 s0, exec_lo
	s_wait_loadcnt_dscnt 0x401
	v_fma_f64 v[138:139], v[124:125], v[138:139], 0
	s_wait_loadcnt 0x3
	s_delay_alu instid0(VALU_DEP_1) | instskip(SKIP_1) | instid1(VALU_DEP_1)
	v_fmac_f64_e32 v[138:139], v[126:127], v[140:141]
	s_wait_dscnt 0x0
	v_fmac_f64_e32 v[138:139], v[128:129], v[142:143]
	s_wait_loadcnt 0x2
	s_delay_alu instid0(VALU_DEP_1)
	v_fmac_f64_e32 v[138:139], v[130:131], v[144:145]
	ds_load_2addr_b64 v[124:127], v2 offset0:115 offset1:116
	ds_load_2addr_b64 v[128:131], v2 offset0:117 offset1:118
	s_wait_dscnt 0x1
	v_fmac_f64_e32 v[138:139], v[132:133], v[124:125]
	s_wait_loadcnt 0x1
	s_delay_alu instid0(VALU_DEP_1) | instskip(SKIP_1) | instid1(VALU_DEP_1)
	v_fmac_f64_e32 v[138:139], v[134:135], v[126:127]
	s_wait_dscnt 0x0
	v_fmac_f64_e32 v[138:139], v[136:137], v[128:129]
	s_wait_loadcnt 0x0
	s_delay_alu instid0(VALU_DEP_1) | instskip(NEXT) | instid1(VALU_DEP_1)
	v_fmac_f64_e32 v[138:139], v[146:147], v[130:131]
	v_add_f64_e64 v[2:3], v[122:123], -v[138:139]
	scratch_store_b64 off, v[2:3], off offset:400
	s_wait_xcnt 0x0
	v_cmpx_lt_u32_e32 49, v0
	s_cbranch_execz .LBB122_265
; %bb.264:
	scratch_load_b64 v[2:3], off, off offset:392
	v_mov_b64_e32 v[122:123], 0
	scratch_store_b64 off, v[122:123], off offset:392
	s_wait_loadcnt 0x0
	ds_store_b64 v1, v[2:3]
.LBB122_265:
	s_wait_xcnt 0x0
	s_or_b32 exec_lo, exec_lo, s0
	s_wait_storecnt_dscnt 0x0
	s_barrier_signal -1
	s_barrier_wait -1
	s_clause 0x4
	scratch_load_b128 v[122:125], off, off offset:392
	scratch_load_b128 v[126:129], off, off offset:408
	;; [unrolled: 1-line block ×5, first 2 shown]
	v_mov_b32_e32 v2, 0
	ds_load_b128 v[142:145], v2 offset:880
	ds_load_b128 v[146:149], v2 offset:896
	s_mov_b32 s0, exec_lo
	s_wait_loadcnt_dscnt 0x401
	v_fma_f64 v[142:143], v[124:125], v[142:143], 0
	s_wait_loadcnt 0x3
	s_delay_alu instid0(VALU_DEP_1) | instskip(SKIP_1) | instid1(VALU_DEP_1)
	v_fmac_f64_e32 v[142:143], v[126:127], v[144:145]
	s_wait_dscnt 0x0
	v_fmac_f64_e32 v[142:143], v[128:129], v[146:147]
	s_wait_loadcnt 0x2
	s_delay_alu instid0(VALU_DEP_1)
	v_fmac_f64_e32 v[142:143], v[130:131], v[148:149]
	ds_load_b128 v[124:127], v2 offset:912
	ds_load_b128 v[128:131], v2 offset:928
	s_wait_dscnt 0x1
	v_fmac_f64_e32 v[142:143], v[132:133], v[124:125]
	ds_load_b64 v[124:125], v2 offset:944
	s_wait_loadcnt 0x1
	v_fmac_f64_e32 v[142:143], v[134:135], v[126:127]
	s_wait_dscnt 0x1
	s_delay_alu instid0(VALU_DEP_1) | instskip(SKIP_1) | instid1(VALU_DEP_1)
	v_fmac_f64_e32 v[142:143], v[136:137], v[128:129]
	s_wait_loadcnt 0x0
	v_fmac_f64_e32 v[142:143], v[138:139], v[130:131]
	s_wait_dscnt 0x0
	s_delay_alu instid0(VALU_DEP_1) | instskip(NEXT) | instid1(VALU_DEP_1)
	v_fmac_f64_e32 v[142:143], v[140:141], v[124:125]
	v_add_f64_e64 v[122:123], v[122:123], -v[142:143]
	scratch_store_b64 off, v[122:123], off offset:392
	s_wait_xcnt 0x0
	v_cmpx_lt_u32_e32 48, v0
	s_cbranch_execz .LBB122_267
; %bb.266:
	scratch_load_b64 v[122:123], off, off offset:384
	v_mov_b64_e32 v[124:125], 0
	scratch_store_b64 off, v[124:125], off offset:384
	s_wait_loadcnt 0x0
	ds_store_b64 v1, v[122:123]
.LBB122_267:
	s_wait_xcnt 0x0
	s_or_b32 exec_lo, exec_lo, s0
	s_wait_storecnt_dscnt 0x0
	s_barrier_signal -1
	s_barrier_wait -1
	s_clause 0x5
	scratch_load_b128 v[122:125], off, off offset:384
	scratch_load_b128 v[126:129], off, off offset:400
	;; [unrolled: 1-line block ×5, first 2 shown]
	scratch_load_b64 v[150:151], off, off offset:464
	ds_load_2addr_b64 v[142:145], v2 offset0:109 offset1:110
	ds_load_2addr_b64 v[146:149], v2 offset0:111 offset1:112
	s_mov_b32 s0, exec_lo
	s_wait_loadcnt_dscnt 0x501
	v_fma_f64 v[142:143], v[124:125], v[142:143], 0
	s_wait_loadcnt 0x4
	s_delay_alu instid0(VALU_DEP_1) | instskip(SKIP_1) | instid1(VALU_DEP_1)
	v_fmac_f64_e32 v[142:143], v[126:127], v[144:145]
	s_wait_dscnt 0x0
	v_fmac_f64_e32 v[142:143], v[128:129], v[146:147]
	s_wait_loadcnt 0x3
	s_delay_alu instid0(VALU_DEP_1)
	v_fmac_f64_e32 v[142:143], v[130:131], v[148:149]
	ds_load_2addr_b64 v[124:127], v2 offset0:113 offset1:114
	ds_load_2addr_b64 v[128:131], v2 offset0:115 offset1:116
	s_wait_dscnt 0x1
	v_fmac_f64_e32 v[142:143], v[132:133], v[124:125]
	s_wait_loadcnt 0x2
	s_delay_alu instid0(VALU_DEP_1) | instskip(SKIP_4) | instid1(VALU_DEP_1)
	v_fmac_f64_e32 v[142:143], v[134:135], v[126:127]
	ds_load_2addr_b64 v[124:127], v2 offset0:117 offset1:118
	s_wait_dscnt 0x1
	v_fmac_f64_e32 v[142:143], v[136:137], v[128:129]
	s_wait_loadcnt 0x1
	v_fmac_f64_e32 v[142:143], v[138:139], v[130:131]
	s_wait_dscnt 0x0
	s_delay_alu instid0(VALU_DEP_1) | instskip(SKIP_1) | instid1(VALU_DEP_1)
	v_fmac_f64_e32 v[142:143], v[140:141], v[124:125]
	s_wait_loadcnt 0x0
	v_fmac_f64_e32 v[142:143], v[150:151], v[126:127]
	s_delay_alu instid0(VALU_DEP_1)
	v_add_f64_e64 v[2:3], v[122:123], -v[142:143]
	scratch_store_b64 off, v[2:3], off offset:384
	s_wait_xcnt 0x0
	v_cmpx_lt_u32_e32 47, v0
	s_cbranch_execz .LBB122_269
; %bb.268:
	scratch_load_b64 v[2:3], off, off offset:376
	v_mov_b64_e32 v[122:123], 0
	scratch_store_b64 off, v[122:123], off offset:376
	s_wait_loadcnt 0x0
	ds_store_b64 v1, v[2:3]
.LBB122_269:
	s_wait_xcnt 0x0
	s_or_b32 exec_lo, exec_lo, s0
	s_wait_storecnt_dscnt 0x0
	s_barrier_signal -1
	s_barrier_wait -1
	s_clause 0x5
	scratch_load_b128 v[122:125], off, off offset:376
	scratch_load_b128 v[126:129], off, off offset:392
	;; [unrolled: 1-line block ×6, first 2 shown]
	v_mov_b32_e32 v2, 0
	ds_load_b128 v[146:149], v2 offset:864
	ds_load_b128 v[150:153], v2 offset:880
	s_mov_b32 s0, exec_lo
	s_wait_loadcnt_dscnt 0x501
	v_fma_f64 v[146:147], v[124:125], v[146:147], 0
	s_wait_loadcnt 0x4
	s_delay_alu instid0(VALU_DEP_1) | instskip(SKIP_1) | instid1(VALU_DEP_1)
	v_fmac_f64_e32 v[146:147], v[126:127], v[148:149]
	s_wait_dscnt 0x0
	v_fmac_f64_e32 v[146:147], v[128:129], v[150:151]
	s_wait_loadcnt 0x3
	s_delay_alu instid0(VALU_DEP_1)
	v_fmac_f64_e32 v[146:147], v[130:131], v[152:153]
	ds_load_b128 v[124:127], v2 offset:896
	ds_load_b128 v[128:131], v2 offset:912
	s_wait_dscnt 0x1
	v_fmac_f64_e32 v[146:147], v[132:133], v[124:125]
	s_wait_loadcnt 0x2
	s_delay_alu instid0(VALU_DEP_1) | instskip(SKIP_1) | instid1(VALU_DEP_1)
	v_fmac_f64_e32 v[146:147], v[134:135], v[126:127]
	s_wait_dscnt 0x0
	v_fmac_f64_e32 v[146:147], v[136:137], v[128:129]
	ds_load_b128 v[124:127], v2 offset:928
	ds_load_b64 v[128:129], v2 offset:944
	s_wait_loadcnt 0x1
	v_fmac_f64_e32 v[146:147], v[138:139], v[130:131]
	s_wait_dscnt 0x1
	s_delay_alu instid0(VALU_DEP_1) | instskip(SKIP_1) | instid1(VALU_DEP_1)
	v_fmac_f64_e32 v[146:147], v[140:141], v[124:125]
	s_wait_loadcnt 0x0
	v_fmac_f64_e32 v[146:147], v[142:143], v[126:127]
	s_wait_dscnt 0x0
	s_delay_alu instid0(VALU_DEP_1) | instskip(NEXT) | instid1(VALU_DEP_1)
	v_fmac_f64_e32 v[146:147], v[144:145], v[128:129]
	v_add_f64_e64 v[122:123], v[122:123], -v[146:147]
	scratch_store_b64 off, v[122:123], off offset:376
	s_wait_xcnt 0x0
	v_cmpx_lt_u32_e32 46, v0
	s_cbranch_execz .LBB122_271
; %bb.270:
	scratch_load_b64 v[122:123], off, off offset:368
	v_mov_b64_e32 v[124:125], 0
	scratch_store_b64 off, v[124:125], off offset:368
	s_wait_loadcnt 0x0
	ds_store_b64 v1, v[122:123]
.LBB122_271:
	s_wait_xcnt 0x0
	s_or_b32 exec_lo, exec_lo, s0
	s_wait_storecnt_dscnt 0x0
	s_barrier_signal -1
	s_barrier_wait -1
	s_clause 0x5
	scratch_load_b128 v[122:125], off, off offset:368
	scratch_load_b128 v[126:129], off, off offset:384
	;; [unrolled: 1-line block ×6, first 2 shown]
	ds_load_2addr_b64 v[146:149], v2 offset0:107 offset1:108
	ds_load_2addr_b64 v[150:153], v2 offset0:109 offset1:110
	s_mov_b32 s0, exec_lo
	s_wait_loadcnt_dscnt 0x501
	v_fma_f64 v[146:147], v[124:125], v[146:147], 0
	s_wait_loadcnt 0x4
	s_delay_alu instid0(VALU_DEP_1) | instskip(SKIP_4) | instid1(VALU_DEP_1)
	v_fmac_f64_e32 v[146:147], v[126:127], v[148:149]
	scratch_load_b64 v[148:149], off, off offset:464
	s_wait_dscnt 0x0
	v_fmac_f64_e32 v[146:147], v[128:129], v[150:151]
	s_wait_loadcnt 0x4
	v_fmac_f64_e32 v[146:147], v[130:131], v[152:153]
	ds_load_2addr_b64 v[124:127], v2 offset0:111 offset1:112
	ds_load_2addr_b64 v[128:131], v2 offset0:113 offset1:114
	s_wait_dscnt 0x1
	v_fmac_f64_e32 v[146:147], v[132:133], v[124:125]
	s_wait_loadcnt 0x3
	s_delay_alu instid0(VALU_DEP_1) | instskip(SKIP_1) | instid1(VALU_DEP_1)
	v_fmac_f64_e32 v[146:147], v[134:135], v[126:127]
	s_wait_dscnt 0x0
	v_fmac_f64_e32 v[146:147], v[136:137], v[128:129]
	s_wait_loadcnt 0x2
	s_delay_alu instid0(VALU_DEP_1)
	v_fmac_f64_e32 v[146:147], v[138:139], v[130:131]
	ds_load_2addr_b64 v[124:127], v2 offset0:115 offset1:116
	ds_load_2addr_b64 v[128:131], v2 offset0:117 offset1:118
	s_wait_dscnt 0x1
	v_fmac_f64_e32 v[146:147], v[140:141], v[124:125]
	s_wait_loadcnt 0x1
	s_delay_alu instid0(VALU_DEP_1) | instskip(SKIP_1) | instid1(VALU_DEP_1)
	v_fmac_f64_e32 v[146:147], v[142:143], v[126:127]
	s_wait_dscnt 0x0
	v_fmac_f64_e32 v[146:147], v[144:145], v[128:129]
	s_wait_loadcnt 0x0
	s_delay_alu instid0(VALU_DEP_1) | instskip(NEXT) | instid1(VALU_DEP_1)
	v_fmac_f64_e32 v[146:147], v[148:149], v[130:131]
	v_add_f64_e64 v[2:3], v[122:123], -v[146:147]
	scratch_store_b64 off, v[2:3], off offset:368
	s_wait_xcnt 0x0
	v_cmpx_lt_u32_e32 45, v0
	s_cbranch_execz .LBB122_273
; %bb.272:
	scratch_load_b64 v[2:3], off, off offset:360
	v_mov_b64_e32 v[122:123], 0
	scratch_store_b64 off, v[122:123], off offset:360
	s_wait_loadcnt 0x0
	ds_store_b64 v1, v[2:3]
.LBB122_273:
	s_wait_xcnt 0x0
	s_or_b32 exec_lo, exec_lo, s0
	s_wait_storecnt_dscnt 0x0
	s_barrier_signal -1
	s_barrier_wait -1
	s_clause 0x5
	scratch_load_b128 v[122:125], off, off offset:360
	scratch_load_b128 v[126:129], off, off offset:376
	;; [unrolled: 1-line block ×6, first 2 shown]
	v_mov_b32_e32 v2, 0
	ds_load_b128 v[146:149], v2 offset:848
	ds_load_b128 v[150:153], v2 offset:864
	s_mov_b32 s0, exec_lo
	s_wait_loadcnt_dscnt 0x501
	v_fma_f64 v[154:155], v[124:125], v[146:147], 0
	s_wait_loadcnt 0x4
	s_delay_alu instid0(VALU_DEP_1) | instskip(SKIP_4) | instid1(VALU_DEP_1)
	v_fmac_f64_e32 v[154:155], v[126:127], v[148:149]
	scratch_load_b128 v[124:127], off, off offset:456
	s_wait_dscnt 0x0
	v_fmac_f64_e32 v[154:155], v[128:129], v[150:151]
	s_wait_loadcnt 0x4
	v_fmac_f64_e32 v[154:155], v[130:131], v[152:153]
	ds_load_b128 v[128:131], v2 offset:880
	ds_load_b128 v[146:149], v2 offset:896
	s_wait_dscnt 0x1
	v_fmac_f64_e32 v[154:155], v[132:133], v[128:129]
	s_wait_loadcnt 0x3
	s_delay_alu instid0(VALU_DEP_1)
	v_fmac_f64_e32 v[154:155], v[134:135], v[130:131]
	ds_load_b128 v[128:131], v2 offset:912
	ds_load_b128 v[132:135], v2 offset:928
	s_wait_dscnt 0x2
	v_fmac_f64_e32 v[154:155], v[136:137], v[146:147]
	s_wait_loadcnt 0x2
	s_delay_alu instid0(VALU_DEP_1) | instskip(SKIP_1) | instid1(VALU_DEP_1)
	v_fmac_f64_e32 v[154:155], v[138:139], v[148:149]
	s_wait_dscnt 0x1
	v_fmac_f64_e32 v[154:155], v[140:141], v[128:129]
	s_wait_loadcnt 0x1
	s_delay_alu instid0(VALU_DEP_1) | instskip(SKIP_1) | instid1(VALU_DEP_1)
	v_fmac_f64_e32 v[154:155], v[142:143], v[130:131]
	s_wait_dscnt 0x0
	v_fmac_f64_e32 v[154:155], v[144:145], v[132:133]
	s_wait_loadcnt 0x0
	s_delay_alu instid0(VALU_DEP_1) | instskip(SKIP_3) | instid1(VALU_DEP_1)
	v_fmac_f64_e32 v[154:155], v[124:125], v[134:135]
	ds_load_b64 v[124:125], v2 offset:944
	s_wait_dscnt 0x0
	v_fmac_f64_e32 v[154:155], v[126:127], v[124:125]
	v_add_f64_e64 v[122:123], v[122:123], -v[154:155]
	scratch_store_b64 off, v[122:123], off offset:360
	s_wait_xcnt 0x0
	v_cmpx_lt_u32_e32 44, v0
	s_cbranch_execz .LBB122_275
; %bb.274:
	scratch_load_b64 v[122:123], off, off offset:352
	v_mov_b64_e32 v[124:125], 0
	scratch_store_b64 off, v[124:125], off offset:352
	s_wait_loadcnt 0x0
	ds_store_b64 v1, v[122:123]
.LBB122_275:
	s_wait_xcnt 0x0
	s_or_b32 exec_lo, exec_lo, s0
	s_wait_storecnt_dscnt 0x0
	s_barrier_signal -1
	s_barrier_wait -1
	s_clause 0x5
	scratch_load_b128 v[122:125], off, off offset:352
	scratch_load_b128 v[126:129], off, off offset:368
	;; [unrolled: 1-line block ×6, first 2 shown]
	ds_load_2addr_b64 v[146:149], v2 offset0:105 offset1:106
	ds_load_2addr_b64 v[150:153], v2 offset0:107 offset1:108
	s_mov_b32 s0, exec_lo
	s_wait_loadcnt_dscnt 0x501
	v_fma_f64 v[154:155], v[124:125], v[146:147], 0
	s_wait_loadcnt 0x4
	s_delay_alu instid0(VALU_DEP_1)
	v_fmac_f64_e32 v[154:155], v[126:127], v[148:149]
	scratch_load_b128 v[124:127], off, off offset:448
	s_wait_dscnt 0x0
	v_fmac_f64_e32 v[154:155], v[128:129], v[150:151]
	scratch_load_b64 v[150:151], off, off offset:464
	s_wait_loadcnt 0x5
	v_fmac_f64_e32 v[154:155], v[130:131], v[152:153]
	ds_load_2addr_b64 v[128:131], v2 offset0:109 offset1:110
	ds_load_2addr_b64 v[146:149], v2 offset0:111 offset1:112
	s_wait_dscnt 0x1
	v_fmac_f64_e32 v[154:155], v[132:133], v[128:129]
	s_wait_loadcnt 0x4
	s_delay_alu instid0(VALU_DEP_1)
	v_fmac_f64_e32 v[154:155], v[134:135], v[130:131]
	ds_load_2addr_b64 v[128:131], v2 offset0:113 offset1:114
	ds_load_2addr_b64 v[132:135], v2 offset0:115 offset1:116
	s_wait_dscnt 0x2
	v_fmac_f64_e32 v[154:155], v[136:137], v[146:147]
	s_wait_loadcnt 0x3
	s_delay_alu instid0(VALU_DEP_1) | instskip(SKIP_1) | instid1(VALU_DEP_1)
	v_fmac_f64_e32 v[154:155], v[138:139], v[148:149]
	s_wait_dscnt 0x1
	v_fmac_f64_e32 v[154:155], v[140:141], v[128:129]
	s_wait_loadcnt 0x2
	s_delay_alu instid0(VALU_DEP_1) | instskip(SKIP_4) | instid1(VALU_DEP_1)
	v_fmac_f64_e32 v[154:155], v[142:143], v[130:131]
	ds_load_2addr_b64 v[128:131], v2 offset0:117 offset1:118
	s_wait_dscnt 0x1
	v_fmac_f64_e32 v[154:155], v[144:145], v[132:133]
	s_wait_loadcnt 0x1
	v_fmac_f64_e32 v[154:155], v[124:125], v[134:135]
	s_wait_dscnt 0x0
	s_delay_alu instid0(VALU_DEP_1) | instskip(SKIP_1) | instid1(VALU_DEP_1)
	v_fmac_f64_e32 v[154:155], v[126:127], v[128:129]
	s_wait_loadcnt 0x0
	v_fmac_f64_e32 v[154:155], v[150:151], v[130:131]
	s_delay_alu instid0(VALU_DEP_1)
	v_add_f64_e64 v[2:3], v[122:123], -v[154:155]
	scratch_store_b64 off, v[2:3], off offset:352
	s_wait_xcnt 0x0
	v_cmpx_lt_u32_e32 43, v0
	s_cbranch_execz .LBB122_277
; %bb.276:
	scratch_load_b64 v[2:3], off, off offset:344
	v_mov_b64_e32 v[122:123], 0
	scratch_store_b64 off, v[122:123], off offset:344
	s_wait_loadcnt 0x0
	ds_store_b64 v1, v[2:3]
.LBB122_277:
	s_wait_xcnt 0x0
	s_or_b32 exec_lo, exec_lo, s0
	s_wait_storecnt_dscnt 0x0
	s_barrier_signal -1
	s_barrier_wait -1
	s_clause 0x5
	scratch_load_b128 v[122:125], off, off offset:344
	scratch_load_b128 v[126:129], off, off offset:360
	;; [unrolled: 1-line block ×6, first 2 shown]
	v_mov_b32_e32 v2, 0
	ds_load_b128 v[146:149], v2 offset:832
	ds_load_b128 v[150:153], v2 offset:848
	s_mov_b32 s0, exec_lo
	s_wait_loadcnt_dscnt 0x501
	v_fma_f64 v[154:155], v[124:125], v[146:147], 0
	s_wait_loadcnt 0x4
	s_delay_alu instid0(VALU_DEP_1) | instskip(SKIP_4) | instid1(VALU_DEP_1)
	v_fmac_f64_e32 v[154:155], v[126:127], v[148:149]
	scratch_load_b128 v[124:127], off, off offset:440
	s_wait_dscnt 0x0
	v_fmac_f64_e32 v[154:155], v[128:129], v[150:151]
	s_wait_loadcnt 0x4
	v_fmac_f64_e32 v[154:155], v[130:131], v[152:153]
	scratch_load_b128 v[128:131], off, off offset:456
	ds_load_b128 v[146:149], v2 offset:864
	ds_load_b128 v[150:153], v2 offset:880
	s_wait_dscnt 0x1
	v_fmac_f64_e32 v[154:155], v[132:133], v[146:147]
	s_wait_loadcnt 0x4
	s_delay_alu instid0(VALU_DEP_1) | instskip(SKIP_1) | instid1(VALU_DEP_1)
	v_fmac_f64_e32 v[154:155], v[134:135], v[148:149]
	s_wait_dscnt 0x0
	v_fmac_f64_e32 v[154:155], v[136:137], v[150:151]
	s_wait_loadcnt 0x3
	s_delay_alu instid0(VALU_DEP_1)
	v_fmac_f64_e32 v[154:155], v[138:139], v[152:153]
	ds_load_b128 v[132:135], v2 offset:896
	ds_load_b128 v[136:139], v2 offset:912
	s_wait_dscnt 0x1
	v_fmac_f64_e32 v[154:155], v[140:141], v[132:133]
	s_wait_loadcnt 0x2
	s_delay_alu instid0(VALU_DEP_1) | instskip(SKIP_1) | instid1(VALU_DEP_1)
	v_fmac_f64_e32 v[154:155], v[142:143], v[134:135]
	s_wait_dscnt 0x0
	v_fmac_f64_e32 v[154:155], v[144:145], v[136:137]
	s_wait_loadcnt 0x1
	s_delay_alu instid0(VALU_DEP_1)
	v_fmac_f64_e32 v[154:155], v[124:125], v[138:139]
	ds_load_b128 v[132:135], v2 offset:928
	ds_load_b64 v[124:125], v2 offset:944
	s_wait_dscnt 0x1
	v_fmac_f64_e32 v[154:155], v[126:127], v[132:133]
	s_wait_loadcnt 0x0
	s_delay_alu instid0(VALU_DEP_1) | instskip(SKIP_1) | instid1(VALU_DEP_1)
	v_fmac_f64_e32 v[154:155], v[128:129], v[134:135]
	s_wait_dscnt 0x0
	v_fmac_f64_e32 v[154:155], v[130:131], v[124:125]
	s_delay_alu instid0(VALU_DEP_1)
	v_add_f64_e64 v[122:123], v[122:123], -v[154:155]
	scratch_store_b64 off, v[122:123], off offset:344
	s_wait_xcnt 0x0
	v_cmpx_lt_u32_e32 42, v0
	s_cbranch_execz .LBB122_279
; %bb.278:
	scratch_load_b64 v[122:123], off, off offset:336
	v_mov_b64_e32 v[124:125], 0
	scratch_store_b64 off, v[124:125], off offset:336
	s_wait_loadcnt 0x0
	ds_store_b64 v1, v[122:123]
.LBB122_279:
	s_wait_xcnt 0x0
	s_or_b32 exec_lo, exec_lo, s0
	s_wait_storecnt_dscnt 0x0
	s_barrier_signal -1
	s_barrier_wait -1
	s_clause 0x5
	scratch_load_b128 v[122:125], off, off offset:336
	scratch_load_b128 v[126:129], off, off offset:352
	;; [unrolled: 1-line block ×6, first 2 shown]
	ds_load_2addr_b64 v[146:149], v2 offset0:103 offset1:104
	ds_load_2addr_b64 v[150:153], v2 offset0:105 offset1:106
	s_mov_b32 s0, exec_lo
	s_wait_loadcnt_dscnt 0x501
	v_fma_f64 v[154:155], v[124:125], v[146:147], 0
	s_wait_loadcnt 0x4
	s_delay_alu instid0(VALU_DEP_1) | instskip(SKIP_4) | instid1(VALU_DEP_1)
	v_fmac_f64_e32 v[154:155], v[126:127], v[148:149]
	scratch_load_b128 v[124:127], off, off offset:432
	s_wait_dscnt 0x0
	v_fmac_f64_e32 v[154:155], v[128:129], v[150:151]
	s_wait_loadcnt 0x4
	v_fmac_f64_e32 v[154:155], v[130:131], v[152:153]
	scratch_load_b128 v[128:131], off, off offset:448
	ds_load_2addr_b64 v[146:149], v2 offset0:107 offset1:108
	ds_load_2addr_b64 v[150:153], v2 offset0:109 offset1:110
	s_wait_dscnt 0x1
	v_fmac_f64_e32 v[154:155], v[132:133], v[146:147]
	scratch_load_b64 v[146:147], off, off offset:464
	s_wait_loadcnt 0x5
	v_fmac_f64_e32 v[154:155], v[134:135], v[148:149]
	s_wait_dscnt 0x0
	s_delay_alu instid0(VALU_DEP_1) | instskip(SKIP_1) | instid1(VALU_DEP_1)
	v_fmac_f64_e32 v[154:155], v[136:137], v[150:151]
	s_wait_loadcnt 0x4
	v_fmac_f64_e32 v[154:155], v[138:139], v[152:153]
	ds_load_2addr_b64 v[132:135], v2 offset0:111 offset1:112
	ds_load_2addr_b64 v[136:139], v2 offset0:113 offset1:114
	s_wait_dscnt 0x1
	v_fmac_f64_e32 v[154:155], v[140:141], v[132:133]
	s_wait_loadcnt 0x3
	s_delay_alu instid0(VALU_DEP_1) | instskip(SKIP_1) | instid1(VALU_DEP_1)
	v_fmac_f64_e32 v[154:155], v[142:143], v[134:135]
	s_wait_dscnt 0x0
	v_fmac_f64_e32 v[154:155], v[144:145], v[136:137]
	s_wait_loadcnt 0x2
	s_delay_alu instid0(VALU_DEP_1)
	v_fmac_f64_e32 v[154:155], v[124:125], v[138:139]
	ds_load_2addr_b64 v[132:135], v2 offset0:115 offset1:116
	ds_load_2addr_b64 v[136:139], v2 offset0:117 offset1:118
	s_wait_dscnt 0x1
	v_fmac_f64_e32 v[154:155], v[126:127], v[132:133]
	s_wait_loadcnt 0x1
	s_delay_alu instid0(VALU_DEP_1) | instskip(SKIP_1) | instid1(VALU_DEP_1)
	v_fmac_f64_e32 v[154:155], v[128:129], v[134:135]
	s_wait_dscnt 0x0
	v_fmac_f64_e32 v[154:155], v[130:131], v[136:137]
	s_wait_loadcnt 0x0
	s_delay_alu instid0(VALU_DEP_1) | instskip(NEXT) | instid1(VALU_DEP_1)
	v_fmac_f64_e32 v[154:155], v[146:147], v[138:139]
	v_add_f64_e64 v[2:3], v[122:123], -v[154:155]
	scratch_store_b64 off, v[2:3], off offset:336
	s_wait_xcnt 0x0
	v_cmpx_lt_u32_e32 41, v0
	s_cbranch_execz .LBB122_281
; %bb.280:
	scratch_load_b64 v[2:3], off, off offset:328
	v_mov_b64_e32 v[122:123], 0
	scratch_store_b64 off, v[122:123], off offset:328
	s_wait_loadcnt 0x0
	ds_store_b64 v1, v[2:3]
.LBB122_281:
	s_wait_xcnt 0x0
	s_or_b32 exec_lo, exec_lo, s0
	s_wait_storecnt_dscnt 0x0
	s_barrier_signal -1
	s_barrier_wait -1
	s_clause 0x5
	scratch_load_b128 v[122:125], off, off offset:328
	scratch_load_b128 v[126:129], off, off offset:344
	;; [unrolled: 1-line block ×6, first 2 shown]
	v_mov_b32_e32 v2, 0
	ds_load_b128 v[146:149], v2 offset:816
	ds_load_b128 v[150:153], v2 offset:832
	s_mov_b32 s0, exec_lo
	s_wait_loadcnt_dscnt 0x501
	v_fma_f64 v[154:155], v[124:125], v[146:147], 0
	s_wait_loadcnt 0x4
	s_delay_alu instid0(VALU_DEP_1) | instskip(SKIP_4) | instid1(VALU_DEP_1)
	v_fmac_f64_e32 v[154:155], v[126:127], v[148:149]
	scratch_load_b128 v[124:127], off, off offset:424
	s_wait_dscnt 0x0
	v_fmac_f64_e32 v[154:155], v[128:129], v[150:151]
	s_wait_loadcnt 0x4
	v_fmac_f64_e32 v[154:155], v[130:131], v[152:153]
	scratch_load_b128 v[128:131], off, off offset:440
	ds_load_b128 v[146:149], v2 offset:848
	ds_load_b128 v[150:153], v2 offset:864
	s_wait_dscnt 0x1
	v_fmac_f64_e32 v[154:155], v[132:133], v[146:147]
	s_wait_loadcnt 0x4
	s_delay_alu instid0(VALU_DEP_1) | instskip(SKIP_4) | instid1(VALU_DEP_1)
	v_fmac_f64_e32 v[154:155], v[134:135], v[148:149]
	scratch_load_b128 v[132:135], off, off offset:456
	s_wait_dscnt 0x0
	v_fmac_f64_e32 v[154:155], v[136:137], v[150:151]
	s_wait_loadcnt 0x4
	v_fmac_f64_e32 v[154:155], v[138:139], v[152:153]
	ds_load_b128 v[136:139], v2 offset:880
	ds_load_b128 v[146:149], v2 offset:896
	s_wait_dscnt 0x1
	v_fmac_f64_e32 v[154:155], v[140:141], v[136:137]
	s_wait_loadcnt 0x3
	s_delay_alu instid0(VALU_DEP_1)
	v_fmac_f64_e32 v[154:155], v[142:143], v[138:139]
	ds_load_b128 v[136:139], v2 offset:912
	ds_load_b128 v[140:143], v2 offset:928
	s_wait_dscnt 0x2
	v_fmac_f64_e32 v[154:155], v[144:145], v[146:147]
	s_wait_loadcnt 0x2
	s_delay_alu instid0(VALU_DEP_1) | instskip(SKIP_4) | instid1(VALU_DEP_1)
	v_fmac_f64_e32 v[154:155], v[124:125], v[148:149]
	ds_load_b64 v[124:125], v2 offset:944
	s_wait_dscnt 0x2
	v_fmac_f64_e32 v[154:155], v[126:127], v[136:137]
	s_wait_loadcnt 0x1
	v_fmac_f64_e32 v[154:155], v[128:129], v[138:139]
	s_wait_dscnt 0x1
	s_delay_alu instid0(VALU_DEP_1) | instskip(SKIP_1) | instid1(VALU_DEP_1)
	v_fmac_f64_e32 v[154:155], v[130:131], v[140:141]
	s_wait_loadcnt 0x0
	v_fmac_f64_e32 v[154:155], v[132:133], v[142:143]
	s_wait_dscnt 0x0
	s_delay_alu instid0(VALU_DEP_1) | instskip(NEXT) | instid1(VALU_DEP_1)
	v_fmac_f64_e32 v[154:155], v[134:135], v[124:125]
	v_add_f64_e64 v[122:123], v[122:123], -v[154:155]
	scratch_store_b64 off, v[122:123], off offset:328
	s_wait_xcnt 0x0
	v_cmpx_lt_u32_e32 40, v0
	s_cbranch_execz .LBB122_283
; %bb.282:
	scratch_load_b64 v[122:123], off, off offset:320
	v_mov_b64_e32 v[124:125], 0
	scratch_store_b64 off, v[124:125], off offset:320
	s_wait_loadcnt 0x0
	ds_store_b64 v1, v[122:123]
.LBB122_283:
	s_wait_xcnt 0x0
	s_or_b32 exec_lo, exec_lo, s0
	s_wait_storecnt_dscnt 0x0
	s_barrier_signal -1
	s_barrier_wait -1
	s_clause 0x5
	scratch_load_b128 v[122:125], off, off offset:320
	scratch_load_b128 v[126:129], off, off offset:336
	;; [unrolled: 1-line block ×6, first 2 shown]
	ds_load_2addr_b64 v[146:149], v2 offset0:101 offset1:102
	ds_load_2addr_b64 v[150:153], v2 offset0:103 offset1:104
	s_mov_b32 s0, exec_lo
	s_wait_loadcnt_dscnt 0x501
	v_fma_f64 v[154:155], v[124:125], v[146:147], 0
	s_wait_loadcnt 0x4
	s_delay_alu instid0(VALU_DEP_1) | instskip(SKIP_4) | instid1(VALU_DEP_1)
	v_fmac_f64_e32 v[154:155], v[126:127], v[148:149]
	scratch_load_b128 v[124:127], off, off offset:416
	s_wait_dscnt 0x0
	v_fmac_f64_e32 v[154:155], v[128:129], v[150:151]
	s_wait_loadcnt 0x4
	v_fmac_f64_e32 v[154:155], v[130:131], v[152:153]
	scratch_load_b128 v[128:131], off, off offset:432
	ds_load_2addr_b64 v[146:149], v2 offset0:105 offset1:106
	ds_load_2addr_b64 v[150:153], v2 offset0:107 offset1:108
	s_wait_dscnt 0x1
	v_fmac_f64_e32 v[154:155], v[132:133], v[146:147]
	s_wait_loadcnt 0x4
	s_delay_alu instid0(VALU_DEP_1)
	v_fmac_f64_e32 v[154:155], v[134:135], v[148:149]
	scratch_load_b128 v[132:135], off, off offset:448
	s_wait_dscnt 0x0
	v_fmac_f64_e32 v[154:155], v[136:137], v[150:151]
	scratch_load_b64 v[150:151], off, off offset:464
	s_wait_loadcnt 0x5
	v_fmac_f64_e32 v[154:155], v[138:139], v[152:153]
	ds_load_2addr_b64 v[136:139], v2 offset0:109 offset1:110
	ds_load_2addr_b64 v[146:149], v2 offset0:111 offset1:112
	s_wait_dscnt 0x1
	v_fmac_f64_e32 v[154:155], v[140:141], v[136:137]
	s_wait_loadcnt 0x4
	s_delay_alu instid0(VALU_DEP_1)
	v_fmac_f64_e32 v[154:155], v[142:143], v[138:139]
	ds_load_2addr_b64 v[136:139], v2 offset0:113 offset1:114
	ds_load_2addr_b64 v[140:143], v2 offset0:115 offset1:116
	s_wait_dscnt 0x2
	v_fmac_f64_e32 v[154:155], v[144:145], v[146:147]
	s_wait_loadcnt 0x3
	s_delay_alu instid0(VALU_DEP_1) | instskip(SKIP_1) | instid1(VALU_DEP_1)
	v_fmac_f64_e32 v[154:155], v[124:125], v[148:149]
	s_wait_dscnt 0x1
	v_fmac_f64_e32 v[154:155], v[126:127], v[136:137]
	ds_load_2addr_b64 v[124:127], v2 offset0:117 offset1:118
	s_wait_loadcnt 0x2
	v_fmac_f64_e32 v[154:155], v[128:129], v[138:139]
	s_wait_dscnt 0x1
	s_delay_alu instid0(VALU_DEP_1) | instskip(SKIP_1) | instid1(VALU_DEP_1)
	v_fmac_f64_e32 v[154:155], v[130:131], v[140:141]
	s_wait_loadcnt 0x1
	v_fmac_f64_e32 v[154:155], v[132:133], v[142:143]
	s_wait_dscnt 0x0
	s_delay_alu instid0(VALU_DEP_1) | instskip(SKIP_1) | instid1(VALU_DEP_1)
	v_fmac_f64_e32 v[154:155], v[134:135], v[124:125]
	s_wait_loadcnt 0x0
	v_fmac_f64_e32 v[154:155], v[150:151], v[126:127]
	s_delay_alu instid0(VALU_DEP_1)
	v_add_f64_e64 v[2:3], v[122:123], -v[154:155]
	scratch_store_b64 off, v[2:3], off offset:320
	s_wait_xcnt 0x0
	v_cmpx_lt_u32_e32 39, v0
	s_cbranch_execz .LBB122_285
; %bb.284:
	scratch_load_b64 v[2:3], off, off offset:312
	v_mov_b64_e32 v[122:123], 0
	scratch_store_b64 off, v[122:123], off offset:312
	s_wait_loadcnt 0x0
	ds_store_b64 v1, v[2:3]
.LBB122_285:
	s_wait_xcnt 0x0
	s_or_b32 exec_lo, exec_lo, s0
	s_wait_storecnt_dscnt 0x0
	s_barrier_signal -1
	s_barrier_wait -1
	s_clause 0x5
	scratch_load_b128 v[122:125], off, off offset:312
	scratch_load_b128 v[126:129], off, off offset:328
	scratch_load_b128 v[130:133], off, off offset:344
	scratch_load_b128 v[134:137], off, off offset:360
	scratch_load_b128 v[138:141], off, off offset:376
	scratch_load_b128 v[142:145], off, off offset:392
	v_mov_b32_e32 v2, 0
	ds_load_b128 v[146:149], v2 offset:800
	ds_load_b128 v[150:153], v2 offset:816
	s_mov_b32 s0, exec_lo
	s_wait_loadcnt_dscnt 0x501
	v_fma_f64 v[154:155], v[124:125], v[146:147], 0
	s_wait_loadcnt 0x4
	s_delay_alu instid0(VALU_DEP_1) | instskip(SKIP_4) | instid1(VALU_DEP_1)
	v_fmac_f64_e32 v[154:155], v[126:127], v[148:149]
	scratch_load_b128 v[124:127], off, off offset:408
	s_wait_dscnt 0x0
	v_fmac_f64_e32 v[154:155], v[128:129], v[150:151]
	s_wait_loadcnt 0x4
	v_fmac_f64_e32 v[154:155], v[130:131], v[152:153]
	scratch_load_b128 v[128:131], off, off offset:424
	ds_load_b128 v[146:149], v2 offset:832
	ds_load_b128 v[150:153], v2 offset:848
	s_wait_dscnt 0x1
	v_fmac_f64_e32 v[154:155], v[132:133], v[146:147]
	s_wait_loadcnt 0x4
	s_delay_alu instid0(VALU_DEP_1) | instskip(SKIP_4) | instid1(VALU_DEP_1)
	v_fmac_f64_e32 v[154:155], v[134:135], v[148:149]
	scratch_load_b128 v[132:135], off, off offset:440
	s_wait_dscnt 0x0
	v_fmac_f64_e32 v[154:155], v[136:137], v[150:151]
	s_wait_loadcnt 0x4
	v_fmac_f64_e32 v[154:155], v[138:139], v[152:153]
	scratch_load_b128 v[136:139], off, off offset:456
	ds_load_b128 v[146:149], v2 offset:864
	ds_load_b128 v[150:153], v2 offset:880
	s_wait_dscnt 0x1
	v_fmac_f64_e32 v[154:155], v[140:141], v[146:147]
	s_wait_loadcnt 0x4
	s_delay_alu instid0(VALU_DEP_1) | instskip(SKIP_1) | instid1(VALU_DEP_1)
	v_fmac_f64_e32 v[154:155], v[142:143], v[148:149]
	s_wait_dscnt 0x0
	v_fmac_f64_e32 v[154:155], v[144:145], v[150:151]
	ds_load_b128 v[140:143], v2 offset:896
	ds_load_b128 v[144:147], v2 offset:912
	s_wait_loadcnt 0x3
	v_fmac_f64_e32 v[154:155], v[124:125], v[152:153]
	s_wait_dscnt 0x1
	s_delay_alu instid0(VALU_DEP_1) | instskip(SKIP_1) | instid1(VALU_DEP_1)
	v_fmac_f64_e32 v[154:155], v[126:127], v[140:141]
	s_wait_loadcnt 0x2
	v_fmac_f64_e32 v[154:155], v[128:129], v[142:143]
	ds_load_b128 v[124:127], v2 offset:928
	ds_load_b64 v[128:129], v2 offset:944
	s_wait_dscnt 0x2
	v_fmac_f64_e32 v[154:155], v[130:131], v[144:145]
	s_wait_loadcnt 0x1
	s_delay_alu instid0(VALU_DEP_1) | instskip(SKIP_1) | instid1(VALU_DEP_1)
	v_fmac_f64_e32 v[154:155], v[132:133], v[146:147]
	s_wait_dscnt 0x1
	v_fmac_f64_e32 v[154:155], v[134:135], v[124:125]
	s_wait_loadcnt 0x0
	s_delay_alu instid0(VALU_DEP_1) | instskip(SKIP_1) | instid1(VALU_DEP_1)
	v_fmac_f64_e32 v[154:155], v[136:137], v[126:127]
	s_wait_dscnt 0x0
	v_fmac_f64_e32 v[154:155], v[138:139], v[128:129]
	s_delay_alu instid0(VALU_DEP_1)
	v_add_f64_e64 v[122:123], v[122:123], -v[154:155]
	scratch_store_b64 off, v[122:123], off offset:312
	s_wait_xcnt 0x0
	v_cmpx_lt_u32_e32 38, v0
	s_cbranch_execz .LBB122_287
; %bb.286:
	scratch_load_b64 v[122:123], off, off offset:304
	v_mov_b64_e32 v[124:125], 0
	scratch_store_b64 off, v[124:125], off offset:304
	s_wait_loadcnt 0x0
	ds_store_b64 v1, v[122:123]
.LBB122_287:
	s_wait_xcnt 0x0
	s_or_b32 exec_lo, exec_lo, s0
	s_wait_storecnt_dscnt 0x0
	s_barrier_signal -1
	s_barrier_wait -1
	s_clause 0x5
	scratch_load_b128 v[122:125], off, off offset:304
	scratch_load_b128 v[126:129], off, off offset:320
	;; [unrolled: 1-line block ×6, first 2 shown]
	ds_load_2addr_b64 v[146:149], v2 offset0:99 offset1:100
	ds_load_2addr_b64 v[150:153], v2 offset0:101 offset1:102
	s_mov_b32 s0, exec_lo
	s_wait_loadcnt_dscnt 0x501
	v_fma_f64 v[154:155], v[124:125], v[146:147], 0
	s_wait_loadcnt 0x4
	s_delay_alu instid0(VALU_DEP_1) | instskip(SKIP_4) | instid1(VALU_DEP_1)
	v_fmac_f64_e32 v[154:155], v[126:127], v[148:149]
	scratch_load_b128 v[124:127], off, off offset:400
	s_wait_dscnt 0x0
	v_fmac_f64_e32 v[154:155], v[128:129], v[150:151]
	s_wait_loadcnt 0x4
	v_fmac_f64_e32 v[154:155], v[130:131], v[152:153]
	scratch_load_b128 v[128:131], off, off offset:416
	ds_load_2addr_b64 v[146:149], v2 offset0:103 offset1:104
	ds_load_2addr_b64 v[150:153], v2 offset0:105 offset1:106
	s_wait_dscnt 0x1
	v_fmac_f64_e32 v[154:155], v[132:133], v[146:147]
	s_wait_loadcnt 0x4
	s_delay_alu instid0(VALU_DEP_1) | instskip(SKIP_4) | instid1(VALU_DEP_1)
	v_fmac_f64_e32 v[154:155], v[134:135], v[148:149]
	scratch_load_b128 v[132:135], off, off offset:432
	s_wait_dscnt 0x0
	v_fmac_f64_e32 v[154:155], v[136:137], v[150:151]
	s_wait_loadcnt 0x4
	v_fmac_f64_e32 v[154:155], v[138:139], v[152:153]
	scratch_load_b128 v[136:139], off, off offset:448
	ds_load_2addr_b64 v[146:149], v2 offset0:107 offset1:108
	ds_load_2addr_b64 v[150:153], v2 offset0:109 offset1:110
	s_wait_dscnt 0x1
	v_fmac_f64_e32 v[154:155], v[140:141], v[146:147]
	s_wait_loadcnt 0x4
	s_delay_alu instid0(VALU_DEP_1)
	v_fmac_f64_e32 v[154:155], v[142:143], v[148:149]
	scratch_load_b64 v[148:149], off, off offset:464
	s_wait_dscnt 0x0
	v_fmac_f64_e32 v[154:155], v[144:145], v[150:151]
	ds_load_2addr_b64 v[140:143], v2 offset0:111 offset1:112
	ds_load_2addr_b64 v[144:147], v2 offset0:113 offset1:114
	s_wait_loadcnt 0x4
	v_fmac_f64_e32 v[154:155], v[124:125], v[152:153]
	s_wait_dscnt 0x1
	s_delay_alu instid0(VALU_DEP_1) | instskip(SKIP_1) | instid1(VALU_DEP_1)
	v_fmac_f64_e32 v[154:155], v[126:127], v[140:141]
	s_wait_loadcnt 0x3
	v_fmac_f64_e32 v[154:155], v[128:129], v[142:143]
	s_wait_dscnt 0x0
	s_delay_alu instid0(VALU_DEP_1)
	v_fmac_f64_e32 v[154:155], v[130:131], v[144:145]
	ds_load_2addr_b64 v[124:127], v2 offset0:115 offset1:116
	ds_load_2addr_b64 v[128:131], v2 offset0:117 offset1:118
	s_wait_loadcnt 0x2
	v_fmac_f64_e32 v[154:155], v[132:133], v[146:147]
	s_wait_dscnt 0x1
	s_delay_alu instid0(VALU_DEP_1) | instskip(SKIP_1) | instid1(VALU_DEP_1)
	v_fmac_f64_e32 v[154:155], v[134:135], v[124:125]
	s_wait_loadcnt 0x1
	v_fmac_f64_e32 v[154:155], v[136:137], v[126:127]
	s_wait_dscnt 0x0
	s_delay_alu instid0(VALU_DEP_1) | instskip(SKIP_1) | instid1(VALU_DEP_1)
	v_fmac_f64_e32 v[154:155], v[138:139], v[128:129]
	s_wait_loadcnt 0x0
	v_fmac_f64_e32 v[154:155], v[148:149], v[130:131]
	s_delay_alu instid0(VALU_DEP_1)
	v_add_f64_e64 v[2:3], v[122:123], -v[154:155]
	scratch_store_b64 off, v[2:3], off offset:304
	s_wait_xcnt 0x0
	v_cmpx_lt_u32_e32 37, v0
	s_cbranch_execz .LBB122_289
; %bb.288:
	scratch_load_b64 v[2:3], off, off offset:296
	v_mov_b64_e32 v[122:123], 0
	scratch_store_b64 off, v[122:123], off offset:296
	s_wait_loadcnt 0x0
	ds_store_b64 v1, v[2:3]
.LBB122_289:
	s_wait_xcnt 0x0
	s_or_b32 exec_lo, exec_lo, s0
	s_wait_storecnt_dscnt 0x0
	s_barrier_signal -1
	s_barrier_wait -1
	s_clause 0x5
	scratch_load_b128 v[122:125], off, off offset:296
	scratch_load_b128 v[126:129], off, off offset:312
	;; [unrolled: 1-line block ×6, first 2 shown]
	v_mov_b32_e32 v2, 0
	ds_load_b128 v[146:149], v2 offset:784
	ds_load_b128 v[150:153], v2 offset:800
	s_mov_b32 s0, exec_lo
	s_wait_loadcnt_dscnt 0x501
	v_fma_f64 v[154:155], v[124:125], v[146:147], 0
	s_wait_loadcnt 0x4
	s_delay_alu instid0(VALU_DEP_1) | instskip(SKIP_4) | instid1(VALU_DEP_1)
	v_fmac_f64_e32 v[154:155], v[126:127], v[148:149]
	scratch_load_b128 v[124:127], off, off offset:392
	s_wait_dscnt 0x0
	v_fmac_f64_e32 v[154:155], v[128:129], v[150:151]
	s_wait_loadcnt 0x4
	v_fmac_f64_e32 v[154:155], v[130:131], v[152:153]
	scratch_load_b128 v[128:131], off, off offset:408
	ds_load_b128 v[146:149], v2 offset:816
	ds_load_b128 v[150:153], v2 offset:832
	s_wait_dscnt 0x1
	v_fmac_f64_e32 v[154:155], v[132:133], v[146:147]
	s_wait_loadcnt 0x4
	s_delay_alu instid0(VALU_DEP_1) | instskip(SKIP_4) | instid1(VALU_DEP_1)
	v_fmac_f64_e32 v[154:155], v[134:135], v[148:149]
	scratch_load_b128 v[132:135], off, off offset:424
	s_wait_dscnt 0x0
	v_fmac_f64_e32 v[154:155], v[136:137], v[150:151]
	s_wait_loadcnt 0x4
	v_fmac_f64_e32 v[154:155], v[138:139], v[152:153]
	scratch_load_b128 v[136:139], off, off offset:440
	ds_load_b128 v[146:149], v2 offset:848
	ds_load_b128 v[150:153], v2 offset:864
	s_wait_dscnt 0x1
	v_fmac_f64_e32 v[154:155], v[140:141], v[146:147]
	s_wait_loadcnt 0x4
	s_delay_alu instid0(VALU_DEP_1)
	v_fmac_f64_e32 v[154:155], v[142:143], v[148:149]
	scratch_load_b128 v[140:143], off, off offset:456
	s_wait_dscnt 0x0
	v_fmac_f64_e32 v[154:155], v[144:145], v[150:151]
	ds_load_b128 v[144:147], v2 offset:880
	ds_load_b128 v[148:151], v2 offset:896
	s_wait_loadcnt 0x4
	v_fmac_f64_e32 v[154:155], v[124:125], v[152:153]
	s_wait_dscnt 0x1
	s_delay_alu instid0(VALU_DEP_1) | instskip(SKIP_1) | instid1(VALU_DEP_1)
	v_fmac_f64_e32 v[154:155], v[126:127], v[144:145]
	s_wait_loadcnt 0x3
	v_fmac_f64_e32 v[154:155], v[128:129], v[146:147]
	s_wait_dscnt 0x0
	s_delay_alu instid0(VALU_DEP_1)
	v_fmac_f64_e32 v[154:155], v[130:131], v[148:149]
	ds_load_b128 v[124:127], v2 offset:912
	ds_load_b128 v[128:131], v2 offset:928
	s_wait_loadcnt 0x2
	v_fmac_f64_e32 v[154:155], v[132:133], v[150:151]
	s_wait_dscnt 0x1
	s_delay_alu instid0(VALU_DEP_1) | instskip(SKIP_4) | instid1(VALU_DEP_1)
	v_fmac_f64_e32 v[154:155], v[134:135], v[124:125]
	ds_load_b64 v[124:125], v2 offset:944
	s_wait_loadcnt 0x1
	v_fmac_f64_e32 v[154:155], v[136:137], v[126:127]
	s_wait_dscnt 0x1
	v_fmac_f64_e32 v[154:155], v[138:139], v[128:129]
	s_wait_loadcnt 0x0
	s_delay_alu instid0(VALU_DEP_1) | instskip(SKIP_1) | instid1(VALU_DEP_1)
	v_fmac_f64_e32 v[154:155], v[140:141], v[130:131]
	s_wait_dscnt 0x0
	v_fmac_f64_e32 v[154:155], v[142:143], v[124:125]
	s_delay_alu instid0(VALU_DEP_1)
	v_add_f64_e64 v[122:123], v[122:123], -v[154:155]
	scratch_store_b64 off, v[122:123], off offset:296
	s_wait_xcnt 0x0
	v_cmpx_lt_u32_e32 36, v0
	s_cbranch_execz .LBB122_291
; %bb.290:
	scratch_load_b64 v[122:123], off, off offset:288
	v_mov_b64_e32 v[124:125], 0
	scratch_store_b64 off, v[124:125], off offset:288
	s_wait_loadcnt 0x0
	ds_store_b64 v1, v[122:123]
.LBB122_291:
	s_wait_xcnt 0x0
	s_or_b32 exec_lo, exec_lo, s0
	s_wait_storecnt_dscnt 0x0
	s_barrier_signal -1
	s_barrier_wait -1
	s_clause 0x5
	scratch_load_b128 v[122:125], off, off offset:288
	scratch_load_b128 v[126:129], off, off offset:304
	;; [unrolled: 1-line block ×6, first 2 shown]
	ds_load_2addr_b64 v[146:149], v2 offset0:97 offset1:98
	ds_load_2addr_b64 v[150:153], v2 offset0:99 offset1:100
	scratch_load_b128 v[154:157], off, off offset:384
	s_mov_b32 s0, exec_lo
	s_wait_loadcnt_dscnt 0x601
	v_fma_f64 v[158:159], v[124:125], v[146:147], 0
	s_wait_loadcnt 0x5
	s_delay_alu instid0(VALU_DEP_1) | instskip(SKIP_4) | instid1(VALU_DEP_1)
	v_fmac_f64_e32 v[158:159], v[126:127], v[148:149]
	scratch_load_b128 v[124:127], off, off offset:400
	s_wait_dscnt 0x0
	v_fmac_f64_e32 v[158:159], v[128:129], v[150:151]
	s_wait_loadcnt 0x5
	v_fmac_f64_e32 v[158:159], v[130:131], v[152:153]
	ds_load_2addr_b64 v[128:131], v2 offset0:101 offset1:102
	ds_load_2addr_b64 v[146:149], v2 offset0:103 offset1:104
	s_wait_dscnt 0x1
	v_fmac_f64_e32 v[158:159], v[132:133], v[128:129]
	s_wait_loadcnt 0x4
	s_delay_alu instid0(VALU_DEP_1)
	v_fmac_f64_e32 v[158:159], v[134:135], v[130:131]
	s_clause 0x1
	scratch_load_b128 v[128:131], off, off offset:416
	scratch_load_b128 v[132:135], off, off offset:432
	s_wait_dscnt 0x0
	v_fmac_f64_e32 v[158:159], v[136:137], v[146:147]
	s_wait_loadcnt 0x5
	s_delay_alu instid0(VALU_DEP_1)
	v_fmac_f64_e32 v[158:159], v[138:139], v[148:149]
	ds_load_2addr_b64 v[136:139], v2 offset0:105 offset1:106
	ds_load_2addr_b64 v[146:149], v2 offset0:107 offset1:108
	s_wait_dscnt 0x1
	v_fmac_f64_e32 v[158:159], v[140:141], v[136:137]
	s_wait_loadcnt 0x4
	s_delay_alu instid0(VALU_DEP_1) | instskip(SKIP_4) | instid1(VALU_DEP_1)
	v_fmac_f64_e32 v[158:159], v[142:143], v[138:139]
	scratch_load_b128 v[136:139], off, off offset:448
	s_wait_dscnt 0x0
	v_fmac_f64_e32 v[158:159], v[144:145], v[146:147]
	s_wait_loadcnt 0x4
	v_fmac_f64_e32 v[158:159], v[154:155], v[148:149]
	scratch_load_b64 v[148:149], off, off offset:464
	ds_load_2addr_b64 v[140:143], v2 offset0:109 offset1:110
	ds_load_2addr_b64 v[144:147], v2 offset0:111 offset1:112
	s_wait_dscnt 0x1
	v_fmac_f64_e32 v[158:159], v[156:157], v[140:141]
	s_wait_loadcnt 0x4
	s_delay_alu instid0(VALU_DEP_1) | instskip(SKIP_1) | instid1(VALU_DEP_1)
	v_fmac_f64_e32 v[158:159], v[124:125], v[142:143]
	s_wait_dscnt 0x0
	v_fmac_f64_e32 v[158:159], v[126:127], v[144:145]
	ds_load_2addr_b64 v[124:127], v2 offset0:113 offset1:114
	ds_load_2addr_b64 v[140:143], v2 offset0:115 offset1:116
	s_wait_loadcnt 0x3
	v_fmac_f64_e32 v[158:159], v[128:129], v[146:147]
	s_wait_dscnt 0x1
	s_delay_alu instid0(VALU_DEP_1) | instskip(SKIP_1) | instid1(VALU_DEP_1)
	v_fmac_f64_e32 v[158:159], v[130:131], v[124:125]
	s_wait_loadcnt 0x2
	v_fmac_f64_e32 v[158:159], v[132:133], v[126:127]
	ds_load_2addr_b64 v[124:127], v2 offset0:117 offset1:118
	s_wait_dscnt 0x1
	v_fmac_f64_e32 v[158:159], v[134:135], v[140:141]
	s_wait_loadcnt 0x1
	s_delay_alu instid0(VALU_DEP_1) | instskip(SKIP_1) | instid1(VALU_DEP_1)
	v_fmac_f64_e32 v[158:159], v[136:137], v[142:143]
	s_wait_dscnt 0x0
	v_fmac_f64_e32 v[158:159], v[138:139], v[124:125]
	s_wait_loadcnt 0x0
	s_delay_alu instid0(VALU_DEP_1) | instskip(NEXT) | instid1(VALU_DEP_1)
	v_fmac_f64_e32 v[158:159], v[148:149], v[126:127]
	v_add_f64_e64 v[2:3], v[122:123], -v[158:159]
	scratch_store_b64 off, v[2:3], off offset:288
	s_wait_xcnt 0x0
	v_cmpx_lt_u32_e32 35, v0
	s_cbranch_execz .LBB122_293
; %bb.292:
	scratch_load_b64 v[2:3], off, off offset:280
	v_mov_b64_e32 v[122:123], 0
	scratch_store_b64 off, v[122:123], off offset:280
	s_wait_loadcnt 0x0
	ds_store_b64 v1, v[2:3]
.LBB122_293:
	s_wait_xcnt 0x0
	s_or_b32 exec_lo, exec_lo, s0
	s_wait_storecnt_dscnt 0x0
	s_barrier_signal -1
	s_barrier_wait -1
	s_clause 0x5
	scratch_load_b128 v[122:125], off, off offset:280
	scratch_load_b128 v[126:129], off, off offset:296
	;; [unrolled: 1-line block ×6, first 2 shown]
	v_mov_b32_e32 v2, 0
	ds_load_b128 v[146:149], v2 offset:768
	ds_load_b128 v[150:153], v2 offset:784
	scratch_load_b128 v[154:157], off, off offset:376
	s_mov_b32 s0, exec_lo
	s_wait_loadcnt_dscnt 0x601
	v_fma_f64 v[158:159], v[124:125], v[146:147], 0
	s_wait_loadcnt 0x5
	s_delay_alu instid0(VALU_DEP_1) | instskip(SKIP_4) | instid1(VALU_DEP_1)
	v_fmac_f64_e32 v[158:159], v[126:127], v[148:149]
	scratch_load_b128 v[124:127], off, off offset:392
	s_wait_dscnt 0x0
	v_fmac_f64_e32 v[158:159], v[128:129], v[150:151]
	s_wait_loadcnt 0x5
	v_fmac_f64_e32 v[158:159], v[130:131], v[152:153]
	ds_load_b128 v[128:131], v2 offset:800
	ds_load_b128 v[146:149], v2 offset:816
	s_wait_dscnt 0x1
	v_fmac_f64_e32 v[158:159], v[132:133], v[128:129]
	s_wait_loadcnt 0x4
	s_delay_alu instid0(VALU_DEP_1)
	v_fmac_f64_e32 v[158:159], v[134:135], v[130:131]
	s_clause 0x1
	scratch_load_b128 v[128:131], off, off offset:408
	scratch_load_b128 v[132:135], off, off offset:424
	s_wait_dscnt 0x0
	v_fmac_f64_e32 v[158:159], v[136:137], v[146:147]
	s_wait_loadcnt 0x5
	s_delay_alu instid0(VALU_DEP_1)
	v_fmac_f64_e32 v[158:159], v[138:139], v[148:149]
	ds_load_b128 v[136:139], v2 offset:832
	ds_load_b128 v[146:149], v2 offset:848
	s_wait_dscnt 0x1
	v_fmac_f64_e32 v[158:159], v[140:141], v[136:137]
	s_wait_loadcnt 0x4
	s_delay_alu instid0(VALU_DEP_1)
	v_fmac_f64_e32 v[158:159], v[142:143], v[138:139]
	s_clause 0x1
	scratch_load_b128 v[136:139], off, off offset:440
	scratch_load_b128 v[140:143], off, off offset:456
	s_wait_dscnt 0x0
	v_fmac_f64_e32 v[158:159], v[144:145], v[146:147]
	s_wait_loadcnt 0x5
	s_delay_alu instid0(VALU_DEP_1)
	v_fmac_f64_e32 v[158:159], v[154:155], v[148:149]
	ds_load_b128 v[144:147], v2 offset:864
	ds_load_b128 v[148:151], v2 offset:880
	s_wait_dscnt 0x1
	v_fmac_f64_e32 v[158:159], v[156:157], v[144:145]
	s_wait_loadcnt 0x4
	s_delay_alu instid0(VALU_DEP_1) | instskip(SKIP_1) | instid1(VALU_DEP_1)
	v_fmac_f64_e32 v[158:159], v[124:125], v[146:147]
	s_wait_dscnt 0x0
	v_fmac_f64_e32 v[158:159], v[126:127], v[148:149]
	ds_load_b128 v[124:127], v2 offset:896
	ds_load_b128 v[144:147], v2 offset:912
	s_wait_loadcnt 0x3
	v_fmac_f64_e32 v[158:159], v[128:129], v[150:151]
	s_wait_dscnt 0x1
	s_delay_alu instid0(VALU_DEP_1) | instskip(SKIP_1) | instid1(VALU_DEP_1)
	v_fmac_f64_e32 v[158:159], v[130:131], v[124:125]
	s_wait_loadcnt 0x2
	v_fmac_f64_e32 v[158:159], v[132:133], v[126:127]
	ds_load_b128 v[124:127], v2 offset:928
	ds_load_b64 v[128:129], v2 offset:944
	s_wait_dscnt 0x2
	v_fmac_f64_e32 v[158:159], v[134:135], v[144:145]
	s_wait_loadcnt 0x1
	s_delay_alu instid0(VALU_DEP_1) | instskip(SKIP_1) | instid1(VALU_DEP_1)
	v_fmac_f64_e32 v[158:159], v[136:137], v[146:147]
	s_wait_dscnt 0x1
	v_fmac_f64_e32 v[158:159], v[138:139], v[124:125]
	s_wait_loadcnt 0x0
	s_delay_alu instid0(VALU_DEP_1) | instskip(SKIP_1) | instid1(VALU_DEP_1)
	v_fmac_f64_e32 v[158:159], v[140:141], v[126:127]
	s_wait_dscnt 0x0
	v_fmac_f64_e32 v[158:159], v[142:143], v[128:129]
	s_delay_alu instid0(VALU_DEP_1)
	v_add_f64_e64 v[122:123], v[122:123], -v[158:159]
	scratch_store_b64 off, v[122:123], off offset:280
	s_wait_xcnt 0x0
	v_cmpx_lt_u32_e32 34, v0
	s_cbranch_execz .LBB122_295
; %bb.294:
	scratch_load_b64 v[122:123], off, off offset:272
	v_mov_b64_e32 v[124:125], 0
	scratch_store_b64 off, v[124:125], off offset:272
	s_wait_loadcnt 0x0
	ds_store_b64 v1, v[122:123]
.LBB122_295:
	s_wait_xcnt 0x0
	s_or_b32 exec_lo, exec_lo, s0
	s_wait_storecnt_dscnt 0x0
	s_barrier_signal -1
	s_barrier_wait -1
	s_clause 0x5
	scratch_load_b128 v[122:125], off, off offset:272
	scratch_load_b128 v[126:129], off, off offset:288
	;; [unrolled: 1-line block ×6, first 2 shown]
	ds_load_2addr_b64 v[146:149], v2 offset0:95 offset1:96
	ds_load_2addr_b64 v[150:153], v2 offset0:97 offset1:98
	scratch_load_b128 v[154:157], off, off offset:368
	s_mov_b32 s0, exec_lo
	s_wait_loadcnt_dscnt 0x601
	v_fma_f64 v[158:159], v[124:125], v[146:147], 0
	s_wait_loadcnt 0x5
	s_delay_alu instid0(VALU_DEP_1) | instskip(SKIP_4) | instid1(VALU_DEP_1)
	v_fmac_f64_e32 v[158:159], v[126:127], v[148:149]
	scratch_load_b128 v[124:127], off, off offset:384
	s_wait_dscnt 0x0
	v_fmac_f64_e32 v[158:159], v[128:129], v[150:151]
	s_wait_loadcnt 0x5
	v_fmac_f64_e32 v[158:159], v[130:131], v[152:153]
	ds_load_2addr_b64 v[128:131], v2 offset0:99 offset1:100
	ds_load_2addr_b64 v[146:149], v2 offset0:101 offset1:102
	s_wait_dscnt 0x1
	v_fmac_f64_e32 v[158:159], v[132:133], v[128:129]
	s_wait_loadcnt 0x4
	s_delay_alu instid0(VALU_DEP_1)
	v_fmac_f64_e32 v[158:159], v[134:135], v[130:131]
	s_clause 0x1
	scratch_load_b128 v[128:131], off, off offset:400
	scratch_load_b128 v[132:135], off, off offset:416
	s_wait_dscnt 0x0
	v_fmac_f64_e32 v[158:159], v[136:137], v[146:147]
	s_wait_loadcnt 0x5
	s_delay_alu instid0(VALU_DEP_1)
	v_fmac_f64_e32 v[158:159], v[138:139], v[148:149]
	ds_load_2addr_b64 v[136:139], v2 offset0:103 offset1:104
	ds_load_2addr_b64 v[146:149], v2 offset0:105 offset1:106
	s_wait_dscnt 0x1
	v_fmac_f64_e32 v[158:159], v[140:141], v[136:137]
	s_wait_loadcnt 0x4
	s_delay_alu instid0(VALU_DEP_1)
	v_fmac_f64_e32 v[158:159], v[142:143], v[138:139]
	s_clause 0x1
	scratch_load_b128 v[136:139], off, off offset:432
	scratch_load_b128 v[140:143], off, off offset:448
	s_wait_dscnt 0x0
	v_fmac_f64_e32 v[158:159], v[144:145], v[146:147]
	s_wait_loadcnt 0x5
	s_delay_alu instid0(VALU_DEP_1)
	v_fmac_f64_e32 v[158:159], v[154:155], v[148:149]
	ds_load_2addr_b64 v[144:147], v2 offset0:107 offset1:108
	ds_load_2addr_b64 v[148:151], v2 offset0:109 offset1:110
	scratch_load_b64 v[152:153], off, off offset:464
	s_wait_dscnt 0x1
	v_fmac_f64_e32 v[158:159], v[156:157], v[144:145]
	s_wait_loadcnt 0x5
	s_delay_alu instid0(VALU_DEP_1) | instskip(SKIP_1) | instid1(VALU_DEP_1)
	v_fmac_f64_e32 v[158:159], v[124:125], v[146:147]
	s_wait_dscnt 0x0
	v_fmac_f64_e32 v[158:159], v[126:127], v[148:149]
	ds_load_2addr_b64 v[124:127], v2 offset0:111 offset1:112
	ds_load_2addr_b64 v[144:147], v2 offset0:113 offset1:114
	s_wait_loadcnt 0x4
	v_fmac_f64_e32 v[158:159], v[128:129], v[150:151]
	s_wait_dscnt 0x1
	s_delay_alu instid0(VALU_DEP_1) | instskip(SKIP_1) | instid1(VALU_DEP_1)
	v_fmac_f64_e32 v[158:159], v[130:131], v[124:125]
	s_wait_loadcnt 0x3
	v_fmac_f64_e32 v[158:159], v[132:133], v[126:127]
	ds_load_2addr_b64 v[124:127], v2 offset0:115 offset1:116
	ds_load_2addr_b64 v[128:131], v2 offset0:117 offset1:118
	s_wait_dscnt 0x2
	v_fmac_f64_e32 v[158:159], v[134:135], v[144:145]
	s_wait_loadcnt 0x2
	s_delay_alu instid0(VALU_DEP_1) | instskip(SKIP_1) | instid1(VALU_DEP_1)
	v_fmac_f64_e32 v[158:159], v[136:137], v[146:147]
	s_wait_dscnt 0x1
	v_fmac_f64_e32 v[158:159], v[138:139], v[124:125]
	s_wait_loadcnt 0x1
	s_delay_alu instid0(VALU_DEP_1) | instskip(SKIP_1) | instid1(VALU_DEP_1)
	v_fmac_f64_e32 v[158:159], v[140:141], v[126:127]
	s_wait_dscnt 0x0
	v_fmac_f64_e32 v[158:159], v[142:143], v[128:129]
	s_wait_loadcnt 0x0
	s_delay_alu instid0(VALU_DEP_1) | instskip(NEXT) | instid1(VALU_DEP_1)
	v_fmac_f64_e32 v[158:159], v[152:153], v[130:131]
	v_add_f64_e64 v[2:3], v[122:123], -v[158:159]
	scratch_store_b64 off, v[2:3], off offset:272
	s_wait_xcnt 0x0
	v_cmpx_lt_u32_e32 33, v0
	s_cbranch_execz .LBB122_297
; %bb.296:
	scratch_load_b64 v[2:3], off, off offset:264
	v_mov_b64_e32 v[122:123], 0
	scratch_store_b64 off, v[122:123], off offset:264
	s_wait_loadcnt 0x0
	ds_store_b64 v1, v[2:3]
.LBB122_297:
	s_wait_xcnt 0x0
	s_or_b32 exec_lo, exec_lo, s0
	s_wait_storecnt_dscnt 0x0
	s_barrier_signal -1
	s_barrier_wait -1
	s_clause 0x5
	scratch_load_b128 v[122:125], off, off offset:264
	scratch_load_b128 v[126:129], off, off offset:280
	;; [unrolled: 1-line block ×6, first 2 shown]
	v_mov_b32_e32 v2, 0
	ds_load_b128 v[146:149], v2 offset:752
	ds_load_b128 v[150:153], v2 offset:768
	scratch_load_b128 v[154:157], off, off offset:360
	s_mov_b32 s0, exec_lo
	s_wait_loadcnt_dscnt 0x601
	v_fma_f64 v[158:159], v[124:125], v[146:147], 0
	s_wait_loadcnt 0x5
	s_delay_alu instid0(VALU_DEP_1) | instskip(SKIP_4) | instid1(VALU_DEP_1)
	v_fmac_f64_e32 v[158:159], v[126:127], v[148:149]
	scratch_load_b128 v[124:127], off, off offset:376
	s_wait_dscnt 0x0
	v_fmac_f64_e32 v[158:159], v[128:129], v[150:151]
	s_wait_loadcnt 0x5
	v_fmac_f64_e32 v[158:159], v[130:131], v[152:153]
	ds_load_b128 v[128:131], v2 offset:784
	ds_load_b128 v[146:149], v2 offset:800
	s_wait_dscnt 0x1
	v_fmac_f64_e32 v[158:159], v[132:133], v[128:129]
	s_wait_loadcnt 0x4
	s_delay_alu instid0(VALU_DEP_1)
	v_fmac_f64_e32 v[158:159], v[134:135], v[130:131]
	s_clause 0x1
	scratch_load_b128 v[128:131], off, off offset:392
	scratch_load_b128 v[132:135], off, off offset:408
	s_wait_dscnt 0x0
	v_fmac_f64_e32 v[158:159], v[136:137], v[146:147]
	s_wait_loadcnt 0x5
	s_delay_alu instid0(VALU_DEP_1)
	v_fmac_f64_e32 v[158:159], v[138:139], v[148:149]
	ds_load_b128 v[136:139], v2 offset:816
	ds_load_b128 v[146:149], v2 offset:832
	s_wait_dscnt 0x1
	v_fmac_f64_e32 v[158:159], v[140:141], v[136:137]
	s_wait_loadcnt 0x4
	s_delay_alu instid0(VALU_DEP_1)
	v_fmac_f64_e32 v[158:159], v[142:143], v[138:139]
	s_clause 0x1
	scratch_load_b128 v[136:139], off, off offset:424
	scratch_load_b128 v[140:143], off, off offset:440
	s_wait_dscnt 0x0
	v_fmac_f64_e32 v[158:159], v[144:145], v[146:147]
	s_wait_loadcnt 0x5
	s_delay_alu instid0(VALU_DEP_1)
	v_fmac_f64_e32 v[158:159], v[154:155], v[148:149]
	ds_load_b128 v[144:147], v2 offset:848
	ds_load_b128 v[148:151], v2 offset:864
	s_wait_dscnt 0x1
	v_fmac_f64_e32 v[158:159], v[156:157], v[144:145]
	s_wait_loadcnt 0x4
	s_delay_alu instid0(VALU_DEP_1) | instskip(SKIP_4) | instid1(VALU_DEP_1)
	v_fmac_f64_e32 v[158:159], v[124:125], v[146:147]
	scratch_load_b128 v[144:147], off, off offset:456
	s_wait_dscnt 0x0
	v_fmac_f64_e32 v[158:159], v[126:127], v[148:149]
	s_wait_loadcnt 0x4
	v_fmac_f64_e32 v[158:159], v[128:129], v[150:151]
	ds_load_b128 v[124:127], v2 offset:880
	ds_load_b128 v[148:151], v2 offset:896
	s_wait_dscnt 0x1
	v_fmac_f64_e32 v[158:159], v[130:131], v[124:125]
	s_wait_loadcnt 0x3
	s_delay_alu instid0(VALU_DEP_1)
	v_fmac_f64_e32 v[158:159], v[132:133], v[126:127]
	ds_load_b128 v[124:127], v2 offset:912
	ds_load_b128 v[128:131], v2 offset:928
	s_wait_dscnt 0x2
	v_fmac_f64_e32 v[158:159], v[134:135], v[148:149]
	s_wait_loadcnt 0x2
	s_delay_alu instid0(VALU_DEP_1) | instskip(SKIP_1) | instid1(VALU_DEP_1)
	v_fmac_f64_e32 v[158:159], v[136:137], v[150:151]
	s_wait_dscnt 0x1
	v_fmac_f64_e32 v[158:159], v[138:139], v[124:125]
	ds_load_b64 v[124:125], v2 offset:944
	s_wait_loadcnt 0x1
	v_fmac_f64_e32 v[158:159], v[140:141], v[126:127]
	s_wait_dscnt 0x1
	s_delay_alu instid0(VALU_DEP_1) | instskip(SKIP_1) | instid1(VALU_DEP_1)
	v_fmac_f64_e32 v[158:159], v[142:143], v[128:129]
	s_wait_loadcnt 0x0
	v_fmac_f64_e32 v[158:159], v[144:145], v[130:131]
	s_wait_dscnt 0x0
	s_delay_alu instid0(VALU_DEP_1) | instskip(NEXT) | instid1(VALU_DEP_1)
	v_fmac_f64_e32 v[158:159], v[146:147], v[124:125]
	v_add_f64_e64 v[122:123], v[122:123], -v[158:159]
	scratch_store_b64 off, v[122:123], off offset:264
	s_wait_xcnt 0x0
	v_cmpx_lt_u32_e32 32, v0
	s_cbranch_execz .LBB122_299
; %bb.298:
	scratch_load_b64 v[122:123], off, off offset:256
	v_mov_b64_e32 v[124:125], 0
	scratch_store_b64 off, v[124:125], off offset:256
	s_wait_loadcnt 0x0
	ds_store_b64 v1, v[122:123]
.LBB122_299:
	s_wait_xcnt 0x0
	s_or_b32 exec_lo, exec_lo, s0
	s_wait_storecnt_dscnt 0x0
	s_barrier_signal -1
	s_barrier_wait -1
	s_clause 0x5
	scratch_load_b128 v[122:125], off, off offset:256
	scratch_load_b128 v[126:129], off, off offset:272
	scratch_load_b128 v[130:133], off, off offset:288
	scratch_load_b128 v[134:137], off, off offset:304
	scratch_load_b128 v[138:141], off, off offset:320
	scratch_load_b128 v[142:145], off, off offset:336
	ds_load_2addr_b64 v[146:149], v2 offset0:93 offset1:94
	ds_load_2addr_b64 v[150:153], v2 offset0:95 offset1:96
	scratch_load_b128 v[154:157], off, off offset:352
	s_mov_b32 s0, exec_lo
	s_wait_loadcnt_dscnt 0x601
	v_fma_f64 v[158:159], v[124:125], v[146:147], 0
	s_wait_loadcnt 0x5
	s_delay_alu instid0(VALU_DEP_1) | instskip(SKIP_4) | instid1(VALU_DEP_1)
	v_fmac_f64_e32 v[158:159], v[126:127], v[148:149]
	scratch_load_b128 v[124:127], off, off offset:368
	s_wait_dscnt 0x0
	v_fmac_f64_e32 v[158:159], v[128:129], v[150:151]
	s_wait_loadcnt 0x5
	v_fmac_f64_e32 v[158:159], v[130:131], v[152:153]
	ds_load_2addr_b64 v[128:131], v2 offset0:97 offset1:98
	ds_load_2addr_b64 v[146:149], v2 offset0:99 offset1:100
	scratch_load_b128 v[150:153], off, off offset:384
	s_wait_dscnt 0x1
	v_fmac_f64_e32 v[158:159], v[132:133], v[128:129]
	s_wait_loadcnt 0x5
	s_delay_alu instid0(VALU_DEP_1) | instskip(SKIP_4) | instid1(VALU_DEP_1)
	v_fmac_f64_e32 v[158:159], v[134:135], v[130:131]
	scratch_load_b128 v[128:131], off, off offset:400
	s_wait_dscnt 0x0
	v_fmac_f64_e32 v[158:159], v[136:137], v[146:147]
	s_wait_loadcnt 0x5
	v_fmac_f64_e32 v[158:159], v[138:139], v[148:149]
	ds_load_2addr_b64 v[132:135], v2 offset0:101 offset1:102
	ds_load_2addr_b64 v[136:139], v2 offset0:103 offset1:104
	s_wait_dscnt 0x1
	v_fmac_f64_e32 v[158:159], v[140:141], v[132:133]
	s_wait_loadcnt 0x4
	s_delay_alu instid0(VALU_DEP_1) | instskip(SKIP_4) | instid1(VALU_DEP_1)
	v_fmac_f64_e32 v[158:159], v[142:143], v[134:135]
	scratch_load_b128 v[132:135], off, off offset:416
	s_wait_dscnt 0x0
	v_fmac_f64_e32 v[158:159], v[144:145], v[136:137]
	s_wait_loadcnt 0x4
	v_fmac_f64_e32 v[158:159], v[154:155], v[138:139]
	scratch_load_b128 v[136:139], off, off offset:432
	ds_load_2addr_b64 v[140:143], v2 offset0:105 offset1:106
	ds_load_2addr_b64 v[144:147], v2 offset0:107 offset1:108
	scratch_load_b64 v[148:149], off, off offset:464
	s_wait_dscnt 0x1
	v_fmac_f64_e32 v[158:159], v[156:157], v[140:141]
	s_wait_loadcnt 0x5
	s_delay_alu instid0(VALU_DEP_1) | instskip(SKIP_4) | instid1(VALU_DEP_1)
	v_fmac_f64_e32 v[158:159], v[124:125], v[142:143]
	scratch_load_b128 v[140:143], off, off offset:448
	s_wait_dscnt 0x0
	v_fmac_f64_e32 v[158:159], v[126:127], v[144:145]
	s_wait_loadcnt 0x5
	v_fmac_f64_e32 v[158:159], v[150:151], v[146:147]
	ds_load_2addr_b64 v[124:127], v2 offset0:109 offset1:110
	ds_load_2addr_b64 v[144:147], v2 offset0:111 offset1:112
	s_wait_dscnt 0x1
	v_fmac_f64_e32 v[158:159], v[152:153], v[124:125]
	s_wait_loadcnt 0x4
	s_delay_alu instid0(VALU_DEP_1) | instskip(SKIP_1) | instid1(VALU_DEP_1)
	v_fmac_f64_e32 v[158:159], v[128:129], v[126:127]
	s_wait_dscnt 0x0
	v_fmac_f64_e32 v[158:159], v[130:131], v[144:145]
	ds_load_2addr_b64 v[124:127], v2 offset0:113 offset1:114
	ds_load_2addr_b64 v[128:131], v2 offset0:115 offset1:116
	s_wait_loadcnt 0x3
	v_fmac_f64_e32 v[158:159], v[132:133], v[146:147]
	s_wait_dscnt 0x1
	s_delay_alu instid0(VALU_DEP_1) | instskip(SKIP_1) | instid1(VALU_DEP_1)
	v_fmac_f64_e32 v[158:159], v[134:135], v[124:125]
	s_wait_loadcnt 0x2
	v_fmac_f64_e32 v[158:159], v[136:137], v[126:127]
	ds_load_2addr_b64 v[124:127], v2 offset0:117 offset1:118
	s_wait_dscnt 0x1
	v_fmac_f64_e32 v[158:159], v[138:139], v[128:129]
	s_wait_loadcnt 0x0
	s_delay_alu instid0(VALU_DEP_1) | instskip(SKIP_1) | instid1(VALU_DEP_1)
	v_fmac_f64_e32 v[158:159], v[140:141], v[130:131]
	s_wait_dscnt 0x0
	v_fmac_f64_e32 v[158:159], v[142:143], v[124:125]
	s_delay_alu instid0(VALU_DEP_1) | instskip(NEXT) | instid1(VALU_DEP_1)
	v_fmac_f64_e32 v[158:159], v[148:149], v[126:127]
	v_add_f64_e64 v[2:3], v[122:123], -v[158:159]
	scratch_store_b64 off, v[2:3], off offset:256
	s_wait_xcnt 0x0
	v_cmpx_lt_u32_e32 31, v0
	s_cbranch_execz .LBB122_301
; %bb.300:
	scratch_load_b64 v[2:3], off, off offset:248
	v_mov_b64_e32 v[122:123], 0
	scratch_store_b64 off, v[122:123], off offset:248
	s_wait_loadcnt 0x0
	ds_store_b64 v1, v[2:3]
.LBB122_301:
	s_wait_xcnt 0x0
	s_or_b32 exec_lo, exec_lo, s0
	s_wait_storecnt_dscnt 0x0
	s_barrier_signal -1
	s_barrier_wait -1
	s_clause 0x5
	scratch_load_b128 v[122:125], off, off offset:248
	scratch_load_b128 v[126:129], off, off offset:264
	;; [unrolled: 1-line block ×6, first 2 shown]
	v_mov_b32_e32 v2, 0
	ds_load_b128 v[146:149], v2 offset:736
	ds_load_b128 v[150:153], v2 offset:752
	scratch_load_b128 v[154:157], off, off offset:344
	s_mov_b32 s0, exec_lo
	s_wait_loadcnt_dscnt 0x601
	v_fma_f64 v[158:159], v[124:125], v[146:147], 0
	s_wait_loadcnt 0x5
	s_delay_alu instid0(VALU_DEP_1) | instskip(SKIP_4) | instid1(VALU_DEP_1)
	v_fmac_f64_e32 v[158:159], v[126:127], v[148:149]
	scratch_load_b128 v[124:127], off, off offset:360
	s_wait_dscnt 0x0
	v_fmac_f64_e32 v[158:159], v[128:129], v[150:151]
	s_wait_loadcnt 0x5
	v_fmac_f64_e32 v[158:159], v[130:131], v[152:153]
	ds_load_b128 v[128:131], v2 offset:768
	ds_load_b128 v[146:149], v2 offset:784
	scratch_load_b128 v[150:153], off, off offset:376
	s_wait_dscnt 0x1
	v_fmac_f64_e32 v[158:159], v[132:133], v[128:129]
	s_wait_loadcnt 0x5
	s_delay_alu instid0(VALU_DEP_1) | instskip(SKIP_4) | instid1(VALU_DEP_1)
	v_fmac_f64_e32 v[158:159], v[134:135], v[130:131]
	scratch_load_b128 v[128:131], off, off offset:392
	s_wait_dscnt 0x0
	v_fmac_f64_e32 v[158:159], v[136:137], v[146:147]
	s_wait_loadcnt 0x5
	v_fmac_f64_e32 v[158:159], v[138:139], v[148:149]
	ds_load_b128 v[132:135], v2 offset:800
	ds_load_b128 v[136:139], v2 offset:816
	s_wait_dscnt 0x1
	v_fmac_f64_e32 v[158:159], v[140:141], v[132:133]
	s_wait_loadcnt 0x4
	s_delay_alu instid0(VALU_DEP_1) | instskip(SKIP_4) | instid1(VALU_DEP_1)
	v_fmac_f64_e32 v[158:159], v[142:143], v[134:135]
	scratch_load_b128 v[132:135], off, off offset:408
	s_wait_dscnt 0x0
	v_fmac_f64_e32 v[158:159], v[144:145], v[136:137]
	s_wait_loadcnt 0x4
	v_fmac_f64_e32 v[158:159], v[154:155], v[138:139]
	scratch_load_b128 v[136:139], off, off offset:424
	ds_load_b128 v[140:143], v2 offset:832
	ds_load_b128 v[144:147], v2 offset:848
	s_wait_dscnt 0x1
	v_fmac_f64_e32 v[158:159], v[156:157], v[140:141]
	s_wait_loadcnt 0x4
	s_delay_alu instid0(VALU_DEP_1)
	v_fmac_f64_e32 v[158:159], v[124:125], v[142:143]
	scratch_load_b128 v[140:143], off, off offset:440
	s_wait_dscnt 0x0
	v_fmac_f64_e32 v[158:159], v[126:127], v[144:145]
	scratch_load_b128 v[124:127], off, off offset:456
	s_wait_loadcnt 0x5
	v_fmac_f64_e32 v[158:159], v[150:151], v[146:147]
	ds_load_b128 v[144:147], v2 offset:864
	ds_load_b128 v[148:151], v2 offset:880
	s_wait_dscnt 0x1
	v_fmac_f64_e32 v[158:159], v[152:153], v[144:145]
	s_wait_loadcnt 0x4
	s_delay_alu instid0(VALU_DEP_1) | instskip(SKIP_1) | instid1(VALU_DEP_1)
	v_fmac_f64_e32 v[158:159], v[128:129], v[146:147]
	s_wait_dscnt 0x0
	v_fmac_f64_e32 v[158:159], v[130:131], v[148:149]
	ds_load_b128 v[128:131], v2 offset:896
	ds_load_b128 v[144:147], v2 offset:912
	s_wait_loadcnt 0x3
	v_fmac_f64_e32 v[158:159], v[132:133], v[150:151]
	s_wait_dscnt 0x1
	s_delay_alu instid0(VALU_DEP_1) | instskip(SKIP_1) | instid1(VALU_DEP_1)
	v_fmac_f64_e32 v[158:159], v[134:135], v[128:129]
	s_wait_loadcnt 0x2
	v_fmac_f64_e32 v[158:159], v[136:137], v[130:131]
	ds_load_b128 v[128:131], v2 offset:928
	ds_load_b64 v[132:133], v2 offset:944
	s_wait_dscnt 0x2
	v_fmac_f64_e32 v[158:159], v[138:139], v[144:145]
	s_wait_loadcnt 0x1
	s_delay_alu instid0(VALU_DEP_1) | instskip(SKIP_1) | instid1(VALU_DEP_1)
	v_fmac_f64_e32 v[158:159], v[140:141], v[146:147]
	s_wait_dscnt 0x1
	v_fmac_f64_e32 v[158:159], v[142:143], v[128:129]
	s_wait_loadcnt 0x0
	s_delay_alu instid0(VALU_DEP_1) | instskip(SKIP_1) | instid1(VALU_DEP_1)
	v_fmac_f64_e32 v[158:159], v[124:125], v[130:131]
	s_wait_dscnt 0x0
	v_fmac_f64_e32 v[158:159], v[126:127], v[132:133]
	s_delay_alu instid0(VALU_DEP_1)
	v_add_f64_e64 v[122:123], v[122:123], -v[158:159]
	scratch_store_b64 off, v[122:123], off offset:248
	s_wait_xcnt 0x0
	v_cmpx_lt_u32_e32 30, v0
	s_cbranch_execz .LBB122_303
; %bb.302:
	scratch_load_b64 v[122:123], off, off offset:240
	v_mov_b64_e32 v[124:125], 0
	scratch_store_b64 off, v[124:125], off offset:240
	s_wait_loadcnt 0x0
	ds_store_b64 v1, v[122:123]
.LBB122_303:
	s_wait_xcnt 0x0
	s_or_b32 exec_lo, exec_lo, s0
	s_wait_storecnt_dscnt 0x0
	s_barrier_signal -1
	s_barrier_wait -1
	s_clause 0x5
	scratch_load_b128 v[122:125], off, off offset:240
	scratch_load_b128 v[126:129], off, off offset:256
	;; [unrolled: 1-line block ×6, first 2 shown]
	ds_load_2addr_b64 v[146:149], v2 offset0:91 offset1:92
	ds_load_2addr_b64 v[150:153], v2 offset0:93 offset1:94
	scratch_load_b128 v[154:157], off, off offset:336
	s_mov_b32 s0, exec_lo
	s_wait_loadcnt_dscnt 0x601
	v_fma_f64 v[158:159], v[124:125], v[146:147], 0
	s_wait_loadcnt 0x5
	s_delay_alu instid0(VALU_DEP_1) | instskip(SKIP_4) | instid1(VALU_DEP_1)
	v_fmac_f64_e32 v[158:159], v[126:127], v[148:149]
	scratch_load_b128 v[124:127], off, off offset:352
	s_wait_dscnt 0x0
	v_fmac_f64_e32 v[158:159], v[128:129], v[150:151]
	s_wait_loadcnt 0x5
	v_fmac_f64_e32 v[158:159], v[130:131], v[152:153]
	ds_load_2addr_b64 v[128:131], v2 offset0:95 offset1:96
	ds_load_2addr_b64 v[146:149], v2 offset0:97 offset1:98
	scratch_load_b128 v[150:153], off, off offset:368
	s_wait_dscnt 0x1
	v_fmac_f64_e32 v[158:159], v[132:133], v[128:129]
	s_wait_loadcnt 0x5
	s_delay_alu instid0(VALU_DEP_1) | instskip(SKIP_4) | instid1(VALU_DEP_1)
	v_fmac_f64_e32 v[158:159], v[134:135], v[130:131]
	scratch_load_b128 v[128:131], off, off offset:384
	s_wait_dscnt 0x0
	v_fmac_f64_e32 v[158:159], v[136:137], v[146:147]
	s_wait_loadcnt 0x5
	v_fmac_f64_e32 v[158:159], v[138:139], v[148:149]
	ds_load_2addr_b64 v[132:135], v2 offset0:99 offset1:100
	ds_load_2addr_b64 v[136:139], v2 offset0:101 offset1:102
	s_wait_dscnt 0x1
	v_fmac_f64_e32 v[158:159], v[140:141], v[132:133]
	s_wait_loadcnt 0x4
	s_delay_alu instid0(VALU_DEP_1) | instskip(SKIP_4) | instid1(VALU_DEP_1)
	v_fmac_f64_e32 v[158:159], v[142:143], v[134:135]
	scratch_load_b128 v[132:135], off, off offset:400
	s_wait_dscnt 0x0
	v_fmac_f64_e32 v[158:159], v[144:145], v[136:137]
	s_wait_loadcnt 0x4
	v_fmac_f64_e32 v[158:159], v[154:155], v[138:139]
	scratch_load_b128 v[136:139], off, off offset:416
	ds_load_2addr_b64 v[140:143], v2 offset0:103 offset1:104
	ds_load_2addr_b64 v[144:147], v2 offset0:105 offset1:106
	s_wait_dscnt 0x1
	v_fmac_f64_e32 v[158:159], v[156:157], v[140:141]
	s_wait_loadcnt 0x4
	s_delay_alu instid0(VALU_DEP_1)
	v_fmac_f64_e32 v[158:159], v[124:125], v[142:143]
	scratch_load_b128 v[140:143], off, off offset:432
	s_wait_dscnt 0x0
	v_fmac_f64_e32 v[158:159], v[126:127], v[144:145]
	scratch_load_b128 v[124:127], off, off offset:448
	s_wait_loadcnt 0x5
	v_fmac_f64_e32 v[158:159], v[150:151], v[146:147]
	ds_load_2addr_b64 v[144:147], v2 offset0:107 offset1:108
	ds_load_2addr_b64 v[148:151], v2 offset0:109 offset1:110
	s_wait_dscnt 0x1
	v_fmac_f64_e32 v[158:159], v[152:153], v[144:145]
	scratch_load_b64 v[152:153], off, off offset:464
	s_wait_loadcnt 0x5
	v_fmac_f64_e32 v[158:159], v[128:129], v[146:147]
	s_wait_dscnt 0x0
	s_delay_alu instid0(VALU_DEP_1)
	v_fmac_f64_e32 v[158:159], v[130:131], v[148:149]
	ds_load_2addr_b64 v[128:131], v2 offset0:111 offset1:112
	ds_load_2addr_b64 v[144:147], v2 offset0:113 offset1:114
	s_wait_loadcnt 0x4
	v_fmac_f64_e32 v[158:159], v[132:133], v[150:151]
	s_wait_dscnt 0x1
	s_delay_alu instid0(VALU_DEP_1) | instskip(SKIP_1) | instid1(VALU_DEP_1)
	v_fmac_f64_e32 v[158:159], v[134:135], v[128:129]
	s_wait_loadcnt 0x3
	v_fmac_f64_e32 v[158:159], v[136:137], v[130:131]
	ds_load_2addr_b64 v[128:131], v2 offset0:115 offset1:116
	ds_load_2addr_b64 v[132:135], v2 offset0:117 offset1:118
	s_wait_dscnt 0x2
	v_fmac_f64_e32 v[158:159], v[138:139], v[144:145]
	s_wait_loadcnt 0x2
	s_delay_alu instid0(VALU_DEP_1) | instskip(SKIP_1) | instid1(VALU_DEP_1)
	v_fmac_f64_e32 v[158:159], v[140:141], v[146:147]
	s_wait_dscnt 0x1
	v_fmac_f64_e32 v[158:159], v[142:143], v[128:129]
	s_wait_loadcnt 0x1
	s_delay_alu instid0(VALU_DEP_1) | instskip(SKIP_1) | instid1(VALU_DEP_1)
	v_fmac_f64_e32 v[158:159], v[124:125], v[130:131]
	s_wait_dscnt 0x0
	v_fmac_f64_e32 v[158:159], v[126:127], v[132:133]
	s_wait_loadcnt 0x0
	s_delay_alu instid0(VALU_DEP_1) | instskip(NEXT) | instid1(VALU_DEP_1)
	v_fmac_f64_e32 v[158:159], v[152:153], v[134:135]
	v_add_f64_e64 v[2:3], v[122:123], -v[158:159]
	scratch_store_b64 off, v[2:3], off offset:240
	s_wait_xcnt 0x0
	v_cmpx_lt_u32_e32 29, v0
	s_cbranch_execz .LBB122_305
; %bb.304:
	scratch_load_b64 v[2:3], off, off offset:232
	v_mov_b64_e32 v[122:123], 0
	scratch_store_b64 off, v[122:123], off offset:232
	s_wait_loadcnt 0x0
	ds_store_b64 v1, v[2:3]
.LBB122_305:
	s_wait_xcnt 0x0
	s_or_b32 exec_lo, exec_lo, s0
	s_wait_storecnt_dscnt 0x0
	s_barrier_signal -1
	s_barrier_wait -1
	s_clause 0x5
	scratch_load_b128 v[122:125], off, off offset:232
	scratch_load_b128 v[126:129], off, off offset:248
	;; [unrolled: 1-line block ×6, first 2 shown]
	v_mov_b32_e32 v2, 0
	ds_load_b128 v[146:149], v2 offset:720
	ds_load_b128 v[150:153], v2 offset:736
	scratch_load_b128 v[154:157], off, off offset:328
	s_mov_b32 s0, exec_lo
	s_wait_loadcnt_dscnt 0x601
	v_fma_f64 v[158:159], v[124:125], v[146:147], 0
	s_wait_loadcnt 0x5
	s_delay_alu instid0(VALU_DEP_1) | instskip(SKIP_4) | instid1(VALU_DEP_1)
	v_fmac_f64_e32 v[158:159], v[126:127], v[148:149]
	scratch_load_b128 v[124:127], off, off offset:344
	s_wait_dscnt 0x0
	v_fmac_f64_e32 v[158:159], v[128:129], v[150:151]
	s_wait_loadcnt 0x5
	v_fmac_f64_e32 v[158:159], v[130:131], v[152:153]
	ds_load_b128 v[128:131], v2 offset:752
	ds_load_b128 v[146:149], v2 offset:768
	scratch_load_b128 v[150:153], off, off offset:360
	s_wait_dscnt 0x1
	v_fmac_f64_e32 v[158:159], v[132:133], v[128:129]
	s_wait_loadcnt 0x5
	s_delay_alu instid0(VALU_DEP_1) | instskip(SKIP_4) | instid1(VALU_DEP_1)
	v_fmac_f64_e32 v[158:159], v[134:135], v[130:131]
	scratch_load_b128 v[128:131], off, off offset:376
	s_wait_dscnt 0x0
	v_fmac_f64_e32 v[158:159], v[136:137], v[146:147]
	s_wait_loadcnt 0x5
	v_fmac_f64_e32 v[158:159], v[138:139], v[148:149]
	ds_load_b128 v[132:135], v2 offset:784
	ds_load_b128 v[136:139], v2 offset:800
	s_wait_dscnt 0x1
	v_fmac_f64_e32 v[158:159], v[140:141], v[132:133]
	s_wait_loadcnt 0x4
	s_delay_alu instid0(VALU_DEP_1) | instskip(SKIP_4) | instid1(VALU_DEP_1)
	v_fmac_f64_e32 v[158:159], v[142:143], v[134:135]
	scratch_load_b128 v[132:135], off, off offset:392
	s_wait_dscnt 0x0
	v_fmac_f64_e32 v[158:159], v[144:145], v[136:137]
	s_wait_loadcnt 0x4
	v_fmac_f64_e32 v[158:159], v[154:155], v[138:139]
	scratch_load_b128 v[136:139], off, off offset:408
	ds_load_b128 v[140:143], v2 offset:816
	ds_load_b128 v[144:147], v2 offset:832
	s_wait_dscnt 0x1
	v_fmac_f64_e32 v[158:159], v[156:157], v[140:141]
	s_wait_loadcnt 0x4
	s_delay_alu instid0(VALU_DEP_1)
	v_fmac_f64_e32 v[158:159], v[124:125], v[142:143]
	scratch_load_b128 v[140:143], off, off offset:424
	s_wait_dscnt 0x0
	v_fmac_f64_e32 v[158:159], v[126:127], v[144:145]
	scratch_load_b128 v[124:127], off, off offset:440
	s_wait_loadcnt 0x5
	v_fmac_f64_e32 v[158:159], v[150:151], v[146:147]
	ds_load_b128 v[144:147], v2 offset:848
	ds_load_b128 v[148:151], v2 offset:864
	s_wait_dscnt 0x1
	v_fmac_f64_e32 v[158:159], v[152:153], v[144:145]
	s_wait_loadcnt 0x4
	s_delay_alu instid0(VALU_DEP_1) | instskip(SKIP_4) | instid1(VALU_DEP_1)
	v_fmac_f64_e32 v[158:159], v[128:129], v[146:147]
	scratch_load_b128 v[144:147], off, off offset:456
	s_wait_dscnt 0x0
	v_fmac_f64_e32 v[158:159], v[130:131], v[148:149]
	s_wait_loadcnt 0x4
	v_fmac_f64_e32 v[158:159], v[132:133], v[150:151]
	ds_load_b128 v[128:131], v2 offset:880
	ds_load_b128 v[148:151], v2 offset:896
	s_wait_dscnt 0x1
	v_fmac_f64_e32 v[158:159], v[134:135], v[128:129]
	s_wait_loadcnt 0x3
	s_delay_alu instid0(VALU_DEP_1)
	v_fmac_f64_e32 v[158:159], v[136:137], v[130:131]
	ds_load_b128 v[128:131], v2 offset:912
	ds_load_b128 v[132:135], v2 offset:928
	s_wait_dscnt 0x2
	v_fmac_f64_e32 v[158:159], v[138:139], v[148:149]
	s_wait_loadcnt 0x2
	s_delay_alu instid0(VALU_DEP_1) | instskip(SKIP_1) | instid1(VALU_DEP_1)
	v_fmac_f64_e32 v[158:159], v[140:141], v[150:151]
	s_wait_dscnt 0x1
	v_fmac_f64_e32 v[158:159], v[142:143], v[128:129]
	s_wait_loadcnt 0x1
	s_delay_alu instid0(VALU_DEP_1) | instskip(SKIP_4) | instid1(VALU_DEP_1)
	v_fmac_f64_e32 v[158:159], v[124:125], v[130:131]
	ds_load_b64 v[124:125], v2 offset:944
	s_wait_dscnt 0x1
	v_fmac_f64_e32 v[158:159], v[126:127], v[132:133]
	s_wait_loadcnt 0x0
	v_fmac_f64_e32 v[158:159], v[144:145], v[134:135]
	s_wait_dscnt 0x0
	s_delay_alu instid0(VALU_DEP_1) | instskip(NEXT) | instid1(VALU_DEP_1)
	v_fmac_f64_e32 v[158:159], v[146:147], v[124:125]
	v_add_f64_e64 v[122:123], v[122:123], -v[158:159]
	scratch_store_b64 off, v[122:123], off offset:232
	s_wait_xcnt 0x0
	v_cmpx_lt_u32_e32 28, v0
	s_cbranch_execz .LBB122_307
; %bb.306:
	scratch_load_b64 v[122:123], off, off offset:224
	v_mov_b64_e32 v[124:125], 0
	scratch_store_b64 off, v[124:125], off offset:224
	s_wait_loadcnt 0x0
	ds_store_b64 v1, v[122:123]
.LBB122_307:
	s_wait_xcnt 0x0
	s_or_b32 exec_lo, exec_lo, s0
	s_wait_storecnt_dscnt 0x0
	s_barrier_signal -1
	s_barrier_wait -1
	s_clause 0x5
	scratch_load_b128 v[122:125], off, off offset:224
	scratch_load_b128 v[126:129], off, off offset:240
	;; [unrolled: 1-line block ×6, first 2 shown]
	ds_load_2addr_b64 v[146:149], v2 offset0:89 offset1:90
	ds_load_2addr_b64 v[150:153], v2 offset0:91 offset1:92
	scratch_load_b128 v[154:157], off, off offset:320
	s_mov_b32 s0, exec_lo
	s_wait_loadcnt_dscnt 0x601
	v_fma_f64 v[158:159], v[124:125], v[146:147], 0
	s_wait_loadcnt 0x5
	s_delay_alu instid0(VALU_DEP_1) | instskip(SKIP_4) | instid1(VALU_DEP_1)
	v_fmac_f64_e32 v[158:159], v[126:127], v[148:149]
	scratch_load_b128 v[124:127], off, off offset:336
	s_wait_dscnt 0x0
	v_fmac_f64_e32 v[158:159], v[128:129], v[150:151]
	s_wait_loadcnt 0x5
	v_fmac_f64_e32 v[158:159], v[130:131], v[152:153]
	ds_load_2addr_b64 v[128:131], v2 offset0:93 offset1:94
	ds_load_2addr_b64 v[146:149], v2 offset0:95 offset1:96
	scratch_load_b128 v[150:153], off, off offset:352
	s_wait_dscnt 0x1
	v_fmac_f64_e32 v[158:159], v[132:133], v[128:129]
	s_wait_loadcnt 0x5
	s_delay_alu instid0(VALU_DEP_1) | instskip(SKIP_4) | instid1(VALU_DEP_1)
	v_fmac_f64_e32 v[158:159], v[134:135], v[130:131]
	scratch_load_b128 v[128:131], off, off offset:368
	s_wait_dscnt 0x0
	v_fmac_f64_e32 v[158:159], v[136:137], v[146:147]
	s_wait_loadcnt 0x5
	v_fmac_f64_e32 v[158:159], v[138:139], v[148:149]
	ds_load_2addr_b64 v[132:135], v2 offset0:97 offset1:98
	ds_load_2addr_b64 v[136:139], v2 offset0:99 offset1:100
	scratch_load_b128 v[146:149], off, off offset:384
	s_wait_dscnt 0x1
	v_fmac_f64_e32 v[158:159], v[140:141], v[132:133]
	s_wait_loadcnt 0x5
	s_delay_alu instid0(VALU_DEP_1) | instskip(SKIP_4) | instid1(VALU_DEP_1)
	v_fmac_f64_e32 v[158:159], v[142:143], v[134:135]
	scratch_load_b128 v[132:135], off, off offset:400
	s_wait_dscnt 0x0
	v_fmac_f64_e32 v[158:159], v[144:145], v[136:137]
	s_wait_loadcnt 0x5
	v_fmac_f64_e32 v[158:159], v[154:155], v[138:139]
	ds_load_2addr_b64 v[136:139], v2 offset0:101 offset1:102
	ds_load_2addr_b64 v[140:143], v2 offset0:103 offset1:104
	s_wait_dscnt 0x1
	v_fmac_f64_e32 v[158:159], v[156:157], v[136:137]
	s_wait_loadcnt 0x4
	s_delay_alu instid0(VALU_DEP_1)
	v_fmac_f64_e32 v[158:159], v[124:125], v[138:139]
	scratch_load_b128 v[136:139], off, off offset:416
	s_wait_dscnt 0x0
	v_fmac_f64_e32 v[158:159], v[126:127], v[140:141]
	scratch_load_b128 v[124:127], off, off offset:432
	s_wait_loadcnt 0x5
	v_fmac_f64_e32 v[158:159], v[150:151], v[142:143]
	ds_load_2addr_b64 v[140:143], v2 offset0:105 offset1:106
	ds_load_2addr_b64 v[154:157], v2 offset0:107 offset1:108
	scratch_load_b64 v[150:151], off, off offset:464
	s_wait_dscnt 0x1
	v_fmac_f64_e32 v[158:159], v[152:153], v[140:141]
	s_wait_loadcnt 0x5
	s_delay_alu instid0(VALU_DEP_1) | instskip(SKIP_4) | instid1(VALU_DEP_1)
	v_fmac_f64_e32 v[158:159], v[128:129], v[142:143]
	scratch_load_b128 v[140:143], off, off offset:448
	s_wait_dscnt 0x0
	v_fmac_f64_e32 v[158:159], v[130:131], v[154:155]
	s_wait_loadcnt 0x5
	v_fmac_f64_e32 v[158:159], v[146:147], v[156:157]
	ds_load_2addr_b64 v[128:131], v2 offset0:109 offset1:110
	ds_load_2addr_b64 v[144:147], v2 offset0:111 offset1:112
	s_wait_dscnt 0x1
	v_fmac_f64_e32 v[158:159], v[148:149], v[128:129]
	s_wait_loadcnt 0x4
	s_delay_alu instid0(VALU_DEP_1) | instskip(SKIP_1) | instid1(VALU_DEP_1)
	v_fmac_f64_e32 v[158:159], v[132:133], v[130:131]
	s_wait_dscnt 0x0
	v_fmac_f64_e32 v[158:159], v[134:135], v[144:145]
	ds_load_2addr_b64 v[128:131], v2 offset0:113 offset1:114
	ds_load_2addr_b64 v[132:135], v2 offset0:115 offset1:116
	s_wait_loadcnt 0x3
	v_fmac_f64_e32 v[158:159], v[136:137], v[146:147]
	s_wait_dscnt 0x1
	s_delay_alu instid0(VALU_DEP_1) | instskip(SKIP_1) | instid1(VALU_DEP_1)
	v_fmac_f64_e32 v[158:159], v[138:139], v[128:129]
	s_wait_loadcnt 0x2
	v_fmac_f64_e32 v[158:159], v[124:125], v[130:131]
	s_wait_dscnt 0x0
	s_delay_alu instid0(VALU_DEP_1) | instskip(SKIP_4) | instid1(VALU_DEP_1)
	v_fmac_f64_e32 v[158:159], v[126:127], v[132:133]
	ds_load_2addr_b64 v[124:127], v2 offset0:117 offset1:118
	s_wait_loadcnt 0x0
	v_fmac_f64_e32 v[158:159], v[140:141], v[134:135]
	s_wait_dscnt 0x0
	v_fmac_f64_e32 v[158:159], v[142:143], v[124:125]
	s_delay_alu instid0(VALU_DEP_1) | instskip(NEXT) | instid1(VALU_DEP_1)
	v_fmac_f64_e32 v[158:159], v[150:151], v[126:127]
	v_add_f64_e64 v[2:3], v[122:123], -v[158:159]
	scratch_store_b64 off, v[2:3], off offset:224
	s_wait_xcnt 0x0
	v_cmpx_lt_u32_e32 27, v0
	s_cbranch_execz .LBB122_309
; %bb.308:
	scratch_load_b64 v[2:3], off, off offset:216
	v_mov_b64_e32 v[122:123], 0
	scratch_store_b64 off, v[122:123], off offset:216
	s_wait_loadcnt 0x0
	ds_store_b64 v1, v[2:3]
.LBB122_309:
	s_wait_xcnt 0x0
	s_or_b32 exec_lo, exec_lo, s0
	s_wait_storecnt_dscnt 0x0
	s_barrier_signal -1
	s_barrier_wait -1
	s_clause 0x5
	scratch_load_b128 v[122:125], off, off offset:216
	scratch_load_b128 v[126:129], off, off offset:232
	;; [unrolled: 1-line block ×6, first 2 shown]
	v_mov_b32_e32 v2, 0
	ds_load_b128 v[146:149], v2 offset:704
	ds_load_b128 v[150:153], v2 offset:720
	scratch_load_b128 v[154:157], off, off offset:312
	s_mov_b32 s0, exec_lo
	s_wait_loadcnt_dscnt 0x601
	v_fma_f64 v[158:159], v[124:125], v[146:147], 0
	s_wait_loadcnt 0x5
	s_delay_alu instid0(VALU_DEP_1) | instskip(SKIP_4) | instid1(VALU_DEP_1)
	v_fmac_f64_e32 v[158:159], v[126:127], v[148:149]
	scratch_load_b128 v[124:127], off, off offset:328
	s_wait_dscnt 0x0
	v_fmac_f64_e32 v[158:159], v[128:129], v[150:151]
	s_wait_loadcnt 0x5
	v_fmac_f64_e32 v[158:159], v[130:131], v[152:153]
	ds_load_b128 v[128:131], v2 offset:736
	ds_load_b128 v[146:149], v2 offset:752
	scratch_load_b128 v[150:153], off, off offset:344
	s_wait_dscnt 0x1
	v_fmac_f64_e32 v[158:159], v[132:133], v[128:129]
	s_wait_loadcnt 0x5
	s_delay_alu instid0(VALU_DEP_1) | instskip(SKIP_4) | instid1(VALU_DEP_1)
	v_fmac_f64_e32 v[158:159], v[134:135], v[130:131]
	scratch_load_b128 v[128:131], off, off offset:360
	s_wait_dscnt 0x0
	v_fmac_f64_e32 v[158:159], v[136:137], v[146:147]
	s_wait_loadcnt 0x5
	v_fmac_f64_e32 v[158:159], v[138:139], v[148:149]
	ds_load_b128 v[132:135], v2 offset:768
	ds_load_b128 v[136:139], v2 offset:784
	scratch_load_b128 v[146:149], off, off offset:376
	s_wait_dscnt 0x1
	v_fmac_f64_e32 v[158:159], v[140:141], v[132:133]
	s_wait_loadcnt 0x5
	s_delay_alu instid0(VALU_DEP_1) | instskip(SKIP_4) | instid1(VALU_DEP_1)
	v_fmac_f64_e32 v[158:159], v[142:143], v[134:135]
	scratch_load_b128 v[132:135], off, off offset:392
	s_wait_dscnt 0x0
	v_fmac_f64_e32 v[158:159], v[144:145], v[136:137]
	s_wait_loadcnt 0x5
	v_fmac_f64_e32 v[158:159], v[154:155], v[138:139]
	ds_load_b128 v[136:139], v2 offset:800
	ds_load_b128 v[140:143], v2 offset:816
	s_wait_dscnt 0x1
	v_fmac_f64_e32 v[158:159], v[156:157], v[136:137]
	s_wait_loadcnt 0x4
	s_delay_alu instid0(VALU_DEP_1)
	v_fmac_f64_e32 v[158:159], v[124:125], v[138:139]
	scratch_load_b128 v[136:139], off, off offset:408
	s_wait_dscnt 0x0
	v_fmac_f64_e32 v[158:159], v[126:127], v[140:141]
	scratch_load_b128 v[124:127], off, off offset:424
	s_wait_loadcnt 0x5
	v_fmac_f64_e32 v[158:159], v[150:151], v[142:143]
	ds_load_b128 v[140:143], v2 offset:832
	ds_load_b128 v[154:157], v2 offset:848
	s_wait_dscnt 0x1
	v_fmac_f64_e32 v[158:159], v[152:153], v[140:141]
	s_wait_loadcnt 0x4
	s_delay_alu instid0(VALU_DEP_1)
	v_fmac_f64_e32 v[158:159], v[128:129], v[142:143]
	scratch_load_b128 v[140:143], off, off offset:440
	s_wait_dscnt 0x0
	v_fmac_f64_e32 v[158:159], v[130:131], v[154:155]
	scratch_load_b128 v[128:131], off, off offset:456
	s_wait_loadcnt 0x5
	v_fmac_f64_e32 v[158:159], v[146:147], v[156:157]
	ds_load_b128 v[144:147], v2 offset:864
	ds_load_b128 v[150:153], v2 offset:880
	s_wait_dscnt 0x1
	v_fmac_f64_e32 v[158:159], v[148:149], v[144:145]
	s_wait_loadcnt 0x4
	s_delay_alu instid0(VALU_DEP_1) | instskip(SKIP_1) | instid1(VALU_DEP_1)
	v_fmac_f64_e32 v[158:159], v[132:133], v[146:147]
	s_wait_dscnt 0x0
	v_fmac_f64_e32 v[158:159], v[134:135], v[150:151]
	ds_load_b128 v[132:135], v2 offset:896
	ds_load_b128 v[144:147], v2 offset:912
	s_wait_loadcnt 0x3
	v_fmac_f64_e32 v[158:159], v[136:137], v[152:153]
	s_wait_dscnt 0x1
	s_delay_alu instid0(VALU_DEP_1) | instskip(SKIP_1) | instid1(VALU_DEP_1)
	v_fmac_f64_e32 v[158:159], v[138:139], v[132:133]
	s_wait_loadcnt 0x2
	v_fmac_f64_e32 v[158:159], v[124:125], v[134:135]
	s_wait_dscnt 0x0
	s_delay_alu instid0(VALU_DEP_1)
	v_fmac_f64_e32 v[158:159], v[126:127], v[144:145]
	ds_load_b128 v[124:127], v2 offset:928
	ds_load_b64 v[132:133], v2 offset:944
	s_wait_loadcnt 0x1
	v_fmac_f64_e32 v[158:159], v[140:141], v[146:147]
	s_wait_dscnt 0x1
	s_delay_alu instid0(VALU_DEP_1) | instskip(SKIP_1) | instid1(VALU_DEP_1)
	v_fmac_f64_e32 v[158:159], v[142:143], v[124:125]
	s_wait_loadcnt 0x0
	v_fmac_f64_e32 v[158:159], v[128:129], v[126:127]
	s_wait_dscnt 0x0
	s_delay_alu instid0(VALU_DEP_1) | instskip(NEXT) | instid1(VALU_DEP_1)
	v_fmac_f64_e32 v[158:159], v[130:131], v[132:133]
	v_add_f64_e64 v[122:123], v[122:123], -v[158:159]
	scratch_store_b64 off, v[122:123], off offset:216
	s_wait_xcnt 0x0
	v_cmpx_lt_u32_e32 26, v0
	s_cbranch_execz .LBB122_311
; %bb.310:
	scratch_load_b64 v[122:123], off, off offset:208
	v_mov_b64_e32 v[124:125], 0
	scratch_store_b64 off, v[124:125], off offset:208
	s_wait_loadcnt 0x0
	ds_store_b64 v1, v[122:123]
.LBB122_311:
	s_wait_xcnt 0x0
	s_or_b32 exec_lo, exec_lo, s0
	s_wait_storecnt_dscnt 0x0
	s_barrier_signal -1
	s_barrier_wait -1
	s_clause 0x5
	scratch_load_b128 v[122:125], off, off offset:208
	scratch_load_b128 v[126:129], off, off offset:224
	;; [unrolled: 1-line block ×6, first 2 shown]
	ds_load_2addr_b64 v[146:149], v2 offset0:87 offset1:88
	ds_load_2addr_b64 v[150:153], v2 offset0:89 offset1:90
	scratch_load_b128 v[154:157], off, off offset:304
	s_mov_b32 s0, exec_lo
	s_wait_loadcnt_dscnt 0x601
	v_fma_f64 v[158:159], v[124:125], v[146:147], 0
	s_wait_loadcnt 0x5
	s_delay_alu instid0(VALU_DEP_1) | instskip(SKIP_4) | instid1(VALU_DEP_1)
	v_fmac_f64_e32 v[158:159], v[126:127], v[148:149]
	scratch_load_b128 v[124:127], off, off offset:320
	s_wait_dscnt 0x0
	v_fmac_f64_e32 v[158:159], v[128:129], v[150:151]
	s_wait_loadcnt 0x5
	v_fmac_f64_e32 v[158:159], v[130:131], v[152:153]
	ds_load_2addr_b64 v[128:131], v2 offset0:91 offset1:92
	ds_load_2addr_b64 v[146:149], v2 offset0:93 offset1:94
	scratch_load_b128 v[150:153], off, off offset:336
	s_wait_dscnt 0x1
	v_fmac_f64_e32 v[158:159], v[132:133], v[128:129]
	s_wait_loadcnt 0x5
	s_delay_alu instid0(VALU_DEP_1) | instskip(SKIP_4) | instid1(VALU_DEP_1)
	v_fmac_f64_e32 v[158:159], v[134:135], v[130:131]
	scratch_load_b128 v[128:131], off, off offset:352
	s_wait_dscnt 0x0
	v_fmac_f64_e32 v[158:159], v[136:137], v[146:147]
	s_wait_loadcnt 0x5
	v_fmac_f64_e32 v[158:159], v[138:139], v[148:149]
	ds_load_2addr_b64 v[132:135], v2 offset0:95 offset1:96
	ds_load_2addr_b64 v[136:139], v2 offset0:97 offset1:98
	scratch_load_b128 v[146:149], off, off offset:368
	s_wait_dscnt 0x1
	v_fmac_f64_e32 v[158:159], v[140:141], v[132:133]
	s_wait_loadcnt 0x5
	s_delay_alu instid0(VALU_DEP_1) | instskip(SKIP_4) | instid1(VALU_DEP_1)
	v_fmac_f64_e32 v[158:159], v[142:143], v[134:135]
	scratch_load_b128 v[132:135], off, off offset:384
	s_wait_dscnt 0x0
	v_fmac_f64_e32 v[158:159], v[144:145], v[136:137]
	s_wait_loadcnt 0x5
	v_fmac_f64_e32 v[158:159], v[154:155], v[138:139]
	ds_load_2addr_b64 v[136:139], v2 offset0:99 offset1:100
	ds_load_2addr_b64 v[140:143], v2 offset0:101 offset1:102
	s_wait_dscnt 0x1
	v_fmac_f64_e32 v[158:159], v[156:157], v[136:137]
	s_wait_loadcnt 0x4
	s_delay_alu instid0(VALU_DEP_1)
	v_fmac_f64_e32 v[158:159], v[124:125], v[138:139]
	scratch_load_b128 v[136:139], off, off offset:400
	s_wait_dscnt 0x0
	v_fmac_f64_e32 v[158:159], v[126:127], v[140:141]
	scratch_load_b128 v[124:127], off, off offset:416
	s_wait_loadcnt 0x5
	v_fmac_f64_e32 v[158:159], v[150:151], v[142:143]
	ds_load_2addr_b64 v[140:143], v2 offset0:103 offset1:104
	ds_load_2addr_b64 v[154:157], v2 offset0:105 offset1:106
	s_wait_dscnt 0x1
	v_fmac_f64_e32 v[158:159], v[152:153], v[140:141]
	s_wait_loadcnt 0x4
	s_delay_alu instid0(VALU_DEP_1)
	v_fmac_f64_e32 v[158:159], v[128:129], v[142:143]
	scratch_load_b128 v[140:143], off, off offset:432
	s_wait_dscnt 0x0
	v_fmac_f64_e32 v[158:159], v[130:131], v[154:155]
	scratch_load_b128 v[128:131], off, off offset:448
	s_wait_loadcnt 0x5
	v_fmac_f64_e32 v[158:159], v[146:147], v[156:157]
	ds_load_2addr_b64 v[144:147], v2 offset0:107 offset1:108
	ds_load_2addr_b64 v[150:153], v2 offset0:109 offset1:110
	s_wait_dscnt 0x1
	v_fmac_f64_e32 v[158:159], v[148:149], v[144:145]
	scratch_load_b64 v[148:149], off, off offset:464
	s_wait_loadcnt 0x5
	v_fmac_f64_e32 v[158:159], v[132:133], v[146:147]
	s_wait_dscnt 0x0
	s_delay_alu instid0(VALU_DEP_1)
	v_fmac_f64_e32 v[158:159], v[134:135], v[150:151]
	ds_load_2addr_b64 v[132:135], v2 offset0:111 offset1:112
	ds_load_2addr_b64 v[144:147], v2 offset0:113 offset1:114
	s_wait_loadcnt 0x4
	v_fmac_f64_e32 v[158:159], v[136:137], v[152:153]
	s_wait_dscnt 0x1
	s_delay_alu instid0(VALU_DEP_1) | instskip(SKIP_1) | instid1(VALU_DEP_1)
	v_fmac_f64_e32 v[158:159], v[138:139], v[132:133]
	s_wait_loadcnt 0x3
	v_fmac_f64_e32 v[158:159], v[124:125], v[134:135]
	s_wait_dscnt 0x0
	s_delay_alu instid0(VALU_DEP_1)
	v_fmac_f64_e32 v[158:159], v[126:127], v[144:145]
	ds_load_2addr_b64 v[124:127], v2 offset0:115 offset1:116
	ds_load_2addr_b64 v[132:135], v2 offset0:117 offset1:118
	s_wait_loadcnt 0x2
	v_fmac_f64_e32 v[158:159], v[140:141], v[146:147]
	s_wait_dscnt 0x1
	s_delay_alu instid0(VALU_DEP_1) | instskip(SKIP_1) | instid1(VALU_DEP_1)
	v_fmac_f64_e32 v[158:159], v[142:143], v[124:125]
	s_wait_loadcnt 0x1
	v_fmac_f64_e32 v[158:159], v[128:129], v[126:127]
	s_wait_dscnt 0x0
	s_delay_alu instid0(VALU_DEP_1) | instskip(SKIP_1) | instid1(VALU_DEP_1)
	v_fmac_f64_e32 v[158:159], v[130:131], v[132:133]
	s_wait_loadcnt 0x0
	v_fmac_f64_e32 v[158:159], v[148:149], v[134:135]
	s_delay_alu instid0(VALU_DEP_1)
	v_add_f64_e64 v[2:3], v[122:123], -v[158:159]
	scratch_store_b64 off, v[2:3], off offset:208
	s_wait_xcnt 0x0
	v_cmpx_lt_u32_e32 25, v0
	s_cbranch_execz .LBB122_313
; %bb.312:
	scratch_load_b64 v[2:3], off, off offset:200
	v_mov_b64_e32 v[122:123], 0
	scratch_store_b64 off, v[122:123], off offset:200
	s_wait_loadcnt 0x0
	ds_store_b64 v1, v[2:3]
.LBB122_313:
	s_wait_xcnt 0x0
	s_or_b32 exec_lo, exec_lo, s0
	s_wait_storecnt_dscnt 0x0
	s_barrier_signal -1
	s_barrier_wait -1
	s_clause 0x5
	scratch_load_b128 v[122:125], off, off offset:200
	scratch_load_b128 v[126:129], off, off offset:216
	;; [unrolled: 1-line block ×6, first 2 shown]
	v_mov_b32_e32 v2, 0
	ds_load_b128 v[146:149], v2 offset:688
	ds_load_b128 v[150:153], v2 offset:704
	scratch_load_b128 v[154:157], off, off offset:296
	s_mov_b32 s0, exec_lo
	s_wait_loadcnt_dscnt 0x601
	v_fma_f64 v[158:159], v[124:125], v[146:147], 0
	s_wait_loadcnt 0x5
	s_delay_alu instid0(VALU_DEP_1) | instskip(SKIP_4) | instid1(VALU_DEP_1)
	v_fmac_f64_e32 v[158:159], v[126:127], v[148:149]
	scratch_load_b128 v[124:127], off, off offset:312
	s_wait_dscnt 0x0
	v_fmac_f64_e32 v[158:159], v[128:129], v[150:151]
	s_wait_loadcnt 0x5
	v_fmac_f64_e32 v[158:159], v[130:131], v[152:153]
	ds_load_b128 v[128:131], v2 offset:720
	ds_load_b128 v[146:149], v2 offset:736
	scratch_load_b128 v[150:153], off, off offset:328
	s_wait_dscnt 0x1
	v_fmac_f64_e32 v[158:159], v[132:133], v[128:129]
	s_wait_loadcnt 0x5
	s_delay_alu instid0(VALU_DEP_1) | instskip(SKIP_4) | instid1(VALU_DEP_1)
	v_fmac_f64_e32 v[158:159], v[134:135], v[130:131]
	scratch_load_b128 v[128:131], off, off offset:344
	s_wait_dscnt 0x0
	v_fmac_f64_e32 v[158:159], v[136:137], v[146:147]
	s_wait_loadcnt 0x5
	v_fmac_f64_e32 v[158:159], v[138:139], v[148:149]
	ds_load_b128 v[132:135], v2 offset:752
	ds_load_b128 v[136:139], v2 offset:768
	scratch_load_b128 v[146:149], off, off offset:360
	s_wait_dscnt 0x1
	v_fmac_f64_e32 v[158:159], v[140:141], v[132:133]
	s_wait_loadcnt 0x5
	s_delay_alu instid0(VALU_DEP_1) | instskip(SKIP_4) | instid1(VALU_DEP_1)
	v_fmac_f64_e32 v[158:159], v[142:143], v[134:135]
	scratch_load_b128 v[132:135], off, off offset:376
	s_wait_dscnt 0x0
	v_fmac_f64_e32 v[158:159], v[144:145], v[136:137]
	s_wait_loadcnt 0x5
	v_fmac_f64_e32 v[158:159], v[154:155], v[138:139]
	ds_load_b128 v[136:139], v2 offset:784
	ds_load_b128 v[140:143], v2 offset:800
	s_wait_dscnt 0x1
	v_fmac_f64_e32 v[158:159], v[156:157], v[136:137]
	s_wait_loadcnt 0x4
	s_delay_alu instid0(VALU_DEP_1)
	v_fmac_f64_e32 v[158:159], v[124:125], v[138:139]
	scratch_load_b128 v[136:139], off, off offset:392
	s_wait_dscnt 0x0
	v_fmac_f64_e32 v[158:159], v[126:127], v[140:141]
	scratch_load_b128 v[124:127], off, off offset:408
	s_wait_loadcnt 0x5
	v_fmac_f64_e32 v[158:159], v[150:151], v[142:143]
	ds_load_b128 v[140:143], v2 offset:816
	ds_load_b128 v[154:157], v2 offset:832
	s_wait_dscnt 0x1
	v_fmac_f64_e32 v[158:159], v[152:153], v[140:141]
	s_wait_loadcnt 0x4
	s_delay_alu instid0(VALU_DEP_1)
	v_fmac_f64_e32 v[158:159], v[128:129], v[142:143]
	scratch_load_b128 v[140:143], off, off offset:424
	s_wait_dscnt 0x0
	v_fmac_f64_e32 v[158:159], v[130:131], v[154:155]
	scratch_load_b128 v[128:131], off, off offset:440
	s_wait_loadcnt 0x5
	v_fmac_f64_e32 v[158:159], v[146:147], v[156:157]
	ds_load_b128 v[144:147], v2 offset:848
	ds_load_b128 v[150:153], v2 offset:864
	s_wait_dscnt 0x1
	v_fmac_f64_e32 v[158:159], v[148:149], v[144:145]
	s_wait_loadcnt 0x4
	s_delay_alu instid0(VALU_DEP_1)
	v_fmac_f64_e32 v[158:159], v[132:133], v[146:147]
	scratch_load_b128 v[144:147], off, off offset:456
	s_wait_dscnt 0x0
	v_fmac_f64_e32 v[158:159], v[134:135], v[150:151]
	ds_load_b128 v[132:135], v2 offset:880
	ds_load_b128 v[148:151], v2 offset:896
	s_wait_loadcnt 0x4
	v_fmac_f64_e32 v[158:159], v[136:137], v[152:153]
	s_wait_dscnt 0x1
	s_delay_alu instid0(VALU_DEP_1) | instskip(SKIP_1) | instid1(VALU_DEP_1)
	v_fmac_f64_e32 v[158:159], v[138:139], v[132:133]
	s_wait_loadcnt 0x3
	v_fmac_f64_e32 v[158:159], v[124:125], v[134:135]
	s_wait_dscnt 0x0
	s_delay_alu instid0(VALU_DEP_1)
	v_fmac_f64_e32 v[158:159], v[126:127], v[148:149]
	ds_load_b128 v[124:127], v2 offset:912
	ds_load_b128 v[132:135], v2 offset:928
	s_wait_loadcnt 0x2
	v_fmac_f64_e32 v[158:159], v[140:141], v[150:151]
	s_wait_dscnt 0x1
	s_delay_alu instid0(VALU_DEP_1) | instskip(SKIP_4) | instid1(VALU_DEP_1)
	v_fmac_f64_e32 v[158:159], v[142:143], v[124:125]
	ds_load_b64 v[124:125], v2 offset:944
	s_wait_loadcnt 0x1
	v_fmac_f64_e32 v[158:159], v[128:129], v[126:127]
	s_wait_dscnt 0x1
	v_fmac_f64_e32 v[158:159], v[130:131], v[132:133]
	s_wait_loadcnt 0x0
	s_delay_alu instid0(VALU_DEP_1) | instskip(SKIP_1) | instid1(VALU_DEP_1)
	v_fmac_f64_e32 v[158:159], v[144:145], v[134:135]
	s_wait_dscnt 0x0
	v_fmac_f64_e32 v[158:159], v[146:147], v[124:125]
	s_delay_alu instid0(VALU_DEP_1)
	v_add_f64_e64 v[122:123], v[122:123], -v[158:159]
	scratch_store_b64 off, v[122:123], off offset:200
	s_wait_xcnt 0x0
	v_cmpx_lt_u32_e32 24, v0
	s_cbranch_execz .LBB122_315
; %bb.314:
	scratch_load_b64 v[122:123], off, off offset:192
	v_mov_b64_e32 v[124:125], 0
	scratch_store_b64 off, v[124:125], off offset:192
	s_wait_loadcnt 0x0
	ds_store_b64 v1, v[122:123]
.LBB122_315:
	s_wait_xcnt 0x0
	s_or_b32 exec_lo, exec_lo, s0
	s_wait_storecnt_dscnt 0x0
	s_barrier_signal -1
	s_barrier_wait -1
	s_clause 0x5
	scratch_load_b128 v[122:125], off, off offset:192
	scratch_load_b128 v[126:129], off, off offset:208
	;; [unrolled: 1-line block ×6, first 2 shown]
	ds_load_2addr_b64 v[146:149], v2 offset0:85 offset1:86
	ds_load_2addr_b64 v[150:153], v2 offset0:87 offset1:88
	scratch_load_b128 v[154:157], off, off offset:288
	s_mov_b32 s0, exec_lo
	s_wait_loadcnt_dscnt 0x601
	v_fma_f64 v[158:159], v[124:125], v[146:147], 0
	s_wait_loadcnt 0x5
	s_delay_alu instid0(VALU_DEP_1) | instskip(SKIP_4) | instid1(VALU_DEP_1)
	v_fmac_f64_e32 v[158:159], v[126:127], v[148:149]
	scratch_load_b128 v[124:127], off, off offset:304
	s_wait_dscnt 0x0
	v_fmac_f64_e32 v[158:159], v[128:129], v[150:151]
	s_wait_loadcnt 0x5
	v_fmac_f64_e32 v[158:159], v[130:131], v[152:153]
	ds_load_2addr_b64 v[128:131], v2 offset0:89 offset1:90
	ds_load_2addr_b64 v[146:149], v2 offset0:91 offset1:92
	scratch_load_b128 v[150:153], off, off offset:320
	s_wait_dscnt 0x1
	v_fmac_f64_e32 v[158:159], v[132:133], v[128:129]
	s_wait_loadcnt 0x5
	s_delay_alu instid0(VALU_DEP_1) | instskip(SKIP_4) | instid1(VALU_DEP_1)
	v_fmac_f64_e32 v[158:159], v[134:135], v[130:131]
	scratch_load_b128 v[128:131], off, off offset:336
	s_wait_dscnt 0x0
	v_fmac_f64_e32 v[158:159], v[136:137], v[146:147]
	s_wait_loadcnt 0x5
	v_fmac_f64_e32 v[158:159], v[138:139], v[148:149]
	ds_load_2addr_b64 v[132:135], v2 offset0:93 offset1:94
	ds_load_2addr_b64 v[136:139], v2 offset0:95 offset1:96
	scratch_load_b128 v[146:149], off, off offset:352
	s_wait_dscnt 0x1
	v_fmac_f64_e32 v[158:159], v[140:141], v[132:133]
	s_wait_loadcnt 0x5
	s_delay_alu instid0(VALU_DEP_1) | instskip(SKIP_4) | instid1(VALU_DEP_1)
	v_fmac_f64_e32 v[158:159], v[142:143], v[134:135]
	scratch_load_b128 v[132:135], off, off offset:368
	s_wait_dscnt 0x0
	v_fmac_f64_e32 v[158:159], v[144:145], v[136:137]
	s_wait_loadcnt 0x5
	v_fmac_f64_e32 v[158:159], v[154:155], v[138:139]
	ds_load_2addr_b64 v[136:139], v2 offset0:97 offset1:98
	ds_load_2addr_b64 v[140:143], v2 offset0:99 offset1:100
	s_wait_dscnt 0x1
	v_fmac_f64_e32 v[158:159], v[156:157], v[136:137]
	scratch_load_b128 v[154:157], off, off offset:384
	s_wait_loadcnt 0x5
	v_fmac_f64_e32 v[158:159], v[124:125], v[138:139]
	s_wait_dscnt 0x0
	s_delay_alu instid0(VALU_DEP_1)
	v_fmac_f64_e32 v[158:159], v[126:127], v[140:141]
	scratch_load_b128 v[124:127], off, off offset:400
	s_wait_loadcnt 0x5
	v_fmac_f64_e32 v[158:159], v[150:151], v[142:143]
	ds_load_2addr_b64 v[136:139], v2 offset0:101 offset1:102
	ds_load_2addr_b64 v[140:143], v2 offset0:103 offset1:104
	s_wait_dscnt 0x1
	v_fmac_f64_e32 v[158:159], v[152:153], v[136:137]
	s_wait_loadcnt 0x4
	s_delay_alu instid0(VALU_DEP_1)
	v_fmac_f64_e32 v[158:159], v[128:129], v[138:139]
	scratch_load_b128 v[136:139], off, off offset:416
	s_wait_dscnt 0x0
	v_fmac_f64_e32 v[158:159], v[130:131], v[140:141]
	scratch_load_b128 v[128:131], off, off offset:432
	s_wait_loadcnt 0x5
	v_fmac_f64_e32 v[158:159], v[146:147], v[142:143]
	ds_load_2addr_b64 v[140:143], v2 offset0:105 offset1:106
	ds_load_2addr_b64 v[144:147], v2 offset0:107 offset1:108
	s_wait_dscnt 0x1
	v_fmac_f64_e32 v[158:159], v[148:149], v[140:141]
	scratch_load_b64 v[148:149], off, off offset:464
	s_wait_loadcnt 0x5
	v_fmac_f64_e32 v[158:159], v[132:133], v[142:143]
	scratch_load_b128 v[140:143], off, off offset:448
	s_wait_dscnt 0x0
	v_fmac_f64_e32 v[158:159], v[134:135], v[144:145]
	s_wait_loadcnt 0x5
	s_delay_alu instid0(VALU_DEP_1)
	v_fmac_f64_e32 v[158:159], v[154:155], v[146:147]
	ds_load_2addr_b64 v[132:135], v2 offset0:109 offset1:110
	ds_load_2addr_b64 v[144:147], v2 offset0:111 offset1:112
	s_wait_dscnt 0x1
	v_fmac_f64_e32 v[158:159], v[156:157], v[132:133]
	s_wait_loadcnt 0x4
	s_delay_alu instid0(VALU_DEP_1) | instskip(SKIP_1) | instid1(VALU_DEP_1)
	v_fmac_f64_e32 v[158:159], v[124:125], v[134:135]
	s_wait_dscnt 0x0
	v_fmac_f64_e32 v[158:159], v[126:127], v[144:145]
	ds_load_2addr_b64 v[124:127], v2 offset0:113 offset1:114
	ds_load_2addr_b64 v[132:135], v2 offset0:115 offset1:116
	s_wait_loadcnt 0x3
	v_fmac_f64_e32 v[158:159], v[136:137], v[146:147]
	s_wait_dscnt 0x1
	s_delay_alu instid0(VALU_DEP_1) | instskip(SKIP_1) | instid1(VALU_DEP_1)
	v_fmac_f64_e32 v[158:159], v[138:139], v[124:125]
	s_wait_loadcnt 0x2
	v_fmac_f64_e32 v[158:159], v[128:129], v[126:127]
	ds_load_2addr_b64 v[124:127], v2 offset0:117 offset1:118
	s_wait_dscnt 0x1
	v_fmac_f64_e32 v[158:159], v[130:131], v[132:133]
	s_wait_loadcnt 0x0
	s_delay_alu instid0(VALU_DEP_1) | instskip(SKIP_1) | instid1(VALU_DEP_1)
	v_fmac_f64_e32 v[158:159], v[140:141], v[134:135]
	s_wait_dscnt 0x0
	v_fmac_f64_e32 v[158:159], v[142:143], v[124:125]
	s_delay_alu instid0(VALU_DEP_1) | instskip(NEXT) | instid1(VALU_DEP_1)
	v_fmac_f64_e32 v[158:159], v[148:149], v[126:127]
	v_add_f64_e64 v[2:3], v[122:123], -v[158:159]
	scratch_store_b64 off, v[2:3], off offset:192
	s_wait_xcnt 0x0
	v_cmpx_lt_u32_e32 23, v0
	s_cbranch_execz .LBB122_317
; %bb.316:
	scratch_load_b64 v[2:3], off, off offset:184
	v_mov_b64_e32 v[122:123], 0
	scratch_store_b64 off, v[122:123], off offset:184
	s_wait_loadcnt 0x0
	ds_store_b64 v1, v[2:3]
.LBB122_317:
	s_wait_xcnt 0x0
	s_or_b32 exec_lo, exec_lo, s0
	s_wait_storecnt_dscnt 0x0
	s_barrier_signal -1
	s_barrier_wait -1
	s_clause 0x5
	scratch_load_b128 v[122:125], off, off offset:184
	scratch_load_b128 v[126:129], off, off offset:200
	;; [unrolled: 1-line block ×6, first 2 shown]
	v_mov_b32_e32 v2, 0
	ds_load_b128 v[146:149], v2 offset:672
	ds_load_b128 v[150:153], v2 offset:688
	scratch_load_b128 v[154:157], off, off offset:280
	s_mov_b32 s0, exec_lo
	s_wait_loadcnt_dscnt 0x601
	v_fma_f64 v[158:159], v[124:125], v[146:147], 0
	s_wait_loadcnt 0x5
	s_delay_alu instid0(VALU_DEP_1) | instskip(SKIP_4) | instid1(VALU_DEP_1)
	v_fmac_f64_e32 v[158:159], v[126:127], v[148:149]
	scratch_load_b128 v[124:127], off, off offset:296
	s_wait_dscnt 0x0
	v_fmac_f64_e32 v[158:159], v[128:129], v[150:151]
	s_wait_loadcnt 0x5
	v_fmac_f64_e32 v[158:159], v[130:131], v[152:153]
	ds_load_b128 v[128:131], v2 offset:704
	ds_load_b128 v[146:149], v2 offset:720
	scratch_load_b128 v[150:153], off, off offset:312
	s_wait_dscnt 0x1
	v_fmac_f64_e32 v[158:159], v[132:133], v[128:129]
	s_wait_loadcnt 0x5
	s_delay_alu instid0(VALU_DEP_1) | instskip(SKIP_4) | instid1(VALU_DEP_1)
	v_fmac_f64_e32 v[158:159], v[134:135], v[130:131]
	scratch_load_b128 v[128:131], off, off offset:328
	s_wait_dscnt 0x0
	v_fmac_f64_e32 v[158:159], v[136:137], v[146:147]
	s_wait_loadcnt 0x5
	v_fmac_f64_e32 v[158:159], v[138:139], v[148:149]
	ds_load_b128 v[132:135], v2 offset:736
	ds_load_b128 v[136:139], v2 offset:752
	scratch_load_b128 v[146:149], off, off offset:344
	s_wait_dscnt 0x1
	v_fmac_f64_e32 v[158:159], v[140:141], v[132:133]
	s_wait_loadcnt 0x5
	s_delay_alu instid0(VALU_DEP_1) | instskip(SKIP_4) | instid1(VALU_DEP_1)
	v_fmac_f64_e32 v[158:159], v[142:143], v[134:135]
	scratch_load_b128 v[132:135], off, off offset:360
	s_wait_dscnt 0x0
	v_fmac_f64_e32 v[158:159], v[144:145], v[136:137]
	s_wait_loadcnt 0x5
	v_fmac_f64_e32 v[158:159], v[154:155], v[138:139]
	ds_load_b128 v[136:139], v2 offset:768
	ds_load_b128 v[140:143], v2 offset:784
	s_wait_dscnt 0x1
	v_fmac_f64_e32 v[158:159], v[156:157], v[136:137]
	scratch_load_b128 v[154:157], off, off offset:376
	s_wait_loadcnt 0x5
	v_fmac_f64_e32 v[158:159], v[124:125], v[138:139]
	s_wait_dscnt 0x0
	s_delay_alu instid0(VALU_DEP_1)
	v_fmac_f64_e32 v[158:159], v[126:127], v[140:141]
	scratch_load_b128 v[124:127], off, off offset:392
	s_wait_loadcnt 0x5
	v_fmac_f64_e32 v[158:159], v[150:151], v[142:143]
	ds_load_b128 v[136:139], v2 offset:800
	ds_load_b128 v[140:143], v2 offset:816
	s_wait_dscnt 0x1
	v_fmac_f64_e32 v[158:159], v[152:153], v[136:137]
	s_wait_loadcnt 0x4
	s_delay_alu instid0(VALU_DEP_1)
	v_fmac_f64_e32 v[158:159], v[128:129], v[138:139]
	scratch_load_b128 v[136:139], off, off offset:408
	s_wait_dscnt 0x0
	v_fmac_f64_e32 v[158:159], v[130:131], v[140:141]
	scratch_load_b128 v[128:131], off, off offset:424
	s_wait_loadcnt 0x5
	v_fmac_f64_e32 v[158:159], v[146:147], v[142:143]
	ds_load_b128 v[140:143], v2 offset:832
	ds_load_b128 v[144:147], v2 offset:848
	s_wait_dscnt 0x1
	v_fmac_f64_e32 v[158:159], v[148:149], v[140:141]
	s_wait_loadcnt 0x4
	s_delay_alu instid0(VALU_DEP_1)
	v_fmac_f64_e32 v[158:159], v[132:133], v[142:143]
	scratch_load_b128 v[140:143], off, off offset:440
	s_wait_dscnt 0x0
	v_fmac_f64_e32 v[158:159], v[134:135], v[144:145]
	scratch_load_b128 v[132:135], off, off offset:456
	s_wait_loadcnt 0x5
	v_fmac_f64_e32 v[158:159], v[154:155], v[146:147]
	ds_load_b128 v[144:147], v2 offset:864
	ds_load_b128 v[148:151], v2 offset:880
	s_wait_dscnt 0x1
	v_fmac_f64_e32 v[158:159], v[156:157], v[144:145]
	s_wait_loadcnt 0x4
	s_delay_alu instid0(VALU_DEP_1) | instskip(SKIP_1) | instid1(VALU_DEP_1)
	v_fmac_f64_e32 v[158:159], v[124:125], v[146:147]
	s_wait_dscnt 0x0
	v_fmac_f64_e32 v[158:159], v[126:127], v[148:149]
	ds_load_b128 v[124:127], v2 offset:896
	ds_load_b128 v[144:147], v2 offset:912
	s_wait_loadcnt 0x3
	v_fmac_f64_e32 v[158:159], v[136:137], v[150:151]
	s_wait_dscnt 0x1
	s_delay_alu instid0(VALU_DEP_1) | instskip(SKIP_1) | instid1(VALU_DEP_1)
	v_fmac_f64_e32 v[158:159], v[138:139], v[124:125]
	s_wait_loadcnt 0x2
	v_fmac_f64_e32 v[158:159], v[128:129], v[126:127]
	ds_load_b128 v[124:127], v2 offset:928
	ds_load_b64 v[128:129], v2 offset:944
	s_wait_dscnt 0x2
	v_fmac_f64_e32 v[158:159], v[130:131], v[144:145]
	s_wait_loadcnt 0x1
	s_delay_alu instid0(VALU_DEP_1) | instskip(SKIP_1) | instid1(VALU_DEP_1)
	v_fmac_f64_e32 v[158:159], v[140:141], v[146:147]
	s_wait_dscnt 0x1
	v_fmac_f64_e32 v[158:159], v[142:143], v[124:125]
	s_wait_loadcnt 0x0
	s_delay_alu instid0(VALU_DEP_1) | instskip(SKIP_1) | instid1(VALU_DEP_1)
	v_fmac_f64_e32 v[158:159], v[132:133], v[126:127]
	s_wait_dscnt 0x0
	v_fmac_f64_e32 v[158:159], v[134:135], v[128:129]
	s_delay_alu instid0(VALU_DEP_1)
	v_add_f64_e64 v[122:123], v[122:123], -v[158:159]
	scratch_store_b64 off, v[122:123], off offset:184
	s_wait_xcnt 0x0
	v_cmpx_lt_u32_e32 22, v0
	s_cbranch_execz .LBB122_319
; %bb.318:
	scratch_load_b64 v[122:123], off, off offset:176
	v_mov_b64_e32 v[124:125], 0
	scratch_store_b64 off, v[124:125], off offset:176
	s_wait_loadcnt 0x0
	ds_store_b64 v1, v[122:123]
.LBB122_319:
	s_wait_xcnt 0x0
	s_or_b32 exec_lo, exec_lo, s0
	s_wait_storecnt_dscnt 0x0
	s_barrier_signal -1
	s_barrier_wait -1
	s_clause 0x5
	scratch_load_b128 v[122:125], off, off offset:176
	scratch_load_b128 v[126:129], off, off offset:192
	;; [unrolled: 1-line block ×6, first 2 shown]
	ds_load_2addr_b64 v[146:149], v2 offset0:83 offset1:84
	ds_load_2addr_b64 v[150:153], v2 offset0:85 offset1:86
	scratch_load_b128 v[154:157], off, off offset:272
	s_mov_b32 s0, exec_lo
	s_wait_loadcnt_dscnt 0x601
	v_fma_f64 v[158:159], v[124:125], v[146:147], 0
	s_wait_loadcnt 0x5
	s_delay_alu instid0(VALU_DEP_1) | instskip(SKIP_4) | instid1(VALU_DEP_1)
	v_fmac_f64_e32 v[158:159], v[126:127], v[148:149]
	scratch_load_b128 v[124:127], off, off offset:288
	s_wait_dscnt 0x0
	v_fmac_f64_e32 v[158:159], v[128:129], v[150:151]
	s_wait_loadcnt 0x5
	v_fmac_f64_e32 v[158:159], v[130:131], v[152:153]
	ds_load_2addr_b64 v[128:131], v2 offset0:87 offset1:88
	ds_load_2addr_b64 v[146:149], v2 offset0:89 offset1:90
	scratch_load_b128 v[150:153], off, off offset:304
	s_wait_dscnt 0x1
	v_fmac_f64_e32 v[158:159], v[132:133], v[128:129]
	s_wait_loadcnt 0x5
	s_delay_alu instid0(VALU_DEP_1) | instskip(SKIP_4) | instid1(VALU_DEP_1)
	v_fmac_f64_e32 v[158:159], v[134:135], v[130:131]
	scratch_load_b128 v[128:131], off, off offset:320
	s_wait_dscnt 0x0
	v_fmac_f64_e32 v[158:159], v[136:137], v[146:147]
	s_wait_loadcnt 0x5
	v_fmac_f64_e32 v[158:159], v[138:139], v[148:149]
	ds_load_2addr_b64 v[132:135], v2 offset0:91 offset1:92
	ds_load_2addr_b64 v[136:139], v2 offset0:93 offset1:94
	scratch_load_b128 v[146:149], off, off offset:336
	s_wait_dscnt 0x1
	v_fmac_f64_e32 v[158:159], v[140:141], v[132:133]
	s_wait_loadcnt 0x5
	s_delay_alu instid0(VALU_DEP_1) | instskip(SKIP_4) | instid1(VALU_DEP_1)
	v_fmac_f64_e32 v[158:159], v[142:143], v[134:135]
	scratch_load_b128 v[132:135], off, off offset:352
	s_wait_dscnt 0x0
	v_fmac_f64_e32 v[158:159], v[144:145], v[136:137]
	s_wait_loadcnt 0x5
	v_fmac_f64_e32 v[158:159], v[154:155], v[138:139]
	ds_load_2addr_b64 v[136:139], v2 offset0:95 offset1:96
	ds_load_2addr_b64 v[140:143], v2 offset0:97 offset1:98
	s_wait_dscnt 0x1
	v_fmac_f64_e32 v[158:159], v[156:157], v[136:137]
	scratch_load_b128 v[154:157], off, off offset:368
	s_wait_loadcnt 0x5
	v_fmac_f64_e32 v[158:159], v[124:125], v[138:139]
	s_wait_dscnt 0x0
	s_delay_alu instid0(VALU_DEP_1)
	v_fmac_f64_e32 v[158:159], v[126:127], v[140:141]
	scratch_load_b128 v[124:127], off, off offset:384
	s_wait_loadcnt 0x5
	v_fmac_f64_e32 v[158:159], v[150:151], v[142:143]
	ds_load_2addr_b64 v[136:139], v2 offset0:99 offset1:100
	ds_load_2addr_b64 v[140:143], v2 offset0:101 offset1:102
	s_wait_dscnt 0x1
	v_fmac_f64_e32 v[158:159], v[152:153], v[136:137]
	s_wait_loadcnt 0x4
	s_delay_alu instid0(VALU_DEP_1)
	v_fmac_f64_e32 v[158:159], v[128:129], v[138:139]
	scratch_load_b128 v[136:139], off, off offset:400
	s_wait_dscnt 0x0
	v_fmac_f64_e32 v[158:159], v[130:131], v[140:141]
	scratch_load_b128 v[128:131], off, off offset:416
	s_wait_loadcnt 0x5
	v_fmac_f64_e32 v[158:159], v[146:147], v[142:143]
	ds_load_2addr_b64 v[140:143], v2 offset0:103 offset1:104
	ds_load_2addr_b64 v[144:147], v2 offset0:105 offset1:106
	s_wait_dscnt 0x1
	v_fmac_f64_e32 v[158:159], v[148:149], v[140:141]
	s_wait_loadcnt 0x4
	s_delay_alu instid0(VALU_DEP_1)
	v_fmac_f64_e32 v[158:159], v[132:133], v[142:143]
	scratch_load_b128 v[140:143], off, off offset:432
	s_wait_dscnt 0x0
	v_fmac_f64_e32 v[158:159], v[134:135], v[144:145]
	scratch_load_b128 v[132:135], off, off offset:448
	s_wait_loadcnt 0x5
	v_fmac_f64_e32 v[158:159], v[154:155], v[146:147]
	ds_load_2addr_b64 v[144:147], v2 offset0:107 offset1:108
	ds_load_2addr_b64 v[148:151], v2 offset0:109 offset1:110
	scratch_load_b64 v[152:153], off, off offset:464
	s_wait_dscnt 0x1
	v_fmac_f64_e32 v[158:159], v[156:157], v[144:145]
	s_wait_loadcnt 0x5
	s_delay_alu instid0(VALU_DEP_1) | instskip(SKIP_1) | instid1(VALU_DEP_1)
	v_fmac_f64_e32 v[158:159], v[124:125], v[146:147]
	s_wait_dscnt 0x0
	v_fmac_f64_e32 v[158:159], v[126:127], v[148:149]
	ds_load_2addr_b64 v[124:127], v2 offset0:111 offset1:112
	ds_load_2addr_b64 v[144:147], v2 offset0:113 offset1:114
	s_wait_loadcnt 0x4
	v_fmac_f64_e32 v[158:159], v[136:137], v[150:151]
	s_wait_dscnt 0x1
	s_delay_alu instid0(VALU_DEP_1) | instskip(SKIP_1) | instid1(VALU_DEP_1)
	v_fmac_f64_e32 v[158:159], v[138:139], v[124:125]
	s_wait_loadcnt 0x3
	v_fmac_f64_e32 v[158:159], v[128:129], v[126:127]
	s_wait_dscnt 0x0
	s_delay_alu instid0(VALU_DEP_1)
	v_fmac_f64_e32 v[158:159], v[130:131], v[144:145]
	ds_load_2addr_b64 v[124:127], v2 offset0:115 offset1:116
	ds_load_2addr_b64 v[128:131], v2 offset0:117 offset1:118
	s_wait_loadcnt 0x2
	v_fmac_f64_e32 v[158:159], v[140:141], v[146:147]
	s_wait_dscnt 0x1
	s_delay_alu instid0(VALU_DEP_1) | instskip(SKIP_1) | instid1(VALU_DEP_1)
	v_fmac_f64_e32 v[158:159], v[142:143], v[124:125]
	s_wait_loadcnt 0x1
	v_fmac_f64_e32 v[158:159], v[132:133], v[126:127]
	s_wait_dscnt 0x0
	s_delay_alu instid0(VALU_DEP_1) | instskip(SKIP_1) | instid1(VALU_DEP_1)
	v_fmac_f64_e32 v[158:159], v[134:135], v[128:129]
	s_wait_loadcnt 0x0
	v_fmac_f64_e32 v[158:159], v[152:153], v[130:131]
	s_delay_alu instid0(VALU_DEP_1)
	v_add_f64_e64 v[2:3], v[122:123], -v[158:159]
	scratch_store_b64 off, v[2:3], off offset:176
	s_wait_xcnt 0x0
	v_cmpx_lt_u32_e32 21, v0
	s_cbranch_execz .LBB122_321
; %bb.320:
	scratch_load_b64 v[2:3], off, off offset:168
	v_mov_b64_e32 v[122:123], 0
	scratch_store_b64 off, v[122:123], off offset:168
	s_wait_loadcnt 0x0
	ds_store_b64 v1, v[2:3]
.LBB122_321:
	s_wait_xcnt 0x0
	s_or_b32 exec_lo, exec_lo, s0
	s_wait_storecnt_dscnt 0x0
	s_barrier_signal -1
	s_barrier_wait -1
	s_clause 0x5
	scratch_load_b128 v[122:125], off, off offset:168
	scratch_load_b128 v[126:129], off, off offset:184
	;; [unrolled: 1-line block ×6, first 2 shown]
	v_mov_b32_e32 v2, 0
	ds_load_b128 v[146:149], v2 offset:656
	ds_load_b128 v[150:153], v2 offset:672
	scratch_load_b128 v[154:157], off, off offset:264
	s_mov_b32 s0, exec_lo
	s_wait_loadcnt_dscnt 0x601
	v_fma_f64 v[158:159], v[124:125], v[146:147], 0
	s_wait_loadcnt 0x5
	s_delay_alu instid0(VALU_DEP_1) | instskip(SKIP_4) | instid1(VALU_DEP_1)
	v_fmac_f64_e32 v[158:159], v[126:127], v[148:149]
	scratch_load_b128 v[124:127], off, off offset:280
	s_wait_dscnt 0x0
	v_fmac_f64_e32 v[158:159], v[128:129], v[150:151]
	s_wait_loadcnt 0x5
	v_fmac_f64_e32 v[158:159], v[130:131], v[152:153]
	ds_load_b128 v[128:131], v2 offset:688
	ds_load_b128 v[146:149], v2 offset:704
	scratch_load_b128 v[150:153], off, off offset:296
	s_wait_dscnt 0x1
	v_fmac_f64_e32 v[158:159], v[132:133], v[128:129]
	s_wait_loadcnt 0x5
	s_delay_alu instid0(VALU_DEP_1) | instskip(SKIP_4) | instid1(VALU_DEP_1)
	v_fmac_f64_e32 v[158:159], v[134:135], v[130:131]
	scratch_load_b128 v[128:131], off, off offset:312
	s_wait_dscnt 0x0
	v_fmac_f64_e32 v[158:159], v[136:137], v[146:147]
	s_wait_loadcnt 0x5
	v_fmac_f64_e32 v[158:159], v[138:139], v[148:149]
	ds_load_b128 v[132:135], v2 offset:720
	ds_load_b128 v[136:139], v2 offset:736
	scratch_load_b128 v[146:149], off, off offset:328
	s_wait_dscnt 0x1
	v_fmac_f64_e32 v[158:159], v[140:141], v[132:133]
	s_wait_loadcnt 0x5
	s_delay_alu instid0(VALU_DEP_1) | instskip(SKIP_4) | instid1(VALU_DEP_1)
	v_fmac_f64_e32 v[158:159], v[142:143], v[134:135]
	scratch_load_b128 v[132:135], off, off offset:344
	s_wait_dscnt 0x0
	v_fmac_f64_e32 v[158:159], v[144:145], v[136:137]
	s_wait_loadcnt 0x5
	v_fmac_f64_e32 v[158:159], v[154:155], v[138:139]
	ds_load_b128 v[136:139], v2 offset:752
	ds_load_b128 v[140:143], v2 offset:768
	s_wait_dscnt 0x1
	v_fmac_f64_e32 v[158:159], v[156:157], v[136:137]
	scratch_load_b128 v[154:157], off, off offset:360
	s_wait_loadcnt 0x5
	v_fmac_f64_e32 v[158:159], v[124:125], v[138:139]
	s_wait_dscnt 0x0
	s_delay_alu instid0(VALU_DEP_1)
	v_fmac_f64_e32 v[158:159], v[126:127], v[140:141]
	scratch_load_b128 v[124:127], off, off offset:376
	s_wait_loadcnt 0x5
	v_fmac_f64_e32 v[158:159], v[150:151], v[142:143]
	ds_load_b128 v[136:139], v2 offset:784
	ds_load_b128 v[140:143], v2 offset:800
	s_wait_dscnt 0x1
	v_fmac_f64_e32 v[158:159], v[152:153], v[136:137]
	s_wait_loadcnt 0x4
	s_delay_alu instid0(VALU_DEP_1)
	v_fmac_f64_e32 v[158:159], v[128:129], v[138:139]
	scratch_load_b128 v[136:139], off, off offset:392
	s_wait_dscnt 0x0
	v_fmac_f64_e32 v[158:159], v[130:131], v[140:141]
	scratch_load_b128 v[128:131], off, off offset:408
	s_wait_loadcnt 0x5
	v_fmac_f64_e32 v[158:159], v[146:147], v[142:143]
	ds_load_b128 v[140:143], v2 offset:816
	ds_load_b128 v[144:147], v2 offset:832
	s_wait_dscnt 0x1
	v_fmac_f64_e32 v[158:159], v[148:149], v[140:141]
	s_wait_loadcnt 0x4
	s_delay_alu instid0(VALU_DEP_1)
	v_fmac_f64_e32 v[158:159], v[132:133], v[142:143]
	scratch_load_b128 v[140:143], off, off offset:424
	s_wait_dscnt 0x0
	v_fmac_f64_e32 v[158:159], v[134:135], v[144:145]
	scratch_load_b128 v[132:135], off, off offset:440
	s_wait_loadcnt 0x5
	v_fmac_f64_e32 v[158:159], v[154:155], v[146:147]
	ds_load_b128 v[144:147], v2 offset:848
	ds_load_b128 v[148:151], v2 offset:864
	s_wait_dscnt 0x1
	v_fmac_f64_e32 v[158:159], v[156:157], v[144:145]
	s_wait_loadcnt 0x4
	s_delay_alu instid0(VALU_DEP_1) | instskip(SKIP_4) | instid1(VALU_DEP_1)
	v_fmac_f64_e32 v[158:159], v[124:125], v[146:147]
	scratch_load_b128 v[144:147], off, off offset:456
	s_wait_dscnt 0x0
	v_fmac_f64_e32 v[158:159], v[126:127], v[148:149]
	s_wait_loadcnt 0x4
	v_fmac_f64_e32 v[158:159], v[136:137], v[150:151]
	ds_load_b128 v[124:127], v2 offset:880
	ds_load_b128 v[148:151], v2 offset:896
	s_wait_dscnt 0x1
	v_fmac_f64_e32 v[158:159], v[138:139], v[124:125]
	s_wait_loadcnt 0x3
	s_delay_alu instid0(VALU_DEP_1) | instskip(SKIP_1) | instid1(VALU_DEP_1)
	v_fmac_f64_e32 v[158:159], v[128:129], v[126:127]
	s_wait_dscnt 0x0
	v_fmac_f64_e32 v[158:159], v[130:131], v[148:149]
	ds_load_b128 v[124:127], v2 offset:912
	ds_load_b128 v[128:131], v2 offset:928
	s_wait_loadcnt 0x2
	v_fmac_f64_e32 v[158:159], v[140:141], v[150:151]
	s_wait_dscnt 0x1
	s_delay_alu instid0(VALU_DEP_1) | instskip(SKIP_4) | instid1(VALU_DEP_1)
	v_fmac_f64_e32 v[158:159], v[142:143], v[124:125]
	ds_load_b64 v[124:125], v2 offset:944
	s_wait_loadcnt 0x1
	v_fmac_f64_e32 v[158:159], v[132:133], v[126:127]
	s_wait_dscnt 0x1
	v_fmac_f64_e32 v[158:159], v[134:135], v[128:129]
	s_wait_loadcnt 0x0
	s_delay_alu instid0(VALU_DEP_1) | instskip(SKIP_1) | instid1(VALU_DEP_1)
	v_fmac_f64_e32 v[158:159], v[144:145], v[130:131]
	s_wait_dscnt 0x0
	v_fmac_f64_e32 v[158:159], v[146:147], v[124:125]
	s_delay_alu instid0(VALU_DEP_1)
	v_add_f64_e64 v[122:123], v[122:123], -v[158:159]
	scratch_store_b64 off, v[122:123], off offset:168
	s_wait_xcnt 0x0
	v_cmpx_lt_u32_e32 20, v0
	s_cbranch_execz .LBB122_323
; %bb.322:
	scratch_load_b64 v[122:123], off, off offset:160
	v_mov_b64_e32 v[124:125], 0
	scratch_store_b64 off, v[124:125], off offset:160
	s_wait_loadcnt 0x0
	ds_store_b64 v1, v[122:123]
.LBB122_323:
	s_wait_xcnt 0x0
	s_or_b32 exec_lo, exec_lo, s0
	s_wait_storecnt_dscnt 0x0
	s_barrier_signal -1
	s_barrier_wait -1
	s_clause 0x5
	scratch_load_b128 v[122:125], off, off offset:160
	scratch_load_b128 v[126:129], off, off offset:176
	scratch_load_b128 v[130:133], off, off offset:192
	scratch_load_b128 v[134:137], off, off offset:208
	scratch_load_b128 v[138:141], off, off offset:224
	scratch_load_b128 v[142:145], off, off offset:240
	ds_load_2addr_b64 v[146:149], v2 offset0:81 offset1:82
	ds_load_2addr_b64 v[150:153], v2 offset0:83 offset1:84
	scratch_load_b128 v[154:157], off, off offset:256
	s_mov_b32 s0, exec_lo
	s_wait_loadcnt_dscnt 0x601
	v_fma_f64 v[158:159], v[124:125], v[146:147], 0
	s_wait_loadcnt 0x5
	s_delay_alu instid0(VALU_DEP_1) | instskip(SKIP_4) | instid1(VALU_DEP_1)
	v_fmac_f64_e32 v[158:159], v[126:127], v[148:149]
	scratch_load_b128 v[124:127], off, off offset:272
	s_wait_dscnt 0x0
	v_fmac_f64_e32 v[158:159], v[128:129], v[150:151]
	s_wait_loadcnt 0x5
	v_fmac_f64_e32 v[158:159], v[130:131], v[152:153]
	ds_load_2addr_b64 v[128:131], v2 offset0:85 offset1:86
	ds_load_2addr_b64 v[146:149], v2 offset0:87 offset1:88
	scratch_load_b128 v[150:153], off, off offset:288
	s_wait_dscnt 0x1
	v_fmac_f64_e32 v[158:159], v[132:133], v[128:129]
	s_wait_loadcnt 0x5
	s_delay_alu instid0(VALU_DEP_1) | instskip(SKIP_4) | instid1(VALU_DEP_1)
	v_fmac_f64_e32 v[158:159], v[134:135], v[130:131]
	scratch_load_b128 v[128:131], off, off offset:304
	s_wait_dscnt 0x0
	v_fmac_f64_e32 v[158:159], v[136:137], v[146:147]
	s_wait_loadcnt 0x5
	v_fmac_f64_e32 v[158:159], v[138:139], v[148:149]
	ds_load_2addr_b64 v[132:135], v2 offset0:89 offset1:90
	ds_load_2addr_b64 v[136:139], v2 offset0:91 offset1:92
	scratch_load_b128 v[146:149], off, off offset:320
	s_wait_dscnt 0x1
	v_fmac_f64_e32 v[158:159], v[140:141], v[132:133]
	s_wait_loadcnt 0x5
	s_delay_alu instid0(VALU_DEP_1) | instskip(SKIP_4) | instid1(VALU_DEP_1)
	v_fmac_f64_e32 v[158:159], v[142:143], v[134:135]
	scratch_load_b128 v[132:135], off, off offset:336
	s_wait_dscnt 0x0
	v_fmac_f64_e32 v[158:159], v[144:145], v[136:137]
	s_wait_loadcnt 0x5
	v_fmac_f64_e32 v[158:159], v[154:155], v[138:139]
	ds_load_2addr_b64 v[136:139], v2 offset0:93 offset1:94
	ds_load_2addr_b64 v[140:143], v2 offset0:95 offset1:96
	s_wait_dscnt 0x1
	v_fmac_f64_e32 v[158:159], v[156:157], v[136:137]
	scratch_load_b128 v[154:157], off, off offset:352
	s_wait_loadcnt 0x5
	v_fmac_f64_e32 v[158:159], v[124:125], v[138:139]
	s_wait_dscnt 0x0
	s_delay_alu instid0(VALU_DEP_1)
	v_fmac_f64_e32 v[158:159], v[126:127], v[140:141]
	scratch_load_b128 v[124:127], off, off offset:368
	s_wait_loadcnt 0x5
	v_fmac_f64_e32 v[158:159], v[150:151], v[142:143]
	ds_load_2addr_b64 v[136:139], v2 offset0:97 offset1:98
	ds_load_2addr_b64 v[140:143], v2 offset0:99 offset1:100
	s_wait_dscnt 0x1
	v_fmac_f64_e32 v[158:159], v[152:153], v[136:137]
	scratch_load_b128 v[150:153], off, off offset:384
	s_wait_loadcnt 0x5
	v_fmac_f64_e32 v[158:159], v[128:129], v[138:139]
	s_wait_dscnt 0x0
	s_delay_alu instid0(VALU_DEP_1)
	v_fmac_f64_e32 v[158:159], v[130:131], v[140:141]
	scratch_load_b128 v[128:131], off, off offset:400
	s_wait_loadcnt 0x5
	v_fmac_f64_e32 v[158:159], v[146:147], v[142:143]
	ds_load_2addr_b64 v[136:139], v2 offset0:101 offset1:102
	ds_load_2addr_b64 v[140:143], v2 offset0:103 offset1:104
	s_wait_dscnt 0x1
	v_fmac_f64_e32 v[158:159], v[148:149], v[136:137]
	s_wait_loadcnt 0x4
	s_delay_alu instid0(VALU_DEP_1)
	v_fmac_f64_e32 v[158:159], v[132:133], v[138:139]
	scratch_load_b128 v[136:139], off, off offset:416
	s_wait_dscnt 0x0
	v_fmac_f64_e32 v[158:159], v[134:135], v[140:141]
	scratch_load_b128 v[132:135], off, off offset:432
	s_wait_loadcnt 0x5
	v_fmac_f64_e32 v[158:159], v[154:155], v[142:143]
	ds_load_2addr_b64 v[140:143], v2 offset0:105 offset1:106
	ds_load_2addr_b64 v[144:147], v2 offset0:107 offset1:108
	scratch_load_b64 v[148:149], off, off offset:464
	s_wait_dscnt 0x1
	v_fmac_f64_e32 v[158:159], v[156:157], v[140:141]
	s_wait_loadcnt 0x5
	s_delay_alu instid0(VALU_DEP_1) | instskip(SKIP_4) | instid1(VALU_DEP_1)
	v_fmac_f64_e32 v[158:159], v[124:125], v[142:143]
	scratch_load_b128 v[140:143], off, off offset:448
	s_wait_dscnt 0x0
	v_fmac_f64_e32 v[158:159], v[126:127], v[144:145]
	s_wait_loadcnt 0x5
	v_fmac_f64_e32 v[158:159], v[150:151], v[146:147]
	ds_load_2addr_b64 v[124:127], v2 offset0:109 offset1:110
	ds_load_2addr_b64 v[144:147], v2 offset0:111 offset1:112
	s_wait_dscnt 0x1
	v_fmac_f64_e32 v[158:159], v[152:153], v[124:125]
	s_wait_loadcnt 0x4
	s_delay_alu instid0(VALU_DEP_1) | instskip(SKIP_1) | instid1(VALU_DEP_1)
	v_fmac_f64_e32 v[158:159], v[128:129], v[126:127]
	s_wait_dscnt 0x0
	v_fmac_f64_e32 v[158:159], v[130:131], v[144:145]
	ds_load_2addr_b64 v[124:127], v2 offset0:113 offset1:114
	ds_load_2addr_b64 v[128:131], v2 offset0:115 offset1:116
	s_wait_loadcnt 0x3
	v_fmac_f64_e32 v[158:159], v[136:137], v[146:147]
	s_wait_dscnt 0x1
	s_delay_alu instid0(VALU_DEP_1) | instskip(SKIP_1) | instid1(VALU_DEP_1)
	v_fmac_f64_e32 v[158:159], v[138:139], v[124:125]
	s_wait_loadcnt 0x2
	v_fmac_f64_e32 v[158:159], v[132:133], v[126:127]
	ds_load_2addr_b64 v[124:127], v2 offset0:117 offset1:118
	s_wait_dscnt 0x1
	v_fmac_f64_e32 v[158:159], v[134:135], v[128:129]
	s_wait_loadcnt 0x0
	s_delay_alu instid0(VALU_DEP_1) | instskip(SKIP_1) | instid1(VALU_DEP_1)
	v_fmac_f64_e32 v[158:159], v[140:141], v[130:131]
	s_wait_dscnt 0x0
	v_fmac_f64_e32 v[158:159], v[142:143], v[124:125]
	s_delay_alu instid0(VALU_DEP_1) | instskip(NEXT) | instid1(VALU_DEP_1)
	v_fmac_f64_e32 v[158:159], v[148:149], v[126:127]
	v_add_f64_e64 v[2:3], v[122:123], -v[158:159]
	scratch_store_b64 off, v[2:3], off offset:160
	s_wait_xcnt 0x0
	v_cmpx_lt_u32_e32 19, v0
	s_cbranch_execz .LBB122_325
; %bb.324:
	scratch_load_b64 v[2:3], off, off offset:152
	v_mov_b64_e32 v[122:123], 0
	scratch_store_b64 off, v[122:123], off offset:152
	s_wait_loadcnt 0x0
	ds_store_b64 v1, v[2:3]
.LBB122_325:
	s_wait_xcnt 0x0
	s_or_b32 exec_lo, exec_lo, s0
	s_wait_storecnt_dscnt 0x0
	s_barrier_signal -1
	s_barrier_wait -1
	s_clause 0x5
	scratch_load_b128 v[122:125], off, off offset:152
	scratch_load_b128 v[126:129], off, off offset:168
	;; [unrolled: 1-line block ×6, first 2 shown]
	v_mov_b32_e32 v2, 0
	ds_load_b128 v[146:149], v2 offset:640
	ds_load_b128 v[150:153], v2 offset:656
	scratch_load_b128 v[154:157], off, off offset:248
	s_mov_b32 s0, exec_lo
	s_wait_loadcnt_dscnt 0x601
	v_fma_f64 v[158:159], v[124:125], v[146:147], 0
	s_wait_loadcnt 0x5
	s_delay_alu instid0(VALU_DEP_1) | instskip(SKIP_4) | instid1(VALU_DEP_1)
	v_fmac_f64_e32 v[158:159], v[126:127], v[148:149]
	scratch_load_b128 v[124:127], off, off offset:264
	s_wait_dscnt 0x0
	v_fmac_f64_e32 v[158:159], v[128:129], v[150:151]
	s_wait_loadcnt 0x5
	v_fmac_f64_e32 v[158:159], v[130:131], v[152:153]
	ds_load_b128 v[128:131], v2 offset:672
	ds_load_b128 v[146:149], v2 offset:688
	scratch_load_b128 v[150:153], off, off offset:280
	s_wait_dscnt 0x1
	v_fmac_f64_e32 v[158:159], v[132:133], v[128:129]
	s_wait_loadcnt 0x5
	s_delay_alu instid0(VALU_DEP_1) | instskip(SKIP_4) | instid1(VALU_DEP_1)
	v_fmac_f64_e32 v[158:159], v[134:135], v[130:131]
	scratch_load_b128 v[128:131], off, off offset:296
	s_wait_dscnt 0x0
	v_fmac_f64_e32 v[158:159], v[136:137], v[146:147]
	s_wait_loadcnt 0x5
	v_fmac_f64_e32 v[158:159], v[138:139], v[148:149]
	ds_load_b128 v[132:135], v2 offset:704
	ds_load_b128 v[136:139], v2 offset:720
	scratch_load_b128 v[146:149], off, off offset:312
	s_wait_dscnt 0x1
	v_fmac_f64_e32 v[158:159], v[140:141], v[132:133]
	s_wait_loadcnt 0x5
	s_delay_alu instid0(VALU_DEP_1) | instskip(SKIP_4) | instid1(VALU_DEP_1)
	v_fmac_f64_e32 v[158:159], v[142:143], v[134:135]
	scratch_load_b128 v[132:135], off, off offset:328
	s_wait_dscnt 0x0
	v_fmac_f64_e32 v[158:159], v[144:145], v[136:137]
	s_wait_loadcnt 0x5
	v_fmac_f64_e32 v[158:159], v[154:155], v[138:139]
	ds_load_b128 v[136:139], v2 offset:736
	ds_load_b128 v[140:143], v2 offset:752
	s_wait_dscnt 0x1
	v_fmac_f64_e32 v[158:159], v[156:157], v[136:137]
	scratch_load_b128 v[154:157], off, off offset:344
	s_wait_loadcnt 0x5
	v_fmac_f64_e32 v[158:159], v[124:125], v[138:139]
	s_wait_dscnt 0x0
	s_delay_alu instid0(VALU_DEP_1)
	v_fmac_f64_e32 v[158:159], v[126:127], v[140:141]
	scratch_load_b128 v[124:127], off, off offset:360
	s_wait_loadcnt 0x5
	v_fmac_f64_e32 v[158:159], v[150:151], v[142:143]
	ds_load_b128 v[136:139], v2 offset:768
	ds_load_b128 v[140:143], v2 offset:784
	s_wait_dscnt 0x1
	v_fmac_f64_e32 v[158:159], v[152:153], v[136:137]
	scratch_load_b128 v[150:153], off, off offset:376
	s_wait_loadcnt 0x5
	v_fmac_f64_e32 v[158:159], v[128:129], v[138:139]
	s_wait_dscnt 0x0
	s_delay_alu instid0(VALU_DEP_1)
	v_fmac_f64_e32 v[158:159], v[130:131], v[140:141]
	scratch_load_b128 v[128:131], off, off offset:392
	s_wait_loadcnt 0x5
	v_fmac_f64_e32 v[158:159], v[146:147], v[142:143]
	ds_load_b128 v[136:139], v2 offset:800
	ds_load_b128 v[140:143], v2 offset:816
	s_wait_dscnt 0x1
	v_fmac_f64_e32 v[158:159], v[148:149], v[136:137]
	s_wait_loadcnt 0x4
	s_delay_alu instid0(VALU_DEP_1)
	v_fmac_f64_e32 v[158:159], v[132:133], v[138:139]
	scratch_load_b128 v[136:139], off, off offset:408
	s_wait_dscnt 0x0
	v_fmac_f64_e32 v[158:159], v[134:135], v[140:141]
	scratch_load_b128 v[132:135], off, off offset:424
	s_wait_loadcnt 0x5
	v_fmac_f64_e32 v[158:159], v[154:155], v[142:143]
	ds_load_b128 v[140:143], v2 offset:832
	ds_load_b128 v[144:147], v2 offset:848
	s_wait_dscnt 0x1
	v_fmac_f64_e32 v[158:159], v[156:157], v[140:141]
	s_wait_loadcnt 0x4
	s_delay_alu instid0(VALU_DEP_1)
	v_fmac_f64_e32 v[158:159], v[124:125], v[142:143]
	scratch_load_b128 v[140:143], off, off offset:440
	s_wait_dscnt 0x0
	v_fmac_f64_e32 v[158:159], v[126:127], v[144:145]
	scratch_load_b128 v[124:127], off, off offset:456
	s_wait_loadcnt 0x5
	v_fmac_f64_e32 v[158:159], v[150:151], v[146:147]
	ds_load_b128 v[144:147], v2 offset:864
	ds_load_b128 v[148:151], v2 offset:880
	s_wait_dscnt 0x1
	v_fmac_f64_e32 v[158:159], v[152:153], v[144:145]
	s_wait_loadcnt 0x4
	s_delay_alu instid0(VALU_DEP_1) | instskip(SKIP_1) | instid1(VALU_DEP_1)
	v_fmac_f64_e32 v[158:159], v[128:129], v[146:147]
	s_wait_dscnt 0x0
	v_fmac_f64_e32 v[158:159], v[130:131], v[148:149]
	ds_load_b128 v[128:131], v2 offset:896
	ds_load_b128 v[144:147], v2 offset:912
	s_wait_loadcnt 0x3
	v_fmac_f64_e32 v[158:159], v[136:137], v[150:151]
	s_wait_dscnt 0x1
	s_delay_alu instid0(VALU_DEP_1) | instskip(SKIP_1) | instid1(VALU_DEP_1)
	v_fmac_f64_e32 v[158:159], v[138:139], v[128:129]
	s_wait_loadcnt 0x2
	v_fmac_f64_e32 v[158:159], v[132:133], v[130:131]
	ds_load_b128 v[128:131], v2 offset:928
	ds_load_b64 v[132:133], v2 offset:944
	s_wait_dscnt 0x2
	v_fmac_f64_e32 v[158:159], v[134:135], v[144:145]
	s_wait_loadcnt 0x1
	s_delay_alu instid0(VALU_DEP_1) | instskip(SKIP_1) | instid1(VALU_DEP_1)
	v_fmac_f64_e32 v[158:159], v[140:141], v[146:147]
	s_wait_dscnt 0x1
	v_fmac_f64_e32 v[158:159], v[142:143], v[128:129]
	s_wait_loadcnt 0x0
	s_delay_alu instid0(VALU_DEP_1) | instskip(SKIP_1) | instid1(VALU_DEP_1)
	v_fmac_f64_e32 v[158:159], v[124:125], v[130:131]
	s_wait_dscnt 0x0
	v_fmac_f64_e32 v[158:159], v[126:127], v[132:133]
	s_delay_alu instid0(VALU_DEP_1)
	v_add_f64_e64 v[122:123], v[122:123], -v[158:159]
	scratch_store_b64 off, v[122:123], off offset:152
	s_wait_xcnt 0x0
	v_cmpx_lt_u32_e32 18, v0
	s_cbranch_execz .LBB122_327
; %bb.326:
	scratch_load_b64 v[122:123], off, off offset:144
	v_mov_b64_e32 v[124:125], 0
	scratch_store_b64 off, v[124:125], off offset:144
	s_wait_loadcnt 0x0
	ds_store_b64 v1, v[122:123]
.LBB122_327:
	s_wait_xcnt 0x0
	s_or_b32 exec_lo, exec_lo, s0
	s_wait_storecnt_dscnt 0x0
	s_barrier_signal -1
	s_barrier_wait -1
	s_clause 0x5
	scratch_load_b128 v[122:125], off, off offset:144
	scratch_load_b128 v[126:129], off, off offset:160
	;; [unrolled: 1-line block ×6, first 2 shown]
	ds_load_2addr_b64 v[146:149], v2 offset0:79 offset1:80
	ds_load_2addr_b64 v[150:153], v2 offset0:81 offset1:82
	scratch_load_b128 v[154:157], off, off offset:240
	s_mov_b32 s0, exec_lo
	s_wait_loadcnt_dscnt 0x601
	v_fma_f64 v[158:159], v[124:125], v[146:147], 0
	s_wait_loadcnt 0x5
	s_delay_alu instid0(VALU_DEP_1) | instskip(SKIP_4) | instid1(VALU_DEP_1)
	v_fmac_f64_e32 v[158:159], v[126:127], v[148:149]
	scratch_load_b128 v[124:127], off, off offset:256
	s_wait_dscnt 0x0
	v_fmac_f64_e32 v[158:159], v[128:129], v[150:151]
	s_wait_loadcnt 0x5
	v_fmac_f64_e32 v[158:159], v[130:131], v[152:153]
	ds_load_2addr_b64 v[128:131], v2 offset0:83 offset1:84
	ds_load_2addr_b64 v[146:149], v2 offset0:85 offset1:86
	scratch_load_b128 v[150:153], off, off offset:272
	s_wait_dscnt 0x1
	v_fmac_f64_e32 v[158:159], v[132:133], v[128:129]
	s_wait_loadcnt 0x5
	s_delay_alu instid0(VALU_DEP_1) | instskip(SKIP_4) | instid1(VALU_DEP_1)
	v_fmac_f64_e32 v[158:159], v[134:135], v[130:131]
	scratch_load_b128 v[128:131], off, off offset:288
	s_wait_dscnt 0x0
	v_fmac_f64_e32 v[158:159], v[136:137], v[146:147]
	s_wait_loadcnt 0x5
	v_fmac_f64_e32 v[158:159], v[138:139], v[148:149]
	ds_load_2addr_b64 v[132:135], v2 offset0:87 offset1:88
	ds_load_2addr_b64 v[136:139], v2 offset0:89 offset1:90
	scratch_load_b128 v[146:149], off, off offset:304
	s_wait_dscnt 0x1
	v_fmac_f64_e32 v[158:159], v[140:141], v[132:133]
	s_wait_loadcnt 0x5
	s_delay_alu instid0(VALU_DEP_1) | instskip(SKIP_4) | instid1(VALU_DEP_1)
	v_fmac_f64_e32 v[158:159], v[142:143], v[134:135]
	scratch_load_b128 v[132:135], off, off offset:320
	s_wait_dscnt 0x0
	v_fmac_f64_e32 v[158:159], v[144:145], v[136:137]
	s_wait_loadcnt 0x5
	v_fmac_f64_e32 v[158:159], v[154:155], v[138:139]
	ds_load_2addr_b64 v[136:139], v2 offset0:91 offset1:92
	ds_load_2addr_b64 v[140:143], v2 offset0:93 offset1:94
	s_wait_dscnt 0x1
	v_fmac_f64_e32 v[158:159], v[156:157], v[136:137]
	scratch_load_b128 v[154:157], off, off offset:336
	s_wait_loadcnt 0x5
	v_fmac_f64_e32 v[158:159], v[124:125], v[138:139]
	s_wait_dscnt 0x0
	s_delay_alu instid0(VALU_DEP_1)
	v_fmac_f64_e32 v[158:159], v[126:127], v[140:141]
	scratch_load_b128 v[124:127], off, off offset:352
	s_wait_loadcnt 0x5
	v_fmac_f64_e32 v[158:159], v[150:151], v[142:143]
	ds_load_2addr_b64 v[136:139], v2 offset0:95 offset1:96
	ds_load_2addr_b64 v[140:143], v2 offset0:97 offset1:98
	s_wait_dscnt 0x1
	v_fmac_f64_e32 v[158:159], v[152:153], v[136:137]
	scratch_load_b128 v[150:153], off, off offset:368
	s_wait_loadcnt 0x5
	v_fmac_f64_e32 v[158:159], v[128:129], v[138:139]
	s_wait_dscnt 0x0
	s_delay_alu instid0(VALU_DEP_1)
	v_fmac_f64_e32 v[158:159], v[130:131], v[140:141]
	scratch_load_b128 v[128:131], off, off offset:384
	s_wait_loadcnt 0x5
	v_fmac_f64_e32 v[158:159], v[146:147], v[142:143]
	ds_load_2addr_b64 v[136:139], v2 offset0:99 offset1:100
	ds_load_2addr_b64 v[140:143], v2 offset0:101 offset1:102
	s_wait_dscnt 0x1
	v_fmac_f64_e32 v[158:159], v[148:149], v[136:137]
	s_wait_loadcnt 0x4
	s_delay_alu instid0(VALU_DEP_1)
	v_fmac_f64_e32 v[158:159], v[132:133], v[138:139]
	scratch_load_b128 v[136:139], off, off offset:400
	s_wait_dscnt 0x0
	v_fmac_f64_e32 v[158:159], v[134:135], v[140:141]
	scratch_load_b128 v[132:135], off, off offset:416
	s_wait_loadcnt 0x5
	v_fmac_f64_e32 v[158:159], v[154:155], v[142:143]
	ds_load_2addr_b64 v[140:143], v2 offset0:103 offset1:104
	ds_load_2addr_b64 v[144:147], v2 offset0:105 offset1:106
	s_wait_dscnt 0x1
	v_fmac_f64_e32 v[158:159], v[156:157], v[140:141]
	s_wait_loadcnt 0x4
	s_delay_alu instid0(VALU_DEP_1)
	v_fmac_f64_e32 v[158:159], v[124:125], v[142:143]
	scratch_load_b128 v[140:143], off, off offset:432
	s_wait_dscnt 0x0
	v_fmac_f64_e32 v[158:159], v[126:127], v[144:145]
	scratch_load_b128 v[124:127], off, off offset:448
	s_wait_loadcnt 0x5
	v_fmac_f64_e32 v[158:159], v[150:151], v[146:147]
	ds_load_2addr_b64 v[144:147], v2 offset0:107 offset1:108
	ds_load_2addr_b64 v[148:151], v2 offset0:109 offset1:110
	s_wait_dscnt 0x1
	v_fmac_f64_e32 v[158:159], v[152:153], v[144:145]
	scratch_load_b64 v[152:153], off, off offset:464
	s_wait_loadcnt 0x5
	v_fmac_f64_e32 v[158:159], v[128:129], v[146:147]
	s_wait_dscnt 0x0
	s_delay_alu instid0(VALU_DEP_1)
	v_fmac_f64_e32 v[158:159], v[130:131], v[148:149]
	ds_load_2addr_b64 v[128:131], v2 offset0:111 offset1:112
	ds_load_2addr_b64 v[144:147], v2 offset0:113 offset1:114
	s_wait_loadcnt 0x4
	v_fmac_f64_e32 v[158:159], v[136:137], v[150:151]
	s_wait_dscnt 0x1
	s_delay_alu instid0(VALU_DEP_1) | instskip(SKIP_1) | instid1(VALU_DEP_1)
	v_fmac_f64_e32 v[158:159], v[138:139], v[128:129]
	s_wait_loadcnt 0x3
	v_fmac_f64_e32 v[158:159], v[132:133], v[130:131]
	s_wait_dscnt 0x0
	s_delay_alu instid0(VALU_DEP_1)
	v_fmac_f64_e32 v[158:159], v[134:135], v[144:145]
	ds_load_2addr_b64 v[128:131], v2 offset0:115 offset1:116
	ds_load_2addr_b64 v[132:135], v2 offset0:117 offset1:118
	s_wait_loadcnt 0x2
	v_fmac_f64_e32 v[158:159], v[140:141], v[146:147]
	s_wait_dscnt 0x1
	s_delay_alu instid0(VALU_DEP_1) | instskip(SKIP_1) | instid1(VALU_DEP_1)
	v_fmac_f64_e32 v[158:159], v[142:143], v[128:129]
	s_wait_loadcnt 0x1
	v_fmac_f64_e32 v[158:159], v[124:125], v[130:131]
	s_wait_dscnt 0x0
	s_delay_alu instid0(VALU_DEP_1) | instskip(SKIP_1) | instid1(VALU_DEP_1)
	v_fmac_f64_e32 v[158:159], v[126:127], v[132:133]
	s_wait_loadcnt 0x0
	v_fmac_f64_e32 v[158:159], v[152:153], v[134:135]
	s_delay_alu instid0(VALU_DEP_1)
	v_add_f64_e64 v[2:3], v[122:123], -v[158:159]
	scratch_store_b64 off, v[2:3], off offset:144
	s_wait_xcnt 0x0
	v_cmpx_lt_u32_e32 17, v0
	s_cbranch_execz .LBB122_329
; %bb.328:
	scratch_load_b64 v[2:3], off, off offset:136
	v_mov_b64_e32 v[122:123], 0
	scratch_store_b64 off, v[122:123], off offset:136
	s_wait_loadcnt 0x0
	ds_store_b64 v1, v[2:3]
.LBB122_329:
	s_wait_xcnt 0x0
	s_or_b32 exec_lo, exec_lo, s0
	s_wait_storecnt_dscnt 0x0
	s_barrier_signal -1
	s_barrier_wait -1
	s_clause 0x5
	scratch_load_b128 v[122:125], off, off offset:136
	scratch_load_b128 v[126:129], off, off offset:152
	;; [unrolled: 1-line block ×6, first 2 shown]
	v_mov_b32_e32 v2, 0
	ds_load_b128 v[146:149], v2 offset:624
	ds_load_b128 v[150:153], v2 offset:640
	scratch_load_b128 v[154:157], off, off offset:232
	s_mov_b32 s0, exec_lo
	s_wait_loadcnt_dscnt 0x601
	v_fma_f64 v[158:159], v[124:125], v[146:147], 0
	s_wait_loadcnt 0x5
	s_delay_alu instid0(VALU_DEP_1) | instskip(SKIP_4) | instid1(VALU_DEP_1)
	v_fmac_f64_e32 v[158:159], v[126:127], v[148:149]
	scratch_load_b128 v[124:127], off, off offset:248
	s_wait_dscnt 0x0
	v_fmac_f64_e32 v[158:159], v[128:129], v[150:151]
	s_wait_loadcnt 0x5
	v_fmac_f64_e32 v[158:159], v[130:131], v[152:153]
	ds_load_b128 v[128:131], v2 offset:656
	ds_load_b128 v[146:149], v2 offset:672
	scratch_load_b128 v[150:153], off, off offset:264
	s_wait_dscnt 0x1
	v_fmac_f64_e32 v[158:159], v[132:133], v[128:129]
	s_wait_loadcnt 0x5
	s_delay_alu instid0(VALU_DEP_1) | instskip(SKIP_4) | instid1(VALU_DEP_1)
	v_fmac_f64_e32 v[158:159], v[134:135], v[130:131]
	scratch_load_b128 v[128:131], off, off offset:280
	s_wait_dscnt 0x0
	v_fmac_f64_e32 v[158:159], v[136:137], v[146:147]
	s_wait_loadcnt 0x5
	v_fmac_f64_e32 v[158:159], v[138:139], v[148:149]
	ds_load_b128 v[132:135], v2 offset:688
	ds_load_b128 v[136:139], v2 offset:704
	scratch_load_b128 v[146:149], off, off offset:296
	s_wait_dscnt 0x1
	v_fmac_f64_e32 v[158:159], v[140:141], v[132:133]
	s_wait_loadcnt 0x5
	s_delay_alu instid0(VALU_DEP_1) | instskip(SKIP_4) | instid1(VALU_DEP_1)
	v_fmac_f64_e32 v[158:159], v[142:143], v[134:135]
	scratch_load_b128 v[132:135], off, off offset:312
	s_wait_dscnt 0x0
	v_fmac_f64_e32 v[158:159], v[144:145], v[136:137]
	s_wait_loadcnt 0x5
	v_fmac_f64_e32 v[158:159], v[154:155], v[138:139]
	ds_load_b128 v[136:139], v2 offset:720
	ds_load_b128 v[140:143], v2 offset:736
	s_wait_dscnt 0x1
	v_fmac_f64_e32 v[158:159], v[156:157], v[136:137]
	scratch_load_b128 v[154:157], off, off offset:328
	s_wait_loadcnt 0x5
	v_fmac_f64_e32 v[158:159], v[124:125], v[138:139]
	s_wait_dscnt 0x0
	s_delay_alu instid0(VALU_DEP_1)
	v_fmac_f64_e32 v[158:159], v[126:127], v[140:141]
	scratch_load_b128 v[124:127], off, off offset:344
	s_wait_loadcnt 0x5
	v_fmac_f64_e32 v[158:159], v[150:151], v[142:143]
	ds_load_b128 v[136:139], v2 offset:752
	ds_load_b128 v[140:143], v2 offset:768
	s_wait_dscnt 0x1
	v_fmac_f64_e32 v[158:159], v[152:153], v[136:137]
	scratch_load_b128 v[150:153], off, off offset:360
	s_wait_loadcnt 0x5
	v_fmac_f64_e32 v[158:159], v[128:129], v[138:139]
	s_wait_dscnt 0x0
	s_delay_alu instid0(VALU_DEP_1)
	v_fmac_f64_e32 v[158:159], v[130:131], v[140:141]
	scratch_load_b128 v[128:131], off, off offset:376
	s_wait_loadcnt 0x5
	v_fmac_f64_e32 v[158:159], v[146:147], v[142:143]
	ds_load_b128 v[136:139], v2 offset:784
	ds_load_b128 v[140:143], v2 offset:800
	s_wait_dscnt 0x1
	v_fmac_f64_e32 v[158:159], v[148:149], v[136:137]
	s_wait_loadcnt 0x4
	s_delay_alu instid0(VALU_DEP_1)
	v_fmac_f64_e32 v[158:159], v[132:133], v[138:139]
	scratch_load_b128 v[136:139], off, off offset:392
	s_wait_dscnt 0x0
	v_fmac_f64_e32 v[158:159], v[134:135], v[140:141]
	scratch_load_b128 v[132:135], off, off offset:408
	s_wait_loadcnt 0x5
	v_fmac_f64_e32 v[158:159], v[154:155], v[142:143]
	ds_load_b128 v[140:143], v2 offset:816
	ds_load_b128 v[144:147], v2 offset:832
	s_wait_dscnt 0x1
	v_fmac_f64_e32 v[158:159], v[156:157], v[140:141]
	s_wait_loadcnt 0x4
	s_delay_alu instid0(VALU_DEP_1)
	v_fmac_f64_e32 v[158:159], v[124:125], v[142:143]
	scratch_load_b128 v[140:143], off, off offset:424
	s_wait_dscnt 0x0
	v_fmac_f64_e32 v[158:159], v[126:127], v[144:145]
	scratch_load_b128 v[124:127], off, off offset:440
	s_wait_loadcnt 0x5
	v_fmac_f64_e32 v[158:159], v[150:151], v[146:147]
	ds_load_b128 v[144:147], v2 offset:848
	ds_load_b128 v[148:151], v2 offset:864
	s_wait_dscnt 0x1
	v_fmac_f64_e32 v[158:159], v[152:153], v[144:145]
	s_wait_loadcnt 0x4
	s_delay_alu instid0(VALU_DEP_1) | instskip(SKIP_4) | instid1(VALU_DEP_1)
	v_fmac_f64_e32 v[158:159], v[128:129], v[146:147]
	scratch_load_b128 v[144:147], off, off offset:456
	s_wait_dscnt 0x0
	v_fmac_f64_e32 v[158:159], v[130:131], v[148:149]
	s_wait_loadcnt 0x4
	v_fmac_f64_e32 v[158:159], v[136:137], v[150:151]
	ds_load_b128 v[128:131], v2 offset:880
	ds_load_b128 v[148:151], v2 offset:896
	s_wait_dscnt 0x1
	v_fmac_f64_e32 v[158:159], v[138:139], v[128:129]
	s_wait_loadcnt 0x3
	s_delay_alu instid0(VALU_DEP_1) | instskip(SKIP_1) | instid1(VALU_DEP_1)
	v_fmac_f64_e32 v[158:159], v[132:133], v[130:131]
	s_wait_dscnt 0x0
	v_fmac_f64_e32 v[158:159], v[134:135], v[148:149]
	ds_load_b128 v[128:131], v2 offset:912
	ds_load_b128 v[132:135], v2 offset:928
	s_wait_loadcnt 0x2
	v_fmac_f64_e32 v[158:159], v[140:141], v[150:151]
	s_wait_dscnt 0x1
	s_delay_alu instid0(VALU_DEP_1) | instskip(SKIP_1) | instid1(VALU_DEP_1)
	v_fmac_f64_e32 v[158:159], v[142:143], v[128:129]
	s_wait_loadcnt 0x1
	v_fmac_f64_e32 v[158:159], v[124:125], v[130:131]
	ds_load_b64 v[124:125], v2 offset:944
	s_wait_dscnt 0x1
	v_fmac_f64_e32 v[158:159], v[126:127], v[132:133]
	s_wait_loadcnt 0x0
	s_delay_alu instid0(VALU_DEP_1) | instskip(SKIP_1) | instid1(VALU_DEP_1)
	v_fmac_f64_e32 v[158:159], v[144:145], v[134:135]
	s_wait_dscnt 0x0
	v_fmac_f64_e32 v[158:159], v[146:147], v[124:125]
	s_delay_alu instid0(VALU_DEP_1)
	v_add_f64_e64 v[122:123], v[122:123], -v[158:159]
	scratch_store_b64 off, v[122:123], off offset:136
	s_wait_xcnt 0x0
	v_cmpx_lt_u32_e32 16, v0
	s_cbranch_execz .LBB122_331
; %bb.330:
	scratch_load_b64 v[122:123], off, off offset:128
	v_mov_b64_e32 v[124:125], 0
	scratch_store_b64 off, v[124:125], off offset:128
	s_wait_loadcnt 0x0
	ds_store_b64 v1, v[122:123]
.LBB122_331:
	s_wait_xcnt 0x0
	s_or_b32 exec_lo, exec_lo, s0
	s_wait_storecnt_dscnt 0x0
	s_barrier_signal -1
	s_barrier_wait -1
	s_clause 0x5
	scratch_load_b128 v[122:125], off, off offset:128
	scratch_load_b128 v[126:129], off, off offset:144
	;; [unrolled: 1-line block ×6, first 2 shown]
	ds_load_2addr_b64 v[146:149], v2 offset0:77 offset1:78
	ds_load_2addr_b64 v[150:153], v2 offset0:79 offset1:80
	scratch_load_b128 v[154:157], off, off offset:224
	s_mov_b32 s0, exec_lo
	s_wait_loadcnt_dscnt 0x601
	v_fma_f64 v[158:159], v[124:125], v[146:147], 0
	s_wait_loadcnt 0x5
	s_delay_alu instid0(VALU_DEP_1) | instskip(SKIP_4) | instid1(VALU_DEP_1)
	v_fmac_f64_e32 v[158:159], v[126:127], v[148:149]
	scratch_load_b128 v[124:127], off, off offset:240
	s_wait_dscnt 0x0
	v_fmac_f64_e32 v[158:159], v[128:129], v[150:151]
	s_wait_loadcnt 0x5
	v_fmac_f64_e32 v[158:159], v[130:131], v[152:153]
	ds_load_2addr_b64 v[128:131], v2 offset0:81 offset1:82
	ds_load_2addr_b64 v[146:149], v2 offset0:83 offset1:84
	scratch_load_b128 v[150:153], off, off offset:256
	s_wait_dscnt 0x1
	v_fmac_f64_e32 v[158:159], v[132:133], v[128:129]
	s_wait_loadcnt 0x5
	s_delay_alu instid0(VALU_DEP_1) | instskip(SKIP_4) | instid1(VALU_DEP_1)
	v_fmac_f64_e32 v[158:159], v[134:135], v[130:131]
	scratch_load_b128 v[128:131], off, off offset:272
	s_wait_dscnt 0x0
	v_fmac_f64_e32 v[158:159], v[136:137], v[146:147]
	s_wait_loadcnt 0x5
	v_fmac_f64_e32 v[158:159], v[138:139], v[148:149]
	ds_load_2addr_b64 v[132:135], v2 offset0:85 offset1:86
	ds_load_2addr_b64 v[136:139], v2 offset0:87 offset1:88
	scratch_load_b128 v[146:149], off, off offset:288
	s_wait_dscnt 0x1
	v_fmac_f64_e32 v[158:159], v[140:141], v[132:133]
	s_wait_loadcnt 0x5
	s_delay_alu instid0(VALU_DEP_1) | instskip(SKIP_4) | instid1(VALU_DEP_1)
	v_fmac_f64_e32 v[158:159], v[142:143], v[134:135]
	scratch_load_b128 v[132:135], off, off offset:304
	s_wait_dscnt 0x0
	v_fmac_f64_e32 v[158:159], v[144:145], v[136:137]
	s_wait_loadcnt 0x5
	v_fmac_f64_e32 v[158:159], v[154:155], v[138:139]
	ds_load_2addr_b64 v[136:139], v2 offset0:89 offset1:90
	ds_load_2addr_b64 v[140:143], v2 offset0:91 offset1:92
	s_wait_dscnt 0x1
	v_fmac_f64_e32 v[158:159], v[156:157], v[136:137]
	scratch_load_b128 v[154:157], off, off offset:320
	s_wait_loadcnt 0x5
	v_fmac_f64_e32 v[158:159], v[124:125], v[138:139]
	s_wait_dscnt 0x0
	s_delay_alu instid0(VALU_DEP_1)
	v_fmac_f64_e32 v[158:159], v[126:127], v[140:141]
	scratch_load_b128 v[124:127], off, off offset:336
	s_wait_loadcnt 0x5
	v_fmac_f64_e32 v[158:159], v[150:151], v[142:143]
	ds_load_2addr_b64 v[136:139], v2 offset0:93 offset1:94
	ds_load_2addr_b64 v[140:143], v2 offset0:95 offset1:96
	s_wait_dscnt 0x1
	v_fmac_f64_e32 v[158:159], v[152:153], v[136:137]
	scratch_load_b128 v[150:153], off, off offset:352
	s_wait_loadcnt 0x5
	v_fmac_f64_e32 v[158:159], v[128:129], v[138:139]
	s_wait_dscnt 0x0
	s_delay_alu instid0(VALU_DEP_1)
	v_fmac_f64_e32 v[158:159], v[130:131], v[140:141]
	scratch_load_b128 v[128:131], off, off offset:368
	s_wait_loadcnt 0x5
	v_fmac_f64_e32 v[158:159], v[146:147], v[142:143]
	ds_load_2addr_b64 v[136:139], v2 offset0:97 offset1:98
	ds_load_2addr_b64 v[140:143], v2 offset0:99 offset1:100
	scratch_load_b128 v[144:147], off, off offset:384
	s_wait_dscnt 0x1
	v_fmac_f64_e32 v[158:159], v[148:149], v[136:137]
	s_wait_loadcnt 0x5
	s_delay_alu instid0(VALU_DEP_1) | instskip(SKIP_1) | instid1(VALU_DEP_1)
	v_fmac_f64_e32 v[158:159], v[132:133], v[138:139]
	s_wait_dscnt 0x0
	v_fmac_f64_e32 v[158:159], v[134:135], v[140:141]
	scratch_load_b128 v[132:135], off, off offset:400
	s_wait_loadcnt 0x5
	v_fmac_f64_e32 v[158:159], v[154:155], v[142:143]
	ds_load_2addr_b64 v[136:139], v2 offset0:101 offset1:102
	ds_load_2addr_b64 v[140:143], v2 offset0:103 offset1:104
	s_wait_dscnt 0x1
	v_fmac_f64_e32 v[158:159], v[156:157], v[136:137]
	s_wait_loadcnt 0x4
	s_delay_alu instid0(VALU_DEP_1)
	v_fmac_f64_e32 v[158:159], v[124:125], v[138:139]
	scratch_load_b128 v[136:139], off, off offset:416
	s_wait_dscnt 0x0
	v_fmac_f64_e32 v[158:159], v[126:127], v[140:141]
	scratch_load_b128 v[124:127], off, off offset:432
	s_wait_loadcnt 0x5
	v_fmac_f64_e32 v[158:159], v[150:151], v[142:143]
	ds_load_2addr_b64 v[140:143], v2 offset0:105 offset1:106
	ds_load_2addr_b64 v[148:151], v2 offset0:107 offset1:108
	s_wait_dscnt 0x1
	v_fmac_f64_e32 v[158:159], v[152:153], v[140:141]
	s_wait_loadcnt 0x4
	s_delay_alu instid0(VALU_DEP_1) | instskip(SKIP_4) | instid1(VALU_DEP_1)
	v_fmac_f64_e32 v[158:159], v[128:129], v[142:143]
	scratch_load_b128 v[140:143], off, off offset:448
	s_wait_dscnt 0x0
	v_fmac_f64_e32 v[158:159], v[130:131], v[148:149]
	s_wait_loadcnt 0x4
	v_fmac_f64_e32 v[158:159], v[144:145], v[150:151]
	scratch_load_b64 v[144:145], off, off offset:464
	ds_load_2addr_b64 v[128:131], v2 offset0:109 offset1:110
	ds_load_2addr_b64 v[148:151], v2 offset0:111 offset1:112
	s_wait_dscnt 0x1
	v_fmac_f64_e32 v[158:159], v[146:147], v[128:129]
	s_wait_loadcnt 0x4
	s_delay_alu instid0(VALU_DEP_1) | instskip(SKIP_1) | instid1(VALU_DEP_1)
	v_fmac_f64_e32 v[158:159], v[132:133], v[130:131]
	s_wait_dscnt 0x0
	v_fmac_f64_e32 v[158:159], v[134:135], v[148:149]
	ds_load_2addr_b64 v[128:131], v2 offset0:113 offset1:114
	ds_load_2addr_b64 v[132:135], v2 offset0:115 offset1:116
	s_wait_loadcnt 0x3
	v_fmac_f64_e32 v[158:159], v[136:137], v[150:151]
	s_wait_dscnt 0x1
	s_delay_alu instid0(VALU_DEP_1) | instskip(SKIP_1) | instid1(VALU_DEP_1)
	v_fmac_f64_e32 v[158:159], v[138:139], v[128:129]
	s_wait_loadcnt 0x2
	v_fmac_f64_e32 v[158:159], v[124:125], v[130:131]
	s_wait_dscnt 0x0
	s_delay_alu instid0(VALU_DEP_1) | instskip(SKIP_4) | instid1(VALU_DEP_1)
	v_fmac_f64_e32 v[158:159], v[126:127], v[132:133]
	ds_load_2addr_b64 v[124:127], v2 offset0:117 offset1:118
	s_wait_loadcnt 0x1
	v_fmac_f64_e32 v[158:159], v[140:141], v[134:135]
	s_wait_dscnt 0x0
	v_fmac_f64_e32 v[158:159], v[142:143], v[124:125]
	s_wait_loadcnt 0x0
	s_delay_alu instid0(VALU_DEP_1) | instskip(NEXT) | instid1(VALU_DEP_1)
	v_fmac_f64_e32 v[158:159], v[144:145], v[126:127]
	v_add_f64_e64 v[2:3], v[122:123], -v[158:159]
	scratch_store_b64 off, v[2:3], off offset:128
	s_wait_xcnt 0x0
	v_cmpx_lt_u32_e32 15, v0
	s_cbranch_execz .LBB122_333
; %bb.332:
	scratch_load_b64 v[2:3], off, off offset:120
	v_mov_b64_e32 v[122:123], 0
	scratch_store_b64 off, v[122:123], off offset:120
	s_wait_loadcnt 0x0
	ds_store_b64 v1, v[2:3]
.LBB122_333:
	s_wait_xcnt 0x0
	s_or_b32 exec_lo, exec_lo, s0
	s_wait_storecnt_dscnt 0x0
	s_barrier_signal -1
	s_barrier_wait -1
	s_clause 0x5
	scratch_load_b128 v[122:125], off, off offset:120
	scratch_load_b128 v[126:129], off, off offset:136
	;; [unrolled: 1-line block ×6, first 2 shown]
	v_mov_b32_e32 v2, 0
	ds_load_b128 v[146:149], v2 offset:608
	ds_load_b128 v[150:153], v2 offset:624
	scratch_load_b128 v[154:157], off, off offset:216
	s_mov_b32 s0, exec_lo
	s_wait_loadcnt_dscnt 0x601
	v_fma_f64 v[158:159], v[124:125], v[146:147], 0
	s_wait_loadcnt 0x5
	s_delay_alu instid0(VALU_DEP_1) | instskip(SKIP_4) | instid1(VALU_DEP_1)
	v_fmac_f64_e32 v[158:159], v[126:127], v[148:149]
	scratch_load_b128 v[124:127], off, off offset:232
	s_wait_dscnt 0x0
	v_fmac_f64_e32 v[158:159], v[128:129], v[150:151]
	s_wait_loadcnt 0x5
	v_fmac_f64_e32 v[158:159], v[130:131], v[152:153]
	ds_load_b128 v[128:131], v2 offset:640
	ds_load_b128 v[146:149], v2 offset:656
	scratch_load_b128 v[150:153], off, off offset:248
	s_wait_dscnt 0x1
	v_fmac_f64_e32 v[158:159], v[132:133], v[128:129]
	s_wait_loadcnt 0x5
	s_delay_alu instid0(VALU_DEP_1) | instskip(SKIP_4) | instid1(VALU_DEP_1)
	v_fmac_f64_e32 v[158:159], v[134:135], v[130:131]
	scratch_load_b128 v[128:131], off, off offset:264
	s_wait_dscnt 0x0
	v_fmac_f64_e32 v[158:159], v[136:137], v[146:147]
	s_wait_loadcnt 0x5
	v_fmac_f64_e32 v[158:159], v[138:139], v[148:149]
	ds_load_b128 v[132:135], v2 offset:672
	ds_load_b128 v[136:139], v2 offset:688
	scratch_load_b128 v[146:149], off, off offset:280
	s_wait_dscnt 0x1
	v_fmac_f64_e32 v[158:159], v[140:141], v[132:133]
	s_wait_loadcnt 0x5
	s_delay_alu instid0(VALU_DEP_1) | instskip(SKIP_4) | instid1(VALU_DEP_1)
	v_fmac_f64_e32 v[158:159], v[142:143], v[134:135]
	scratch_load_b128 v[132:135], off, off offset:296
	s_wait_dscnt 0x0
	v_fmac_f64_e32 v[158:159], v[144:145], v[136:137]
	s_wait_loadcnt 0x5
	v_fmac_f64_e32 v[158:159], v[154:155], v[138:139]
	ds_load_b128 v[136:139], v2 offset:704
	ds_load_b128 v[140:143], v2 offset:720
	s_wait_dscnt 0x1
	v_fmac_f64_e32 v[158:159], v[156:157], v[136:137]
	scratch_load_b128 v[154:157], off, off offset:312
	s_wait_loadcnt 0x5
	v_fmac_f64_e32 v[158:159], v[124:125], v[138:139]
	s_wait_dscnt 0x0
	s_delay_alu instid0(VALU_DEP_1)
	v_fmac_f64_e32 v[158:159], v[126:127], v[140:141]
	scratch_load_b128 v[124:127], off, off offset:328
	s_wait_loadcnt 0x5
	v_fmac_f64_e32 v[158:159], v[150:151], v[142:143]
	ds_load_b128 v[136:139], v2 offset:736
	ds_load_b128 v[140:143], v2 offset:752
	s_wait_dscnt 0x1
	v_fmac_f64_e32 v[158:159], v[152:153], v[136:137]
	scratch_load_b128 v[150:153], off, off offset:344
	s_wait_loadcnt 0x5
	v_fmac_f64_e32 v[158:159], v[128:129], v[138:139]
	s_wait_dscnt 0x0
	s_delay_alu instid0(VALU_DEP_1)
	v_fmac_f64_e32 v[158:159], v[130:131], v[140:141]
	scratch_load_b128 v[128:131], off, off offset:360
	s_wait_loadcnt 0x5
	v_fmac_f64_e32 v[158:159], v[146:147], v[142:143]
	ds_load_b128 v[136:139], v2 offset:768
	ds_load_b128 v[140:143], v2 offset:784
	scratch_load_b128 v[144:147], off, off offset:376
	s_wait_dscnt 0x1
	v_fmac_f64_e32 v[158:159], v[148:149], v[136:137]
	s_wait_loadcnt 0x5
	s_delay_alu instid0(VALU_DEP_1) | instskip(SKIP_1) | instid1(VALU_DEP_1)
	v_fmac_f64_e32 v[158:159], v[132:133], v[138:139]
	s_wait_dscnt 0x0
	v_fmac_f64_e32 v[158:159], v[134:135], v[140:141]
	scratch_load_b128 v[132:135], off, off offset:392
	s_wait_loadcnt 0x5
	v_fmac_f64_e32 v[158:159], v[154:155], v[142:143]
	ds_load_b128 v[136:139], v2 offset:800
	ds_load_b128 v[140:143], v2 offset:816
	s_wait_dscnt 0x1
	v_fmac_f64_e32 v[158:159], v[156:157], v[136:137]
	s_wait_loadcnt 0x4
	s_delay_alu instid0(VALU_DEP_1)
	v_fmac_f64_e32 v[158:159], v[124:125], v[138:139]
	scratch_load_b128 v[136:139], off, off offset:408
	s_wait_dscnt 0x0
	v_fmac_f64_e32 v[158:159], v[126:127], v[140:141]
	scratch_load_b128 v[124:127], off, off offset:424
	s_wait_loadcnt 0x5
	v_fmac_f64_e32 v[158:159], v[150:151], v[142:143]
	ds_load_b128 v[140:143], v2 offset:832
	ds_load_b128 v[148:151], v2 offset:848
	s_wait_dscnt 0x1
	v_fmac_f64_e32 v[158:159], v[152:153], v[140:141]
	s_wait_loadcnt 0x4
	s_delay_alu instid0(VALU_DEP_1)
	v_fmac_f64_e32 v[158:159], v[128:129], v[142:143]
	scratch_load_b128 v[140:143], off, off offset:440
	s_wait_dscnt 0x0
	v_fmac_f64_e32 v[158:159], v[130:131], v[148:149]
	scratch_load_b128 v[128:131], off, off offset:456
	s_wait_loadcnt 0x5
	v_fmac_f64_e32 v[158:159], v[144:145], v[150:151]
	ds_load_b128 v[148:151], v2 offset:864
	ds_load_b128 v[152:155], v2 offset:880
	s_wait_dscnt 0x1
	v_fmac_f64_e32 v[158:159], v[146:147], v[148:149]
	s_wait_loadcnt 0x4
	s_delay_alu instid0(VALU_DEP_1) | instskip(SKIP_1) | instid1(VALU_DEP_1)
	v_fmac_f64_e32 v[158:159], v[132:133], v[150:151]
	s_wait_dscnt 0x0
	v_fmac_f64_e32 v[158:159], v[134:135], v[152:153]
	ds_load_b128 v[132:135], v2 offset:896
	ds_load_b128 v[144:147], v2 offset:912
	s_wait_loadcnt 0x3
	v_fmac_f64_e32 v[158:159], v[136:137], v[154:155]
	s_wait_dscnt 0x1
	s_delay_alu instid0(VALU_DEP_1) | instskip(SKIP_1) | instid1(VALU_DEP_1)
	v_fmac_f64_e32 v[158:159], v[138:139], v[132:133]
	s_wait_loadcnt 0x2
	v_fmac_f64_e32 v[158:159], v[124:125], v[134:135]
	s_wait_dscnt 0x0
	s_delay_alu instid0(VALU_DEP_1)
	v_fmac_f64_e32 v[158:159], v[126:127], v[144:145]
	ds_load_b128 v[124:127], v2 offset:928
	ds_load_b64 v[132:133], v2 offset:944
	s_wait_loadcnt 0x1
	v_fmac_f64_e32 v[158:159], v[140:141], v[146:147]
	s_wait_dscnt 0x1
	s_delay_alu instid0(VALU_DEP_1) | instskip(SKIP_1) | instid1(VALU_DEP_1)
	v_fmac_f64_e32 v[158:159], v[142:143], v[124:125]
	s_wait_loadcnt 0x0
	v_fmac_f64_e32 v[158:159], v[128:129], v[126:127]
	s_wait_dscnt 0x0
	s_delay_alu instid0(VALU_DEP_1) | instskip(NEXT) | instid1(VALU_DEP_1)
	v_fmac_f64_e32 v[158:159], v[130:131], v[132:133]
	v_add_f64_e64 v[122:123], v[122:123], -v[158:159]
	scratch_store_b64 off, v[122:123], off offset:120
	s_wait_xcnt 0x0
	v_cmpx_lt_u32_e32 14, v0
	s_cbranch_execz .LBB122_335
; %bb.334:
	scratch_load_b64 v[122:123], off, off offset:112
	v_mov_b64_e32 v[124:125], 0
	scratch_store_b64 off, v[124:125], off offset:112
	s_wait_loadcnt 0x0
	ds_store_b64 v1, v[122:123]
.LBB122_335:
	s_wait_xcnt 0x0
	s_or_b32 exec_lo, exec_lo, s0
	s_wait_storecnt_dscnt 0x0
	s_barrier_signal -1
	s_barrier_wait -1
	s_clause 0x5
	scratch_load_b128 v[122:125], off, off offset:112
	scratch_load_b128 v[126:129], off, off offset:128
	scratch_load_b128 v[130:133], off, off offset:144
	scratch_load_b128 v[134:137], off, off offset:160
	scratch_load_b128 v[138:141], off, off offset:176
	scratch_load_b128 v[142:145], off, off offset:192
	ds_load_2addr_b64 v[146:149], v2 offset0:75 offset1:76
	ds_load_2addr_b64 v[150:153], v2 offset0:77 offset1:78
	scratch_load_b128 v[154:157], off, off offset:208
	s_mov_b32 s0, exec_lo
	s_wait_loadcnt_dscnt 0x601
	v_fma_f64 v[158:159], v[124:125], v[146:147], 0
	s_wait_loadcnt 0x5
	s_delay_alu instid0(VALU_DEP_1) | instskip(SKIP_4) | instid1(VALU_DEP_1)
	v_fmac_f64_e32 v[158:159], v[126:127], v[148:149]
	scratch_load_b128 v[124:127], off, off offset:224
	s_wait_dscnt 0x0
	v_fmac_f64_e32 v[158:159], v[128:129], v[150:151]
	s_wait_loadcnt 0x5
	v_fmac_f64_e32 v[158:159], v[130:131], v[152:153]
	ds_load_2addr_b64 v[128:131], v2 offset0:79 offset1:80
	ds_load_2addr_b64 v[146:149], v2 offset0:81 offset1:82
	scratch_load_b128 v[150:153], off, off offset:240
	s_wait_dscnt 0x1
	v_fmac_f64_e32 v[158:159], v[132:133], v[128:129]
	s_wait_loadcnt 0x5
	s_delay_alu instid0(VALU_DEP_1) | instskip(SKIP_4) | instid1(VALU_DEP_1)
	v_fmac_f64_e32 v[158:159], v[134:135], v[130:131]
	scratch_load_b128 v[128:131], off, off offset:256
	s_wait_dscnt 0x0
	v_fmac_f64_e32 v[158:159], v[136:137], v[146:147]
	s_wait_loadcnt 0x5
	v_fmac_f64_e32 v[158:159], v[138:139], v[148:149]
	ds_load_2addr_b64 v[132:135], v2 offset0:83 offset1:84
	ds_load_2addr_b64 v[136:139], v2 offset0:85 offset1:86
	scratch_load_b128 v[146:149], off, off offset:272
	s_wait_dscnt 0x1
	v_fmac_f64_e32 v[158:159], v[140:141], v[132:133]
	s_wait_loadcnt 0x5
	s_delay_alu instid0(VALU_DEP_1) | instskip(SKIP_4) | instid1(VALU_DEP_1)
	v_fmac_f64_e32 v[158:159], v[142:143], v[134:135]
	scratch_load_b128 v[132:135], off, off offset:288
	s_wait_dscnt 0x0
	v_fmac_f64_e32 v[158:159], v[144:145], v[136:137]
	s_wait_loadcnt 0x5
	v_fmac_f64_e32 v[158:159], v[154:155], v[138:139]
	ds_load_2addr_b64 v[136:139], v2 offset0:87 offset1:88
	ds_load_2addr_b64 v[140:143], v2 offset0:89 offset1:90
	s_wait_dscnt 0x1
	v_fmac_f64_e32 v[158:159], v[156:157], v[136:137]
	scratch_load_b128 v[154:157], off, off offset:304
	s_wait_loadcnt 0x5
	v_fmac_f64_e32 v[158:159], v[124:125], v[138:139]
	s_wait_dscnt 0x0
	s_delay_alu instid0(VALU_DEP_1)
	v_fmac_f64_e32 v[158:159], v[126:127], v[140:141]
	scratch_load_b128 v[124:127], off, off offset:320
	s_wait_loadcnt 0x5
	v_fmac_f64_e32 v[158:159], v[150:151], v[142:143]
	ds_load_2addr_b64 v[136:139], v2 offset0:91 offset1:92
	ds_load_2addr_b64 v[140:143], v2 offset0:93 offset1:94
	s_wait_dscnt 0x1
	v_fmac_f64_e32 v[158:159], v[152:153], v[136:137]
	scratch_load_b128 v[150:153], off, off offset:336
	s_wait_loadcnt 0x5
	v_fmac_f64_e32 v[158:159], v[128:129], v[138:139]
	s_wait_dscnt 0x0
	s_delay_alu instid0(VALU_DEP_1)
	v_fmac_f64_e32 v[158:159], v[130:131], v[140:141]
	scratch_load_b128 v[128:131], off, off offset:352
	s_wait_loadcnt 0x5
	v_fmac_f64_e32 v[158:159], v[146:147], v[142:143]
	ds_load_2addr_b64 v[136:139], v2 offset0:95 offset1:96
	ds_load_2addr_b64 v[140:143], v2 offset0:97 offset1:98
	scratch_load_b128 v[144:147], off, off offset:368
	s_wait_dscnt 0x1
	v_fmac_f64_e32 v[158:159], v[148:149], v[136:137]
	s_wait_loadcnt 0x5
	s_delay_alu instid0(VALU_DEP_1) | instskip(SKIP_1) | instid1(VALU_DEP_1)
	v_fmac_f64_e32 v[158:159], v[132:133], v[138:139]
	s_wait_dscnt 0x0
	v_fmac_f64_e32 v[158:159], v[134:135], v[140:141]
	scratch_load_b128 v[132:135], off, off offset:384
	s_wait_loadcnt 0x5
	v_fmac_f64_e32 v[158:159], v[154:155], v[142:143]
	ds_load_2addr_b64 v[136:139], v2 offset0:99 offset1:100
	ds_load_2addr_b64 v[140:143], v2 offset0:101 offset1:102
	s_wait_dscnt 0x1
	v_fmac_f64_e32 v[158:159], v[156:157], v[136:137]
	s_wait_loadcnt 0x4
	s_delay_alu instid0(VALU_DEP_1)
	v_fmac_f64_e32 v[158:159], v[124:125], v[138:139]
	scratch_load_b128 v[136:139], off, off offset:400
	s_wait_dscnt 0x0
	v_fmac_f64_e32 v[158:159], v[126:127], v[140:141]
	scratch_load_b128 v[124:127], off, off offset:416
	s_wait_loadcnt 0x5
	v_fmac_f64_e32 v[158:159], v[150:151], v[142:143]
	ds_load_2addr_b64 v[140:143], v2 offset0:103 offset1:104
	ds_load_2addr_b64 v[148:151], v2 offset0:105 offset1:106
	s_wait_dscnt 0x1
	v_fmac_f64_e32 v[158:159], v[152:153], v[140:141]
	s_wait_loadcnt 0x4
	s_delay_alu instid0(VALU_DEP_1)
	v_fmac_f64_e32 v[158:159], v[128:129], v[142:143]
	scratch_load_b128 v[140:143], off, off offset:432
	s_wait_dscnt 0x0
	v_fmac_f64_e32 v[158:159], v[130:131], v[148:149]
	scratch_load_b128 v[128:131], off, off offset:448
	s_wait_loadcnt 0x5
	v_fmac_f64_e32 v[158:159], v[144:145], v[150:151]
	ds_load_2addr_b64 v[148:151], v2 offset0:107 offset1:108
	ds_load_2addr_b64 v[152:155], v2 offset0:109 offset1:110
	s_wait_dscnt 0x1
	v_fmac_f64_e32 v[158:159], v[146:147], v[148:149]
	scratch_load_b64 v[148:149], off, off offset:464
	s_wait_loadcnt 0x5
	v_fmac_f64_e32 v[158:159], v[132:133], v[150:151]
	s_wait_dscnt 0x0
	s_delay_alu instid0(VALU_DEP_1)
	v_fmac_f64_e32 v[158:159], v[134:135], v[152:153]
	ds_load_2addr_b64 v[132:135], v2 offset0:111 offset1:112
	ds_load_2addr_b64 v[144:147], v2 offset0:113 offset1:114
	s_wait_loadcnt 0x4
	v_fmac_f64_e32 v[158:159], v[136:137], v[154:155]
	s_wait_dscnt 0x1
	s_delay_alu instid0(VALU_DEP_1) | instskip(SKIP_1) | instid1(VALU_DEP_1)
	v_fmac_f64_e32 v[158:159], v[138:139], v[132:133]
	s_wait_loadcnt 0x3
	v_fmac_f64_e32 v[158:159], v[124:125], v[134:135]
	s_wait_dscnt 0x0
	s_delay_alu instid0(VALU_DEP_1)
	v_fmac_f64_e32 v[158:159], v[126:127], v[144:145]
	ds_load_2addr_b64 v[124:127], v2 offset0:115 offset1:116
	ds_load_2addr_b64 v[132:135], v2 offset0:117 offset1:118
	s_wait_loadcnt 0x2
	v_fmac_f64_e32 v[158:159], v[140:141], v[146:147]
	s_wait_dscnt 0x1
	s_delay_alu instid0(VALU_DEP_1) | instskip(SKIP_1) | instid1(VALU_DEP_1)
	v_fmac_f64_e32 v[158:159], v[142:143], v[124:125]
	s_wait_loadcnt 0x1
	v_fmac_f64_e32 v[158:159], v[128:129], v[126:127]
	s_wait_dscnt 0x0
	s_delay_alu instid0(VALU_DEP_1) | instskip(SKIP_1) | instid1(VALU_DEP_1)
	v_fmac_f64_e32 v[158:159], v[130:131], v[132:133]
	s_wait_loadcnt 0x0
	v_fmac_f64_e32 v[158:159], v[148:149], v[134:135]
	s_delay_alu instid0(VALU_DEP_1)
	v_add_f64_e64 v[2:3], v[122:123], -v[158:159]
	scratch_store_b64 off, v[2:3], off offset:112
	s_wait_xcnt 0x0
	v_cmpx_lt_u32_e32 13, v0
	s_cbranch_execz .LBB122_337
; %bb.336:
	scratch_load_b64 v[2:3], off, off offset:104
	v_mov_b64_e32 v[122:123], 0
	scratch_store_b64 off, v[122:123], off offset:104
	s_wait_loadcnt 0x0
	ds_store_b64 v1, v[2:3]
.LBB122_337:
	s_wait_xcnt 0x0
	s_or_b32 exec_lo, exec_lo, s0
	s_wait_storecnt_dscnt 0x0
	s_barrier_signal -1
	s_barrier_wait -1
	s_clause 0x5
	scratch_load_b128 v[122:125], off, off offset:104
	scratch_load_b128 v[126:129], off, off offset:120
	;; [unrolled: 1-line block ×6, first 2 shown]
	v_mov_b32_e32 v2, 0
	ds_load_b128 v[146:149], v2 offset:592
	ds_load_b128 v[150:153], v2 offset:608
	scratch_load_b128 v[154:157], off, off offset:200
	s_mov_b32 s0, exec_lo
	s_wait_loadcnt_dscnt 0x601
	v_fma_f64 v[158:159], v[124:125], v[146:147], 0
	s_wait_loadcnt 0x5
	s_delay_alu instid0(VALU_DEP_1) | instskip(SKIP_4) | instid1(VALU_DEP_1)
	v_fmac_f64_e32 v[158:159], v[126:127], v[148:149]
	scratch_load_b128 v[124:127], off, off offset:216
	s_wait_dscnt 0x0
	v_fmac_f64_e32 v[158:159], v[128:129], v[150:151]
	s_wait_loadcnt 0x5
	v_fmac_f64_e32 v[158:159], v[130:131], v[152:153]
	ds_load_b128 v[128:131], v2 offset:624
	ds_load_b128 v[146:149], v2 offset:640
	scratch_load_b128 v[150:153], off, off offset:232
	s_wait_dscnt 0x1
	v_fmac_f64_e32 v[158:159], v[132:133], v[128:129]
	s_wait_loadcnt 0x5
	s_delay_alu instid0(VALU_DEP_1) | instskip(SKIP_4) | instid1(VALU_DEP_1)
	v_fmac_f64_e32 v[158:159], v[134:135], v[130:131]
	scratch_load_b128 v[128:131], off, off offset:248
	s_wait_dscnt 0x0
	v_fmac_f64_e32 v[158:159], v[136:137], v[146:147]
	s_wait_loadcnt 0x5
	v_fmac_f64_e32 v[158:159], v[138:139], v[148:149]
	ds_load_b128 v[132:135], v2 offset:656
	ds_load_b128 v[136:139], v2 offset:672
	scratch_load_b128 v[146:149], off, off offset:264
	s_wait_dscnt 0x1
	v_fmac_f64_e32 v[158:159], v[140:141], v[132:133]
	s_wait_loadcnt 0x5
	s_delay_alu instid0(VALU_DEP_1) | instskip(SKIP_4) | instid1(VALU_DEP_1)
	v_fmac_f64_e32 v[158:159], v[142:143], v[134:135]
	scratch_load_b128 v[132:135], off, off offset:280
	s_wait_dscnt 0x0
	v_fmac_f64_e32 v[158:159], v[144:145], v[136:137]
	s_wait_loadcnt 0x5
	v_fmac_f64_e32 v[158:159], v[154:155], v[138:139]
	ds_load_b128 v[136:139], v2 offset:688
	ds_load_b128 v[140:143], v2 offset:704
	s_wait_dscnt 0x1
	v_fmac_f64_e32 v[158:159], v[156:157], v[136:137]
	scratch_load_b128 v[154:157], off, off offset:296
	s_wait_loadcnt 0x5
	v_fmac_f64_e32 v[158:159], v[124:125], v[138:139]
	s_wait_dscnt 0x0
	s_delay_alu instid0(VALU_DEP_1)
	v_fmac_f64_e32 v[158:159], v[126:127], v[140:141]
	scratch_load_b128 v[124:127], off, off offset:312
	s_wait_loadcnt 0x5
	v_fmac_f64_e32 v[158:159], v[150:151], v[142:143]
	ds_load_b128 v[136:139], v2 offset:720
	ds_load_b128 v[140:143], v2 offset:736
	s_wait_dscnt 0x1
	v_fmac_f64_e32 v[158:159], v[152:153], v[136:137]
	scratch_load_b128 v[150:153], off, off offset:328
	s_wait_loadcnt 0x5
	v_fmac_f64_e32 v[158:159], v[128:129], v[138:139]
	s_wait_dscnt 0x0
	s_delay_alu instid0(VALU_DEP_1)
	v_fmac_f64_e32 v[158:159], v[130:131], v[140:141]
	scratch_load_b128 v[128:131], off, off offset:344
	s_wait_loadcnt 0x5
	v_fmac_f64_e32 v[158:159], v[146:147], v[142:143]
	ds_load_b128 v[136:139], v2 offset:752
	ds_load_b128 v[140:143], v2 offset:768
	scratch_load_b128 v[144:147], off, off offset:360
	s_wait_dscnt 0x1
	v_fmac_f64_e32 v[158:159], v[148:149], v[136:137]
	s_wait_loadcnt 0x5
	s_delay_alu instid0(VALU_DEP_1) | instskip(SKIP_1) | instid1(VALU_DEP_1)
	v_fmac_f64_e32 v[158:159], v[132:133], v[138:139]
	s_wait_dscnt 0x0
	v_fmac_f64_e32 v[158:159], v[134:135], v[140:141]
	scratch_load_b128 v[132:135], off, off offset:376
	s_wait_loadcnt 0x5
	v_fmac_f64_e32 v[158:159], v[154:155], v[142:143]
	ds_load_b128 v[136:139], v2 offset:784
	ds_load_b128 v[140:143], v2 offset:800
	s_wait_dscnt 0x1
	v_fmac_f64_e32 v[158:159], v[156:157], v[136:137]
	s_wait_loadcnt 0x4
	s_delay_alu instid0(VALU_DEP_1)
	v_fmac_f64_e32 v[158:159], v[124:125], v[138:139]
	scratch_load_b128 v[136:139], off, off offset:392
	s_wait_dscnt 0x0
	v_fmac_f64_e32 v[158:159], v[126:127], v[140:141]
	scratch_load_b128 v[124:127], off, off offset:408
	s_wait_loadcnt 0x5
	v_fmac_f64_e32 v[158:159], v[150:151], v[142:143]
	ds_load_b128 v[140:143], v2 offset:816
	ds_load_b128 v[148:151], v2 offset:832
	s_wait_dscnt 0x1
	v_fmac_f64_e32 v[158:159], v[152:153], v[140:141]
	s_wait_loadcnt 0x4
	s_delay_alu instid0(VALU_DEP_1)
	v_fmac_f64_e32 v[158:159], v[128:129], v[142:143]
	scratch_load_b128 v[140:143], off, off offset:424
	s_wait_dscnt 0x0
	v_fmac_f64_e32 v[158:159], v[130:131], v[148:149]
	scratch_load_b128 v[128:131], off, off offset:440
	s_wait_loadcnt 0x5
	v_fmac_f64_e32 v[158:159], v[144:145], v[150:151]
	ds_load_b128 v[148:151], v2 offset:848
	ds_load_b128 v[152:155], v2 offset:864
	s_wait_dscnt 0x1
	v_fmac_f64_e32 v[158:159], v[146:147], v[148:149]
	scratch_load_b128 v[144:147], off, off offset:456
	s_wait_loadcnt 0x5
	v_fmac_f64_e32 v[158:159], v[132:133], v[150:151]
	s_wait_dscnt 0x0
	s_delay_alu instid0(VALU_DEP_1)
	v_fmac_f64_e32 v[158:159], v[134:135], v[152:153]
	ds_load_b128 v[132:135], v2 offset:880
	ds_load_b128 v[148:151], v2 offset:896
	s_wait_loadcnt 0x4
	v_fmac_f64_e32 v[158:159], v[136:137], v[154:155]
	s_wait_dscnt 0x1
	s_delay_alu instid0(VALU_DEP_1) | instskip(SKIP_1) | instid1(VALU_DEP_1)
	v_fmac_f64_e32 v[158:159], v[138:139], v[132:133]
	s_wait_loadcnt 0x3
	v_fmac_f64_e32 v[158:159], v[124:125], v[134:135]
	s_wait_dscnt 0x0
	s_delay_alu instid0(VALU_DEP_1)
	v_fmac_f64_e32 v[158:159], v[126:127], v[148:149]
	ds_load_b128 v[124:127], v2 offset:912
	ds_load_b128 v[132:135], v2 offset:928
	s_wait_loadcnt 0x2
	v_fmac_f64_e32 v[158:159], v[140:141], v[150:151]
	s_wait_dscnt 0x1
	s_delay_alu instid0(VALU_DEP_1) | instskip(SKIP_4) | instid1(VALU_DEP_1)
	v_fmac_f64_e32 v[158:159], v[142:143], v[124:125]
	ds_load_b64 v[124:125], v2 offset:944
	s_wait_loadcnt 0x1
	v_fmac_f64_e32 v[158:159], v[128:129], v[126:127]
	s_wait_dscnt 0x1
	v_fmac_f64_e32 v[158:159], v[130:131], v[132:133]
	s_wait_loadcnt 0x0
	s_delay_alu instid0(VALU_DEP_1) | instskip(SKIP_1) | instid1(VALU_DEP_1)
	v_fmac_f64_e32 v[158:159], v[144:145], v[134:135]
	s_wait_dscnt 0x0
	v_fmac_f64_e32 v[158:159], v[146:147], v[124:125]
	s_delay_alu instid0(VALU_DEP_1)
	v_add_f64_e64 v[122:123], v[122:123], -v[158:159]
	scratch_store_b64 off, v[122:123], off offset:104
	s_wait_xcnt 0x0
	v_cmpx_lt_u32_e32 12, v0
	s_cbranch_execz .LBB122_339
; %bb.338:
	scratch_load_b64 v[122:123], off, off offset:96
	v_mov_b64_e32 v[124:125], 0
	scratch_store_b64 off, v[124:125], off offset:96
	s_wait_loadcnt 0x0
	ds_store_b64 v1, v[122:123]
.LBB122_339:
	s_wait_xcnt 0x0
	s_or_b32 exec_lo, exec_lo, s0
	s_wait_storecnt_dscnt 0x0
	s_barrier_signal -1
	s_barrier_wait -1
	s_clause 0x5
	scratch_load_b128 v[122:125], off, off offset:96
	scratch_load_b128 v[126:129], off, off offset:112
	;; [unrolled: 1-line block ×6, first 2 shown]
	ds_load_2addr_b64 v[146:149], v2 offset0:73 offset1:74
	ds_load_2addr_b64 v[150:153], v2 offset0:75 offset1:76
	scratch_load_b128 v[154:157], off, off offset:192
	s_mov_b32 s0, exec_lo
	s_wait_loadcnt_dscnt 0x601
	v_fma_f64 v[158:159], v[124:125], v[146:147], 0
	s_wait_loadcnt 0x5
	s_delay_alu instid0(VALU_DEP_1) | instskip(SKIP_4) | instid1(VALU_DEP_1)
	v_fmac_f64_e32 v[158:159], v[126:127], v[148:149]
	scratch_load_b128 v[124:127], off, off offset:208
	s_wait_dscnt 0x0
	v_fmac_f64_e32 v[158:159], v[128:129], v[150:151]
	s_wait_loadcnt 0x5
	v_fmac_f64_e32 v[158:159], v[130:131], v[152:153]
	ds_load_2addr_b64 v[128:131], v2 offset0:77 offset1:78
	ds_load_2addr_b64 v[146:149], v2 offset0:79 offset1:80
	scratch_load_b128 v[150:153], off, off offset:224
	s_wait_dscnt 0x1
	v_fmac_f64_e32 v[158:159], v[132:133], v[128:129]
	s_wait_loadcnt 0x5
	s_delay_alu instid0(VALU_DEP_1) | instskip(SKIP_4) | instid1(VALU_DEP_1)
	v_fmac_f64_e32 v[158:159], v[134:135], v[130:131]
	scratch_load_b128 v[128:131], off, off offset:240
	s_wait_dscnt 0x0
	v_fmac_f64_e32 v[158:159], v[136:137], v[146:147]
	s_wait_loadcnt 0x5
	v_fmac_f64_e32 v[158:159], v[138:139], v[148:149]
	ds_load_2addr_b64 v[132:135], v2 offset0:81 offset1:82
	ds_load_2addr_b64 v[136:139], v2 offset0:83 offset1:84
	scratch_load_b128 v[146:149], off, off offset:256
	s_wait_dscnt 0x1
	v_fmac_f64_e32 v[158:159], v[140:141], v[132:133]
	s_wait_loadcnt 0x5
	s_delay_alu instid0(VALU_DEP_1) | instskip(SKIP_4) | instid1(VALU_DEP_1)
	v_fmac_f64_e32 v[158:159], v[142:143], v[134:135]
	scratch_load_b128 v[132:135], off, off offset:272
	s_wait_dscnt 0x0
	v_fmac_f64_e32 v[158:159], v[144:145], v[136:137]
	s_wait_loadcnt 0x5
	v_fmac_f64_e32 v[158:159], v[154:155], v[138:139]
	ds_load_2addr_b64 v[136:139], v2 offset0:85 offset1:86
	ds_load_2addr_b64 v[140:143], v2 offset0:87 offset1:88
	s_wait_dscnt 0x1
	v_fmac_f64_e32 v[158:159], v[156:157], v[136:137]
	scratch_load_b128 v[154:157], off, off offset:288
	s_wait_loadcnt 0x5
	v_fmac_f64_e32 v[158:159], v[124:125], v[138:139]
	s_wait_dscnt 0x0
	s_delay_alu instid0(VALU_DEP_1)
	v_fmac_f64_e32 v[158:159], v[126:127], v[140:141]
	scratch_load_b128 v[124:127], off, off offset:304
	s_wait_loadcnt 0x5
	v_fmac_f64_e32 v[158:159], v[150:151], v[142:143]
	ds_load_2addr_b64 v[136:139], v2 offset0:89 offset1:90
	ds_load_2addr_b64 v[140:143], v2 offset0:91 offset1:92
	s_wait_dscnt 0x1
	v_fmac_f64_e32 v[158:159], v[152:153], v[136:137]
	scratch_load_b128 v[150:153], off, off offset:320
	s_wait_loadcnt 0x5
	v_fmac_f64_e32 v[158:159], v[128:129], v[138:139]
	s_wait_dscnt 0x0
	s_delay_alu instid0(VALU_DEP_1)
	v_fmac_f64_e32 v[158:159], v[130:131], v[140:141]
	scratch_load_b128 v[128:131], off, off offset:336
	s_wait_loadcnt 0x5
	v_fmac_f64_e32 v[158:159], v[146:147], v[142:143]
	ds_load_2addr_b64 v[136:139], v2 offset0:93 offset1:94
	ds_load_2addr_b64 v[140:143], v2 offset0:95 offset1:96
	scratch_load_b128 v[144:147], off, off offset:352
	s_wait_dscnt 0x1
	v_fmac_f64_e32 v[158:159], v[148:149], v[136:137]
	s_wait_loadcnt 0x5
	s_delay_alu instid0(VALU_DEP_1) | instskip(SKIP_1) | instid1(VALU_DEP_1)
	v_fmac_f64_e32 v[158:159], v[132:133], v[138:139]
	s_wait_dscnt 0x0
	v_fmac_f64_e32 v[158:159], v[134:135], v[140:141]
	scratch_load_b128 v[132:135], off, off offset:368
	s_wait_loadcnt 0x5
	v_fmac_f64_e32 v[158:159], v[154:155], v[142:143]
	ds_load_2addr_b64 v[136:139], v2 offset0:97 offset1:98
	ds_load_2addr_b64 v[140:143], v2 offset0:99 offset1:100
	s_wait_dscnt 0x1
	v_fmac_f64_e32 v[158:159], v[156:157], v[136:137]
	scratch_load_b128 v[154:157], off, off offset:384
	s_wait_loadcnt 0x5
	v_fmac_f64_e32 v[158:159], v[124:125], v[138:139]
	s_wait_dscnt 0x0
	s_delay_alu instid0(VALU_DEP_1)
	v_fmac_f64_e32 v[158:159], v[126:127], v[140:141]
	scratch_load_b128 v[124:127], off, off offset:400
	s_wait_loadcnt 0x5
	v_fmac_f64_e32 v[158:159], v[150:151], v[142:143]
	ds_load_2addr_b64 v[136:139], v2 offset0:101 offset1:102
	ds_load_2addr_b64 v[140:143], v2 offset0:103 offset1:104
	s_wait_dscnt 0x1
	v_fmac_f64_e32 v[158:159], v[152:153], v[136:137]
	s_wait_loadcnt 0x4
	s_delay_alu instid0(VALU_DEP_1)
	v_fmac_f64_e32 v[158:159], v[128:129], v[138:139]
	scratch_load_b128 v[136:139], off, off offset:416
	s_wait_dscnt 0x0
	v_fmac_f64_e32 v[158:159], v[130:131], v[140:141]
	scratch_load_b128 v[128:131], off, off offset:432
	s_wait_loadcnt 0x5
	v_fmac_f64_e32 v[158:159], v[144:145], v[142:143]
	ds_load_2addr_b64 v[140:143], v2 offset0:105 offset1:106
	ds_load_2addr_b64 v[148:151], v2 offset0:107 offset1:108
	s_wait_dscnt 0x1
	v_fmac_f64_e32 v[158:159], v[146:147], v[140:141]
	s_wait_loadcnt 0x4
	s_delay_alu instid0(VALU_DEP_1)
	v_fmac_f64_e32 v[158:159], v[132:133], v[142:143]
	scratch_load_b128 v[140:143], off, off offset:448
	s_wait_dscnt 0x0
	v_fmac_f64_e32 v[158:159], v[134:135], v[148:149]
	scratch_load_b64 v[148:149], off, off offset:464
	ds_load_2addr_b64 v[132:135], v2 offset0:109 offset1:110
	ds_load_2addr_b64 v[144:147], v2 offset0:111 offset1:112
	s_wait_loadcnt 0x5
	v_fmac_f64_e32 v[158:159], v[154:155], v[150:151]
	s_wait_dscnt 0x1
	s_delay_alu instid0(VALU_DEP_1) | instskip(SKIP_1) | instid1(VALU_DEP_1)
	v_fmac_f64_e32 v[158:159], v[156:157], v[132:133]
	s_wait_loadcnt 0x4
	v_fmac_f64_e32 v[158:159], v[124:125], v[134:135]
	s_wait_dscnt 0x0
	s_delay_alu instid0(VALU_DEP_1)
	v_fmac_f64_e32 v[158:159], v[126:127], v[144:145]
	ds_load_2addr_b64 v[124:127], v2 offset0:113 offset1:114
	ds_load_2addr_b64 v[132:135], v2 offset0:115 offset1:116
	s_wait_loadcnt 0x3
	v_fmac_f64_e32 v[158:159], v[136:137], v[146:147]
	s_wait_dscnt 0x1
	s_delay_alu instid0(VALU_DEP_1) | instskip(SKIP_1) | instid1(VALU_DEP_1)
	v_fmac_f64_e32 v[158:159], v[138:139], v[124:125]
	s_wait_loadcnt 0x2
	v_fmac_f64_e32 v[158:159], v[128:129], v[126:127]
	ds_load_2addr_b64 v[124:127], v2 offset0:117 offset1:118
	s_wait_dscnt 0x1
	v_fmac_f64_e32 v[158:159], v[130:131], v[132:133]
	s_wait_loadcnt 0x1
	s_delay_alu instid0(VALU_DEP_1) | instskip(SKIP_1) | instid1(VALU_DEP_1)
	v_fmac_f64_e32 v[158:159], v[140:141], v[134:135]
	s_wait_dscnt 0x0
	v_fmac_f64_e32 v[158:159], v[142:143], v[124:125]
	s_wait_loadcnt 0x0
	s_delay_alu instid0(VALU_DEP_1) | instskip(NEXT) | instid1(VALU_DEP_1)
	v_fmac_f64_e32 v[158:159], v[148:149], v[126:127]
	v_add_f64_e64 v[2:3], v[122:123], -v[158:159]
	scratch_store_b64 off, v[2:3], off offset:96
	s_wait_xcnt 0x0
	v_cmpx_lt_u32_e32 11, v0
	s_cbranch_execz .LBB122_341
; %bb.340:
	scratch_load_b64 v[2:3], off, off offset:88
	v_mov_b64_e32 v[122:123], 0
	scratch_store_b64 off, v[122:123], off offset:88
	s_wait_loadcnt 0x0
	ds_store_b64 v1, v[2:3]
.LBB122_341:
	s_wait_xcnt 0x0
	s_or_b32 exec_lo, exec_lo, s0
	s_wait_storecnt_dscnt 0x0
	s_barrier_signal -1
	s_barrier_wait -1
	s_clause 0x5
	scratch_load_b128 v[122:125], off, off offset:88
	scratch_load_b128 v[126:129], off, off offset:104
	;; [unrolled: 1-line block ×6, first 2 shown]
	v_mov_b32_e32 v2, 0
	ds_load_b128 v[146:149], v2 offset:576
	ds_load_b128 v[150:153], v2 offset:592
	scratch_load_b128 v[154:157], off, off offset:184
	s_mov_b32 s0, exec_lo
	s_wait_loadcnt_dscnt 0x601
	v_fma_f64 v[158:159], v[124:125], v[146:147], 0
	s_wait_loadcnt 0x5
	s_delay_alu instid0(VALU_DEP_1) | instskip(SKIP_4) | instid1(VALU_DEP_1)
	v_fmac_f64_e32 v[158:159], v[126:127], v[148:149]
	scratch_load_b128 v[124:127], off, off offset:200
	s_wait_dscnt 0x0
	v_fmac_f64_e32 v[158:159], v[128:129], v[150:151]
	s_wait_loadcnt 0x5
	v_fmac_f64_e32 v[158:159], v[130:131], v[152:153]
	ds_load_b128 v[128:131], v2 offset:608
	ds_load_b128 v[146:149], v2 offset:624
	scratch_load_b128 v[150:153], off, off offset:216
	s_wait_dscnt 0x1
	v_fmac_f64_e32 v[158:159], v[132:133], v[128:129]
	s_wait_loadcnt 0x5
	s_delay_alu instid0(VALU_DEP_1) | instskip(SKIP_4) | instid1(VALU_DEP_1)
	v_fmac_f64_e32 v[158:159], v[134:135], v[130:131]
	scratch_load_b128 v[128:131], off, off offset:232
	s_wait_dscnt 0x0
	v_fmac_f64_e32 v[158:159], v[136:137], v[146:147]
	s_wait_loadcnt 0x5
	v_fmac_f64_e32 v[158:159], v[138:139], v[148:149]
	ds_load_b128 v[132:135], v2 offset:640
	ds_load_b128 v[136:139], v2 offset:656
	scratch_load_b128 v[146:149], off, off offset:248
	s_wait_dscnt 0x1
	v_fmac_f64_e32 v[158:159], v[140:141], v[132:133]
	s_wait_loadcnt 0x5
	s_delay_alu instid0(VALU_DEP_1) | instskip(SKIP_4) | instid1(VALU_DEP_1)
	v_fmac_f64_e32 v[158:159], v[142:143], v[134:135]
	scratch_load_b128 v[132:135], off, off offset:264
	s_wait_dscnt 0x0
	v_fmac_f64_e32 v[158:159], v[144:145], v[136:137]
	s_wait_loadcnt 0x5
	v_fmac_f64_e32 v[158:159], v[154:155], v[138:139]
	ds_load_b128 v[136:139], v2 offset:672
	ds_load_b128 v[140:143], v2 offset:688
	s_wait_dscnt 0x1
	v_fmac_f64_e32 v[158:159], v[156:157], v[136:137]
	scratch_load_b128 v[154:157], off, off offset:280
	s_wait_loadcnt 0x5
	v_fmac_f64_e32 v[158:159], v[124:125], v[138:139]
	s_wait_dscnt 0x0
	s_delay_alu instid0(VALU_DEP_1)
	v_fmac_f64_e32 v[158:159], v[126:127], v[140:141]
	scratch_load_b128 v[124:127], off, off offset:296
	s_wait_loadcnt 0x5
	v_fmac_f64_e32 v[158:159], v[150:151], v[142:143]
	ds_load_b128 v[136:139], v2 offset:704
	ds_load_b128 v[140:143], v2 offset:720
	s_wait_dscnt 0x1
	v_fmac_f64_e32 v[158:159], v[152:153], v[136:137]
	scratch_load_b128 v[150:153], off, off offset:312
	s_wait_loadcnt 0x5
	v_fmac_f64_e32 v[158:159], v[128:129], v[138:139]
	s_wait_dscnt 0x0
	s_delay_alu instid0(VALU_DEP_1)
	v_fmac_f64_e32 v[158:159], v[130:131], v[140:141]
	scratch_load_b128 v[128:131], off, off offset:328
	s_wait_loadcnt 0x5
	v_fmac_f64_e32 v[158:159], v[146:147], v[142:143]
	ds_load_b128 v[136:139], v2 offset:736
	ds_load_b128 v[140:143], v2 offset:752
	scratch_load_b128 v[144:147], off, off offset:344
	s_wait_dscnt 0x1
	v_fmac_f64_e32 v[158:159], v[148:149], v[136:137]
	s_wait_loadcnt 0x5
	s_delay_alu instid0(VALU_DEP_1) | instskip(SKIP_1) | instid1(VALU_DEP_1)
	v_fmac_f64_e32 v[158:159], v[132:133], v[138:139]
	s_wait_dscnt 0x0
	v_fmac_f64_e32 v[158:159], v[134:135], v[140:141]
	scratch_load_b128 v[132:135], off, off offset:360
	s_wait_loadcnt 0x5
	v_fmac_f64_e32 v[158:159], v[154:155], v[142:143]
	ds_load_b128 v[136:139], v2 offset:768
	ds_load_b128 v[140:143], v2 offset:784
	s_wait_dscnt 0x1
	v_fmac_f64_e32 v[158:159], v[156:157], v[136:137]
	scratch_load_b128 v[154:157], off, off offset:376
	s_wait_loadcnt 0x5
	v_fmac_f64_e32 v[158:159], v[124:125], v[138:139]
	s_wait_dscnt 0x0
	s_delay_alu instid0(VALU_DEP_1)
	v_fmac_f64_e32 v[158:159], v[126:127], v[140:141]
	scratch_load_b128 v[124:127], off, off offset:392
	s_wait_loadcnt 0x5
	v_fmac_f64_e32 v[158:159], v[150:151], v[142:143]
	ds_load_b128 v[136:139], v2 offset:800
	ds_load_b128 v[140:143], v2 offset:816
	s_wait_dscnt 0x1
	v_fmac_f64_e32 v[158:159], v[152:153], v[136:137]
	s_wait_loadcnt 0x4
	s_delay_alu instid0(VALU_DEP_1)
	v_fmac_f64_e32 v[158:159], v[128:129], v[138:139]
	scratch_load_b128 v[136:139], off, off offset:408
	s_wait_dscnt 0x0
	v_fmac_f64_e32 v[158:159], v[130:131], v[140:141]
	scratch_load_b128 v[128:131], off, off offset:424
	s_wait_loadcnt 0x5
	v_fmac_f64_e32 v[158:159], v[144:145], v[142:143]
	ds_load_b128 v[140:143], v2 offset:832
	ds_load_b128 v[148:151], v2 offset:848
	s_wait_dscnt 0x1
	v_fmac_f64_e32 v[158:159], v[146:147], v[140:141]
	s_wait_loadcnt 0x4
	s_delay_alu instid0(VALU_DEP_1)
	v_fmac_f64_e32 v[158:159], v[132:133], v[142:143]
	scratch_load_b128 v[140:143], off, off offset:440
	s_wait_dscnt 0x0
	v_fmac_f64_e32 v[158:159], v[134:135], v[148:149]
	scratch_load_b128 v[132:135], off, off offset:456
	s_wait_loadcnt 0x5
	v_fmac_f64_e32 v[158:159], v[154:155], v[150:151]
	ds_load_b128 v[144:147], v2 offset:864
	ds_load_b128 v[148:151], v2 offset:880
	s_wait_dscnt 0x1
	v_fmac_f64_e32 v[158:159], v[156:157], v[144:145]
	s_wait_loadcnt 0x4
	s_delay_alu instid0(VALU_DEP_1) | instskip(SKIP_1) | instid1(VALU_DEP_1)
	v_fmac_f64_e32 v[158:159], v[124:125], v[146:147]
	s_wait_dscnt 0x0
	v_fmac_f64_e32 v[158:159], v[126:127], v[148:149]
	ds_load_b128 v[124:127], v2 offset:896
	ds_load_b128 v[144:147], v2 offset:912
	s_wait_loadcnt 0x3
	v_fmac_f64_e32 v[158:159], v[136:137], v[150:151]
	s_wait_dscnt 0x1
	s_delay_alu instid0(VALU_DEP_1) | instskip(SKIP_1) | instid1(VALU_DEP_1)
	v_fmac_f64_e32 v[158:159], v[138:139], v[124:125]
	s_wait_loadcnt 0x2
	v_fmac_f64_e32 v[158:159], v[128:129], v[126:127]
	ds_load_b128 v[124:127], v2 offset:928
	ds_load_b64 v[128:129], v2 offset:944
	s_wait_dscnt 0x2
	v_fmac_f64_e32 v[158:159], v[130:131], v[144:145]
	s_wait_loadcnt 0x1
	s_delay_alu instid0(VALU_DEP_1) | instskip(SKIP_1) | instid1(VALU_DEP_1)
	v_fmac_f64_e32 v[158:159], v[140:141], v[146:147]
	s_wait_dscnt 0x1
	v_fmac_f64_e32 v[158:159], v[142:143], v[124:125]
	s_wait_loadcnt 0x0
	s_delay_alu instid0(VALU_DEP_1) | instskip(SKIP_1) | instid1(VALU_DEP_1)
	v_fmac_f64_e32 v[158:159], v[132:133], v[126:127]
	s_wait_dscnt 0x0
	v_fmac_f64_e32 v[158:159], v[134:135], v[128:129]
	s_delay_alu instid0(VALU_DEP_1)
	v_add_f64_e64 v[122:123], v[122:123], -v[158:159]
	scratch_store_b64 off, v[122:123], off offset:88
	s_wait_xcnt 0x0
	v_cmpx_lt_u32_e32 10, v0
	s_cbranch_execz .LBB122_343
; %bb.342:
	scratch_load_b64 v[122:123], off, off offset:80
	v_mov_b64_e32 v[124:125], 0
	scratch_store_b64 off, v[124:125], off offset:80
	s_wait_loadcnt 0x0
	ds_store_b64 v1, v[122:123]
.LBB122_343:
	s_wait_xcnt 0x0
	s_or_b32 exec_lo, exec_lo, s0
	s_wait_storecnt_dscnt 0x0
	s_barrier_signal -1
	s_barrier_wait -1
	s_clause 0x5
	scratch_load_b128 v[122:125], off, off offset:80
	scratch_load_b128 v[126:129], off, off offset:96
	;; [unrolled: 1-line block ×6, first 2 shown]
	ds_load_2addr_b64 v[146:149], v2 offset0:71 offset1:72
	ds_load_2addr_b64 v[150:153], v2 offset0:73 offset1:74
	scratch_load_b128 v[154:157], off, off offset:176
	s_mov_b32 s0, exec_lo
	s_wait_loadcnt_dscnt 0x601
	v_fma_f64 v[158:159], v[124:125], v[146:147], 0
	s_wait_loadcnt 0x5
	s_delay_alu instid0(VALU_DEP_1) | instskip(SKIP_4) | instid1(VALU_DEP_1)
	v_fmac_f64_e32 v[158:159], v[126:127], v[148:149]
	scratch_load_b128 v[124:127], off, off offset:192
	s_wait_dscnt 0x0
	v_fmac_f64_e32 v[158:159], v[128:129], v[150:151]
	s_wait_loadcnt 0x5
	v_fmac_f64_e32 v[158:159], v[130:131], v[152:153]
	ds_load_2addr_b64 v[128:131], v2 offset0:75 offset1:76
	ds_load_2addr_b64 v[146:149], v2 offset0:77 offset1:78
	scratch_load_b128 v[150:153], off, off offset:208
	s_wait_dscnt 0x1
	v_fmac_f64_e32 v[158:159], v[132:133], v[128:129]
	s_wait_loadcnt 0x5
	s_delay_alu instid0(VALU_DEP_1) | instskip(SKIP_4) | instid1(VALU_DEP_1)
	v_fmac_f64_e32 v[158:159], v[134:135], v[130:131]
	scratch_load_b128 v[128:131], off, off offset:224
	s_wait_dscnt 0x0
	v_fmac_f64_e32 v[158:159], v[136:137], v[146:147]
	s_wait_loadcnt 0x5
	v_fmac_f64_e32 v[158:159], v[138:139], v[148:149]
	ds_load_2addr_b64 v[132:135], v2 offset0:79 offset1:80
	ds_load_2addr_b64 v[136:139], v2 offset0:81 offset1:82
	scratch_load_b128 v[146:149], off, off offset:240
	s_wait_dscnt 0x1
	v_fmac_f64_e32 v[158:159], v[140:141], v[132:133]
	s_wait_loadcnt 0x5
	s_delay_alu instid0(VALU_DEP_1) | instskip(SKIP_4) | instid1(VALU_DEP_1)
	v_fmac_f64_e32 v[158:159], v[142:143], v[134:135]
	scratch_load_b128 v[132:135], off, off offset:256
	s_wait_dscnt 0x0
	v_fmac_f64_e32 v[158:159], v[144:145], v[136:137]
	s_wait_loadcnt 0x5
	v_fmac_f64_e32 v[158:159], v[154:155], v[138:139]
	ds_load_2addr_b64 v[136:139], v2 offset0:83 offset1:84
	ds_load_2addr_b64 v[140:143], v2 offset0:85 offset1:86
	s_wait_dscnt 0x1
	v_fmac_f64_e32 v[158:159], v[156:157], v[136:137]
	scratch_load_b128 v[154:157], off, off offset:272
	s_wait_loadcnt 0x5
	v_fmac_f64_e32 v[158:159], v[124:125], v[138:139]
	s_wait_dscnt 0x0
	s_delay_alu instid0(VALU_DEP_1)
	v_fmac_f64_e32 v[158:159], v[126:127], v[140:141]
	scratch_load_b128 v[124:127], off, off offset:288
	s_wait_loadcnt 0x5
	v_fmac_f64_e32 v[158:159], v[150:151], v[142:143]
	ds_load_2addr_b64 v[136:139], v2 offset0:87 offset1:88
	ds_load_2addr_b64 v[140:143], v2 offset0:89 offset1:90
	s_wait_dscnt 0x1
	v_fmac_f64_e32 v[158:159], v[152:153], v[136:137]
	scratch_load_b128 v[150:153], off, off offset:304
	s_wait_loadcnt 0x5
	v_fmac_f64_e32 v[158:159], v[128:129], v[138:139]
	s_wait_dscnt 0x0
	s_delay_alu instid0(VALU_DEP_1)
	v_fmac_f64_e32 v[158:159], v[130:131], v[140:141]
	scratch_load_b128 v[128:131], off, off offset:320
	s_wait_loadcnt 0x5
	v_fmac_f64_e32 v[158:159], v[146:147], v[142:143]
	ds_load_2addr_b64 v[136:139], v2 offset0:91 offset1:92
	ds_load_2addr_b64 v[140:143], v2 offset0:93 offset1:94
	scratch_load_b128 v[144:147], off, off offset:336
	s_wait_dscnt 0x1
	v_fmac_f64_e32 v[158:159], v[148:149], v[136:137]
	s_wait_loadcnt 0x5
	s_delay_alu instid0(VALU_DEP_1) | instskip(SKIP_1) | instid1(VALU_DEP_1)
	v_fmac_f64_e32 v[158:159], v[132:133], v[138:139]
	s_wait_dscnt 0x0
	v_fmac_f64_e32 v[158:159], v[134:135], v[140:141]
	scratch_load_b128 v[132:135], off, off offset:352
	s_wait_loadcnt 0x5
	v_fmac_f64_e32 v[158:159], v[154:155], v[142:143]
	ds_load_2addr_b64 v[136:139], v2 offset0:95 offset1:96
	ds_load_2addr_b64 v[140:143], v2 offset0:97 offset1:98
	s_wait_dscnt 0x1
	v_fmac_f64_e32 v[158:159], v[156:157], v[136:137]
	scratch_load_b128 v[154:157], off, off offset:368
	s_wait_loadcnt 0x5
	v_fmac_f64_e32 v[158:159], v[124:125], v[138:139]
	s_wait_dscnt 0x0
	s_delay_alu instid0(VALU_DEP_1)
	v_fmac_f64_e32 v[158:159], v[126:127], v[140:141]
	scratch_load_b128 v[124:127], off, off offset:384
	s_wait_loadcnt 0x5
	v_fmac_f64_e32 v[158:159], v[150:151], v[142:143]
	ds_load_2addr_b64 v[136:139], v2 offset0:99 offset1:100
	ds_load_2addr_b64 v[140:143], v2 offset0:101 offset1:102
	s_wait_dscnt 0x1
	v_fmac_f64_e32 v[158:159], v[152:153], v[136:137]
	s_wait_loadcnt 0x4
	s_delay_alu instid0(VALU_DEP_1)
	v_fmac_f64_e32 v[158:159], v[128:129], v[138:139]
	scratch_load_b128 v[136:139], off, off offset:400
	s_wait_dscnt 0x0
	v_fmac_f64_e32 v[158:159], v[130:131], v[140:141]
	scratch_load_b128 v[128:131], off, off offset:416
	s_wait_loadcnt 0x5
	v_fmac_f64_e32 v[158:159], v[144:145], v[142:143]
	ds_load_2addr_b64 v[140:143], v2 offset0:103 offset1:104
	ds_load_2addr_b64 v[148:151], v2 offset0:105 offset1:106
	s_wait_dscnt 0x1
	v_fmac_f64_e32 v[158:159], v[146:147], v[140:141]
	s_wait_loadcnt 0x4
	s_delay_alu instid0(VALU_DEP_1)
	v_fmac_f64_e32 v[158:159], v[132:133], v[142:143]
	scratch_load_b128 v[140:143], off, off offset:432
	s_wait_dscnt 0x0
	v_fmac_f64_e32 v[158:159], v[134:135], v[148:149]
	scratch_load_b128 v[132:135], off, off offset:448
	s_wait_loadcnt 0x5
	v_fmac_f64_e32 v[158:159], v[154:155], v[150:151]
	ds_load_2addr_b64 v[144:147], v2 offset0:107 offset1:108
	ds_load_2addr_b64 v[148:151], v2 offset0:109 offset1:110
	scratch_load_b64 v[152:153], off, off offset:464
	s_wait_dscnt 0x1
	v_fmac_f64_e32 v[158:159], v[156:157], v[144:145]
	s_wait_loadcnt 0x5
	s_delay_alu instid0(VALU_DEP_1) | instskip(SKIP_1) | instid1(VALU_DEP_1)
	v_fmac_f64_e32 v[158:159], v[124:125], v[146:147]
	s_wait_dscnt 0x0
	v_fmac_f64_e32 v[158:159], v[126:127], v[148:149]
	ds_load_2addr_b64 v[124:127], v2 offset0:111 offset1:112
	ds_load_2addr_b64 v[144:147], v2 offset0:113 offset1:114
	s_wait_loadcnt 0x4
	v_fmac_f64_e32 v[158:159], v[136:137], v[150:151]
	s_wait_dscnt 0x1
	s_delay_alu instid0(VALU_DEP_1) | instskip(SKIP_1) | instid1(VALU_DEP_1)
	v_fmac_f64_e32 v[158:159], v[138:139], v[124:125]
	s_wait_loadcnt 0x3
	v_fmac_f64_e32 v[158:159], v[128:129], v[126:127]
	s_wait_dscnt 0x0
	s_delay_alu instid0(VALU_DEP_1)
	v_fmac_f64_e32 v[158:159], v[130:131], v[144:145]
	ds_load_2addr_b64 v[124:127], v2 offset0:115 offset1:116
	ds_load_2addr_b64 v[128:131], v2 offset0:117 offset1:118
	s_wait_loadcnt 0x2
	v_fmac_f64_e32 v[158:159], v[140:141], v[146:147]
	s_wait_dscnt 0x1
	s_delay_alu instid0(VALU_DEP_1) | instskip(SKIP_1) | instid1(VALU_DEP_1)
	v_fmac_f64_e32 v[158:159], v[142:143], v[124:125]
	s_wait_loadcnt 0x1
	v_fmac_f64_e32 v[158:159], v[132:133], v[126:127]
	s_wait_dscnt 0x0
	s_delay_alu instid0(VALU_DEP_1) | instskip(SKIP_1) | instid1(VALU_DEP_1)
	v_fmac_f64_e32 v[158:159], v[134:135], v[128:129]
	s_wait_loadcnt 0x0
	v_fmac_f64_e32 v[158:159], v[152:153], v[130:131]
	s_delay_alu instid0(VALU_DEP_1)
	v_add_f64_e64 v[2:3], v[122:123], -v[158:159]
	scratch_store_b64 off, v[2:3], off offset:80
	s_wait_xcnt 0x0
	v_cmpx_lt_u32_e32 9, v0
	s_cbranch_execz .LBB122_345
; %bb.344:
	scratch_load_b64 v[2:3], off, off offset:72
	v_mov_b64_e32 v[122:123], 0
	scratch_store_b64 off, v[122:123], off offset:72
	s_wait_loadcnt 0x0
	ds_store_b64 v1, v[2:3]
.LBB122_345:
	s_wait_xcnt 0x0
	s_or_b32 exec_lo, exec_lo, s0
	s_wait_storecnt_dscnt 0x0
	s_barrier_signal -1
	s_barrier_wait -1
	s_clause 0x5
	scratch_load_b128 v[122:125], off, off offset:72
	scratch_load_b128 v[126:129], off, off offset:88
	scratch_load_b128 v[130:133], off, off offset:104
	scratch_load_b128 v[134:137], off, off offset:120
	scratch_load_b128 v[138:141], off, off offset:136
	scratch_load_b128 v[142:145], off, off offset:152
	v_mov_b32_e32 v2, 0
	ds_load_b128 v[146:149], v2 offset:560
	ds_load_b128 v[150:153], v2 offset:576
	scratch_load_b128 v[154:157], off, off offset:168
	s_mov_b32 s0, exec_lo
	s_wait_loadcnt_dscnt 0x601
	v_fma_f64 v[158:159], v[124:125], v[146:147], 0
	s_wait_loadcnt 0x5
	s_delay_alu instid0(VALU_DEP_1) | instskip(SKIP_4) | instid1(VALU_DEP_1)
	v_fmac_f64_e32 v[158:159], v[126:127], v[148:149]
	scratch_load_b128 v[124:127], off, off offset:184
	s_wait_dscnt 0x0
	v_fmac_f64_e32 v[158:159], v[128:129], v[150:151]
	s_wait_loadcnt 0x5
	v_fmac_f64_e32 v[158:159], v[130:131], v[152:153]
	ds_load_b128 v[128:131], v2 offset:592
	ds_load_b128 v[146:149], v2 offset:608
	scratch_load_b128 v[150:153], off, off offset:200
	s_wait_dscnt 0x1
	v_fmac_f64_e32 v[158:159], v[132:133], v[128:129]
	s_wait_loadcnt 0x5
	s_delay_alu instid0(VALU_DEP_1) | instskip(SKIP_4) | instid1(VALU_DEP_1)
	v_fmac_f64_e32 v[158:159], v[134:135], v[130:131]
	scratch_load_b128 v[128:131], off, off offset:216
	s_wait_dscnt 0x0
	v_fmac_f64_e32 v[158:159], v[136:137], v[146:147]
	s_wait_loadcnt 0x5
	v_fmac_f64_e32 v[158:159], v[138:139], v[148:149]
	ds_load_b128 v[132:135], v2 offset:624
	ds_load_b128 v[136:139], v2 offset:640
	scratch_load_b128 v[146:149], off, off offset:232
	s_wait_dscnt 0x1
	v_fmac_f64_e32 v[158:159], v[140:141], v[132:133]
	s_wait_loadcnt 0x5
	s_delay_alu instid0(VALU_DEP_1) | instskip(SKIP_4) | instid1(VALU_DEP_1)
	v_fmac_f64_e32 v[158:159], v[142:143], v[134:135]
	scratch_load_b128 v[132:135], off, off offset:248
	s_wait_dscnt 0x0
	v_fmac_f64_e32 v[158:159], v[144:145], v[136:137]
	s_wait_loadcnt 0x5
	v_fmac_f64_e32 v[158:159], v[154:155], v[138:139]
	ds_load_b128 v[136:139], v2 offset:656
	ds_load_b128 v[140:143], v2 offset:672
	s_wait_dscnt 0x1
	v_fmac_f64_e32 v[158:159], v[156:157], v[136:137]
	scratch_load_b128 v[154:157], off, off offset:264
	s_wait_loadcnt 0x5
	v_fmac_f64_e32 v[158:159], v[124:125], v[138:139]
	s_wait_dscnt 0x0
	s_delay_alu instid0(VALU_DEP_1)
	v_fmac_f64_e32 v[158:159], v[126:127], v[140:141]
	scratch_load_b128 v[124:127], off, off offset:280
	s_wait_loadcnt 0x5
	v_fmac_f64_e32 v[158:159], v[150:151], v[142:143]
	ds_load_b128 v[136:139], v2 offset:688
	ds_load_b128 v[140:143], v2 offset:704
	s_wait_dscnt 0x1
	v_fmac_f64_e32 v[158:159], v[152:153], v[136:137]
	scratch_load_b128 v[150:153], off, off offset:296
	s_wait_loadcnt 0x5
	v_fmac_f64_e32 v[158:159], v[128:129], v[138:139]
	s_wait_dscnt 0x0
	s_delay_alu instid0(VALU_DEP_1)
	v_fmac_f64_e32 v[158:159], v[130:131], v[140:141]
	scratch_load_b128 v[128:131], off, off offset:312
	s_wait_loadcnt 0x5
	v_fmac_f64_e32 v[158:159], v[146:147], v[142:143]
	ds_load_b128 v[136:139], v2 offset:720
	ds_load_b128 v[140:143], v2 offset:736
	scratch_load_b128 v[144:147], off, off offset:328
	s_wait_dscnt 0x1
	v_fmac_f64_e32 v[158:159], v[148:149], v[136:137]
	s_wait_loadcnt 0x5
	s_delay_alu instid0(VALU_DEP_1) | instskip(SKIP_1) | instid1(VALU_DEP_1)
	v_fmac_f64_e32 v[158:159], v[132:133], v[138:139]
	s_wait_dscnt 0x0
	v_fmac_f64_e32 v[158:159], v[134:135], v[140:141]
	scratch_load_b128 v[132:135], off, off offset:344
	s_wait_loadcnt 0x5
	v_fmac_f64_e32 v[158:159], v[154:155], v[142:143]
	ds_load_b128 v[136:139], v2 offset:752
	ds_load_b128 v[140:143], v2 offset:768
	s_wait_dscnt 0x1
	v_fmac_f64_e32 v[158:159], v[156:157], v[136:137]
	scratch_load_b128 v[154:157], off, off offset:360
	s_wait_loadcnt 0x5
	v_fmac_f64_e32 v[158:159], v[124:125], v[138:139]
	s_wait_dscnt 0x0
	s_delay_alu instid0(VALU_DEP_1)
	v_fmac_f64_e32 v[158:159], v[126:127], v[140:141]
	scratch_load_b128 v[124:127], off, off offset:376
	s_wait_loadcnt 0x5
	v_fmac_f64_e32 v[158:159], v[150:151], v[142:143]
	ds_load_b128 v[136:139], v2 offset:784
	ds_load_b128 v[140:143], v2 offset:800
	s_wait_dscnt 0x1
	v_fmac_f64_e32 v[158:159], v[152:153], v[136:137]
	s_wait_loadcnt 0x4
	s_delay_alu instid0(VALU_DEP_1)
	v_fmac_f64_e32 v[158:159], v[128:129], v[138:139]
	scratch_load_b128 v[136:139], off, off offset:392
	s_wait_dscnt 0x0
	v_fmac_f64_e32 v[158:159], v[130:131], v[140:141]
	scratch_load_b128 v[128:131], off, off offset:408
	s_wait_loadcnt 0x5
	v_fmac_f64_e32 v[158:159], v[144:145], v[142:143]
	ds_load_b128 v[140:143], v2 offset:816
	ds_load_b128 v[148:151], v2 offset:832
	s_wait_dscnt 0x1
	v_fmac_f64_e32 v[158:159], v[146:147], v[140:141]
	s_wait_loadcnt 0x4
	s_delay_alu instid0(VALU_DEP_1)
	v_fmac_f64_e32 v[158:159], v[132:133], v[142:143]
	scratch_load_b128 v[140:143], off, off offset:424
	s_wait_dscnt 0x0
	v_fmac_f64_e32 v[158:159], v[134:135], v[148:149]
	scratch_load_b128 v[132:135], off, off offset:440
	s_wait_loadcnt 0x5
	v_fmac_f64_e32 v[158:159], v[154:155], v[150:151]
	ds_load_b128 v[144:147], v2 offset:848
	ds_load_b128 v[148:151], v2 offset:864
	s_wait_dscnt 0x1
	v_fmac_f64_e32 v[158:159], v[156:157], v[144:145]
	s_wait_loadcnt 0x4
	s_delay_alu instid0(VALU_DEP_1) | instskip(SKIP_4) | instid1(VALU_DEP_1)
	v_fmac_f64_e32 v[158:159], v[124:125], v[146:147]
	scratch_load_b128 v[144:147], off, off offset:456
	s_wait_dscnt 0x0
	v_fmac_f64_e32 v[158:159], v[126:127], v[148:149]
	s_wait_loadcnt 0x4
	v_fmac_f64_e32 v[158:159], v[136:137], v[150:151]
	ds_load_b128 v[124:127], v2 offset:880
	ds_load_b128 v[148:151], v2 offset:896
	s_wait_dscnt 0x1
	v_fmac_f64_e32 v[158:159], v[138:139], v[124:125]
	s_wait_loadcnt 0x3
	s_delay_alu instid0(VALU_DEP_1) | instskip(SKIP_1) | instid1(VALU_DEP_1)
	v_fmac_f64_e32 v[158:159], v[128:129], v[126:127]
	s_wait_dscnt 0x0
	v_fmac_f64_e32 v[158:159], v[130:131], v[148:149]
	ds_load_b128 v[124:127], v2 offset:912
	ds_load_b128 v[128:131], v2 offset:928
	s_wait_loadcnt 0x2
	v_fmac_f64_e32 v[158:159], v[140:141], v[150:151]
	s_wait_dscnt 0x1
	s_delay_alu instid0(VALU_DEP_1) | instskip(SKIP_4) | instid1(VALU_DEP_1)
	v_fmac_f64_e32 v[158:159], v[142:143], v[124:125]
	ds_load_b64 v[124:125], v2 offset:944
	s_wait_loadcnt 0x1
	v_fmac_f64_e32 v[158:159], v[132:133], v[126:127]
	s_wait_dscnt 0x1
	v_fmac_f64_e32 v[158:159], v[134:135], v[128:129]
	s_wait_loadcnt 0x0
	s_delay_alu instid0(VALU_DEP_1) | instskip(SKIP_1) | instid1(VALU_DEP_1)
	v_fmac_f64_e32 v[158:159], v[144:145], v[130:131]
	s_wait_dscnt 0x0
	v_fmac_f64_e32 v[158:159], v[146:147], v[124:125]
	s_delay_alu instid0(VALU_DEP_1)
	v_add_f64_e64 v[122:123], v[122:123], -v[158:159]
	scratch_store_b64 off, v[122:123], off offset:72
	s_wait_xcnt 0x0
	v_cmpx_lt_u32_e32 8, v0
	s_cbranch_execz .LBB122_347
; %bb.346:
	scratch_load_b64 v[122:123], off, off offset:64
	v_mov_b64_e32 v[124:125], 0
	scratch_store_b64 off, v[124:125], off offset:64
	s_wait_loadcnt 0x0
	ds_store_b64 v1, v[122:123]
.LBB122_347:
	s_wait_xcnt 0x0
	s_or_b32 exec_lo, exec_lo, s0
	s_wait_storecnt_dscnt 0x0
	s_barrier_signal -1
	s_barrier_wait -1
	s_clause 0x5
	scratch_load_b128 v[122:125], off, off offset:64
	scratch_load_b128 v[126:129], off, off offset:80
	;; [unrolled: 1-line block ×6, first 2 shown]
	ds_load_2addr_b64 v[146:149], v2 offset0:69 offset1:70
	ds_load_2addr_b64 v[150:153], v2 offset0:71 offset1:72
	scratch_load_b128 v[154:157], off, off offset:160
	s_mov_b32 s0, exec_lo
	s_wait_loadcnt_dscnt 0x601
	v_fma_f64 v[158:159], v[124:125], v[146:147], 0
	s_wait_loadcnt 0x5
	s_delay_alu instid0(VALU_DEP_1) | instskip(SKIP_4) | instid1(VALU_DEP_1)
	v_fmac_f64_e32 v[158:159], v[126:127], v[148:149]
	scratch_load_b128 v[124:127], off, off offset:176
	s_wait_dscnt 0x0
	v_fmac_f64_e32 v[158:159], v[128:129], v[150:151]
	s_wait_loadcnt 0x5
	v_fmac_f64_e32 v[158:159], v[130:131], v[152:153]
	ds_load_2addr_b64 v[128:131], v2 offset0:73 offset1:74
	ds_load_2addr_b64 v[146:149], v2 offset0:75 offset1:76
	scratch_load_b128 v[150:153], off, off offset:192
	s_wait_dscnt 0x1
	v_fmac_f64_e32 v[158:159], v[132:133], v[128:129]
	s_wait_loadcnt 0x5
	s_delay_alu instid0(VALU_DEP_1) | instskip(SKIP_4) | instid1(VALU_DEP_1)
	v_fmac_f64_e32 v[158:159], v[134:135], v[130:131]
	scratch_load_b128 v[128:131], off, off offset:208
	s_wait_dscnt 0x0
	v_fmac_f64_e32 v[158:159], v[136:137], v[146:147]
	s_wait_loadcnt 0x5
	v_fmac_f64_e32 v[158:159], v[138:139], v[148:149]
	ds_load_2addr_b64 v[132:135], v2 offset0:77 offset1:78
	ds_load_2addr_b64 v[136:139], v2 offset0:79 offset1:80
	scratch_load_b128 v[146:149], off, off offset:224
	s_wait_dscnt 0x1
	v_fmac_f64_e32 v[158:159], v[140:141], v[132:133]
	s_wait_loadcnt 0x5
	s_delay_alu instid0(VALU_DEP_1) | instskip(SKIP_4) | instid1(VALU_DEP_1)
	v_fmac_f64_e32 v[158:159], v[142:143], v[134:135]
	scratch_load_b128 v[132:135], off, off offset:240
	s_wait_dscnt 0x0
	v_fmac_f64_e32 v[158:159], v[144:145], v[136:137]
	s_wait_loadcnt 0x5
	v_fmac_f64_e32 v[158:159], v[154:155], v[138:139]
	ds_load_2addr_b64 v[136:139], v2 offset0:81 offset1:82
	ds_load_2addr_b64 v[140:143], v2 offset0:83 offset1:84
	s_wait_dscnt 0x1
	v_fmac_f64_e32 v[158:159], v[156:157], v[136:137]
	scratch_load_b128 v[154:157], off, off offset:256
	s_wait_loadcnt 0x5
	v_fmac_f64_e32 v[158:159], v[124:125], v[138:139]
	s_wait_dscnt 0x0
	s_delay_alu instid0(VALU_DEP_1)
	v_fmac_f64_e32 v[158:159], v[126:127], v[140:141]
	scratch_load_b128 v[124:127], off, off offset:272
	s_wait_loadcnt 0x5
	v_fmac_f64_e32 v[158:159], v[150:151], v[142:143]
	ds_load_2addr_b64 v[136:139], v2 offset0:85 offset1:86
	ds_load_2addr_b64 v[140:143], v2 offset0:87 offset1:88
	s_wait_dscnt 0x1
	v_fmac_f64_e32 v[158:159], v[152:153], v[136:137]
	scratch_load_b128 v[150:153], off, off offset:288
	s_wait_loadcnt 0x5
	v_fmac_f64_e32 v[158:159], v[128:129], v[138:139]
	s_wait_dscnt 0x0
	s_delay_alu instid0(VALU_DEP_1)
	v_fmac_f64_e32 v[158:159], v[130:131], v[140:141]
	scratch_load_b128 v[128:131], off, off offset:304
	s_wait_loadcnt 0x5
	v_fmac_f64_e32 v[158:159], v[146:147], v[142:143]
	ds_load_2addr_b64 v[136:139], v2 offset0:89 offset1:90
	ds_load_2addr_b64 v[140:143], v2 offset0:91 offset1:92
	scratch_load_b128 v[144:147], off, off offset:320
	s_wait_dscnt 0x1
	v_fmac_f64_e32 v[158:159], v[148:149], v[136:137]
	s_wait_loadcnt 0x5
	s_delay_alu instid0(VALU_DEP_1) | instskip(SKIP_1) | instid1(VALU_DEP_1)
	v_fmac_f64_e32 v[158:159], v[132:133], v[138:139]
	s_wait_dscnt 0x0
	v_fmac_f64_e32 v[158:159], v[134:135], v[140:141]
	scratch_load_b128 v[132:135], off, off offset:336
	s_wait_loadcnt 0x5
	v_fmac_f64_e32 v[158:159], v[154:155], v[142:143]
	ds_load_2addr_b64 v[136:139], v2 offset0:93 offset1:94
	ds_load_2addr_b64 v[140:143], v2 offset0:95 offset1:96
	s_wait_dscnt 0x1
	v_fmac_f64_e32 v[158:159], v[156:157], v[136:137]
	scratch_load_b128 v[154:157], off, off offset:352
	s_wait_loadcnt 0x5
	v_fmac_f64_e32 v[158:159], v[124:125], v[138:139]
	s_wait_dscnt 0x0
	s_delay_alu instid0(VALU_DEP_1)
	v_fmac_f64_e32 v[158:159], v[126:127], v[140:141]
	scratch_load_b128 v[124:127], off, off offset:368
	s_wait_loadcnt 0x5
	v_fmac_f64_e32 v[158:159], v[150:151], v[142:143]
	ds_load_2addr_b64 v[136:139], v2 offset0:97 offset1:98
	ds_load_2addr_b64 v[140:143], v2 offset0:99 offset1:100
	scratch_load_b128 v[148:151], off, off offset:384
	s_wait_dscnt 0x1
	v_fmac_f64_e32 v[158:159], v[152:153], v[136:137]
	s_wait_loadcnt 0x5
	s_delay_alu instid0(VALU_DEP_1) | instskip(SKIP_1) | instid1(VALU_DEP_1)
	v_fmac_f64_e32 v[158:159], v[128:129], v[138:139]
	s_wait_dscnt 0x0
	v_fmac_f64_e32 v[158:159], v[130:131], v[140:141]
	scratch_load_b128 v[128:131], off, off offset:400
	s_wait_loadcnt 0x5
	v_fmac_f64_e32 v[158:159], v[144:145], v[142:143]
	ds_load_2addr_b64 v[136:139], v2 offset0:101 offset1:102
	ds_load_2addr_b64 v[140:143], v2 offset0:103 offset1:104
	s_wait_dscnt 0x1
	v_fmac_f64_e32 v[158:159], v[146:147], v[136:137]
	s_wait_loadcnt 0x4
	s_delay_alu instid0(VALU_DEP_1)
	v_fmac_f64_e32 v[158:159], v[132:133], v[138:139]
	scratch_load_b128 v[136:139], off, off offset:416
	s_wait_dscnt 0x0
	v_fmac_f64_e32 v[158:159], v[134:135], v[140:141]
	scratch_load_b128 v[132:135], off, off offset:432
	s_wait_loadcnt 0x5
	v_fmac_f64_e32 v[158:159], v[154:155], v[142:143]
	ds_load_2addr_b64 v[140:143], v2 offset0:105 offset1:106
	ds_load_2addr_b64 v[144:147], v2 offset0:107 offset1:108
	s_wait_dscnt 0x1
	v_fmac_f64_e32 v[158:159], v[156:157], v[140:141]
	s_wait_loadcnt 0x4
	s_delay_alu instid0(VALU_DEP_1) | instskip(SKIP_4) | instid1(VALU_DEP_1)
	v_fmac_f64_e32 v[158:159], v[124:125], v[142:143]
	scratch_load_b128 v[140:143], off, off offset:448
	s_wait_dscnt 0x0
	v_fmac_f64_e32 v[158:159], v[126:127], v[144:145]
	s_wait_loadcnt 0x4
	v_fmac_f64_e32 v[158:159], v[148:149], v[146:147]
	scratch_load_b64 v[148:149], off, off offset:464
	ds_load_2addr_b64 v[124:127], v2 offset0:109 offset1:110
	ds_load_2addr_b64 v[144:147], v2 offset0:111 offset1:112
	s_wait_dscnt 0x1
	v_fmac_f64_e32 v[158:159], v[150:151], v[124:125]
	s_wait_loadcnt 0x4
	s_delay_alu instid0(VALU_DEP_1) | instskip(SKIP_1) | instid1(VALU_DEP_1)
	v_fmac_f64_e32 v[158:159], v[128:129], v[126:127]
	s_wait_dscnt 0x0
	v_fmac_f64_e32 v[158:159], v[130:131], v[144:145]
	ds_load_2addr_b64 v[124:127], v2 offset0:113 offset1:114
	ds_load_2addr_b64 v[128:131], v2 offset0:115 offset1:116
	s_wait_loadcnt 0x3
	v_fmac_f64_e32 v[158:159], v[136:137], v[146:147]
	s_wait_dscnt 0x1
	s_delay_alu instid0(VALU_DEP_1) | instskip(SKIP_1) | instid1(VALU_DEP_1)
	v_fmac_f64_e32 v[158:159], v[138:139], v[124:125]
	s_wait_loadcnt 0x2
	v_fmac_f64_e32 v[158:159], v[132:133], v[126:127]
	ds_load_2addr_b64 v[124:127], v2 offset0:117 offset1:118
	s_wait_dscnt 0x1
	v_fmac_f64_e32 v[158:159], v[134:135], v[128:129]
	s_wait_loadcnt 0x1
	s_delay_alu instid0(VALU_DEP_1) | instskip(SKIP_1) | instid1(VALU_DEP_1)
	v_fmac_f64_e32 v[158:159], v[140:141], v[130:131]
	s_wait_dscnt 0x0
	v_fmac_f64_e32 v[158:159], v[142:143], v[124:125]
	s_wait_loadcnt 0x0
	s_delay_alu instid0(VALU_DEP_1) | instskip(NEXT) | instid1(VALU_DEP_1)
	v_fmac_f64_e32 v[158:159], v[148:149], v[126:127]
	v_add_f64_e64 v[2:3], v[122:123], -v[158:159]
	scratch_store_b64 off, v[2:3], off offset:64
	s_wait_xcnt 0x0
	v_cmpx_lt_u32_e32 7, v0
	s_cbranch_execz .LBB122_349
; %bb.348:
	scratch_load_b64 v[2:3], off, off offset:56
	v_mov_b64_e32 v[122:123], 0
	scratch_store_b64 off, v[122:123], off offset:56
	s_wait_loadcnt 0x0
	ds_store_b64 v1, v[2:3]
.LBB122_349:
	s_wait_xcnt 0x0
	s_or_b32 exec_lo, exec_lo, s0
	s_wait_storecnt_dscnt 0x0
	s_barrier_signal -1
	s_barrier_wait -1
	s_clause 0x5
	scratch_load_b128 v[122:125], off, off offset:56
	scratch_load_b128 v[126:129], off, off offset:72
	;; [unrolled: 1-line block ×6, first 2 shown]
	v_mov_b32_e32 v2, 0
	ds_load_b128 v[146:149], v2 offset:544
	ds_load_b128 v[150:153], v2 offset:560
	scratch_load_b128 v[154:157], off, off offset:152
	s_mov_b32 s0, exec_lo
	s_wait_loadcnt_dscnt 0x601
	v_fma_f64 v[158:159], v[124:125], v[146:147], 0
	s_wait_loadcnt 0x5
	s_delay_alu instid0(VALU_DEP_1) | instskip(SKIP_4) | instid1(VALU_DEP_1)
	v_fmac_f64_e32 v[158:159], v[126:127], v[148:149]
	scratch_load_b128 v[124:127], off, off offset:168
	s_wait_dscnt 0x0
	v_fmac_f64_e32 v[158:159], v[128:129], v[150:151]
	s_wait_loadcnt 0x5
	v_fmac_f64_e32 v[158:159], v[130:131], v[152:153]
	ds_load_b128 v[128:131], v2 offset:576
	ds_load_b128 v[146:149], v2 offset:592
	scratch_load_b128 v[150:153], off, off offset:184
	s_wait_dscnt 0x1
	v_fmac_f64_e32 v[158:159], v[132:133], v[128:129]
	s_wait_loadcnt 0x5
	s_delay_alu instid0(VALU_DEP_1) | instskip(SKIP_4) | instid1(VALU_DEP_1)
	v_fmac_f64_e32 v[158:159], v[134:135], v[130:131]
	scratch_load_b128 v[128:131], off, off offset:200
	s_wait_dscnt 0x0
	v_fmac_f64_e32 v[158:159], v[136:137], v[146:147]
	s_wait_loadcnt 0x5
	v_fmac_f64_e32 v[158:159], v[138:139], v[148:149]
	ds_load_b128 v[132:135], v2 offset:608
	ds_load_b128 v[136:139], v2 offset:624
	scratch_load_b128 v[146:149], off, off offset:216
	s_wait_dscnt 0x1
	v_fmac_f64_e32 v[158:159], v[140:141], v[132:133]
	s_wait_loadcnt 0x5
	s_delay_alu instid0(VALU_DEP_1) | instskip(SKIP_4) | instid1(VALU_DEP_1)
	v_fmac_f64_e32 v[158:159], v[142:143], v[134:135]
	scratch_load_b128 v[132:135], off, off offset:232
	s_wait_dscnt 0x0
	v_fmac_f64_e32 v[158:159], v[144:145], v[136:137]
	s_wait_loadcnt 0x5
	v_fmac_f64_e32 v[158:159], v[154:155], v[138:139]
	ds_load_b128 v[136:139], v2 offset:640
	ds_load_b128 v[140:143], v2 offset:656
	s_wait_dscnt 0x1
	v_fmac_f64_e32 v[158:159], v[156:157], v[136:137]
	scratch_load_b128 v[154:157], off, off offset:248
	s_wait_loadcnt 0x5
	v_fmac_f64_e32 v[158:159], v[124:125], v[138:139]
	s_wait_dscnt 0x0
	s_delay_alu instid0(VALU_DEP_1)
	v_fmac_f64_e32 v[158:159], v[126:127], v[140:141]
	scratch_load_b128 v[124:127], off, off offset:264
	s_wait_loadcnt 0x5
	v_fmac_f64_e32 v[158:159], v[150:151], v[142:143]
	ds_load_b128 v[136:139], v2 offset:672
	ds_load_b128 v[140:143], v2 offset:688
	s_wait_dscnt 0x1
	v_fmac_f64_e32 v[158:159], v[152:153], v[136:137]
	scratch_load_b128 v[150:153], off, off offset:280
	s_wait_loadcnt 0x5
	v_fmac_f64_e32 v[158:159], v[128:129], v[138:139]
	s_wait_dscnt 0x0
	s_delay_alu instid0(VALU_DEP_1)
	v_fmac_f64_e32 v[158:159], v[130:131], v[140:141]
	scratch_load_b128 v[128:131], off, off offset:296
	s_wait_loadcnt 0x5
	v_fmac_f64_e32 v[158:159], v[146:147], v[142:143]
	ds_load_b128 v[136:139], v2 offset:704
	ds_load_b128 v[140:143], v2 offset:720
	scratch_load_b128 v[144:147], off, off offset:312
	s_wait_dscnt 0x1
	v_fmac_f64_e32 v[158:159], v[148:149], v[136:137]
	s_wait_loadcnt 0x5
	s_delay_alu instid0(VALU_DEP_1) | instskip(SKIP_1) | instid1(VALU_DEP_1)
	v_fmac_f64_e32 v[158:159], v[132:133], v[138:139]
	s_wait_dscnt 0x0
	v_fmac_f64_e32 v[158:159], v[134:135], v[140:141]
	scratch_load_b128 v[132:135], off, off offset:328
	s_wait_loadcnt 0x5
	v_fmac_f64_e32 v[158:159], v[154:155], v[142:143]
	ds_load_b128 v[136:139], v2 offset:736
	ds_load_b128 v[140:143], v2 offset:752
	s_wait_dscnt 0x1
	v_fmac_f64_e32 v[158:159], v[156:157], v[136:137]
	scratch_load_b128 v[154:157], off, off offset:344
	s_wait_loadcnt 0x5
	v_fmac_f64_e32 v[158:159], v[124:125], v[138:139]
	s_wait_dscnt 0x0
	s_delay_alu instid0(VALU_DEP_1)
	v_fmac_f64_e32 v[158:159], v[126:127], v[140:141]
	scratch_load_b128 v[124:127], off, off offset:360
	s_wait_loadcnt 0x5
	v_fmac_f64_e32 v[158:159], v[150:151], v[142:143]
	ds_load_b128 v[136:139], v2 offset:768
	ds_load_b128 v[140:143], v2 offset:784
	scratch_load_b128 v[148:151], off, off offset:376
	s_wait_dscnt 0x1
	v_fmac_f64_e32 v[158:159], v[152:153], v[136:137]
	s_wait_loadcnt 0x5
	s_delay_alu instid0(VALU_DEP_1) | instskip(SKIP_1) | instid1(VALU_DEP_1)
	v_fmac_f64_e32 v[158:159], v[128:129], v[138:139]
	s_wait_dscnt 0x0
	v_fmac_f64_e32 v[158:159], v[130:131], v[140:141]
	scratch_load_b128 v[128:131], off, off offset:392
	s_wait_loadcnt 0x5
	v_fmac_f64_e32 v[158:159], v[144:145], v[142:143]
	ds_load_b128 v[136:139], v2 offset:800
	ds_load_b128 v[140:143], v2 offset:816
	s_wait_dscnt 0x1
	v_fmac_f64_e32 v[158:159], v[146:147], v[136:137]
	s_wait_loadcnt 0x4
	s_delay_alu instid0(VALU_DEP_1)
	v_fmac_f64_e32 v[158:159], v[132:133], v[138:139]
	scratch_load_b128 v[136:139], off, off offset:408
	s_wait_dscnt 0x0
	v_fmac_f64_e32 v[158:159], v[134:135], v[140:141]
	scratch_load_b128 v[132:135], off, off offset:424
	s_wait_loadcnt 0x5
	v_fmac_f64_e32 v[158:159], v[154:155], v[142:143]
	ds_load_b128 v[140:143], v2 offset:832
	ds_load_b128 v[144:147], v2 offset:848
	s_wait_dscnt 0x1
	v_fmac_f64_e32 v[158:159], v[156:157], v[140:141]
	s_wait_loadcnt 0x4
	s_delay_alu instid0(VALU_DEP_1)
	v_fmac_f64_e32 v[158:159], v[124:125], v[142:143]
	scratch_load_b128 v[140:143], off, off offset:440
	s_wait_dscnt 0x0
	v_fmac_f64_e32 v[158:159], v[126:127], v[144:145]
	scratch_load_b128 v[124:127], off, off offset:456
	s_wait_loadcnt 0x5
	v_fmac_f64_e32 v[158:159], v[148:149], v[146:147]
	ds_load_b128 v[144:147], v2 offset:864
	ds_load_b128 v[152:155], v2 offset:880
	s_wait_dscnt 0x1
	v_fmac_f64_e32 v[158:159], v[150:151], v[144:145]
	s_wait_loadcnt 0x4
	s_delay_alu instid0(VALU_DEP_1) | instskip(SKIP_1) | instid1(VALU_DEP_1)
	v_fmac_f64_e32 v[158:159], v[128:129], v[146:147]
	s_wait_dscnt 0x0
	v_fmac_f64_e32 v[158:159], v[130:131], v[152:153]
	ds_load_b128 v[128:131], v2 offset:896
	ds_load_b128 v[144:147], v2 offset:912
	s_wait_loadcnt 0x3
	v_fmac_f64_e32 v[158:159], v[136:137], v[154:155]
	s_wait_dscnt 0x1
	s_delay_alu instid0(VALU_DEP_1) | instskip(SKIP_1) | instid1(VALU_DEP_1)
	v_fmac_f64_e32 v[158:159], v[138:139], v[128:129]
	s_wait_loadcnt 0x2
	v_fmac_f64_e32 v[158:159], v[132:133], v[130:131]
	ds_load_b128 v[128:131], v2 offset:928
	ds_load_b64 v[132:133], v2 offset:944
	s_wait_dscnt 0x2
	v_fmac_f64_e32 v[158:159], v[134:135], v[144:145]
	s_wait_loadcnt 0x1
	s_delay_alu instid0(VALU_DEP_1) | instskip(SKIP_1) | instid1(VALU_DEP_1)
	v_fmac_f64_e32 v[158:159], v[140:141], v[146:147]
	s_wait_dscnt 0x1
	v_fmac_f64_e32 v[158:159], v[142:143], v[128:129]
	s_wait_loadcnt 0x0
	s_delay_alu instid0(VALU_DEP_1) | instskip(SKIP_1) | instid1(VALU_DEP_1)
	v_fmac_f64_e32 v[158:159], v[124:125], v[130:131]
	s_wait_dscnt 0x0
	v_fmac_f64_e32 v[158:159], v[126:127], v[132:133]
	s_delay_alu instid0(VALU_DEP_1)
	v_add_f64_e64 v[122:123], v[122:123], -v[158:159]
	scratch_store_b64 off, v[122:123], off offset:56
	s_wait_xcnt 0x0
	v_cmpx_lt_u32_e32 6, v0
	s_cbranch_execz .LBB122_351
; %bb.350:
	scratch_load_b64 v[122:123], off, off offset:48
	v_mov_b64_e32 v[124:125], 0
	scratch_store_b64 off, v[124:125], off offset:48
	s_wait_loadcnt 0x0
	ds_store_b64 v1, v[122:123]
.LBB122_351:
	s_wait_xcnt 0x0
	s_or_b32 exec_lo, exec_lo, s0
	s_wait_storecnt_dscnt 0x0
	s_barrier_signal -1
	s_barrier_wait -1
	s_clause 0x5
	scratch_load_b128 v[122:125], off, off offset:48
	scratch_load_b128 v[126:129], off, off offset:64
	;; [unrolled: 1-line block ×6, first 2 shown]
	ds_load_2addr_b64 v[146:149], v2 offset0:67 offset1:68
	ds_load_2addr_b64 v[150:153], v2 offset0:69 offset1:70
	scratch_load_b128 v[154:157], off, off offset:144
	s_mov_b32 s0, exec_lo
	s_wait_loadcnt_dscnt 0x601
	v_fma_f64 v[158:159], v[124:125], v[146:147], 0
	s_wait_loadcnt 0x5
	s_delay_alu instid0(VALU_DEP_1) | instskip(SKIP_4) | instid1(VALU_DEP_1)
	v_fmac_f64_e32 v[158:159], v[126:127], v[148:149]
	scratch_load_b128 v[124:127], off, off offset:160
	s_wait_dscnt 0x0
	v_fmac_f64_e32 v[158:159], v[128:129], v[150:151]
	s_wait_loadcnt 0x5
	v_fmac_f64_e32 v[158:159], v[130:131], v[152:153]
	ds_load_2addr_b64 v[128:131], v2 offset0:71 offset1:72
	ds_load_2addr_b64 v[146:149], v2 offset0:73 offset1:74
	scratch_load_b128 v[150:153], off, off offset:176
	s_wait_dscnt 0x1
	v_fmac_f64_e32 v[158:159], v[132:133], v[128:129]
	s_wait_loadcnt 0x5
	s_delay_alu instid0(VALU_DEP_1) | instskip(SKIP_4) | instid1(VALU_DEP_1)
	v_fmac_f64_e32 v[158:159], v[134:135], v[130:131]
	scratch_load_b128 v[128:131], off, off offset:192
	s_wait_dscnt 0x0
	v_fmac_f64_e32 v[158:159], v[136:137], v[146:147]
	s_wait_loadcnt 0x5
	v_fmac_f64_e32 v[158:159], v[138:139], v[148:149]
	ds_load_2addr_b64 v[132:135], v2 offset0:75 offset1:76
	ds_load_2addr_b64 v[136:139], v2 offset0:77 offset1:78
	scratch_load_b128 v[146:149], off, off offset:208
	s_wait_dscnt 0x1
	v_fmac_f64_e32 v[158:159], v[140:141], v[132:133]
	s_wait_loadcnt 0x5
	s_delay_alu instid0(VALU_DEP_1) | instskip(SKIP_4) | instid1(VALU_DEP_1)
	v_fmac_f64_e32 v[158:159], v[142:143], v[134:135]
	scratch_load_b128 v[132:135], off, off offset:224
	s_wait_dscnt 0x0
	v_fmac_f64_e32 v[158:159], v[144:145], v[136:137]
	s_wait_loadcnt 0x5
	v_fmac_f64_e32 v[158:159], v[154:155], v[138:139]
	ds_load_2addr_b64 v[136:139], v2 offset0:79 offset1:80
	ds_load_2addr_b64 v[140:143], v2 offset0:81 offset1:82
	s_wait_dscnt 0x1
	v_fmac_f64_e32 v[158:159], v[156:157], v[136:137]
	scratch_load_b128 v[154:157], off, off offset:240
	s_wait_loadcnt 0x5
	v_fmac_f64_e32 v[158:159], v[124:125], v[138:139]
	s_wait_dscnt 0x0
	s_delay_alu instid0(VALU_DEP_1)
	v_fmac_f64_e32 v[158:159], v[126:127], v[140:141]
	scratch_load_b128 v[124:127], off, off offset:256
	s_wait_loadcnt 0x5
	v_fmac_f64_e32 v[158:159], v[150:151], v[142:143]
	ds_load_2addr_b64 v[136:139], v2 offset0:83 offset1:84
	ds_load_2addr_b64 v[140:143], v2 offset0:85 offset1:86
	s_wait_dscnt 0x1
	v_fmac_f64_e32 v[158:159], v[152:153], v[136:137]
	scratch_load_b128 v[150:153], off, off offset:272
	s_wait_loadcnt 0x5
	v_fmac_f64_e32 v[158:159], v[128:129], v[138:139]
	s_wait_dscnt 0x0
	s_delay_alu instid0(VALU_DEP_1)
	v_fmac_f64_e32 v[158:159], v[130:131], v[140:141]
	scratch_load_b128 v[128:131], off, off offset:288
	s_wait_loadcnt 0x5
	v_fmac_f64_e32 v[158:159], v[146:147], v[142:143]
	ds_load_2addr_b64 v[136:139], v2 offset0:87 offset1:88
	ds_load_2addr_b64 v[140:143], v2 offset0:89 offset1:90
	scratch_load_b128 v[144:147], off, off offset:304
	s_wait_dscnt 0x1
	v_fmac_f64_e32 v[158:159], v[148:149], v[136:137]
	s_wait_loadcnt 0x5
	s_delay_alu instid0(VALU_DEP_1) | instskip(SKIP_1) | instid1(VALU_DEP_1)
	v_fmac_f64_e32 v[158:159], v[132:133], v[138:139]
	s_wait_dscnt 0x0
	v_fmac_f64_e32 v[158:159], v[134:135], v[140:141]
	scratch_load_b128 v[132:135], off, off offset:320
	s_wait_loadcnt 0x5
	v_fmac_f64_e32 v[158:159], v[154:155], v[142:143]
	ds_load_2addr_b64 v[136:139], v2 offset0:91 offset1:92
	ds_load_2addr_b64 v[140:143], v2 offset0:93 offset1:94
	s_wait_dscnt 0x1
	v_fmac_f64_e32 v[158:159], v[156:157], v[136:137]
	scratch_load_b128 v[154:157], off, off offset:336
	s_wait_loadcnt 0x5
	v_fmac_f64_e32 v[158:159], v[124:125], v[138:139]
	s_wait_dscnt 0x0
	s_delay_alu instid0(VALU_DEP_1)
	v_fmac_f64_e32 v[158:159], v[126:127], v[140:141]
	scratch_load_b128 v[124:127], off, off offset:352
	s_wait_loadcnt 0x5
	v_fmac_f64_e32 v[158:159], v[150:151], v[142:143]
	ds_load_2addr_b64 v[136:139], v2 offset0:95 offset1:96
	ds_load_2addr_b64 v[140:143], v2 offset0:97 offset1:98
	scratch_load_b128 v[148:151], off, off offset:368
	s_wait_dscnt 0x1
	v_fmac_f64_e32 v[158:159], v[152:153], v[136:137]
	s_wait_loadcnt 0x5
	s_delay_alu instid0(VALU_DEP_1) | instskip(SKIP_1) | instid1(VALU_DEP_1)
	v_fmac_f64_e32 v[158:159], v[128:129], v[138:139]
	s_wait_dscnt 0x0
	v_fmac_f64_e32 v[158:159], v[130:131], v[140:141]
	scratch_load_b128 v[128:131], off, off offset:384
	s_wait_loadcnt 0x5
	v_fmac_f64_e32 v[158:159], v[144:145], v[142:143]
	ds_load_2addr_b64 v[136:139], v2 offset0:99 offset1:100
	ds_load_2addr_b64 v[140:143], v2 offset0:101 offset1:102
	s_wait_dscnt 0x1
	v_fmac_f64_e32 v[158:159], v[146:147], v[136:137]
	s_wait_loadcnt 0x4
	s_delay_alu instid0(VALU_DEP_1)
	v_fmac_f64_e32 v[158:159], v[132:133], v[138:139]
	scratch_load_b128 v[136:139], off, off offset:400
	s_wait_dscnt 0x0
	v_fmac_f64_e32 v[158:159], v[134:135], v[140:141]
	scratch_load_b128 v[132:135], off, off offset:416
	s_wait_loadcnt 0x5
	v_fmac_f64_e32 v[158:159], v[154:155], v[142:143]
	ds_load_2addr_b64 v[140:143], v2 offset0:103 offset1:104
	ds_load_2addr_b64 v[144:147], v2 offset0:105 offset1:106
	s_wait_dscnt 0x1
	v_fmac_f64_e32 v[158:159], v[156:157], v[140:141]
	s_wait_loadcnt 0x4
	s_delay_alu instid0(VALU_DEP_1)
	v_fmac_f64_e32 v[158:159], v[124:125], v[142:143]
	scratch_load_b128 v[140:143], off, off offset:432
	s_wait_dscnt 0x0
	v_fmac_f64_e32 v[158:159], v[126:127], v[144:145]
	scratch_load_b128 v[124:127], off, off offset:448
	s_wait_loadcnt 0x5
	v_fmac_f64_e32 v[158:159], v[148:149], v[146:147]
	ds_load_2addr_b64 v[144:147], v2 offset0:107 offset1:108
	ds_load_2addr_b64 v[152:155], v2 offset0:109 offset1:110
	scratch_load_b64 v[148:149], off, off offset:464
	s_wait_dscnt 0x1
	v_fmac_f64_e32 v[158:159], v[150:151], v[144:145]
	s_wait_loadcnt 0x5
	s_delay_alu instid0(VALU_DEP_1) | instskip(SKIP_1) | instid1(VALU_DEP_1)
	v_fmac_f64_e32 v[158:159], v[128:129], v[146:147]
	s_wait_dscnt 0x0
	v_fmac_f64_e32 v[158:159], v[130:131], v[152:153]
	ds_load_2addr_b64 v[128:131], v2 offset0:111 offset1:112
	ds_load_2addr_b64 v[144:147], v2 offset0:113 offset1:114
	s_wait_loadcnt 0x4
	v_fmac_f64_e32 v[158:159], v[136:137], v[154:155]
	s_wait_dscnt 0x1
	s_delay_alu instid0(VALU_DEP_1) | instskip(SKIP_1) | instid1(VALU_DEP_1)
	v_fmac_f64_e32 v[158:159], v[138:139], v[128:129]
	s_wait_loadcnt 0x3
	v_fmac_f64_e32 v[158:159], v[132:133], v[130:131]
	s_wait_dscnt 0x0
	s_delay_alu instid0(VALU_DEP_1)
	v_fmac_f64_e32 v[158:159], v[134:135], v[144:145]
	ds_load_2addr_b64 v[128:131], v2 offset0:115 offset1:116
	ds_load_2addr_b64 v[132:135], v2 offset0:117 offset1:118
	s_wait_loadcnt 0x2
	v_fmac_f64_e32 v[158:159], v[140:141], v[146:147]
	s_wait_dscnt 0x1
	s_delay_alu instid0(VALU_DEP_1) | instskip(SKIP_1) | instid1(VALU_DEP_1)
	v_fmac_f64_e32 v[158:159], v[142:143], v[128:129]
	s_wait_loadcnt 0x1
	v_fmac_f64_e32 v[158:159], v[124:125], v[130:131]
	s_wait_dscnt 0x0
	s_delay_alu instid0(VALU_DEP_1) | instskip(SKIP_1) | instid1(VALU_DEP_1)
	v_fmac_f64_e32 v[158:159], v[126:127], v[132:133]
	s_wait_loadcnt 0x0
	v_fmac_f64_e32 v[158:159], v[148:149], v[134:135]
	s_delay_alu instid0(VALU_DEP_1)
	v_add_f64_e64 v[2:3], v[122:123], -v[158:159]
	scratch_store_b64 off, v[2:3], off offset:48
	s_wait_xcnt 0x0
	v_cmpx_lt_u32_e32 5, v0
	s_cbranch_execz .LBB122_353
; %bb.352:
	scratch_load_b64 v[2:3], off, off offset:40
	v_mov_b64_e32 v[122:123], 0
	scratch_store_b64 off, v[122:123], off offset:40
	s_wait_loadcnt 0x0
	ds_store_b64 v1, v[2:3]
.LBB122_353:
	s_wait_xcnt 0x0
	s_or_b32 exec_lo, exec_lo, s0
	s_wait_storecnt_dscnt 0x0
	s_barrier_signal -1
	s_barrier_wait -1
	s_clause 0x5
	scratch_load_b128 v[122:125], off, off offset:40
	scratch_load_b128 v[126:129], off, off offset:56
	;; [unrolled: 1-line block ×6, first 2 shown]
	v_mov_b32_e32 v2, 0
	ds_load_b128 v[146:149], v2 offset:528
	ds_load_b128 v[150:153], v2 offset:544
	scratch_load_b128 v[154:157], off, off offset:136
	s_mov_b32 s0, exec_lo
	s_wait_loadcnt_dscnt 0x601
	v_fma_f64 v[158:159], v[124:125], v[146:147], 0
	s_wait_loadcnt 0x5
	s_delay_alu instid0(VALU_DEP_1) | instskip(SKIP_4) | instid1(VALU_DEP_1)
	v_fmac_f64_e32 v[158:159], v[126:127], v[148:149]
	scratch_load_b128 v[124:127], off, off offset:152
	s_wait_dscnt 0x0
	v_fmac_f64_e32 v[158:159], v[128:129], v[150:151]
	s_wait_loadcnt 0x5
	v_fmac_f64_e32 v[158:159], v[130:131], v[152:153]
	ds_load_b128 v[128:131], v2 offset:560
	ds_load_b128 v[146:149], v2 offset:576
	scratch_load_b128 v[150:153], off, off offset:168
	s_wait_dscnt 0x1
	v_fmac_f64_e32 v[158:159], v[132:133], v[128:129]
	s_wait_loadcnt 0x5
	s_delay_alu instid0(VALU_DEP_1) | instskip(SKIP_4) | instid1(VALU_DEP_1)
	v_fmac_f64_e32 v[158:159], v[134:135], v[130:131]
	scratch_load_b128 v[128:131], off, off offset:184
	s_wait_dscnt 0x0
	v_fmac_f64_e32 v[158:159], v[136:137], v[146:147]
	s_wait_loadcnt 0x5
	v_fmac_f64_e32 v[158:159], v[138:139], v[148:149]
	ds_load_b128 v[132:135], v2 offset:592
	ds_load_b128 v[136:139], v2 offset:608
	scratch_load_b128 v[146:149], off, off offset:200
	s_wait_dscnt 0x1
	v_fmac_f64_e32 v[158:159], v[140:141], v[132:133]
	s_wait_loadcnt 0x5
	s_delay_alu instid0(VALU_DEP_1) | instskip(SKIP_4) | instid1(VALU_DEP_1)
	v_fmac_f64_e32 v[158:159], v[142:143], v[134:135]
	scratch_load_b128 v[132:135], off, off offset:216
	s_wait_dscnt 0x0
	v_fmac_f64_e32 v[158:159], v[144:145], v[136:137]
	s_wait_loadcnt 0x5
	v_fmac_f64_e32 v[158:159], v[154:155], v[138:139]
	ds_load_b128 v[136:139], v2 offset:624
	ds_load_b128 v[140:143], v2 offset:640
	s_wait_dscnt 0x1
	v_fmac_f64_e32 v[158:159], v[156:157], v[136:137]
	scratch_load_b128 v[154:157], off, off offset:232
	s_wait_loadcnt 0x5
	v_fmac_f64_e32 v[158:159], v[124:125], v[138:139]
	s_wait_dscnt 0x0
	s_delay_alu instid0(VALU_DEP_1)
	v_fmac_f64_e32 v[158:159], v[126:127], v[140:141]
	scratch_load_b128 v[124:127], off, off offset:248
	s_wait_loadcnt 0x5
	v_fmac_f64_e32 v[158:159], v[150:151], v[142:143]
	ds_load_b128 v[136:139], v2 offset:656
	ds_load_b128 v[140:143], v2 offset:672
	s_wait_dscnt 0x1
	v_fmac_f64_e32 v[158:159], v[152:153], v[136:137]
	scratch_load_b128 v[150:153], off, off offset:264
	s_wait_loadcnt 0x5
	v_fmac_f64_e32 v[158:159], v[128:129], v[138:139]
	s_wait_dscnt 0x0
	s_delay_alu instid0(VALU_DEP_1)
	v_fmac_f64_e32 v[158:159], v[130:131], v[140:141]
	scratch_load_b128 v[128:131], off, off offset:280
	s_wait_loadcnt 0x5
	v_fmac_f64_e32 v[158:159], v[146:147], v[142:143]
	ds_load_b128 v[136:139], v2 offset:688
	ds_load_b128 v[140:143], v2 offset:704
	scratch_load_b128 v[144:147], off, off offset:296
	s_wait_dscnt 0x1
	v_fmac_f64_e32 v[158:159], v[148:149], v[136:137]
	s_wait_loadcnt 0x5
	s_delay_alu instid0(VALU_DEP_1) | instskip(SKIP_1) | instid1(VALU_DEP_1)
	v_fmac_f64_e32 v[158:159], v[132:133], v[138:139]
	s_wait_dscnt 0x0
	v_fmac_f64_e32 v[158:159], v[134:135], v[140:141]
	scratch_load_b128 v[132:135], off, off offset:312
	s_wait_loadcnt 0x5
	v_fmac_f64_e32 v[158:159], v[154:155], v[142:143]
	ds_load_b128 v[136:139], v2 offset:720
	ds_load_b128 v[140:143], v2 offset:736
	s_wait_dscnt 0x1
	v_fmac_f64_e32 v[158:159], v[156:157], v[136:137]
	scratch_load_b128 v[154:157], off, off offset:328
	s_wait_loadcnt 0x5
	v_fmac_f64_e32 v[158:159], v[124:125], v[138:139]
	s_wait_dscnt 0x0
	s_delay_alu instid0(VALU_DEP_1)
	v_fmac_f64_e32 v[158:159], v[126:127], v[140:141]
	scratch_load_b128 v[124:127], off, off offset:344
	s_wait_loadcnt 0x5
	v_fmac_f64_e32 v[158:159], v[150:151], v[142:143]
	ds_load_b128 v[136:139], v2 offset:752
	ds_load_b128 v[140:143], v2 offset:768
	scratch_load_b128 v[148:151], off, off offset:360
	s_wait_dscnt 0x1
	v_fmac_f64_e32 v[158:159], v[152:153], v[136:137]
	s_wait_loadcnt 0x5
	s_delay_alu instid0(VALU_DEP_1) | instskip(SKIP_1) | instid1(VALU_DEP_1)
	v_fmac_f64_e32 v[158:159], v[128:129], v[138:139]
	s_wait_dscnt 0x0
	v_fmac_f64_e32 v[158:159], v[130:131], v[140:141]
	scratch_load_b128 v[128:131], off, off offset:376
	s_wait_loadcnt 0x5
	v_fmac_f64_e32 v[158:159], v[144:145], v[142:143]
	ds_load_b128 v[136:139], v2 offset:784
	ds_load_b128 v[140:143], v2 offset:800
	s_wait_dscnt 0x1
	v_fmac_f64_e32 v[158:159], v[146:147], v[136:137]
	s_wait_loadcnt 0x4
	s_delay_alu instid0(VALU_DEP_1)
	v_fmac_f64_e32 v[158:159], v[132:133], v[138:139]
	scratch_load_b128 v[136:139], off, off offset:392
	s_wait_dscnt 0x0
	v_fmac_f64_e32 v[158:159], v[134:135], v[140:141]
	scratch_load_b128 v[132:135], off, off offset:408
	s_wait_loadcnt 0x5
	v_fmac_f64_e32 v[158:159], v[154:155], v[142:143]
	ds_load_b128 v[140:143], v2 offset:816
	ds_load_b128 v[144:147], v2 offset:832
	s_wait_dscnt 0x1
	v_fmac_f64_e32 v[158:159], v[156:157], v[140:141]
	s_wait_loadcnt 0x4
	s_delay_alu instid0(VALU_DEP_1)
	v_fmac_f64_e32 v[158:159], v[124:125], v[142:143]
	scratch_load_b128 v[140:143], off, off offset:424
	;; [unrolled: 13-line block ×3, first 2 shown]
	s_wait_dscnt 0x0
	v_fmac_f64_e32 v[158:159], v[130:131], v[152:153]
	ds_load_b128 v[128:131], v2 offset:880
	ds_load_b128 v[148:151], v2 offset:896
	s_wait_loadcnt 0x4
	v_fmac_f64_e32 v[158:159], v[136:137], v[154:155]
	s_wait_dscnt 0x1
	s_delay_alu instid0(VALU_DEP_1) | instskip(SKIP_1) | instid1(VALU_DEP_1)
	v_fmac_f64_e32 v[158:159], v[138:139], v[128:129]
	s_wait_loadcnt 0x3
	v_fmac_f64_e32 v[158:159], v[132:133], v[130:131]
	s_wait_dscnt 0x0
	s_delay_alu instid0(VALU_DEP_1)
	v_fmac_f64_e32 v[158:159], v[134:135], v[148:149]
	ds_load_b128 v[128:131], v2 offset:912
	ds_load_b128 v[132:135], v2 offset:928
	s_wait_loadcnt 0x2
	v_fmac_f64_e32 v[158:159], v[140:141], v[150:151]
	s_wait_dscnt 0x1
	s_delay_alu instid0(VALU_DEP_1) | instskip(SKIP_1) | instid1(VALU_DEP_1)
	v_fmac_f64_e32 v[158:159], v[142:143], v[128:129]
	s_wait_loadcnt 0x1
	v_fmac_f64_e32 v[158:159], v[124:125], v[130:131]
	ds_load_b64 v[124:125], v2 offset:944
	s_wait_dscnt 0x1
	v_fmac_f64_e32 v[158:159], v[126:127], v[132:133]
	s_wait_loadcnt 0x0
	s_delay_alu instid0(VALU_DEP_1) | instskip(SKIP_1) | instid1(VALU_DEP_1)
	v_fmac_f64_e32 v[158:159], v[144:145], v[134:135]
	s_wait_dscnt 0x0
	v_fmac_f64_e32 v[158:159], v[146:147], v[124:125]
	s_delay_alu instid0(VALU_DEP_1)
	v_add_f64_e64 v[122:123], v[122:123], -v[158:159]
	scratch_store_b64 off, v[122:123], off offset:40
	s_wait_xcnt 0x0
	v_cmpx_lt_u32_e32 4, v0
	s_cbranch_execz .LBB122_355
; %bb.354:
	scratch_load_b64 v[122:123], off, off offset:32
	v_mov_b64_e32 v[124:125], 0
	scratch_store_b64 off, v[124:125], off offset:32
	s_wait_loadcnt 0x0
	ds_store_b64 v1, v[122:123]
.LBB122_355:
	s_wait_xcnt 0x0
	s_or_b32 exec_lo, exec_lo, s0
	s_wait_storecnt_dscnt 0x0
	s_barrier_signal -1
	s_barrier_wait -1
	s_clause 0x5
	scratch_load_b128 v[122:125], off, off offset:32
	scratch_load_b128 v[126:129], off, off offset:48
	;; [unrolled: 1-line block ×6, first 2 shown]
	ds_load_2addr_b64 v[146:149], v2 offset0:65 offset1:66
	ds_load_2addr_b64 v[150:153], v2 offset0:67 offset1:68
	scratch_load_b128 v[154:157], off, off offset:128
	s_mov_b32 s0, exec_lo
	s_wait_loadcnt_dscnt 0x601
	v_fma_f64 v[158:159], v[124:125], v[146:147], 0
	s_wait_loadcnt 0x5
	s_delay_alu instid0(VALU_DEP_1) | instskip(SKIP_4) | instid1(VALU_DEP_1)
	v_fmac_f64_e32 v[158:159], v[126:127], v[148:149]
	scratch_load_b128 v[124:127], off, off offset:144
	s_wait_dscnt 0x0
	v_fmac_f64_e32 v[158:159], v[128:129], v[150:151]
	s_wait_loadcnt 0x5
	v_fmac_f64_e32 v[158:159], v[130:131], v[152:153]
	ds_load_2addr_b64 v[128:131], v2 offset0:69 offset1:70
	ds_load_2addr_b64 v[146:149], v2 offset0:71 offset1:72
	scratch_load_b128 v[150:153], off, off offset:160
	s_wait_dscnt 0x1
	v_fmac_f64_e32 v[158:159], v[132:133], v[128:129]
	s_wait_loadcnt 0x5
	s_delay_alu instid0(VALU_DEP_1) | instskip(SKIP_4) | instid1(VALU_DEP_1)
	v_fmac_f64_e32 v[158:159], v[134:135], v[130:131]
	scratch_load_b128 v[128:131], off, off offset:176
	s_wait_dscnt 0x0
	v_fmac_f64_e32 v[158:159], v[136:137], v[146:147]
	s_wait_loadcnt 0x5
	v_fmac_f64_e32 v[158:159], v[138:139], v[148:149]
	ds_load_2addr_b64 v[132:135], v2 offset0:73 offset1:74
	ds_load_2addr_b64 v[136:139], v2 offset0:75 offset1:76
	scratch_load_b128 v[146:149], off, off offset:192
	s_wait_dscnt 0x1
	v_fmac_f64_e32 v[158:159], v[140:141], v[132:133]
	s_wait_loadcnt 0x5
	s_delay_alu instid0(VALU_DEP_1) | instskip(SKIP_4) | instid1(VALU_DEP_1)
	v_fmac_f64_e32 v[158:159], v[142:143], v[134:135]
	scratch_load_b128 v[132:135], off, off offset:208
	s_wait_dscnt 0x0
	v_fmac_f64_e32 v[158:159], v[144:145], v[136:137]
	s_wait_loadcnt 0x5
	v_fmac_f64_e32 v[158:159], v[154:155], v[138:139]
	ds_load_2addr_b64 v[136:139], v2 offset0:77 offset1:78
	ds_load_2addr_b64 v[140:143], v2 offset0:79 offset1:80
	s_wait_dscnt 0x1
	v_fmac_f64_e32 v[158:159], v[156:157], v[136:137]
	scratch_load_b128 v[154:157], off, off offset:224
	s_wait_loadcnt 0x5
	v_fmac_f64_e32 v[158:159], v[124:125], v[138:139]
	s_wait_dscnt 0x0
	s_delay_alu instid0(VALU_DEP_1)
	v_fmac_f64_e32 v[158:159], v[126:127], v[140:141]
	scratch_load_b128 v[124:127], off, off offset:240
	s_wait_loadcnt 0x5
	v_fmac_f64_e32 v[158:159], v[150:151], v[142:143]
	ds_load_2addr_b64 v[136:139], v2 offset0:81 offset1:82
	ds_load_2addr_b64 v[140:143], v2 offset0:83 offset1:84
	s_wait_dscnt 0x1
	v_fmac_f64_e32 v[158:159], v[152:153], v[136:137]
	scratch_load_b128 v[150:153], off, off offset:256
	s_wait_loadcnt 0x5
	v_fmac_f64_e32 v[158:159], v[128:129], v[138:139]
	s_wait_dscnt 0x0
	s_delay_alu instid0(VALU_DEP_1)
	v_fmac_f64_e32 v[158:159], v[130:131], v[140:141]
	scratch_load_b128 v[128:131], off, off offset:272
	s_wait_loadcnt 0x5
	v_fmac_f64_e32 v[158:159], v[146:147], v[142:143]
	ds_load_2addr_b64 v[136:139], v2 offset0:85 offset1:86
	ds_load_2addr_b64 v[140:143], v2 offset0:87 offset1:88
	scratch_load_b128 v[144:147], off, off offset:288
	s_wait_dscnt 0x1
	v_fmac_f64_e32 v[158:159], v[148:149], v[136:137]
	s_wait_loadcnt 0x5
	s_delay_alu instid0(VALU_DEP_1) | instskip(SKIP_1) | instid1(VALU_DEP_1)
	v_fmac_f64_e32 v[158:159], v[132:133], v[138:139]
	s_wait_dscnt 0x0
	v_fmac_f64_e32 v[158:159], v[134:135], v[140:141]
	scratch_load_b128 v[132:135], off, off offset:304
	s_wait_loadcnt 0x5
	v_fmac_f64_e32 v[158:159], v[154:155], v[142:143]
	ds_load_2addr_b64 v[136:139], v2 offset0:89 offset1:90
	ds_load_2addr_b64 v[140:143], v2 offset0:91 offset1:92
	s_wait_dscnt 0x1
	v_fmac_f64_e32 v[158:159], v[156:157], v[136:137]
	scratch_load_b128 v[154:157], off, off offset:320
	s_wait_loadcnt 0x5
	v_fmac_f64_e32 v[158:159], v[124:125], v[138:139]
	s_wait_dscnt 0x0
	s_delay_alu instid0(VALU_DEP_1)
	v_fmac_f64_e32 v[158:159], v[126:127], v[140:141]
	scratch_load_b128 v[124:127], off, off offset:336
	s_wait_loadcnt 0x5
	v_fmac_f64_e32 v[158:159], v[150:151], v[142:143]
	ds_load_2addr_b64 v[136:139], v2 offset0:93 offset1:94
	ds_load_2addr_b64 v[140:143], v2 offset0:95 offset1:96
	scratch_load_b128 v[148:151], off, off offset:352
	s_wait_dscnt 0x1
	v_fmac_f64_e32 v[158:159], v[152:153], v[136:137]
	s_wait_loadcnt 0x5
	s_delay_alu instid0(VALU_DEP_1) | instskip(SKIP_1) | instid1(VALU_DEP_1)
	v_fmac_f64_e32 v[158:159], v[128:129], v[138:139]
	s_wait_dscnt 0x0
	v_fmac_f64_e32 v[158:159], v[130:131], v[140:141]
	scratch_load_b128 v[128:131], off, off offset:368
	s_wait_loadcnt 0x5
	v_fmac_f64_e32 v[158:159], v[144:145], v[142:143]
	ds_load_2addr_b64 v[136:139], v2 offset0:97 offset1:98
	ds_load_2addr_b64 v[140:143], v2 offset0:99 offset1:100
	s_wait_dscnt 0x1
	v_fmac_f64_e32 v[158:159], v[146:147], v[136:137]
	scratch_load_b128 v[144:147], off, off offset:384
	s_wait_loadcnt 0x5
	v_fmac_f64_e32 v[158:159], v[132:133], v[138:139]
	s_wait_dscnt 0x0
	s_delay_alu instid0(VALU_DEP_1)
	v_fmac_f64_e32 v[158:159], v[134:135], v[140:141]
	scratch_load_b128 v[132:135], off, off offset:400
	s_wait_loadcnt 0x5
	v_fmac_f64_e32 v[158:159], v[154:155], v[142:143]
	ds_load_2addr_b64 v[136:139], v2 offset0:101 offset1:102
	ds_load_2addr_b64 v[140:143], v2 offset0:103 offset1:104
	s_wait_dscnt 0x1
	v_fmac_f64_e32 v[158:159], v[156:157], v[136:137]
	s_wait_loadcnt 0x4
	s_delay_alu instid0(VALU_DEP_1)
	v_fmac_f64_e32 v[158:159], v[124:125], v[138:139]
	scratch_load_b128 v[136:139], off, off offset:416
	s_wait_dscnt 0x0
	v_fmac_f64_e32 v[158:159], v[126:127], v[140:141]
	scratch_load_b128 v[124:127], off, off offset:432
	s_wait_loadcnt 0x5
	v_fmac_f64_e32 v[158:159], v[148:149], v[142:143]
	ds_load_2addr_b64 v[140:143], v2 offset0:105 offset1:106
	ds_load_2addr_b64 v[152:155], v2 offset0:107 offset1:108
	s_wait_dscnt 0x1
	v_fmac_f64_e32 v[158:159], v[150:151], v[140:141]
	s_wait_loadcnt 0x4
	s_delay_alu instid0(VALU_DEP_1) | instskip(SKIP_4) | instid1(VALU_DEP_1)
	v_fmac_f64_e32 v[158:159], v[128:129], v[142:143]
	scratch_load_b128 v[140:143], off, off offset:448
	s_wait_dscnt 0x0
	v_fmac_f64_e32 v[158:159], v[130:131], v[152:153]
	s_wait_loadcnt 0x4
	v_fmac_f64_e32 v[158:159], v[144:145], v[154:155]
	scratch_load_b64 v[144:145], off, off offset:464
	ds_load_2addr_b64 v[128:131], v2 offset0:109 offset1:110
	ds_load_2addr_b64 v[148:151], v2 offset0:111 offset1:112
	s_wait_dscnt 0x1
	v_fmac_f64_e32 v[158:159], v[146:147], v[128:129]
	s_wait_loadcnt 0x4
	s_delay_alu instid0(VALU_DEP_1) | instskip(SKIP_1) | instid1(VALU_DEP_1)
	v_fmac_f64_e32 v[158:159], v[132:133], v[130:131]
	s_wait_dscnt 0x0
	v_fmac_f64_e32 v[158:159], v[134:135], v[148:149]
	ds_load_2addr_b64 v[128:131], v2 offset0:113 offset1:114
	ds_load_2addr_b64 v[132:135], v2 offset0:115 offset1:116
	s_wait_loadcnt 0x3
	v_fmac_f64_e32 v[158:159], v[136:137], v[150:151]
	s_wait_dscnt 0x1
	s_delay_alu instid0(VALU_DEP_1) | instskip(SKIP_1) | instid1(VALU_DEP_1)
	v_fmac_f64_e32 v[158:159], v[138:139], v[128:129]
	s_wait_loadcnt 0x2
	v_fmac_f64_e32 v[158:159], v[124:125], v[130:131]
	s_wait_dscnt 0x0
	s_delay_alu instid0(VALU_DEP_1) | instskip(SKIP_4) | instid1(VALU_DEP_1)
	v_fmac_f64_e32 v[158:159], v[126:127], v[132:133]
	ds_load_2addr_b64 v[124:127], v2 offset0:117 offset1:118
	s_wait_loadcnt 0x1
	v_fmac_f64_e32 v[158:159], v[140:141], v[134:135]
	s_wait_dscnt 0x0
	v_fmac_f64_e32 v[158:159], v[142:143], v[124:125]
	s_wait_loadcnt 0x0
	s_delay_alu instid0(VALU_DEP_1) | instskip(NEXT) | instid1(VALU_DEP_1)
	v_fmac_f64_e32 v[158:159], v[144:145], v[126:127]
	v_add_f64_e64 v[2:3], v[122:123], -v[158:159]
	scratch_store_b64 off, v[2:3], off offset:32
	s_wait_xcnt 0x0
	v_cmpx_lt_u32_e32 3, v0
	s_cbranch_execz .LBB122_357
; %bb.356:
	scratch_load_b64 v[2:3], off, off offset:24
	v_mov_b64_e32 v[122:123], 0
	scratch_store_b64 off, v[122:123], off offset:24
	s_wait_loadcnt 0x0
	ds_store_b64 v1, v[2:3]
.LBB122_357:
	s_wait_xcnt 0x0
	s_or_b32 exec_lo, exec_lo, s0
	s_wait_storecnt_dscnt 0x0
	s_barrier_signal -1
	s_barrier_wait -1
	s_clause 0x5
	scratch_load_b128 v[122:125], off, off offset:24
	scratch_load_b128 v[126:129], off, off offset:40
	scratch_load_b128 v[130:133], off, off offset:56
	scratch_load_b128 v[134:137], off, off offset:72
	scratch_load_b128 v[138:141], off, off offset:88
	scratch_load_b128 v[142:145], off, off offset:104
	v_mov_b32_e32 v2, 0
	ds_load_b128 v[146:149], v2 offset:512
	ds_load_b128 v[150:153], v2 offset:528
	scratch_load_b128 v[154:157], off, off offset:120
	s_mov_b32 s0, exec_lo
	s_wait_loadcnt_dscnt 0x601
	v_fma_f64 v[158:159], v[124:125], v[146:147], 0
	s_wait_loadcnt 0x5
	s_delay_alu instid0(VALU_DEP_1) | instskip(SKIP_4) | instid1(VALU_DEP_1)
	v_fmac_f64_e32 v[158:159], v[126:127], v[148:149]
	scratch_load_b128 v[124:127], off, off offset:136
	s_wait_dscnt 0x0
	v_fmac_f64_e32 v[158:159], v[128:129], v[150:151]
	s_wait_loadcnt 0x5
	v_fmac_f64_e32 v[158:159], v[130:131], v[152:153]
	ds_load_b128 v[128:131], v2 offset:544
	ds_load_b128 v[146:149], v2 offset:560
	scratch_load_b128 v[150:153], off, off offset:152
	s_wait_dscnt 0x1
	v_fmac_f64_e32 v[158:159], v[132:133], v[128:129]
	s_wait_loadcnt 0x5
	s_delay_alu instid0(VALU_DEP_1) | instskip(SKIP_4) | instid1(VALU_DEP_1)
	v_fmac_f64_e32 v[158:159], v[134:135], v[130:131]
	scratch_load_b128 v[128:131], off, off offset:168
	s_wait_dscnt 0x0
	v_fmac_f64_e32 v[158:159], v[136:137], v[146:147]
	s_wait_loadcnt 0x5
	v_fmac_f64_e32 v[158:159], v[138:139], v[148:149]
	ds_load_b128 v[132:135], v2 offset:576
	ds_load_b128 v[136:139], v2 offset:592
	scratch_load_b128 v[146:149], off, off offset:184
	s_wait_dscnt 0x1
	v_fmac_f64_e32 v[158:159], v[140:141], v[132:133]
	s_wait_loadcnt 0x5
	s_delay_alu instid0(VALU_DEP_1) | instskip(SKIP_4) | instid1(VALU_DEP_1)
	v_fmac_f64_e32 v[158:159], v[142:143], v[134:135]
	scratch_load_b128 v[132:135], off, off offset:200
	s_wait_dscnt 0x0
	v_fmac_f64_e32 v[158:159], v[144:145], v[136:137]
	s_wait_loadcnt 0x5
	v_fmac_f64_e32 v[158:159], v[154:155], v[138:139]
	ds_load_b128 v[136:139], v2 offset:608
	ds_load_b128 v[140:143], v2 offset:624
	s_wait_dscnt 0x1
	v_fmac_f64_e32 v[158:159], v[156:157], v[136:137]
	scratch_load_b128 v[154:157], off, off offset:216
	s_wait_loadcnt 0x5
	v_fmac_f64_e32 v[158:159], v[124:125], v[138:139]
	s_wait_dscnt 0x0
	s_delay_alu instid0(VALU_DEP_1)
	v_fmac_f64_e32 v[158:159], v[126:127], v[140:141]
	scratch_load_b128 v[124:127], off, off offset:232
	s_wait_loadcnt 0x5
	v_fmac_f64_e32 v[158:159], v[150:151], v[142:143]
	ds_load_b128 v[136:139], v2 offset:640
	ds_load_b128 v[140:143], v2 offset:656
	s_wait_dscnt 0x1
	v_fmac_f64_e32 v[158:159], v[152:153], v[136:137]
	scratch_load_b128 v[150:153], off, off offset:248
	s_wait_loadcnt 0x5
	v_fmac_f64_e32 v[158:159], v[128:129], v[138:139]
	s_wait_dscnt 0x0
	s_delay_alu instid0(VALU_DEP_1)
	v_fmac_f64_e32 v[158:159], v[130:131], v[140:141]
	scratch_load_b128 v[128:131], off, off offset:264
	s_wait_loadcnt 0x5
	v_fmac_f64_e32 v[158:159], v[146:147], v[142:143]
	ds_load_b128 v[136:139], v2 offset:672
	ds_load_b128 v[140:143], v2 offset:688
	scratch_load_b128 v[144:147], off, off offset:280
	s_wait_dscnt 0x1
	v_fmac_f64_e32 v[158:159], v[148:149], v[136:137]
	s_wait_loadcnt 0x5
	s_delay_alu instid0(VALU_DEP_1) | instskip(SKIP_1) | instid1(VALU_DEP_1)
	v_fmac_f64_e32 v[158:159], v[132:133], v[138:139]
	s_wait_dscnt 0x0
	v_fmac_f64_e32 v[158:159], v[134:135], v[140:141]
	scratch_load_b128 v[132:135], off, off offset:296
	s_wait_loadcnt 0x5
	v_fmac_f64_e32 v[158:159], v[154:155], v[142:143]
	ds_load_b128 v[136:139], v2 offset:704
	ds_load_b128 v[140:143], v2 offset:720
	s_wait_dscnt 0x1
	v_fmac_f64_e32 v[158:159], v[156:157], v[136:137]
	scratch_load_b128 v[154:157], off, off offset:312
	s_wait_loadcnt 0x5
	v_fmac_f64_e32 v[158:159], v[124:125], v[138:139]
	s_wait_dscnt 0x0
	s_delay_alu instid0(VALU_DEP_1)
	v_fmac_f64_e32 v[158:159], v[126:127], v[140:141]
	scratch_load_b128 v[124:127], off, off offset:328
	s_wait_loadcnt 0x5
	v_fmac_f64_e32 v[158:159], v[150:151], v[142:143]
	ds_load_b128 v[136:139], v2 offset:736
	ds_load_b128 v[140:143], v2 offset:752
	scratch_load_b128 v[148:151], off, off offset:344
	s_wait_dscnt 0x1
	v_fmac_f64_e32 v[158:159], v[152:153], v[136:137]
	s_wait_loadcnt 0x5
	s_delay_alu instid0(VALU_DEP_1) | instskip(SKIP_1) | instid1(VALU_DEP_1)
	v_fmac_f64_e32 v[158:159], v[128:129], v[138:139]
	s_wait_dscnt 0x0
	v_fmac_f64_e32 v[158:159], v[130:131], v[140:141]
	scratch_load_b128 v[128:131], off, off offset:360
	s_wait_loadcnt 0x5
	v_fmac_f64_e32 v[158:159], v[144:145], v[142:143]
	ds_load_b128 v[136:139], v2 offset:768
	ds_load_b128 v[140:143], v2 offset:784
	s_wait_dscnt 0x1
	v_fmac_f64_e32 v[158:159], v[146:147], v[136:137]
	scratch_load_b128 v[144:147], off, off offset:376
	s_wait_loadcnt 0x5
	v_fmac_f64_e32 v[158:159], v[132:133], v[138:139]
	s_wait_dscnt 0x0
	s_delay_alu instid0(VALU_DEP_1)
	v_fmac_f64_e32 v[158:159], v[134:135], v[140:141]
	scratch_load_b128 v[132:135], off, off offset:392
	s_wait_loadcnt 0x5
	v_fmac_f64_e32 v[158:159], v[154:155], v[142:143]
	ds_load_b128 v[136:139], v2 offset:800
	ds_load_b128 v[140:143], v2 offset:816
	s_wait_dscnt 0x1
	v_fmac_f64_e32 v[158:159], v[156:157], v[136:137]
	s_wait_loadcnt 0x4
	s_delay_alu instid0(VALU_DEP_1)
	v_fmac_f64_e32 v[158:159], v[124:125], v[138:139]
	scratch_load_b128 v[136:139], off, off offset:408
	s_wait_dscnt 0x0
	v_fmac_f64_e32 v[158:159], v[126:127], v[140:141]
	scratch_load_b128 v[124:127], off, off offset:424
	s_wait_loadcnt 0x5
	v_fmac_f64_e32 v[158:159], v[148:149], v[142:143]
	ds_load_b128 v[140:143], v2 offset:832
	ds_load_b128 v[152:155], v2 offset:848
	s_wait_dscnt 0x1
	v_fmac_f64_e32 v[158:159], v[150:151], v[140:141]
	s_wait_loadcnt 0x4
	s_delay_alu instid0(VALU_DEP_1)
	v_fmac_f64_e32 v[158:159], v[128:129], v[142:143]
	scratch_load_b128 v[140:143], off, off offset:440
	s_wait_dscnt 0x0
	v_fmac_f64_e32 v[158:159], v[130:131], v[152:153]
	scratch_load_b128 v[128:131], off, off offset:456
	s_wait_loadcnt 0x5
	v_fmac_f64_e32 v[158:159], v[144:145], v[154:155]
	ds_load_b128 v[148:151], v2 offset:864
	ds_load_b128 v[152:155], v2 offset:880
	s_wait_dscnt 0x1
	v_fmac_f64_e32 v[158:159], v[146:147], v[148:149]
	s_wait_loadcnt 0x4
	s_delay_alu instid0(VALU_DEP_1) | instskip(SKIP_1) | instid1(VALU_DEP_1)
	v_fmac_f64_e32 v[158:159], v[132:133], v[150:151]
	s_wait_dscnt 0x0
	v_fmac_f64_e32 v[158:159], v[134:135], v[152:153]
	ds_load_b128 v[132:135], v2 offset:896
	ds_load_b128 v[144:147], v2 offset:912
	s_wait_loadcnt 0x3
	v_fmac_f64_e32 v[158:159], v[136:137], v[154:155]
	s_wait_dscnt 0x1
	s_delay_alu instid0(VALU_DEP_1) | instskip(SKIP_1) | instid1(VALU_DEP_1)
	v_fmac_f64_e32 v[158:159], v[138:139], v[132:133]
	s_wait_loadcnt 0x2
	v_fmac_f64_e32 v[158:159], v[124:125], v[134:135]
	s_wait_dscnt 0x0
	s_delay_alu instid0(VALU_DEP_1)
	v_fmac_f64_e32 v[158:159], v[126:127], v[144:145]
	ds_load_b128 v[124:127], v2 offset:928
	ds_load_b64 v[132:133], v2 offset:944
	s_wait_loadcnt 0x1
	v_fmac_f64_e32 v[158:159], v[140:141], v[146:147]
	s_wait_dscnt 0x1
	s_delay_alu instid0(VALU_DEP_1) | instskip(SKIP_1) | instid1(VALU_DEP_1)
	v_fmac_f64_e32 v[158:159], v[142:143], v[124:125]
	s_wait_loadcnt 0x0
	v_fmac_f64_e32 v[158:159], v[128:129], v[126:127]
	s_wait_dscnt 0x0
	s_delay_alu instid0(VALU_DEP_1) | instskip(NEXT) | instid1(VALU_DEP_1)
	v_fmac_f64_e32 v[158:159], v[130:131], v[132:133]
	v_add_f64_e64 v[122:123], v[122:123], -v[158:159]
	scratch_store_b64 off, v[122:123], off offset:24
	s_wait_xcnt 0x0
	v_cmpx_lt_u32_e32 2, v0
	s_cbranch_execz .LBB122_359
; %bb.358:
	scratch_load_b64 v[122:123], off, off offset:16
	v_mov_b64_e32 v[124:125], 0
	scratch_store_b64 off, v[124:125], off offset:16
	s_wait_loadcnt 0x0
	ds_store_b64 v1, v[122:123]
.LBB122_359:
	s_wait_xcnt 0x0
	s_or_b32 exec_lo, exec_lo, s0
	s_wait_storecnt_dscnt 0x0
	s_barrier_signal -1
	s_barrier_wait -1
	s_clause 0x5
	scratch_load_b128 v[122:125], off, off offset:16
	scratch_load_b128 v[126:129], off, off offset:32
	;; [unrolled: 1-line block ×6, first 2 shown]
	ds_load_2addr_b64 v[146:149], v2 offset0:63 offset1:64
	ds_load_2addr_b64 v[150:153], v2 offset0:65 offset1:66
	scratch_load_b128 v[154:157], off, off offset:112
	s_mov_b32 s0, exec_lo
	s_wait_loadcnt_dscnt 0x601
	v_fma_f64 v[158:159], v[124:125], v[146:147], 0
	s_wait_loadcnt 0x5
	s_delay_alu instid0(VALU_DEP_1) | instskip(SKIP_4) | instid1(VALU_DEP_1)
	v_fmac_f64_e32 v[158:159], v[126:127], v[148:149]
	scratch_load_b128 v[124:127], off, off offset:128
	s_wait_dscnt 0x0
	v_fmac_f64_e32 v[158:159], v[128:129], v[150:151]
	s_wait_loadcnt 0x5
	v_fmac_f64_e32 v[158:159], v[130:131], v[152:153]
	ds_load_2addr_b64 v[128:131], v2 offset0:67 offset1:68
	ds_load_2addr_b64 v[146:149], v2 offset0:69 offset1:70
	scratch_load_b128 v[150:153], off, off offset:144
	s_wait_dscnt 0x1
	v_fmac_f64_e32 v[158:159], v[132:133], v[128:129]
	s_wait_loadcnt 0x5
	s_delay_alu instid0(VALU_DEP_1) | instskip(SKIP_4) | instid1(VALU_DEP_1)
	v_fmac_f64_e32 v[158:159], v[134:135], v[130:131]
	scratch_load_b128 v[128:131], off, off offset:160
	s_wait_dscnt 0x0
	v_fmac_f64_e32 v[158:159], v[136:137], v[146:147]
	s_wait_loadcnt 0x5
	v_fmac_f64_e32 v[158:159], v[138:139], v[148:149]
	ds_load_2addr_b64 v[132:135], v2 offset0:71 offset1:72
	ds_load_2addr_b64 v[136:139], v2 offset0:73 offset1:74
	scratch_load_b128 v[146:149], off, off offset:176
	s_wait_dscnt 0x1
	v_fmac_f64_e32 v[158:159], v[140:141], v[132:133]
	s_wait_loadcnt 0x5
	s_delay_alu instid0(VALU_DEP_1) | instskip(SKIP_4) | instid1(VALU_DEP_1)
	v_fmac_f64_e32 v[158:159], v[142:143], v[134:135]
	scratch_load_b128 v[132:135], off, off offset:192
	s_wait_dscnt 0x0
	v_fmac_f64_e32 v[158:159], v[144:145], v[136:137]
	s_wait_loadcnt 0x5
	v_fmac_f64_e32 v[158:159], v[154:155], v[138:139]
	ds_load_2addr_b64 v[136:139], v2 offset0:75 offset1:76
	ds_load_2addr_b64 v[140:143], v2 offset0:77 offset1:78
	s_wait_dscnt 0x1
	v_fmac_f64_e32 v[158:159], v[156:157], v[136:137]
	scratch_load_b128 v[154:157], off, off offset:208
	s_wait_loadcnt 0x5
	v_fmac_f64_e32 v[158:159], v[124:125], v[138:139]
	s_wait_dscnt 0x0
	s_delay_alu instid0(VALU_DEP_1)
	v_fmac_f64_e32 v[158:159], v[126:127], v[140:141]
	scratch_load_b128 v[124:127], off, off offset:224
	s_wait_loadcnt 0x5
	v_fmac_f64_e32 v[158:159], v[150:151], v[142:143]
	ds_load_2addr_b64 v[136:139], v2 offset0:79 offset1:80
	ds_load_2addr_b64 v[140:143], v2 offset0:81 offset1:82
	s_wait_dscnt 0x1
	v_fmac_f64_e32 v[158:159], v[152:153], v[136:137]
	scratch_load_b128 v[150:153], off, off offset:240
	s_wait_loadcnt 0x5
	v_fmac_f64_e32 v[158:159], v[128:129], v[138:139]
	s_wait_dscnt 0x0
	s_delay_alu instid0(VALU_DEP_1)
	v_fmac_f64_e32 v[158:159], v[130:131], v[140:141]
	scratch_load_b128 v[128:131], off, off offset:256
	s_wait_loadcnt 0x5
	v_fmac_f64_e32 v[158:159], v[146:147], v[142:143]
	ds_load_2addr_b64 v[136:139], v2 offset0:83 offset1:84
	ds_load_2addr_b64 v[140:143], v2 offset0:85 offset1:86
	scratch_load_b128 v[144:147], off, off offset:272
	s_wait_dscnt 0x1
	v_fmac_f64_e32 v[158:159], v[148:149], v[136:137]
	s_wait_loadcnt 0x5
	s_delay_alu instid0(VALU_DEP_1) | instskip(SKIP_1) | instid1(VALU_DEP_1)
	v_fmac_f64_e32 v[158:159], v[132:133], v[138:139]
	s_wait_dscnt 0x0
	v_fmac_f64_e32 v[158:159], v[134:135], v[140:141]
	scratch_load_b128 v[132:135], off, off offset:288
	s_wait_loadcnt 0x5
	v_fmac_f64_e32 v[158:159], v[154:155], v[142:143]
	ds_load_2addr_b64 v[136:139], v2 offset0:87 offset1:88
	ds_load_2addr_b64 v[140:143], v2 offset0:89 offset1:90
	s_wait_dscnt 0x1
	v_fmac_f64_e32 v[158:159], v[156:157], v[136:137]
	scratch_load_b128 v[154:157], off, off offset:304
	s_wait_loadcnt 0x5
	v_fmac_f64_e32 v[158:159], v[124:125], v[138:139]
	s_wait_dscnt 0x0
	s_delay_alu instid0(VALU_DEP_1)
	v_fmac_f64_e32 v[158:159], v[126:127], v[140:141]
	scratch_load_b128 v[124:127], off, off offset:320
	s_wait_loadcnt 0x5
	v_fmac_f64_e32 v[158:159], v[150:151], v[142:143]
	ds_load_2addr_b64 v[136:139], v2 offset0:91 offset1:92
	ds_load_2addr_b64 v[140:143], v2 offset0:93 offset1:94
	scratch_load_b128 v[148:151], off, off offset:336
	s_wait_dscnt 0x1
	v_fmac_f64_e32 v[158:159], v[152:153], v[136:137]
	s_wait_loadcnt 0x5
	s_delay_alu instid0(VALU_DEP_1) | instskip(SKIP_1) | instid1(VALU_DEP_1)
	v_fmac_f64_e32 v[158:159], v[128:129], v[138:139]
	s_wait_dscnt 0x0
	v_fmac_f64_e32 v[158:159], v[130:131], v[140:141]
	scratch_load_b128 v[128:131], off, off offset:352
	s_wait_loadcnt 0x5
	v_fmac_f64_e32 v[158:159], v[144:145], v[142:143]
	ds_load_2addr_b64 v[136:139], v2 offset0:95 offset1:96
	ds_load_2addr_b64 v[140:143], v2 offset0:97 offset1:98
	s_wait_dscnt 0x1
	v_fmac_f64_e32 v[158:159], v[146:147], v[136:137]
	scratch_load_b128 v[144:147], off, off offset:368
	s_wait_loadcnt 0x5
	v_fmac_f64_e32 v[158:159], v[132:133], v[138:139]
	s_wait_dscnt 0x0
	s_delay_alu instid0(VALU_DEP_1)
	v_fmac_f64_e32 v[158:159], v[134:135], v[140:141]
	scratch_load_b128 v[132:135], off, off offset:384
	s_wait_loadcnt 0x5
	v_fmac_f64_e32 v[158:159], v[154:155], v[142:143]
	ds_load_2addr_b64 v[136:139], v2 offset0:99 offset1:100
	ds_load_2addr_b64 v[140:143], v2 offset0:101 offset1:102
	s_wait_dscnt 0x1
	v_fmac_f64_e32 v[158:159], v[156:157], v[136:137]
	s_wait_loadcnt 0x4
	s_delay_alu instid0(VALU_DEP_1)
	v_fmac_f64_e32 v[158:159], v[124:125], v[138:139]
	scratch_load_b128 v[136:139], off, off offset:400
	s_wait_dscnt 0x0
	v_fmac_f64_e32 v[158:159], v[126:127], v[140:141]
	scratch_load_b128 v[124:127], off, off offset:416
	s_wait_loadcnt 0x5
	v_fmac_f64_e32 v[158:159], v[148:149], v[142:143]
	ds_load_2addr_b64 v[140:143], v2 offset0:103 offset1:104
	ds_load_2addr_b64 v[152:155], v2 offset0:105 offset1:106
	s_wait_dscnt 0x1
	v_fmac_f64_e32 v[158:159], v[150:151], v[140:141]
	s_wait_loadcnt 0x4
	s_delay_alu instid0(VALU_DEP_1)
	v_fmac_f64_e32 v[158:159], v[128:129], v[142:143]
	scratch_load_b128 v[140:143], off, off offset:432
	s_wait_dscnt 0x0
	v_fmac_f64_e32 v[158:159], v[130:131], v[152:153]
	scratch_load_b128 v[128:131], off, off offset:448
	s_wait_loadcnt 0x5
	v_fmac_f64_e32 v[158:159], v[144:145], v[154:155]
	ds_load_2addr_b64 v[148:151], v2 offset0:107 offset1:108
	ds_load_2addr_b64 v[152:155], v2 offset0:109 offset1:110
	s_wait_dscnt 0x1
	v_fmac_f64_e32 v[158:159], v[146:147], v[148:149]
	scratch_load_b64 v[148:149], off, off offset:464
	s_wait_loadcnt 0x5
	v_fmac_f64_e32 v[158:159], v[132:133], v[150:151]
	s_wait_dscnt 0x0
	s_delay_alu instid0(VALU_DEP_1)
	v_fmac_f64_e32 v[158:159], v[134:135], v[152:153]
	ds_load_2addr_b64 v[132:135], v2 offset0:111 offset1:112
	ds_load_2addr_b64 v[144:147], v2 offset0:113 offset1:114
	s_wait_loadcnt 0x4
	v_fmac_f64_e32 v[158:159], v[136:137], v[154:155]
	s_wait_dscnt 0x1
	s_delay_alu instid0(VALU_DEP_1) | instskip(SKIP_1) | instid1(VALU_DEP_1)
	v_fmac_f64_e32 v[158:159], v[138:139], v[132:133]
	s_wait_loadcnt 0x3
	v_fmac_f64_e32 v[158:159], v[124:125], v[134:135]
	s_wait_dscnt 0x0
	s_delay_alu instid0(VALU_DEP_1)
	v_fmac_f64_e32 v[158:159], v[126:127], v[144:145]
	ds_load_2addr_b64 v[124:127], v2 offset0:115 offset1:116
	ds_load_2addr_b64 v[132:135], v2 offset0:117 offset1:118
	s_wait_loadcnt 0x2
	v_fmac_f64_e32 v[158:159], v[140:141], v[146:147]
	s_wait_dscnt 0x1
	s_delay_alu instid0(VALU_DEP_1) | instskip(SKIP_1) | instid1(VALU_DEP_1)
	v_fmac_f64_e32 v[158:159], v[142:143], v[124:125]
	s_wait_loadcnt 0x1
	v_fmac_f64_e32 v[158:159], v[128:129], v[126:127]
	s_wait_dscnt 0x0
	s_delay_alu instid0(VALU_DEP_1) | instskip(SKIP_1) | instid1(VALU_DEP_1)
	v_fmac_f64_e32 v[158:159], v[130:131], v[132:133]
	s_wait_loadcnt 0x0
	v_fmac_f64_e32 v[158:159], v[148:149], v[134:135]
	s_delay_alu instid0(VALU_DEP_1)
	v_add_f64_e64 v[2:3], v[122:123], -v[158:159]
	scratch_store_b64 off, v[2:3], off offset:16
	s_wait_xcnt 0x0
	v_cmpx_lt_u32_e32 1, v0
	s_cbranch_execz .LBB122_361
; %bb.360:
	scratch_load_b64 v[2:3], off, off offset:8
	v_mov_b64_e32 v[122:123], 0
	scratch_store_b64 off, v[122:123], off offset:8
	s_wait_loadcnt 0x0
	ds_store_b64 v1, v[2:3]
.LBB122_361:
	s_wait_xcnt 0x0
	s_or_b32 exec_lo, exec_lo, s0
	s_wait_storecnt_dscnt 0x0
	s_barrier_signal -1
	s_barrier_wait -1
	s_clause 0x5
	scratch_load_b128 v[124:127], off, off offset:8
	scratch_load_b128 v[128:131], off, off offset:24
	;; [unrolled: 1-line block ×6, first 2 shown]
	v_dual_mov_b32 v122, 0 :: v_dual_ashrrev_i32 v9, 31, v8
	ds_load_b128 v[148:151], v122 offset:496
	ds_load_b128 v[152:155], v122 offset:512
	scratch_load_b128 v[156:159], off, off offset:104
	v_dual_ashrrev_i32 v11, 31, v10 :: v_dual_ashrrev_i32 v13, 31, v12
	v_dual_ashrrev_i32 v15, 31, v14 :: v_dual_ashrrev_i32 v17, 31, v16
	;; [unrolled: 1-line block ×27, first 2 shown]
	v_ashrrev_i32_e32 v119, 31, v118
	s_mov_b32 s0, exec_lo
	v_ashrrev_i32_e32 v73, 31, v72
	s_wait_loadcnt_dscnt 0x601
	v_fma_f64 v[2:3], v[126:127], v[148:149], 0
	s_wait_loadcnt 0x5
	s_delay_alu instid0(VALU_DEP_1) | instskip(SKIP_4) | instid1(VALU_DEP_1)
	v_fmac_f64_e32 v[2:3], v[128:129], v[150:151]
	scratch_load_b128 v[126:129], off, off offset:120
	s_wait_dscnt 0x0
	v_fmac_f64_e32 v[2:3], v[130:131], v[152:153]
	s_wait_loadcnt 0x5
	v_fmac_f64_e32 v[2:3], v[132:133], v[154:155]
	ds_load_b128 v[130:133], v122 offset:528
	ds_load_b128 v[148:151], v122 offset:544
	scratch_load_b128 v[152:155], off, off offset:136
	s_wait_dscnt 0x1
	v_fmac_f64_e32 v[2:3], v[134:135], v[130:131]
	s_wait_loadcnt 0x5
	s_delay_alu instid0(VALU_DEP_1) | instskip(SKIP_4) | instid1(VALU_DEP_1)
	v_fmac_f64_e32 v[2:3], v[136:137], v[132:133]
	scratch_load_b128 v[130:133], off, off offset:152
	s_wait_dscnt 0x0
	v_fmac_f64_e32 v[2:3], v[138:139], v[148:149]
	s_wait_loadcnt 0x5
	v_fmac_f64_e32 v[2:3], v[140:141], v[150:151]
	ds_load_b128 v[134:137], v122 offset:560
	ds_load_b128 v[138:141], v122 offset:576
	scratch_load_b128 v[148:151], off, off offset:168
	s_wait_dscnt 0x1
	v_fmac_f64_e32 v[2:3], v[142:143], v[134:135]
	s_wait_loadcnt 0x5
	s_delay_alu instid0(VALU_DEP_1) | instskip(SKIP_4) | instid1(VALU_DEP_1)
	v_fmac_f64_e32 v[2:3], v[144:145], v[136:137]
	scratch_load_b128 v[134:137], off, off offset:184
	s_wait_dscnt 0x0
	v_fmac_f64_e32 v[2:3], v[146:147], v[138:139]
	s_wait_loadcnt 0x5
	v_fmac_f64_e32 v[2:3], v[156:157], v[140:141]
	ds_load_b128 v[138:141], v122 offset:592
	ds_load_b128 v[142:145], v122 offset:608
	s_wait_dscnt 0x1
	v_fmac_f64_e32 v[2:3], v[158:159], v[138:139]
	scratch_load_b128 v[156:159], off, off offset:200
	s_wait_loadcnt 0x5
	v_fmac_f64_e32 v[2:3], v[126:127], v[140:141]
	s_wait_dscnt 0x0
	s_delay_alu instid0(VALU_DEP_1)
	v_fmac_f64_e32 v[2:3], v[128:129], v[142:143]
	scratch_load_b128 v[126:129], off, off offset:216
	s_wait_loadcnt 0x5
	v_fmac_f64_e32 v[2:3], v[152:153], v[144:145]
	ds_load_b128 v[138:141], v122 offset:624
	ds_load_b128 v[142:145], v122 offset:640
	s_wait_dscnt 0x1
	v_fmac_f64_e32 v[2:3], v[154:155], v[138:139]
	scratch_load_b128 v[152:155], off, off offset:232
	s_wait_loadcnt 0x5
	v_fmac_f64_e32 v[2:3], v[130:131], v[140:141]
	s_wait_dscnt 0x0
	s_delay_alu instid0(VALU_DEP_1)
	v_fmac_f64_e32 v[2:3], v[132:133], v[142:143]
	scratch_load_b128 v[130:133], off, off offset:248
	s_wait_loadcnt 0x5
	v_fmac_f64_e32 v[2:3], v[148:149], v[144:145]
	ds_load_b128 v[138:141], v122 offset:656
	ds_load_b128 v[142:145], v122 offset:672
	scratch_load_b128 v[146:149], off, off offset:264
	s_wait_dscnt 0x1
	v_fmac_f64_e32 v[2:3], v[150:151], v[138:139]
	s_wait_loadcnt 0x5
	s_delay_alu instid0(VALU_DEP_1) | instskip(SKIP_1) | instid1(VALU_DEP_1)
	v_fmac_f64_e32 v[2:3], v[134:135], v[140:141]
	s_wait_dscnt 0x0
	v_fmac_f64_e32 v[2:3], v[136:137], v[142:143]
	scratch_load_b128 v[134:137], off, off offset:280
	s_wait_loadcnt 0x5
	v_fmac_f64_e32 v[2:3], v[156:157], v[144:145]
	ds_load_b128 v[138:141], v122 offset:688
	ds_load_b128 v[142:145], v122 offset:704
	s_wait_dscnt 0x1
	v_fmac_f64_e32 v[2:3], v[158:159], v[138:139]
	scratch_load_b128 v[156:159], off, off offset:296
	s_wait_loadcnt 0x5
	v_fmac_f64_e32 v[2:3], v[126:127], v[140:141]
	s_wait_dscnt 0x0
	s_delay_alu instid0(VALU_DEP_1)
	v_fmac_f64_e32 v[2:3], v[128:129], v[142:143]
	scratch_load_b128 v[126:129], off, off offset:312
	s_wait_loadcnt 0x5
	v_fmac_f64_e32 v[2:3], v[152:153], v[144:145]
	ds_load_b128 v[138:141], v122 offset:720
	ds_load_b128 v[142:145], v122 offset:736
	scratch_load_b128 v[150:153], off, off offset:328
	s_wait_dscnt 0x1
	v_fmac_f64_e32 v[2:3], v[154:155], v[138:139]
	s_wait_loadcnt 0x5
	s_delay_alu instid0(VALU_DEP_1) | instskip(SKIP_1) | instid1(VALU_DEP_1)
	v_fmac_f64_e32 v[2:3], v[130:131], v[140:141]
	s_wait_dscnt 0x0
	v_fmac_f64_e32 v[2:3], v[132:133], v[142:143]
	scratch_load_b128 v[130:133], off, off offset:344
	s_wait_loadcnt 0x5
	v_fmac_f64_e32 v[2:3], v[146:147], v[144:145]
	ds_load_b128 v[138:141], v122 offset:752
	ds_load_b128 v[142:145], v122 offset:768
	s_wait_dscnt 0x1
	v_fmac_f64_e32 v[2:3], v[148:149], v[138:139]
	scratch_load_b128 v[146:149], off, off offset:360
	s_wait_loadcnt 0x5
	v_fmac_f64_e32 v[2:3], v[134:135], v[140:141]
	s_wait_dscnt 0x0
	s_delay_alu instid0(VALU_DEP_1)
	v_fmac_f64_e32 v[2:3], v[136:137], v[142:143]
	scratch_load_b128 v[134:137], off, off offset:376
	s_wait_loadcnt 0x5
	v_fmac_f64_e32 v[2:3], v[156:157], v[144:145]
	ds_load_b128 v[138:141], v122 offset:784
	ds_load_b128 v[142:145], v122 offset:800
	s_wait_dscnt 0x1
	v_fmac_f64_e32 v[2:3], v[158:159], v[138:139]
	s_wait_loadcnt 0x4
	s_delay_alu instid0(VALU_DEP_1)
	v_fmac_f64_e32 v[2:3], v[126:127], v[140:141]
	scratch_load_b128 v[138:141], off, off offset:392
	s_wait_dscnt 0x0
	v_fmac_f64_e32 v[2:3], v[128:129], v[142:143]
	scratch_load_b128 v[126:129], off, off offset:408
	s_wait_loadcnt 0x5
	v_fmac_f64_e32 v[2:3], v[150:151], v[144:145]
	ds_load_b128 v[142:145], v122 offset:816
	ds_load_b128 v[154:157], v122 offset:832
	s_wait_dscnt 0x1
	v_fmac_f64_e32 v[2:3], v[152:153], v[142:143]
	s_wait_loadcnt 0x4
	s_delay_alu instid0(VALU_DEP_1)
	v_fmac_f64_e32 v[2:3], v[130:131], v[144:145]
	scratch_load_b128 v[142:145], off, off offset:424
	s_wait_dscnt 0x0
	v_fmac_f64_e32 v[2:3], v[132:133], v[154:155]
	scratch_load_b128 v[130:133], off, off offset:440
	s_wait_loadcnt 0x5
	v_fmac_f64_e32 v[2:3], v[146:147], v[156:157]
	ds_load_b128 v[150:153], v122 offset:848
	ds_load_b128 v[154:157], v122 offset:864
	s_wait_dscnt 0x1
	v_fmac_f64_e32 v[2:3], v[148:149], v[150:151]
	scratch_load_b128 v[146:149], off, off offset:456
	s_wait_loadcnt 0x5
	v_fmac_f64_e32 v[2:3], v[134:135], v[152:153]
	s_wait_dscnt 0x0
	s_delay_alu instid0(VALU_DEP_1)
	v_fmac_f64_e32 v[2:3], v[136:137], v[154:155]
	ds_load_b128 v[134:137], v122 offset:880
	ds_load_b128 v[150:153], v122 offset:896
	s_wait_loadcnt 0x4
	v_fmac_f64_e32 v[2:3], v[138:139], v[156:157]
	s_wait_dscnt 0x1
	s_delay_alu instid0(VALU_DEP_1) | instskip(SKIP_1) | instid1(VALU_DEP_1)
	v_fmac_f64_e32 v[2:3], v[140:141], v[134:135]
	s_wait_loadcnt 0x3
	v_fmac_f64_e32 v[2:3], v[126:127], v[136:137]
	s_wait_dscnt 0x0
	s_delay_alu instid0(VALU_DEP_1)
	v_fmac_f64_e32 v[2:3], v[128:129], v[150:151]
	ds_load_b128 v[126:129], v122 offset:912
	ds_load_b128 v[134:137], v122 offset:928
	s_wait_loadcnt 0x2
	v_fmac_f64_e32 v[2:3], v[142:143], v[152:153]
	s_wait_dscnt 0x1
	s_delay_alu instid0(VALU_DEP_1) | instskip(SKIP_4) | instid1(VALU_DEP_1)
	v_fmac_f64_e32 v[2:3], v[144:145], v[126:127]
	ds_load_b64 v[126:127], v122 offset:944
	s_wait_loadcnt 0x1
	v_fmac_f64_e32 v[2:3], v[130:131], v[128:129]
	s_wait_dscnt 0x1
	v_fmac_f64_e32 v[2:3], v[132:133], v[134:135]
	s_wait_loadcnt 0x0
	s_delay_alu instid0(VALU_DEP_1) | instskip(SKIP_1) | instid1(VALU_DEP_1)
	v_fmac_f64_e32 v[2:3], v[146:147], v[136:137]
	s_wait_dscnt 0x0
	v_fmac_f64_e32 v[2:3], v[148:149], v[126:127]
	s_delay_alu instid0(VALU_DEP_1)
	v_add_f64_e64 v[2:3], v[124:125], -v[2:3]
	scratch_store_b64 off, v[2:3], off offset:8
	s_wait_xcnt 0x0
	v_cmpx_ne_u32_e32 0, v0
	s_cbranch_execz .LBB122_363
; %bb.362:
	scratch_load_b64 v[2:3], off, off
	v_mov_b64_e32 v[124:125], 0
	scratch_store_b64 off, v[124:125], off
	s_wait_loadcnt 0x0
	ds_store_b64 v1, v[2:3]
.LBB122_363:
	s_wait_xcnt 0x0
	s_or_b32 exec_lo, exec_lo, s0
	s_wait_storecnt_dscnt 0x0
	s_barrier_signal -1
	s_barrier_wait -1
	s_clause 0x5
	scratch_load_b128 v[124:127], off, off
	scratch_load_b128 v[0:3], off, off offset:16
	scratch_load_b128 v[128:131], off, off offset:32
	;; [unrolled: 1-line block ×5, first 2 shown]
	ds_load_2addr_b64 v[144:147], v122 offset0:61 offset1:62
	scratch_load_b128 v[148:151], off, off offset:96
	s_and_b32 vcc_lo, exec_lo, s12
	s_wait_loadcnt_dscnt 0x600
	v_fma_f64 v[154:155], v[126:127], v[144:145], 0
	s_wait_loadcnt 0x5
	s_delay_alu instid0(VALU_DEP_1)
	v_fmac_f64_e32 v[154:155], v[0:1], v[146:147]
	ds_load_2addr_b64 v[144:147], v122 offset0:63 offset1:64
	s_wait_dscnt 0x0
	v_fmac_f64_e32 v[154:155], v[2:3], v[144:145]
	scratch_load_b128 v[0:3], off, off offset:112
	s_wait_loadcnt 0x5
	v_fmac_f64_e32 v[154:155], v[128:129], v[146:147]
	ds_load_2addr_b64 v[126:129], v122 offset0:65 offset1:66
	scratch_load_b128 v[144:147], off, off offset:128
	s_wait_dscnt 0x0
	v_fmac_f64_e32 v[154:155], v[130:131], v[126:127]
	s_wait_loadcnt 0x5
	s_delay_alu instid0(VALU_DEP_1)
	v_fmac_f64_e32 v[154:155], v[132:133], v[128:129]
	ds_load_2addr_b64 v[126:129], v122 offset0:67 offset1:68
	scratch_load_b128 v[130:133], off, off offset:144
	s_wait_dscnt 0x0
	v_fmac_f64_e32 v[154:155], v[134:135], v[126:127]
	s_wait_loadcnt 0x5
	s_delay_alu instid0(VALU_DEP_1)
	;; [unrolled: 7-line block ×4, first 2 shown]
	v_fmac_f64_e32 v[154:155], v[148:149], v[128:129]
	ds_load_2addr_b64 v[126:129], v122 offset0:73 offset1:74
	s_wait_dscnt 0x0
	v_fmac_f64_e32 v[154:155], v[150:151], v[126:127]
	scratch_load_b128 v[148:151], off, off offset:192
	s_wait_loadcnt 0x5
	v_fmac_f64_e32 v[154:155], v[0:1], v[128:129]
	ds_load_2addr_b64 v[126:129], v122 offset0:75 offset1:76
	s_wait_dscnt 0x0
	v_fmac_f64_e32 v[154:155], v[2:3], v[126:127]
	scratch_load_b128 v[0:3], off, off offset:208
	s_wait_loadcnt 0x5
	v_fmac_f64_e32 v[154:155], v[144:145], v[128:129]
	ds_load_2addr_b64 v[126:129], v122 offset0:77 offset1:78
	scratch_load_b128 v[142:145], off, off offset:224
	s_wait_dscnt 0x0
	v_fmac_f64_e32 v[154:155], v[146:147], v[126:127]
	s_wait_loadcnt 0x5
	s_delay_alu instid0(VALU_DEP_1)
	v_fmac_f64_e32 v[154:155], v[130:131], v[128:129]
	ds_load_2addr_b64 v[126:129], v122 offset0:79 offset1:80
	s_wait_dscnt 0x0
	v_fmac_f64_e32 v[154:155], v[132:133], v[126:127]
	scratch_load_b128 v[130:133], off, off offset:240
	s_wait_loadcnt 0x5
	v_fmac_f64_e32 v[154:155], v[134:135], v[128:129]
	ds_load_2addr_b64 v[126:129], v122 offset0:81 offset1:82
	s_wait_dscnt 0x0
	v_fmac_f64_e32 v[154:155], v[136:137], v[126:127]
	scratch_load_b128 v[134:137], off, off offset:256
	s_wait_loadcnt 0x5
	;; [unrolled: 6-line block ×3, first 2 shown]
	v_fmac_f64_e32 v[154:155], v[148:149], v[128:129]
	ds_load_2addr_b64 v[126:129], v122 offset0:85 offset1:86
	scratch_load_b128 v[146:149], off, off offset:288
	s_wait_dscnt 0x0
	v_fmac_f64_e32 v[154:155], v[150:151], v[126:127]
	scratch_load_b128 v[150:153], off, off offset:400
	s_wait_loadcnt 0x6
	v_fmac_f64_e32 v[154:155], v[0:1], v[128:129]
	ds_load_2addr_b64 v[126:129], v122 offset0:87 offset1:88
	s_wait_dscnt 0x0
	v_fmac_f64_e32 v[154:155], v[2:3], v[126:127]
	scratch_load_b128 v[0:3], off, off offset:304
	s_wait_loadcnt 0x6
	v_fmac_f64_e32 v[154:155], v[142:143], v[128:129]
	ds_load_2addr_b64 v[126:129], v122 offset0:89 offset1:90
	;; [unrolled: 6-line block ×7, first 2 shown]
	s_wait_dscnt 0x0
	v_fmac_f64_e32 v[154:155], v[2:3], v[126:127]
	ds_load_2addr_b64 v[0:3], v122 offset0:101 offset1:102
	s_wait_loadcnt 0x4
	v_fmac_f64_e32 v[154:155], v[142:143], v[128:129]
	scratch_load_b128 v[126:129], off, off offset:416
	s_wait_dscnt 0x0
	v_fmac_f64_e32 v[154:155], v[144:145], v[0:1]
	ds_load_2addr_b64 v[142:145], v122 offset0:105 offset1:106
	s_wait_loadcnt 0x4
	v_fmac_f64_e32 v[154:155], v[130:131], v[2:3]
	ds_load_2addr_b64 v[0:3], v122 offset0:103 offset1:104
	s_wait_dscnt 0x0
	v_fmac_f64_e32 v[154:155], v[132:133], v[0:1]
	scratch_load_b128 v[130:133], off, off offset:432
	s_wait_loadcnt 0x4
	v_fmac_f64_e32 v[154:155], v[134:135], v[2:3]
	scratch_load_b128 v[0:3], off, off offset:448
	v_fmac_f64_e32 v[154:155], v[136:137], v[142:143]
	ds_load_2addr_b64 v[134:137], v122 offset0:107 offset1:108
	s_wait_loadcnt 0x4
	v_fmac_f64_e32 v[154:155], v[138:139], v[144:145]
	scratch_load_b64 v[138:139], off, off offset:464
	s_wait_dscnt 0x0
	v_fmac_f64_e32 v[154:155], v[140:141], v[134:135]
	s_wait_loadcnt 0x4
	s_delay_alu instid0(VALU_DEP_1) | instskip(SKIP_3) | instid1(VALU_DEP_1)
	v_fmac_f64_e32 v[154:155], v[146:147], v[136:137]
	ds_load_2addr_b64 v[134:137], v122 offset0:109 offset1:110
	s_wait_dscnt 0x0
	v_fmac_f64_e32 v[154:155], v[148:149], v[134:135]
	v_fmac_f64_e32 v[154:155], v[150:151], v[136:137]
	ds_load_2addr_b64 v[134:137], v122 offset0:111 offset1:112
	s_wait_dscnt 0x0
	v_fmac_f64_e32 v[154:155], v[152:153], v[134:135]
	s_wait_loadcnt 0x3
	s_delay_alu instid0(VALU_DEP_1)
	v_fmac_f64_e32 v[154:155], v[126:127], v[136:137]
	ds_load_2addr_b64 v[134:137], v122 offset0:113 offset1:114
	s_wait_dscnt 0x0
	v_fmac_f64_e32 v[154:155], v[128:129], v[134:135]
	ds_load_2addr_b64 v[126:129], v122 offset0:115 offset1:116
	s_wait_loadcnt 0x2
	v_fmac_f64_e32 v[154:155], v[130:131], v[136:137]
	s_wait_dscnt 0x0
	s_delay_alu instid0(VALU_DEP_1) | instskip(SKIP_1) | instid1(VALU_DEP_1)
	v_fmac_f64_e32 v[154:155], v[132:133], v[126:127]
	s_wait_loadcnt 0x1
	v_fmac_f64_e32 v[154:155], v[0:1], v[128:129]
	ds_load_2addr_b64 v[126:129], v122 offset0:117 offset1:118
	s_wait_dscnt 0x0
	v_fmac_f64_e32 v[154:155], v[2:3], v[126:127]
	s_wait_loadcnt 0x0
	s_delay_alu instid0(VALU_DEP_1) | instskip(NEXT) | instid1(VALU_DEP_1)
	v_fmac_f64_e32 v[154:155], v[138:139], v[128:129]
	v_add_f64_e64 v[128:129], v[124:125], -v[154:155]
	scratch_store_b64 off, v[128:129], off
	s_cbranch_vccz .LBB122_480
; %bb.364:
	v_mov_b32_e32 v0, 0
	global_load_b32 v1, v0, s[8:9] offset:228
	s_wait_loadcnt 0x0
	v_cmp_ne_u32_e32 vcc_lo, 58, v1
	s_cbranch_vccz .LBB122_366
; %bb.365:
	v_lshlrev_b32_e32 v1, 3, v1
	scratch_load_b64 v[122:123], v1, off offset:-8
	s_wait_loadcnt 0x0
	scratch_store_b64 off, v[122:123], off offset:456
	scratch_store_b64 v1, v[2:3], off offset:-8
.LBB122_366:
	global_load_b32 v0, v0, s[8:9] offset:224
	s_wait_loadcnt 0x0
	v_cmp_eq_u32_e32 vcc_lo, 57, v0
	s_cbranch_vccnz .LBB122_368
; %bb.367:
	s_wait_xcnt 0x0
	v_lshlrev_b32_e32 v0, 3, v0
	s_delay_alu instid0(VALU_DEP_1)
	v_mov_b32_e32 v122, v0
	scratch_load_b64 v[0:1], v122, off offset:-8
	scratch_load_b64 v[2:3], off, off offset:448
	s_wait_loadcnt 0x1
	scratch_store_b64 off, v[0:1], off offset:448
	s_wait_loadcnt 0x0
	scratch_store_b64 v122, v[2:3], off offset:-8
.LBB122_368:
	s_wait_xcnt 0x0
	v_mov_b32_e32 v0, 0
	global_load_b32 v1, v0, s[8:9] offset:220
	s_wait_loadcnt 0x0
	v_cmp_eq_u32_e32 vcc_lo, 56, v1
	s_cbranch_vccnz .LBB122_370
; %bb.369:
	v_lshlrev_b32_e32 v1, 3, v1
	scratch_load_b64 v[2:3], v1, off offset:-8
	scratch_load_b64 v[122:123], off, off offset:440
	s_wait_loadcnt 0x1
	scratch_store_b64 off, v[2:3], off offset:440
	s_wait_loadcnt 0x0
	scratch_store_b64 v1, v[122:123], off offset:-8
.LBB122_370:
	global_load_b32 v0, v0, s[8:9] offset:216
	s_wait_loadcnt 0x0
	v_cmp_eq_u32_e32 vcc_lo, 55, v0
	s_cbranch_vccnz .LBB122_372
; %bb.371:
	s_wait_xcnt 0x0
	v_lshlrev_b32_e32 v0, 3, v0
	s_delay_alu instid0(VALU_DEP_1)
	v_mov_b32_e32 v122, v0
	scratch_load_b64 v[0:1], v122, off offset:-8
	scratch_load_b64 v[2:3], off, off offset:432
	s_wait_loadcnt 0x1
	scratch_store_b64 off, v[0:1], off offset:432
	s_wait_loadcnt 0x0
	scratch_store_b64 v122, v[2:3], off offset:-8
.LBB122_372:
	s_wait_xcnt 0x0
	v_mov_b32_e32 v0, 0
	global_load_b32 v1, v0, s[8:9] offset:212
	s_wait_loadcnt 0x0
	v_cmp_eq_u32_e32 vcc_lo, 54, v1
	s_cbranch_vccnz .LBB122_374
; %bb.373:
	v_lshlrev_b32_e32 v1, 3, v1
	scratch_load_b64 v[2:3], v1, off offset:-8
	scratch_load_b64 v[122:123], off, off offset:424
	s_wait_loadcnt 0x1
	scratch_store_b64 off, v[2:3], off offset:424
	s_wait_loadcnt 0x0
	scratch_store_b64 v1, v[122:123], off offset:-8
.LBB122_374:
	;; [unrolled: 31-line block ×28, first 2 shown]
	global_load_b32 v0, v0, s[8:9]
	scratch_load_b64 v[128:129], off, off
	s_wait_loadcnt 0x1
	v_cmp_eq_u32_e32 vcc_lo, 1, v0
	s_cbranch_vccnz .LBB122_480
; %bb.479:
	s_wait_xcnt 0x1
	v_lshlrev_b32_e32 v0, 3, v0
	s_delay_alu instid0(VALU_DEP_1)
	v_mov_b32_e32 v2, v0
	scratch_load_b64 v[0:1], v2, off offset:-8
	s_wait_loadcnt 0x0
	scratch_store_b64 off, v[0:1], off
	scratch_store_b64 v2, v[128:129], off offset:-8
	scratch_load_b64 v[128:129], off, off
.LBB122_480:
	s_wait_loadcnt 0x0
	flat_store_b64 v[4:5], v[128:129]
	scratch_load_b64 v[4:5], off, off offset:8
	v_lshl_add_u64 v[176:177], v[8:9], 3, s[2:3]
	v_lshl_add_u64 v[174:175], v[10:11], 3, s[2:3]
	;; [unrolled: 1-line block ×57, first 2 shown]
	s_wait_loadcnt 0x0
	flat_store_b64 v[6:7], v[4:5]
	scratch_load_b64 v[4:5], off, off offset:16
	s_wait_loadcnt 0x0
	flat_store_b64 v[176:177], v[4:5]
	scratch_load_b64 v[4:5], off, off offset:24
	;; [unrolled: 3-line block ×57, first 2 shown]
	s_wait_loadcnt 0x0
	flat_store_b64 v[0:1], v[2:3]
	s_sendmsg sendmsg(MSG_DEALLOC_VGPRS)
	s_endpgm
	.section	.rodata,"a",@progbits
	.p2align	6, 0x0
	.amdhsa_kernel _ZN9rocsolver6v33100L18getri_kernel_smallILi59EdPKPdEEvT1_iilPiilS6_bb
		.amdhsa_group_segment_fixed_size 952
		.amdhsa_private_segment_fixed_size 480
		.amdhsa_kernarg_size 60
		.amdhsa_user_sgpr_count 2
		.amdhsa_user_sgpr_dispatch_ptr 0
		.amdhsa_user_sgpr_queue_ptr 0
		.amdhsa_user_sgpr_kernarg_segment_ptr 1
		.amdhsa_user_sgpr_dispatch_id 0
		.amdhsa_user_sgpr_kernarg_preload_length 0
		.amdhsa_user_sgpr_kernarg_preload_offset 0
		.amdhsa_user_sgpr_private_segment_size 0
		.amdhsa_wavefront_size32 1
		.amdhsa_uses_dynamic_stack 0
		.amdhsa_enable_private_segment 1
		.amdhsa_system_sgpr_workgroup_id_x 1
		.amdhsa_system_sgpr_workgroup_id_y 0
		.amdhsa_system_sgpr_workgroup_id_z 0
		.amdhsa_system_sgpr_workgroup_info 0
		.amdhsa_system_vgpr_workitem_id 0
		.amdhsa_next_free_vgpr 178
		.amdhsa_next_free_sgpr 19
		.amdhsa_named_barrier_count 0
		.amdhsa_reserve_vcc 1
		.amdhsa_float_round_mode_32 0
		.amdhsa_float_round_mode_16_64 0
		.amdhsa_float_denorm_mode_32 3
		.amdhsa_float_denorm_mode_16_64 3
		.amdhsa_fp16_overflow 0
		.amdhsa_memory_ordered 1
		.amdhsa_forward_progress 1
		.amdhsa_inst_pref_size 255
		.amdhsa_round_robin_scheduling 0
		.amdhsa_exception_fp_ieee_invalid_op 0
		.amdhsa_exception_fp_denorm_src 0
		.amdhsa_exception_fp_ieee_div_zero 0
		.amdhsa_exception_fp_ieee_overflow 0
		.amdhsa_exception_fp_ieee_underflow 0
		.amdhsa_exception_fp_ieee_inexact 0
		.amdhsa_exception_int_div_zero 0
	.end_amdhsa_kernel
	.section	.text._ZN9rocsolver6v33100L18getri_kernel_smallILi59EdPKPdEEvT1_iilPiilS6_bb,"axG",@progbits,_ZN9rocsolver6v33100L18getri_kernel_smallILi59EdPKPdEEvT1_iilPiilS6_bb,comdat
.Lfunc_end122:
	.size	_ZN9rocsolver6v33100L18getri_kernel_smallILi59EdPKPdEEvT1_iilPiilS6_bb, .Lfunc_end122-_ZN9rocsolver6v33100L18getri_kernel_smallILi59EdPKPdEEvT1_iilPiilS6_bb
                                        ; -- End function
	.set _ZN9rocsolver6v33100L18getri_kernel_smallILi59EdPKPdEEvT1_iilPiilS6_bb.num_vgpr, 178
	.set _ZN9rocsolver6v33100L18getri_kernel_smallILi59EdPKPdEEvT1_iilPiilS6_bb.num_agpr, 0
	.set _ZN9rocsolver6v33100L18getri_kernel_smallILi59EdPKPdEEvT1_iilPiilS6_bb.numbered_sgpr, 19
	.set _ZN9rocsolver6v33100L18getri_kernel_smallILi59EdPKPdEEvT1_iilPiilS6_bb.num_named_barrier, 0
	.set _ZN9rocsolver6v33100L18getri_kernel_smallILi59EdPKPdEEvT1_iilPiilS6_bb.private_seg_size, 480
	.set _ZN9rocsolver6v33100L18getri_kernel_smallILi59EdPKPdEEvT1_iilPiilS6_bb.uses_vcc, 1
	.set _ZN9rocsolver6v33100L18getri_kernel_smallILi59EdPKPdEEvT1_iilPiilS6_bb.uses_flat_scratch, 1
	.set _ZN9rocsolver6v33100L18getri_kernel_smallILi59EdPKPdEEvT1_iilPiilS6_bb.has_dyn_sized_stack, 0
	.set _ZN9rocsolver6v33100L18getri_kernel_smallILi59EdPKPdEEvT1_iilPiilS6_bb.has_recursion, 0
	.set _ZN9rocsolver6v33100L18getri_kernel_smallILi59EdPKPdEEvT1_iilPiilS6_bb.has_indirect_call, 0
	.section	.AMDGPU.csdata,"",@progbits
; Kernel info:
; codeLenInByte = 62036
; TotalNumSgprs: 21
; NumVgprs: 178
; ScratchSize: 480
; MemoryBound: 0
; FloatMode: 240
; IeeeMode: 1
; LDSByteSize: 952 bytes/workgroup (compile time only)
; SGPRBlocks: 0
; VGPRBlocks: 11
; NumSGPRsForWavesPerEU: 21
; NumVGPRsForWavesPerEU: 178
; NamedBarCnt: 0
; Occupancy: 5
; WaveLimiterHint : 1
; COMPUTE_PGM_RSRC2:SCRATCH_EN: 1
; COMPUTE_PGM_RSRC2:USER_SGPR: 2
; COMPUTE_PGM_RSRC2:TRAP_HANDLER: 0
; COMPUTE_PGM_RSRC2:TGID_X_EN: 1
; COMPUTE_PGM_RSRC2:TGID_Y_EN: 0
; COMPUTE_PGM_RSRC2:TGID_Z_EN: 0
; COMPUTE_PGM_RSRC2:TIDIG_COMP_CNT: 0
	.section	.text._ZN9rocsolver6v33100L18getri_kernel_smallILi60EdPKPdEEvT1_iilPiilS6_bb,"axG",@progbits,_ZN9rocsolver6v33100L18getri_kernel_smallILi60EdPKPdEEvT1_iilPiilS6_bb,comdat
	.globl	_ZN9rocsolver6v33100L18getri_kernel_smallILi60EdPKPdEEvT1_iilPiilS6_bb ; -- Begin function _ZN9rocsolver6v33100L18getri_kernel_smallILi60EdPKPdEEvT1_iilPiilS6_bb
	.p2align	8
	.type	_ZN9rocsolver6v33100L18getri_kernel_smallILi60EdPKPdEEvT1_iilPiilS6_bb,@function
_ZN9rocsolver6v33100L18getri_kernel_smallILi60EdPKPdEEvT1_iilPiilS6_bb: ; @_ZN9rocsolver6v33100L18getri_kernel_smallILi60EdPKPdEEvT1_iilPiilS6_bb
; %bb.0:
	s_mov_b32 s2, exec_lo
	v_cmpx_gt_u32_e32 60, v0
	s_cbranch_execz .LBB123_250
; %bb.1:
	s_clause 0x1
	s_load_b32 s13, s[0:1], 0x38
	s_load_b64 s[2:3], s[0:1], 0x0
	s_getreg_b32 s6, hwreg(HW_REG_IB_STS2, 6, 4)
	s_wait_kmcnt 0x0
	s_bitcmp1_b32 s13, 8
	s_cselect_b32 s12, -1, 0
	s_bfe_u32 s4, ttmp6, 0x4000c
	s_and_b32 s5, ttmp6, 15
	s_add_co_i32 s4, s4, 1
	s_delay_alu instid0(SALU_CYCLE_1) | instskip(NEXT) | instid1(SALU_CYCLE_1)
	s_mul_i32 s4, ttmp9, s4
	s_add_co_i32 s5, s5, s4
	s_cmp_eq_u32 s6, 0
	s_cselect_b32 s10, ttmp9, s5
	s_load_b128 s[4:7], s[0:1], 0x28
	s_ashr_i32 s11, s10, 31
	s_delay_alu instid0(SALU_CYCLE_1) | instskip(NEXT) | instid1(SALU_CYCLE_1)
	s_lshl_b64 s[8:9], s[10:11], 3
	s_add_nc_u64 s[2:3], s[2:3], s[8:9]
	s_bfe_u32 s8, s13, 0x10008
	s_load_b64 s[2:3], s[2:3], 0x0
	s_cmp_eq_u32 s8, 0
                                        ; implicit-def: $sgpr8_sgpr9
	s_cbranch_scc1 .LBB123_3
; %bb.2:
	s_load_b96 s[16:18], s[0:1], 0x18
	s_wait_kmcnt 0x0
	s_mul_u64 s[4:5], s[4:5], s[10:11]
	s_delay_alu instid0(SALU_CYCLE_1) | instskip(SKIP_4) | instid1(SALU_CYCLE_1)
	s_lshl_b64 s[4:5], s[4:5], 2
	s_ashr_i32 s9, s18, 31
	s_mov_b32 s8, s18
	s_add_nc_u64 s[4:5], s[16:17], s[4:5]
	s_lshl_b64 s[8:9], s[8:9], 2
	s_add_nc_u64 s[8:9], s[4:5], s[8:9]
.LBB123_3:
	s_wait_kmcnt 0x0
	s_clause 0x1
	s_load_b64 s[4:5], s[0:1], 0x8
	s_load_b32 s13, s[0:1], 0x38
	v_dual_mov_b32 v3, 0 :: v_dual_lshlrev_b32 v2, 3, v0
	s_wait_kmcnt 0x0
	s_ashr_i32 s1, s4, 31
	s_mov_b32 s0, s4
	s_delay_alu instid0(SALU_CYCLE_1) | instskip(NEXT) | instid1(SALU_CYCLE_1)
	s_lshl_b64 s[0:1], s[0:1], 3
	s_add_nc_u64 s[2:3], s[2:3], s[0:1]
	s_ashr_i32 s1, s5, 31
	flat_load_b64 v[8:9], v0, s[2:3] scale_offset
	v_add_nc_u64_e32 v[4:5], s[2:3], v[2:3]
	s_mov_b32 s0, s5
	s_bitcmp0_b32 s13, 0
	s_delay_alu instid0(VALU_DEP_1)
	v_lshl_add_u64 v[6:7], s[0:1], 3, v[4:5]
	s_mov_b32 s1, -1
	s_wait_loadcnt_dscnt 0x0
	scratch_store_b64 off, v[8:9], off
	flat_load_b64 v[10:11], v[6:7]
	s_wait_xcnt 0x1
	v_add3_u32 v8, s5, s5, v0
	s_wait_loadcnt_dscnt 0x0
	scratch_store_b64 off, v[10:11], off offset:8
	flat_load_b64 v[12:13], v8, s[2:3] scale_offset
	s_wait_xcnt 0x1
	v_add_nc_u32_e32 v10, s5, v8
	s_wait_loadcnt_dscnt 0x0
	scratch_store_b64 off, v[12:13], off offset:16
	flat_load_b64 v[14:15], v10, s[2:3] scale_offset
	s_wait_xcnt 0x1
	v_add_nc_u32_e32 v12, s5, v10
	;; [unrolled: 5-line block ×57, first 2 shown]
	s_wait_loadcnt_dscnt 0x0
	scratch_store_b64 off, v[124:125], off offset:464
	flat_load_b64 v[124:125], v122, s[2:3] scale_offset
	s_wait_loadcnt_dscnt 0x0
	scratch_store_b64 off, v[124:125], off offset:472
	s_cbranch_scc1 .LBB123_248
; %bb.4:
	v_cmp_eq_u32_e64 s0, 0, v0
	s_wait_xcnt 0x0
	s_and_saveexec_b32 s1, s0
; %bb.5:
	v_mov_b32_e32 v1, 0
	ds_store_b32 v1, v1 offset:960
; %bb.6:
	s_or_b32 exec_lo, exec_lo, s1
	s_wait_storecnt_dscnt 0x0
	s_barrier_signal -1
	s_barrier_wait -1
	scratch_load_b64 v[124:125], v0, off scale_offset
	s_mov_b32 s4, exec_lo
	s_wait_loadcnt 0x0
	v_cmpx_eq_f64_e32 0, v[124:125]
	s_cbranch_execz .LBB123_10
; %bb.7:
	v_mov_b32_e32 v1, 0
	s_mov_b32 s5, 0
	ds_load_b32 v3, v1 offset:960
	s_wait_dscnt 0x0
	v_readfirstlane_b32 s1, v3
	v_add_nc_u32_e32 v3, 1, v0
	s_cmp_eq_u32 s1, 0
	s_delay_alu instid0(VALU_DEP_1) | instskip(SKIP_1) | instid1(SALU_CYCLE_1)
	v_cmp_gt_i32_e32 vcc_lo, s1, v3
	s_cselect_b32 s13, -1, 0
	s_or_b32 s13, s13, vcc_lo
	s_delay_alu instid0(SALU_CYCLE_1)
	s_and_b32 exec_lo, exec_lo, s13
	s_cbranch_execz .LBB123_10
; %bb.8:
	v_mov_b32_e32 v9, s1
.LBB123_9:                              ; =>This Inner Loop Header: Depth=1
	ds_cmpstore_rtn_b32 v9, v1, v3, v9 offset:960
	s_wait_dscnt 0x0
	v_cmp_ne_u32_e32 vcc_lo, 0, v9
	v_cmp_le_i32_e64 s1, v9, v3
	s_and_b32 s1, vcc_lo, s1
	s_delay_alu instid0(SALU_CYCLE_1) | instskip(NEXT) | instid1(SALU_CYCLE_1)
	s_and_b32 s1, exec_lo, s1
	s_or_b32 s5, s1, s5
	s_delay_alu instid0(SALU_CYCLE_1)
	s_and_not1_b32 exec_lo, exec_lo, s5
	s_cbranch_execnz .LBB123_9
.LBB123_10:
	s_or_b32 exec_lo, exec_lo, s4
	v_mov_b32_e32 v1, 0
	s_barrier_signal -1
	s_barrier_wait -1
	ds_load_b32 v3, v1 offset:960
	s_and_saveexec_b32 s1, s0
	s_cbranch_execz .LBB123_12
; %bb.11:
	s_lshl_b64 s[4:5], s[10:11], 2
	s_delay_alu instid0(SALU_CYCLE_1)
	s_add_nc_u64 s[4:5], s[6:7], s[4:5]
	s_wait_dscnt 0x0
	global_store_b32 v1, v3, s[4:5]
.LBB123_12:
	s_wait_xcnt 0x0
	s_or_b32 exec_lo, exec_lo, s1
	s_wait_dscnt 0x0
	v_cmp_ne_u32_e32 vcc_lo, 0, v3
	s_mov_b32 s1, 0
	s_cbranch_vccnz .LBB123_248
; %bb.13:
	v_lshl_add_u32 v3, v0, 3, 0
	v_add_nc_u32_e32 v1, 0x1e0, v2
	scratch_load_b64 v[124:125], v3, off
	s_wait_loadcnt 0x0
	v_div_scale_f64 v[126:127], null, v[124:125], v[124:125], 1.0
	v_div_scale_f64 v[132:133], vcc_lo, 1.0, v[124:125], 1.0
	s_delay_alu instid0(VALU_DEP_2) | instskip(SKIP_1) | instid1(TRANS32_DEP_1)
	v_rcp_f64_e32 v[128:129], v[126:127]
	v_nop
	v_fma_f64 v[130:131], -v[126:127], v[128:129], 1.0
	s_delay_alu instid0(VALU_DEP_1) | instskip(NEXT) | instid1(VALU_DEP_1)
	v_fmac_f64_e32 v[128:129], v[128:129], v[130:131]
	v_fma_f64 v[130:131], -v[126:127], v[128:129], 1.0
	s_delay_alu instid0(VALU_DEP_1) | instskip(NEXT) | instid1(VALU_DEP_1)
	v_fmac_f64_e32 v[128:129], v[128:129], v[130:131]
	v_mul_f64_e32 v[130:131], v[132:133], v[128:129]
	s_delay_alu instid0(VALU_DEP_1) | instskip(NEXT) | instid1(VALU_DEP_1)
	v_fma_f64 v[126:127], -v[126:127], v[130:131], v[132:133]
	v_div_fmas_f64 v[126:127], v[126:127], v[128:129], v[130:131]
	s_delay_alu instid0(VALU_DEP_1)
	v_div_fixup_f64 v[124:125], v[126:127], v[124:125], 1.0
	scratch_store_b64 v3, v[124:125], off
	scratch_load_b64 v[126:127], off, off offset:8
	s_wait_xcnt 0x1
	v_xor_b32_e32 v125, 0x80000000, v125
	s_wait_loadcnt 0x0
	ds_store_2addr_b64 v2, v[124:125], v[126:127] offset1:60
	s_wait_storecnt_dscnt 0x0
	s_barrier_signal -1
	s_barrier_wait -1
	s_wait_xcnt 0x0
	s_and_saveexec_b32 s1, s0
	s_cbranch_execz .LBB123_15
; %bb.14:
	scratch_load_b64 v[124:125], v3, off
	ds_load_b64 v[126:127], v1
	s_wait_loadcnt_dscnt 0x0
	v_fma_f64 v[124:125], v[124:125], v[126:127], 0
	v_mov_b32_e32 v9, 0
	ds_load_b64 v[128:129], v9 offset:8
	s_wait_dscnt 0x0
	v_mul_f64_e32 v[124:125], v[124:125], v[128:129]
	scratch_store_b64 off, v[124:125], off offset:8
.LBB123_15:
	s_wait_xcnt 0x0
	s_or_b32 exec_lo, exec_lo, s1
	s_wait_storecnt 0x0
	s_barrier_signal -1
	s_barrier_wait -1
	scratch_load_b64 v[124:125], off, off offset:16
	s_mov_b32 s1, exec_lo
	s_wait_loadcnt 0x0
	ds_store_b64 v1, v[124:125]
	s_wait_dscnt 0x0
	s_barrier_signal -1
	s_barrier_wait -1
	v_cmpx_gt_u32_e32 2, v0
	s_cbranch_execz .LBB123_19
; %bb.16:
	scratch_load_b64 v[124:125], v3, off
	ds_load_b64 v[126:127], v1
	s_wait_loadcnt_dscnt 0x0
	v_fma_f64 v[124:125], v[124:125], v[126:127], 0
	s_and_saveexec_b32 s4, s0
	s_cbranch_execz .LBB123_18
; %bb.17:
	scratch_load_b64 v[126:127], off, off offset:8
	v_mov_b32_e32 v3, 0
	ds_load_b64 v[128:129], v3 offset:488
	s_wait_loadcnt_dscnt 0x0
	v_fmac_f64_e32 v[124:125], v[126:127], v[128:129]
.LBB123_18:
	s_or_b32 exec_lo, exec_lo, s4
	v_mov_b32_e32 v3, 0
	ds_load_b64 v[126:127], v3 offset:16
	s_wait_dscnt 0x0
	v_mul_f64_e32 v[124:125], v[124:125], v[126:127]
	scratch_store_b64 off, v[124:125], off offset:16
.LBB123_19:
	s_wait_xcnt 0x0
	s_or_b32 exec_lo, exec_lo, s1
	s_wait_storecnt 0x0
	s_barrier_signal -1
	s_barrier_wait -1
	scratch_load_b64 v[124:125], off, off offset:24
	v_add_nc_u32_e32 v3, -1, v0
	s_mov_b32 s0, exec_lo
	s_wait_loadcnt 0x0
	ds_store_b64 v1, v[124:125]
	s_wait_dscnt 0x0
	s_barrier_signal -1
	s_barrier_wait -1
	v_cmpx_gt_u32_e32 3, v0
	s_cbranch_execz .LBB123_23
; %bb.20:
	v_mov_b64_e32 v[124:125], 0
	v_dual_add_nc_u32 v9, -1, v0 :: v_dual_mov_b32 v13, v2
	v_add_nc_u32_e32 v11, 0x1e0, v2
	s_mov_b32 s1, 0
.LBB123_21:                             ; =>This Inner Loop Header: Depth=1
	scratch_load_b64 v[126:127], v13, off
	ds_load_b64 v[128:129], v11
	v_dual_add_nc_u32 v9, 1, v9 :: v_dual_add_nc_u32 v11, 8, v11
	s_wait_xcnt 0x0
	v_add_nc_u32_e32 v13, 8, v13
	s_delay_alu instid0(VALU_DEP_2)
	v_cmp_lt_u32_e32 vcc_lo, 1, v9
	s_or_b32 s1, vcc_lo, s1
	s_wait_loadcnt_dscnt 0x0
	v_fmac_f64_e32 v[124:125], v[126:127], v[128:129]
	s_and_not1_b32 exec_lo, exec_lo, s1
	s_cbranch_execnz .LBB123_21
; %bb.22:
	s_or_b32 exec_lo, exec_lo, s1
	v_mov_b32_e32 v9, 0
	ds_load_b64 v[126:127], v9 offset:24
	s_wait_dscnt 0x0
	v_mul_f64_e32 v[124:125], v[124:125], v[126:127]
	scratch_store_b64 off, v[124:125], off offset:24
.LBB123_23:
	s_wait_xcnt 0x0
	s_or_b32 exec_lo, exec_lo, s0
	s_wait_storecnt 0x0
	s_barrier_signal -1
	s_barrier_wait -1
	scratch_load_b64 v[124:125], off, off offset:32
	s_mov_b32 s0, exec_lo
	s_wait_loadcnt 0x0
	ds_store_b64 v1, v[124:125]
	s_wait_dscnt 0x0
	s_barrier_signal -1
	s_barrier_wait -1
	v_cmpx_gt_u32_e32 4, v0
	s_cbranch_execz .LBB123_27
; %bb.24:
	v_mov_b64_e32 v[124:125], 0
	v_dual_add_nc_u32 v9, -1, v0 :: v_dual_mov_b32 v13, v2
	v_add_nc_u32_e32 v11, 0x1e0, v2
	s_mov_b32 s1, 0
.LBB123_25:                             ; =>This Inner Loop Header: Depth=1
	scratch_load_b64 v[126:127], v13, off
	ds_load_b64 v[128:129], v11
	v_dual_add_nc_u32 v9, 1, v9 :: v_dual_add_nc_u32 v11, 8, v11
	s_wait_xcnt 0x0
	v_add_nc_u32_e32 v13, 8, v13
	s_delay_alu instid0(VALU_DEP_2)
	v_cmp_lt_u32_e32 vcc_lo, 2, v9
	s_or_b32 s1, vcc_lo, s1
	s_wait_loadcnt_dscnt 0x0
	v_fmac_f64_e32 v[124:125], v[126:127], v[128:129]
	s_and_not1_b32 exec_lo, exec_lo, s1
	s_cbranch_execnz .LBB123_25
; %bb.26:
	s_or_b32 exec_lo, exec_lo, s1
	v_mov_b32_e32 v9, 0
	ds_load_b64 v[126:127], v9 offset:32
	s_wait_dscnt 0x0
	v_mul_f64_e32 v[124:125], v[124:125], v[126:127]
	scratch_store_b64 off, v[124:125], off offset:32
.LBB123_27:
	s_wait_xcnt 0x0
	s_or_b32 exec_lo, exec_lo, s0
	s_wait_storecnt 0x0
	s_barrier_signal -1
	s_barrier_wait -1
	scratch_load_b64 v[124:125], off, off offset:40
	;; [unrolled: 40-line block ×20, first 2 shown]
	s_mov_b32 s0, exec_lo
	s_wait_loadcnt 0x0
	ds_store_b64 v1, v[124:125]
	s_wait_dscnt 0x0
	s_barrier_signal -1
	s_barrier_wait -1
	v_cmpx_gt_u32_e32 23, v0
	s_cbranch_execz .LBB123_103
; %bb.100:
	v_mov_b64_e32 v[124:125], 0
	v_dual_add_nc_u32 v9, -1, v0 :: v_dual_mov_b32 v13, v2
	v_add_nc_u32_e32 v11, 0x1e0, v2
	s_mov_b32 s1, 0
.LBB123_101:                            ; =>This Inner Loop Header: Depth=1
	scratch_load_b64 v[126:127], v13, off
	ds_load_b64 v[128:129], v11
	v_dual_add_nc_u32 v9, 1, v9 :: v_dual_add_nc_u32 v11, 8, v11
	s_wait_xcnt 0x0
	v_add_nc_u32_e32 v13, 8, v13
	s_delay_alu instid0(VALU_DEP_2)
	v_cmp_lt_u32_e32 vcc_lo, 21, v9
	s_or_b32 s1, vcc_lo, s1
	s_wait_loadcnt_dscnt 0x0
	v_fmac_f64_e32 v[124:125], v[126:127], v[128:129]
	s_and_not1_b32 exec_lo, exec_lo, s1
	s_cbranch_execnz .LBB123_101
; %bb.102:
	s_or_b32 exec_lo, exec_lo, s1
	v_mov_b32_e32 v9, 0
	ds_load_b64 v[126:127], v9 offset:184
	s_wait_dscnt 0x0
	v_mul_f64_e32 v[124:125], v[124:125], v[126:127]
	scratch_store_b64 off, v[124:125], off offset:184
.LBB123_103:
	s_wait_xcnt 0x0
	s_or_b32 exec_lo, exec_lo, s0
	s_wait_storecnt 0x0
	s_barrier_signal -1
	s_barrier_wait -1
	scratch_load_b64 v[124:125], off, off offset:192
	s_mov_b32 s0, exec_lo
	s_wait_loadcnt 0x0
	ds_store_b64 v1, v[124:125]
	s_wait_dscnt 0x0
	s_barrier_signal -1
	s_barrier_wait -1
	v_cmpx_gt_u32_e32 24, v0
	s_cbranch_execz .LBB123_107
; %bb.104:
	v_mov_b64_e32 v[124:125], 0
	v_dual_add_nc_u32 v9, -1, v0 :: v_dual_mov_b32 v13, v2
	v_add_nc_u32_e32 v11, 0x1e0, v2
	s_mov_b32 s1, 0
.LBB123_105:                            ; =>This Inner Loop Header: Depth=1
	scratch_load_b64 v[126:127], v13, off
	ds_load_b64 v[128:129], v11
	v_dual_add_nc_u32 v9, 1, v9 :: v_dual_add_nc_u32 v11, 8, v11
	s_wait_xcnt 0x0
	v_add_nc_u32_e32 v13, 8, v13
	s_delay_alu instid0(VALU_DEP_2)
	v_cmp_lt_u32_e32 vcc_lo, 22, v9
	s_or_b32 s1, vcc_lo, s1
	s_wait_loadcnt_dscnt 0x0
	v_fmac_f64_e32 v[124:125], v[126:127], v[128:129]
	s_and_not1_b32 exec_lo, exec_lo, s1
	s_cbranch_execnz .LBB123_105
; %bb.106:
	s_or_b32 exec_lo, exec_lo, s1
	v_mov_b32_e32 v9, 0
	ds_load_b64 v[126:127], v9 offset:192
	s_wait_dscnt 0x0
	v_mul_f64_e32 v[124:125], v[124:125], v[126:127]
	scratch_store_b64 off, v[124:125], off offset:192
.LBB123_107:
	s_wait_xcnt 0x0
	s_or_b32 exec_lo, exec_lo, s0
	s_wait_storecnt 0x0
	s_barrier_signal -1
	s_barrier_wait -1
	scratch_load_b64 v[124:125], off, off offset:200
	;; [unrolled: 40-line block ×36, first 2 shown]
	s_mov_b32 s0, exec_lo
	s_wait_loadcnt 0x0
	ds_store_b64 v1, v[124:125]
	s_wait_dscnt 0x0
	s_barrier_signal -1
	s_barrier_wait -1
	v_cmpx_ne_u32_e32 59, v0
	s_cbranch_execz .LBB123_247
; %bb.244:
	v_mov_b64_e32 v[124:125], 0
	s_mov_b32 s1, 0
.LBB123_245:                            ; =>This Inner Loop Header: Depth=1
	scratch_load_b64 v[126:127], v2, off
	ds_load_b64 v[128:129], v1
	v_dual_add_nc_u32 v3, 1, v3 :: v_dual_add_nc_u32 v1, 8, v1
	s_wait_xcnt 0x0
	v_add_nc_u32_e32 v2, 8, v2
	s_delay_alu instid0(VALU_DEP_2)
	v_cmp_lt_u32_e32 vcc_lo, 57, v3
	s_or_b32 s1, vcc_lo, s1
	s_wait_loadcnt_dscnt 0x0
	v_fmac_f64_e32 v[124:125], v[126:127], v[128:129]
	s_and_not1_b32 exec_lo, exec_lo, s1
	s_cbranch_execnz .LBB123_245
; %bb.246:
	s_or_b32 exec_lo, exec_lo, s1
	v_mov_b32_e32 v1, 0
	ds_load_b64 v[2:3], v1 offset:472
	s_wait_dscnt 0x0
	v_mul_f64_e32 v[2:3], v[124:125], v[2:3]
	scratch_store_b64 off, v[2:3], off offset:472
.LBB123_247:
	s_wait_xcnt 0x0
	s_or_b32 exec_lo, exec_lo, s0
	s_mov_b32 s1, -1
	s_wait_storecnt 0x0
	s_barrier_signal -1
	s_barrier_wait -1
.LBB123_248:
	s_and_b32 vcc_lo, exec_lo, s1
	s_cbranch_vccz .LBB123_250
; %bb.249:
	v_mov_b32_e32 v1, 0
	s_lshl_b64 s[0:1], s[10:11], 2
	s_delay_alu instid0(SALU_CYCLE_1)
	s_add_nc_u64 s[0:1], s[6:7], s[0:1]
	global_load_b32 v1, v1, s[0:1]
	s_wait_loadcnt 0x0
	v_cmp_ne_u32_e32 vcc_lo, 0, v1
	s_cbranch_vccz .LBB123_251
.LBB123_250:
	s_sendmsg sendmsg(MSG_DEALLOC_VGPRS)
	s_endpgm
.LBB123_251:
	s_wait_xcnt 0x0
	v_lshl_add_u32 v1, v0, 3, 0x1e0
	s_mov_b32 s0, exec_lo
	v_cmpx_eq_u32_e32 59, v0
	s_cbranch_execz .LBB123_253
; %bb.252:
	scratch_load_b64 v[2:3], off, off offset:464
	v_mov_b64_e32 v[124:125], 0
	scratch_store_b64 off, v[124:125], off offset:464
	s_wait_loadcnt 0x0
	ds_store_b64 v1, v[2:3]
.LBB123_253:
	s_wait_xcnt 0x0
	s_or_b32 exec_lo, exec_lo, s0
	s_wait_storecnt_dscnt 0x0
	s_barrier_signal -1
	s_barrier_wait -1
	scratch_load_b128 v[124:127], off, off offset:464
	v_mov_b32_e32 v2, 0
	s_mov_b32 s0, exec_lo
	ds_load_b64 v[128:129], v2 offset:952
	s_wait_loadcnt_dscnt 0x0
	v_fma_f64 v[126:127], v[126:127], v[128:129], 0
	s_delay_alu instid0(VALU_DEP_1)
	v_add_f64_e64 v[124:125], v[124:125], -v[126:127]
	scratch_store_b64 off, v[124:125], off offset:464
	s_wait_xcnt 0x0
	v_cmpx_lt_u32_e32 57, v0
	s_cbranch_execz .LBB123_255
; %bb.254:
	scratch_load_b64 v[124:125], off, off offset:456
	v_mov_b64_e32 v[126:127], 0
	scratch_store_b64 off, v[126:127], off offset:456
	s_wait_loadcnt 0x0
	ds_store_b64 v1, v[124:125]
.LBB123_255:
	s_wait_xcnt 0x0
	s_or_b32 exec_lo, exec_lo, s0
	s_wait_storecnt_dscnt 0x0
	s_barrier_signal -1
	s_barrier_wait -1
	s_clause 0x1
	scratch_load_b128 v[124:127], off, off offset:456
	scratch_load_b64 v[132:133], off, off offset:472
	ds_load_b128 v[128:131], v2 offset:944
	s_mov_b32 s0, exec_lo
	s_wait_loadcnt_dscnt 0x100
	v_fma_f64 v[2:3], v[126:127], v[128:129], 0
	s_wait_loadcnt 0x0
	s_delay_alu instid0(VALU_DEP_1) | instskip(NEXT) | instid1(VALU_DEP_1)
	v_fmac_f64_e32 v[2:3], v[132:133], v[130:131]
	v_add_f64_e64 v[2:3], v[124:125], -v[2:3]
	scratch_store_b64 off, v[2:3], off offset:456
	s_wait_xcnt 0x0
	v_cmpx_lt_u32_e32 56, v0
	s_cbranch_execz .LBB123_257
; %bb.256:
	scratch_load_b64 v[2:3], off, off offset:448
	v_mov_b64_e32 v[124:125], 0
	scratch_store_b64 off, v[124:125], off offset:448
	s_wait_loadcnt 0x0
	ds_store_b64 v1, v[2:3]
.LBB123_257:
	s_wait_xcnt 0x0
	s_or_b32 exec_lo, exec_lo, s0
	s_wait_storecnt_dscnt 0x0
	s_barrier_signal -1
	s_barrier_wait -1
	s_clause 0x1
	scratch_load_b128 v[124:127], off, off offset:448
	scratch_load_b128 v[128:131], off, off offset:464
	v_mov_b32_e32 v2, 0
	ds_load_2addr_b64 v[132:135], v2 offset0:117 offset1:118
	ds_load_b64 v[136:137], v2 offset:952
	s_mov_b32 s0, exec_lo
	s_wait_loadcnt_dscnt 0x101
	v_fma_f64 v[126:127], v[126:127], v[132:133], 0
	s_wait_loadcnt 0x0
	s_delay_alu instid0(VALU_DEP_1) | instskip(SKIP_1) | instid1(VALU_DEP_1)
	v_fmac_f64_e32 v[126:127], v[128:129], v[134:135]
	s_wait_dscnt 0x0
	v_fmac_f64_e32 v[126:127], v[130:131], v[136:137]
	s_delay_alu instid0(VALU_DEP_1)
	v_add_f64_e64 v[124:125], v[124:125], -v[126:127]
	scratch_store_b64 off, v[124:125], off offset:448
	s_wait_xcnt 0x0
	v_cmpx_lt_u32_e32 55, v0
	s_cbranch_execz .LBB123_259
; %bb.258:
	scratch_load_b64 v[124:125], off, off offset:440
	v_mov_b64_e32 v[126:127], 0
	scratch_store_b64 off, v[126:127], off offset:440
	s_wait_loadcnt 0x0
	ds_store_b64 v1, v[124:125]
.LBB123_259:
	s_wait_xcnt 0x0
	s_or_b32 exec_lo, exec_lo, s0
	s_wait_storecnt_dscnt 0x0
	s_barrier_signal -1
	s_barrier_wait -1
	s_clause 0x2
	scratch_load_b128 v[124:127], off, off offset:440
	scratch_load_b128 v[128:131], off, off offset:456
	scratch_load_b64 v[140:141], off, off offset:472
	ds_load_b128 v[132:135], v2 offset:928
	ds_load_b128 v[136:139], v2 offset:944
	s_mov_b32 s0, exec_lo
	s_wait_loadcnt_dscnt 0x201
	v_fma_f64 v[2:3], v[126:127], v[132:133], 0
	s_wait_loadcnt 0x1
	s_delay_alu instid0(VALU_DEP_1) | instskip(SKIP_1) | instid1(VALU_DEP_1)
	v_fmac_f64_e32 v[2:3], v[128:129], v[134:135]
	s_wait_dscnt 0x0
	v_fmac_f64_e32 v[2:3], v[130:131], v[136:137]
	s_wait_loadcnt 0x0
	s_delay_alu instid0(VALU_DEP_1) | instskip(NEXT) | instid1(VALU_DEP_1)
	v_fmac_f64_e32 v[2:3], v[140:141], v[138:139]
	v_add_f64_e64 v[2:3], v[124:125], -v[2:3]
	scratch_store_b64 off, v[2:3], off offset:440
	s_wait_xcnt 0x0
	v_cmpx_lt_u32_e32 54, v0
	s_cbranch_execz .LBB123_261
; %bb.260:
	scratch_load_b64 v[2:3], off, off offset:432
	v_mov_b64_e32 v[124:125], 0
	scratch_store_b64 off, v[124:125], off offset:432
	s_wait_loadcnt 0x0
	ds_store_b64 v1, v[2:3]
.LBB123_261:
	s_wait_xcnt 0x0
	s_or_b32 exec_lo, exec_lo, s0
	s_wait_storecnt_dscnt 0x0
	s_barrier_signal -1
	s_barrier_wait -1
	s_clause 0x2
	scratch_load_b128 v[124:127], off, off offset:432
	scratch_load_b128 v[128:131], off, off offset:448
	;; [unrolled: 1-line block ×3, first 2 shown]
	v_mov_b32_e32 v2, 0
	ds_load_2addr_b64 v[136:139], v2 offset0:115 offset1:116
	ds_load_2addr_b64 v[140:143], v2 offset0:117 offset1:118
	s_mov_b32 s0, exec_lo
	s_wait_loadcnt_dscnt 0x201
	v_fma_f64 v[126:127], v[126:127], v[136:137], 0
	s_wait_loadcnt 0x1
	s_delay_alu instid0(VALU_DEP_1) | instskip(SKIP_4) | instid1(VALU_DEP_1)
	v_fmac_f64_e32 v[126:127], v[128:129], v[138:139]
	ds_load_b64 v[128:129], v2 offset:952
	s_wait_dscnt 0x1
	v_fmac_f64_e32 v[126:127], v[130:131], v[140:141]
	s_wait_loadcnt 0x0
	v_fmac_f64_e32 v[126:127], v[132:133], v[142:143]
	s_wait_dscnt 0x0
	s_delay_alu instid0(VALU_DEP_1) | instskip(NEXT) | instid1(VALU_DEP_1)
	v_fmac_f64_e32 v[126:127], v[134:135], v[128:129]
	v_add_f64_e64 v[124:125], v[124:125], -v[126:127]
	scratch_store_b64 off, v[124:125], off offset:432
	s_wait_xcnt 0x0
	v_cmpx_lt_u32_e32 53, v0
	s_cbranch_execz .LBB123_263
; %bb.262:
	scratch_load_b64 v[124:125], off, off offset:424
	v_mov_b64_e32 v[126:127], 0
	scratch_store_b64 off, v[126:127], off offset:424
	s_wait_loadcnt 0x0
	ds_store_b64 v1, v[124:125]
.LBB123_263:
	s_wait_xcnt 0x0
	s_or_b32 exec_lo, exec_lo, s0
	s_wait_storecnt_dscnt 0x0
	s_barrier_signal -1
	s_barrier_wait -1
	s_clause 0x3
	scratch_load_b128 v[124:127], off, off offset:424
	scratch_load_b128 v[128:131], off, off offset:440
	;; [unrolled: 1-line block ×3, first 2 shown]
	scratch_load_b64 v[144:145], off, off offset:472
	ds_load_b128 v[136:139], v2 offset:912
	ds_load_b128 v[140:143], v2 offset:928
	s_mov_b32 s0, exec_lo
	s_wait_loadcnt_dscnt 0x301
	v_fma_f64 v[136:137], v[126:127], v[136:137], 0
	s_wait_loadcnt 0x2
	s_delay_alu instid0(VALU_DEP_1) | instskip(SKIP_4) | instid1(VALU_DEP_1)
	v_fmac_f64_e32 v[136:137], v[128:129], v[138:139]
	ds_load_b128 v[126:129], v2 offset:944
	s_wait_dscnt 0x1
	v_fmac_f64_e32 v[136:137], v[130:131], v[140:141]
	s_wait_loadcnt 0x1
	v_fmac_f64_e32 v[136:137], v[132:133], v[142:143]
	s_wait_dscnt 0x0
	s_delay_alu instid0(VALU_DEP_1) | instskip(SKIP_1) | instid1(VALU_DEP_1)
	v_fmac_f64_e32 v[136:137], v[134:135], v[126:127]
	s_wait_loadcnt 0x0
	v_fmac_f64_e32 v[136:137], v[144:145], v[128:129]
	s_delay_alu instid0(VALU_DEP_1)
	v_add_f64_e64 v[2:3], v[124:125], -v[136:137]
	scratch_store_b64 off, v[2:3], off offset:424
	s_wait_xcnt 0x0
	v_cmpx_lt_u32_e32 52, v0
	s_cbranch_execz .LBB123_265
; %bb.264:
	scratch_load_b64 v[2:3], off, off offset:416
	v_mov_b64_e32 v[124:125], 0
	scratch_store_b64 off, v[124:125], off offset:416
	s_wait_loadcnt 0x0
	ds_store_b64 v1, v[2:3]
.LBB123_265:
	s_wait_xcnt 0x0
	s_or_b32 exec_lo, exec_lo, s0
	s_wait_storecnt_dscnt 0x0
	s_barrier_signal -1
	s_barrier_wait -1
	s_clause 0x3
	scratch_load_b128 v[124:127], off, off offset:416
	scratch_load_b128 v[128:131], off, off offset:432
	;; [unrolled: 1-line block ×4, first 2 shown]
	v_mov_b32_e32 v2, 0
	ds_load_2addr_b64 v[140:143], v2 offset0:113 offset1:114
	ds_load_2addr_b64 v[144:147], v2 offset0:115 offset1:116
	s_mov_b32 s0, exec_lo
	s_wait_loadcnt_dscnt 0x301
	v_fma_f64 v[140:141], v[126:127], v[140:141], 0
	s_wait_loadcnt 0x2
	s_delay_alu instid0(VALU_DEP_1) | instskip(SKIP_1) | instid1(VALU_DEP_1)
	v_fmac_f64_e32 v[140:141], v[128:129], v[142:143]
	s_wait_dscnt 0x0
	v_fmac_f64_e32 v[140:141], v[130:131], v[144:145]
	ds_load_2addr_b64 v[126:129], v2 offset0:117 offset1:118
	ds_load_b64 v[130:131], v2 offset:952
	s_wait_loadcnt 0x1
	v_fmac_f64_e32 v[140:141], v[132:133], v[146:147]
	s_wait_dscnt 0x1
	s_delay_alu instid0(VALU_DEP_1) | instskip(SKIP_1) | instid1(VALU_DEP_1)
	v_fmac_f64_e32 v[140:141], v[134:135], v[126:127]
	s_wait_loadcnt 0x0
	v_fmac_f64_e32 v[140:141], v[136:137], v[128:129]
	s_wait_dscnt 0x0
	s_delay_alu instid0(VALU_DEP_1) | instskip(NEXT) | instid1(VALU_DEP_1)
	v_fmac_f64_e32 v[140:141], v[138:139], v[130:131]
	v_add_f64_e64 v[124:125], v[124:125], -v[140:141]
	scratch_store_b64 off, v[124:125], off offset:416
	s_wait_xcnt 0x0
	v_cmpx_lt_u32_e32 51, v0
	s_cbranch_execz .LBB123_267
; %bb.266:
	scratch_load_b64 v[124:125], off, off offset:408
	v_mov_b64_e32 v[126:127], 0
	scratch_store_b64 off, v[126:127], off offset:408
	s_wait_loadcnt 0x0
	ds_store_b64 v1, v[124:125]
.LBB123_267:
	s_wait_xcnt 0x0
	s_or_b32 exec_lo, exec_lo, s0
	s_wait_storecnt_dscnt 0x0
	s_barrier_signal -1
	s_barrier_wait -1
	s_clause 0x4
	scratch_load_b128 v[124:127], off, off offset:408
	scratch_load_b128 v[128:131], off, off offset:424
	;; [unrolled: 1-line block ×4, first 2 shown]
	scratch_load_b64 v[148:149], off, off offset:472
	ds_load_b128 v[140:143], v2 offset:896
	ds_load_b128 v[144:147], v2 offset:912
	s_mov_b32 s0, exec_lo
	s_wait_loadcnt_dscnt 0x401
	v_fma_f64 v[140:141], v[126:127], v[140:141], 0
	s_wait_loadcnt 0x3
	s_delay_alu instid0(VALU_DEP_1) | instskip(SKIP_1) | instid1(VALU_DEP_1)
	v_fmac_f64_e32 v[140:141], v[128:129], v[142:143]
	s_wait_dscnt 0x0
	v_fmac_f64_e32 v[140:141], v[130:131], v[144:145]
	s_wait_loadcnt 0x2
	s_delay_alu instid0(VALU_DEP_1)
	v_fmac_f64_e32 v[140:141], v[132:133], v[146:147]
	ds_load_b128 v[126:129], v2 offset:928
	ds_load_b128 v[130:133], v2 offset:944
	s_wait_dscnt 0x1
	v_fmac_f64_e32 v[140:141], v[134:135], v[126:127]
	s_wait_loadcnt 0x1
	s_delay_alu instid0(VALU_DEP_1) | instskip(SKIP_1) | instid1(VALU_DEP_1)
	v_fmac_f64_e32 v[140:141], v[136:137], v[128:129]
	s_wait_dscnt 0x0
	v_fmac_f64_e32 v[140:141], v[138:139], v[130:131]
	s_wait_loadcnt 0x0
	s_delay_alu instid0(VALU_DEP_1) | instskip(NEXT) | instid1(VALU_DEP_1)
	v_fmac_f64_e32 v[140:141], v[148:149], v[132:133]
	v_add_f64_e64 v[2:3], v[124:125], -v[140:141]
	scratch_store_b64 off, v[2:3], off offset:408
	s_wait_xcnt 0x0
	v_cmpx_lt_u32_e32 50, v0
	s_cbranch_execz .LBB123_269
; %bb.268:
	scratch_load_b64 v[2:3], off, off offset:400
	v_mov_b64_e32 v[124:125], 0
	scratch_store_b64 off, v[124:125], off offset:400
	s_wait_loadcnt 0x0
	ds_store_b64 v1, v[2:3]
.LBB123_269:
	s_wait_xcnt 0x0
	s_or_b32 exec_lo, exec_lo, s0
	s_wait_storecnt_dscnt 0x0
	s_barrier_signal -1
	s_barrier_wait -1
	s_clause 0x4
	scratch_load_b128 v[124:127], off, off offset:400
	scratch_load_b128 v[128:131], off, off offset:416
	;; [unrolled: 1-line block ×5, first 2 shown]
	v_mov_b32_e32 v2, 0
	ds_load_2addr_b64 v[144:147], v2 offset0:111 offset1:112
	ds_load_2addr_b64 v[148:151], v2 offset0:113 offset1:114
	s_mov_b32 s0, exec_lo
	s_wait_loadcnt_dscnt 0x401
	v_fma_f64 v[144:145], v[126:127], v[144:145], 0
	s_wait_loadcnt 0x3
	s_delay_alu instid0(VALU_DEP_1) | instskip(SKIP_1) | instid1(VALU_DEP_1)
	v_fmac_f64_e32 v[144:145], v[128:129], v[146:147]
	s_wait_dscnt 0x0
	v_fmac_f64_e32 v[144:145], v[130:131], v[148:149]
	s_wait_loadcnt 0x2
	s_delay_alu instid0(VALU_DEP_1)
	v_fmac_f64_e32 v[144:145], v[132:133], v[150:151]
	ds_load_2addr_b64 v[126:129], v2 offset0:115 offset1:116
	ds_load_2addr_b64 v[130:133], v2 offset0:117 offset1:118
	s_wait_dscnt 0x1
	v_fmac_f64_e32 v[144:145], v[134:135], v[126:127]
	ds_load_b64 v[126:127], v2 offset:952
	s_wait_loadcnt 0x1
	v_fmac_f64_e32 v[144:145], v[136:137], v[128:129]
	s_wait_dscnt 0x1
	s_delay_alu instid0(VALU_DEP_1) | instskip(SKIP_1) | instid1(VALU_DEP_1)
	v_fmac_f64_e32 v[144:145], v[138:139], v[130:131]
	s_wait_loadcnt 0x0
	v_fmac_f64_e32 v[144:145], v[140:141], v[132:133]
	s_wait_dscnt 0x0
	s_delay_alu instid0(VALU_DEP_1) | instskip(NEXT) | instid1(VALU_DEP_1)
	v_fmac_f64_e32 v[144:145], v[142:143], v[126:127]
	v_add_f64_e64 v[124:125], v[124:125], -v[144:145]
	scratch_store_b64 off, v[124:125], off offset:400
	s_wait_xcnt 0x0
	v_cmpx_lt_u32_e32 49, v0
	s_cbranch_execz .LBB123_271
; %bb.270:
	scratch_load_b64 v[124:125], off, off offset:392
	v_mov_b64_e32 v[126:127], 0
	scratch_store_b64 off, v[126:127], off offset:392
	s_wait_loadcnt 0x0
	ds_store_b64 v1, v[124:125]
.LBB123_271:
	s_wait_xcnt 0x0
	s_or_b32 exec_lo, exec_lo, s0
	s_wait_storecnt_dscnt 0x0
	s_barrier_signal -1
	s_barrier_wait -1
	s_clause 0x5
	scratch_load_b128 v[124:127], off, off offset:392
	scratch_load_b128 v[128:131], off, off offset:408
	;; [unrolled: 1-line block ×5, first 2 shown]
	scratch_load_b64 v[152:153], off, off offset:472
	ds_load_b128 v[144:147], v2 offset:880
	ds_load_b128 v[148:151], v2 offset:896
	s_mov_b32 s0, exec_lo
	s_wait_loadcnt_dscnt 0x501
	v_fma_f64 v[144:145], v[126:127], v[144:145], 0
	s_wait_loadcnt 0x4
	s_delay_alu instid0(VALU_DEP_1) | instskip(SKIP_1) | instid1(VALU_DEP_1)
	v_fmac_f64_e32 v[144:145], v[128:129], v[146:147]
	s_wait_dscnt 0x0
	v_fmac_f64_e32 v[144:145], v[130:131], v[148:149]
	s_wait_loadcnt 0x3
	s_delay_alu instid0(VALU_DEP_1)
	v_fmac_f64_e32 v[144:145], v[132:133], v[150:151]
	ds_load_b128 v[126:129], v2 offset:912
	ds_load_b128 v[130:133], v2 offset:928
	s_wait_dscnt 0x1
	v_fmac_f64_e32 v[144:145], v[134:135], v[126:127]
	s_wait_loadcnt 0x2
	s_delay_alu instid0(VALU_DEP_1) | instskip(SKIP_4) | instid1(VALU_DEP_1)
	v_fmac_f64_e32 v[144:145], v[136:137], v[128:129]
	ds_load_b128 v[126:129], v2 offset:944
	s_wait_dscnt 0x1
	v_fmac_f64_e32 v[144:145], v[138:139], v[130:131]
	s_wait_loadcnt 0x1
	v_fmac_f64_e32 v[144:145], v[140:141], v[132:133]
	s_wait_dscnt 0x0
	s_delay_alu instid0(VALU_DEP_1) | instskip(SKIP_1) | instid1(VALU_DEP_1)
	v_fmac_f64_e32 v[144:145], v[142:143], v[126:127]
	s_wait_loadcnt 0x0
	v_fmac_f64_e32 v[144:145], v[152:153], v[128:129]
	s_delay_alu instid0(VALU_DEP_1)
	v_add_f64_e64 v[2:3], v[124:125], -v[144:145]
	scratch_store_b64 off, v[2:3], off offset:392
	s_wait_xcnt 0x0
	v_cmpx_lt_u32_e32 48, v0
	s_cbranch_execz .LBB123_273
; %bb.272:
	scratch_load_b64 v[2:3], off, off offset:384
	v_mov_b64_e32 v[124:125], 0
	scratch_store_b64 off, v[124:125], off offset:384
	s_wait_loadcnt 0x0
	ds_store_b64 v1, v[2:3]
.LBB123_273:
	s_wait_xcnt 0x0
	s_or_b32 exec_lo, exec_lo, s0
	s_wait_storecnt_dscnt 0x0
	s_barrier_signal -1
	s_barrier_wait -1
	s_clause 0x5
	scratch_load_b128 v[124:127], off, off offset:384
	scratch_load_b128 v[128:131], off, off offset:400
	;; [unrolled: 1-line block ×6, first 2 shown]
	v_mov_b32_e32 v2, 0
	ds_load_2addr_b64 v[148:151], v2 offset0:109 offset1:110
	ds_load_2addr_b64 v[152:155], v2 offset0:111 offset1:112
	s_mov_b32 s0, exec_lo
	s_wait_loadcnt_dscnt 0x501
	v_fma_f64 v[148:149], v[126:127], v[148:149], 0
	s_wait_loadcnt 0x4
	s_delay_alu instid0(VALU_DEP_1) | instskip(SKIP_1) | instid1(VALU_DEP_1)
	v_fmac_f64_e32 v[148:149], v[128:129], v[150:151]
	s_wait_dscnt 0x0
	v_fmac_f64_e32 v[148:149], v[130:131], v[152:153]
	s_wait_loadcnt 0x3
	s_delay_alu instid0(VALU_DEP_1)
	v_fmac_f64_e32 v[148:149], v[132:133], v[154:155]
	ds_load_2addr_b64 v[126:129], v2 offset0:113 offset1:114
	ds_load_2addr_b64 v[130:133], v2 offset0:115 offset1:116
	s_wait_dscnt 0x1
	v_fmac_f64_e32 v[148:149], v[134:135], v[126:127]
	s_wait_loadcnt 0x2
	s_delay_alu instid0(VALU_DEP_1) | instskip(SKIP_1) | instid1(VALU_DEP_1)
	v_fmac_f64_e32 v[148:149], v[136:137], v[128:129]
	s_wait_dscnt 0x0
	v_fmac_f64_e32 v[148:149], v[138:139], v[130:131]
	ds_load_2addr_b64 v[126:129], v2 offset0:117 offset1:118
	ds_load_b64 v[130:131], v2 offset:952
	s_wait_loadcnt 0x1
	v_fmac_f64_e32 v[148:149], v[140:141], v[132:133]
	s_wait_dscnt 0x1
	s_delay_alu instid0(VALU_DEP_1) | instskip(SKIP_1) | instid1(VALU_DEP_1)
	v_fmac_f64_e32 v[148:149], v[142:143], v[126:127]
	s_wait_loadcnt 0x0
	v_fmac_f64_e32 v[148:149], v[144:145], v[128:129]
	s_wait_dscnt 0x0
	s_delay_alu instid0(VALU_DEP_1) | instskip(NEXT) | instid1(VALU_DEP_1)
	v_fmac_f64_e32 v[148:149], v[146:147], v[130:131]
	v_add_f64_e64 v[124:125], v[124:125], -v[148:149]
	scratch_store_b64 off, v[124:125], off offset:384
	s_wait_xcnt 0x0
	v_cmpx_lt_u32_e32 47, v0
	s_cbranch_execz .LBB123_275
; %bb.274:
	scratch_load_b64 v[124:125], off, off offset:376
	v_mov_b64_e32 v[126:127], 0
	scratch_store_b64 off, v[126:127], off offset:376
	s_wait_loadcnt 0x0
	ds_store_b64 v1, v[124:125]
.LBB123_275:
	s_wait_xcnt 0x0
	s_or_b32 exec_lo, exec_lo, s0
	s_wait_storecnt_dscnt 0x0
	s_barrier_signal -1
	s_barrier_wait -1
	s_clause 0x5
	scratch_load_b128 v[124:127], off, off offset:376
	scratch_load_b128 v[128:131], off, off offset:392
	;; [unrolled: 1-line block ×6, first 2 shown]
	ds_load_b128 v[148:151], v2 offset:864
	ds_load_b128 v[152:155], v2 offset:880
	s_mov_b32 s0, exec_lo
	s_wait_loadcnt_dscnt 0x501
	v_fma_f64 v[148:149], v[126:127], v[148:149], 0
	s_wait_loadcnt 0x4
	s_delay_alu instid0(VALU_DEP_1) | instskip(SKIP_4) | instid1(VALU_DEP_1)
	v_fmac_f64_e32 v[148:149], v[128:129], v[150:151]
	scratch_load_b64 v[150:151], off, off offset:472
	s_wait_dscnt 0x0
	v_fmac_f64_e32 v[148:149], v[130:131], v[152:153]
	s_wait_loadcnt 0x4
	v_fmac_f64_e32 v[148:149], v[132:133], v[154:155]
	ds_load_b128 v[126:129], v2 offset:896
	ds_load_b128 v[130:133], v2 offset:912
	s_wait_dscnt 0x1
	v_fmac_f64_e32 v[148:149], v[134:135], v[126:127]
	s_wait_loadcnt 0x3
	s_delay_alu instid0(VALU_DEP_1) | instskip(SKIP_1) | instid1(VALU_DEP_1)
	v_fmac_f64_e32 v[148:149], v[136:137], v[128:129]
	s_wait_dscnt 0x0
	v_fmac_f64_e32 v[148:149], v[138:139], v[130:131]
	s_wait_loadcnt 0x2
	s_delay_alu instid0(VALU_DEP_1)
	v_fmac_f64_e32 v[148:149], v[140:141], v[132:133]
	ds_load_b128 v[126:129], v2 offset:928
	ds_load_b128 v[130:133], v2 offset:944
	s_wait_dscnt 0x1
	v_fmac_f64_e32 v[148:149], v[142:143], v[126:127]
	s_wait_loadcnt 0x1
	s_delay_alu instid0(VALU_DEP_1) | instskip(SKIP_1) | instid1(VALU_DEP_1)
	v_fmac_f64_e32 v[148:149], v[144:145], v[128:129]
	s_wait_dscnt 0x0
	v_fmac_f64_e32 v[148:149], v[146:147], v[130:131]
	s_wait_loadcnt 0x0
	s_delay_alu instid0(VALU_DEP_1) | instskip(NEXT) | instid1(VALU_DEP_1)
	v_fmac_f64_e32 v[148:149], v[150:151], v[132:133]
	v_add_f64_e64 v[2:3], v[124:125], -v[148:149]
	scratch_store_b64 off, v[2:3], off offset:376
	s_wait_xcnt 0x0
	v_cmpx_lt_u32_e32 46, v0
	s_cbranch_execz .LBB123_277
; %bb.276:
	scratch_load_b64 v[2:3], off, off offset:368
	v_mov_b64_e32 v[124:125], 0
	scratch_store_b64 off, v[124:125], off offset:368
	s_wait_loadcnt 0x0
	ds_store_b64 v1, v[2:3]
.LBB123_277:
	s_wait_xcnt 0x0
	s_or_b32 exec_lo, exec_lo, s0
	s_wait_storecnt_dscnt 0x0
	s_barrier_signal -1
	s_barrier_wait -1
	s_clause 0x5
	scratch_load_b128 v[124:127], off, off offset:368
	scratch_load_b128 v[128:131], off, off offset:384
	;; [unrolled: 1-line block ×6, first 2 shown]
	v_mov_b32_e32 v2, 0
	ds_load_2addr_b64 v[148:151], v2 offset0:107 offset1:108
	ds_load_2addr_b64 v[152:155], v2 offset0:109 offset1:110
	s_mov_b32 s0, exec_lo
	s_wait_loadcnt_dscnt 0x501
	v_fma_f64 v[156:157], v[126:127], v[148:149], 0
	s_wait_loadcnt 0x4
	s_delay_alu instid0(VALU_DEP_1) | instskip(SKIP_4) | instid1(VALU_DEP_1)
	v_fmac_f64_e32 v[156:157], v[128:129], v[150:151]
	scratch_load_b128 v[126:129], off, off offset:464
	s_wait_dscnt 0x0
	v_fmac_f64_e32 v[156:157], v[130:131], v[152:153]
	s_wait_loadcnt 0x4
	v_fmac_f64_e32 v[156:157], v[132:133], v[154:155]
	ds_load_2addr_b64 v[130:133], v2 offset0:111 offset1:112
	ds_load_2addr_b64 v[148:151], v2 offset0:113 offset1:114
	s_wait_dscnt 0x1
	v_fmac_f64_e32 v[156:157], v[134:135], v[130:131]
	s_wait_loadcnt 0x3
	s_delay_alu instid0(VALU_DEP_1)
	v_fmac_f64_e32 v[156:157], v[136:137], v[132:133]
	ds_load_2addr_b64 v[130:133], v2 offset0:115 offset1:116
	ds_load_2addr_b64 v[134:137], v2 offset0:117 offset1:118
	s_wait_dscnt 0x2
	v_fmac_f64_e32 v[156:157], v[138:139], v[148:149]
	s_wait_loadcnt 0x2
	s_delay_alu instid0(VALU_DEP_1) | instskip(SKIP_1) | instid1(VALU_DEP_1)
	v_fmac_f64_e32 v[156:157], v[140:141], v[150:151]
	s_wait_dscnt 0x1
	v_fmac_f64_e32 v[156:157], v[142:143], v[130:131]
	s_wait_loadcnt 0x1
	s_delay_alu instid0(VALU_DEP_1) | instskip(SKIP_1) | instid1(VALU_DEP_1)
	v_fmac_f64_e32 v[156:157], v[144:145], v[132:133]
	s_wait_dscnt 0x0
	v_fmac_f64_e32 v[156:157], v[146:147], v[134:135]
	s_wait_loadcnt 0x0
	s_delay_alu instid0(VALU_DEP_1) | instskip(SKIP_3) | instid1(VALU_DEP_1)
	v_fmac_f64_e32 v[156:157], v[126:127], v[136:137]
	ds_load_b64 v[126:127], v2 offset:952
	s_wait_dscnt 0x0
	v_fmac_f64_e32 v[156:157], v[128:129], v[126:127]
	v_add_f64_e64 v[124:125], v[124:125], -v[156:157]
	scratch_store_b64 off, v[124:125], off offset:368
	s_wait_xcnt 0x0
	v_cmpx_lt_u32_e32 45, v0
	s_cbranch_execz .LBB123_279
; %bb.278:
	scratch_load_b64 v[124:125], off, off offset:360
	v_mov_b64_e32 v[126:127], 0
	scratch_store_b64 off, v[126:127], off offset:360
	s_wait_loadcnt 0x0
	ds_store_b64 v1, v[124:125]
.LBB123_279:
	s_wait_xcnt 0x0
	s_or_b32 exec_lo, exec_lo, s0
	s_wait_storecnt_dscnt 0x0
	s_barrier_signal -1
	s_barrier_wait -1
	s_clause 0x5
	scratch_load_b128 v[124:127], off, off offset:360
	scratch_load_b128 v[128:131], off, off offset:376
	;; [unrolled: 1-line block ×6, first 2 shown]
	ds_load_b128 v[148:151], v2 offset:848
	ds_load_b128 v[152:155], v2 offset:864
	s_mov_b32 s0, exec_lo
	s_wait_loadcnt_dscnt 0x501
	v_fma_f64 v[156:157], v[126:127], v[148:149], 0
	s_wait_loadcnt 0x4
	s_delay_alu instid0(VALU_DEP_1)
	v_fmac_f64_e32 v[156:157], v[128:129], v[150:151]
	scratch_load_b128 v[126:129], off, off offset:456
	s_wait_dscnt 0x0
	v_fmac_f64_e32 v[156:157], v[130:131], v[152:153]
	scratch_load_b64 v[152:153], off, off offset:472
	s_wait_loadcnt 0x5
	v_fmac_f64_e32 v[156:157], v[132:133], v[154:155]
	ds_load_b128 v[130:133], v2 offset:880
	ds_load_b128 v[148:151], v2 offset:896
	s_wait_dscnt 0x1
	v_fmac_f64_e32 v[156:157], v[134:135], v[130:131]
	s_wait_loadcnt 0x4
	s_delay_alu instid0(VALU_DEP_1)
	v_fmac_f64_e32 v[156:157], v[136:137], v[132:133]
	ds_load_b128 v[130:133], v2 offset:912
	ds_load_b128 v[134:137], v2 offset:928
	s_wait_dscnt 0x2
	v_fmac_f64_e32 v[156:157], v[138:139], v[148:149]
	s_wait_loadcnt 0x3
	s_delay_alu instid0(VALU_DEP_1) | instskip(SKIP_1) | instid1(VALU_DEP_1)
	v_fmac_f64_e32 v[156:157], v[140:141], v[150:151]
	s_wait_dscnt 0x1
	v_fmac_f64_e32 v[156:157], v[142:143], v[130:131]
	s_wait_loadcnt 0x2
	s_delay_alu instid0(VALU_DEP_1) | instskip(SKIP_4) | instid1(VALU_DEP_1)
	v_fmac_f64_e32 v[156:157], v[144:145], v[132:133]
	ds_load_b128 v[130:133], v2 offset:944
	s_wait_dscnt 0x1
	v_fmac_f64_e32 v[156:157], v[146:147], v[134:135]
	s_wait_loadcnt 0x1
	v_fmac_f64_e32 v[156:157], v[126:127], v[136:137]
	s_wait_dscnt 0x0
	s_delay_alu instid0(VALU_DEP_1) | instskip(SKIP_1) | instid1(VALU_DEP_1)
	v_fmac_f64_e32 v[156:157], v[128:129], v[130:131]
	s_wait_loadcnt 0x0
	v_fmac_f64_e32 v[156:157], v[152:153], v[132:133]
	s_delay_alu instid0(VALU_DEP_1)
	v_add_f64_e64 v[2:3], v[124:125], -v[156:157]
	scratch_store_b64 off, v[2:3], off offset:360
	s_wait_xcnt 0x0
	v_cmpx_lt_u32_e32 44, v0
	s_cbranch_execz .LBB123_281
; %bb.280:
	scratch_load_b64 v[2:3], off, off offset:352
	v_mov_b64_e32 v[124:125], 0
	scratch_store_b64 off, v[124:125], off offset:352
	s_wait_loadcnt 0x0
	ds_store_b64 v1, v[2:3]
.LBB123_281:
	s_wait_xcnt 0x0
	s_or_b32 exec_lo, exec_lo, s0
	s_wait_storecnt_dscnt 0x0
	s_barrier_signal -1
	s_barrier_wait -1
	s_clause 0x5
	scratch_load_b128 v[124:127], off, off offset:352
	scratch_load_b128 v[128:131], off, off offset:368
	scratch_load_b128 v[132:135], off, off offset:384
	scratch_load_b128 v[136:139], off, off offset:400
	scratch_load_b128 v[140:143], off, off offset:416
	scratch_load_b128 v[144:147], off, off offset:432
	v_mov_b32_e32 v2, 0
	ds_load_2addr_b64 v[148:151], v2 offset0:105 offset1:106
	ds_load_2addr_b64 v[152:155], v2 offset0:107 offset1:108
	s_mov_b32 s0, exec_lo
	s_wait_loadcnt_dscnt 0x501
	v_fma_f64 v[156:157], v[126:127], v[148:149], 0
	s_wait_loadcnt 0x4
	s_delay_alu instid0(VALU_DEP_1) | instskip(SKIP_4) | instid1(VALU_DEP_1)
	v_fmac_f64_e32 v[156:157], v[128:129], v[150:151]
	scratch_load_b128 v[126:129], off, off offset:448
	s_wait_dscnt 0x0
	v_fmac_f64_e32 v[156:157], v[130:131], v[152:153]
	s_wait_loadcnt 0x4
	v_fmac_f64_e32 v[156:157], v[132:133], v[154:155]
	scratch_load_b128 v[130:133], off, off offset:464
	ds_load_2addr_b64 v[148:151], v2 offset0:109 offset1:110
	ds_load_2addr_b64 v[152:155], v2 offset0:111 offset1:112
	s_wait_dscnt 0x1
	v_fmac_f64_e32 v[156:157], v[134:135], v[148:149]
	s_wait_loadcnt 0x4
	s_delay_alu instid0(VALU_DEP_1) | instskip(SKIP_1) | instid1(VALU_DEP_1)
	v_fmac_f64_e32 v[156:157], v[136:137], v[150:151]
	s_wait_dscnt 0x0
	v_fmac_f64_e32 v[156:157], v[138:139], v[152:153]
	s_wait_loadcnt 0x3
	s_delay_alu instid0(VALU_DEP_1)
	v_fmac_f64_e32 v[156:157], v[140:141], v[154:155]
	ds_load_2addr_b64 v[134:137], v2 offset0:113 offset1:114
	ds_load_2addr_b64 v[138:141], v2 offset0:115 offset1:116
	s_wait_dscnt 0x1
	v_fmac_f64_e32 v[156:157], v[142:143], v[134:135]
	s_wait_loadcnt 0x2
	s_delay_alu instid0(VALU_DEP_1) | instskip(SKIP_1) | instid1(VALU_DEP_1)
	v_fmac_f64_e32 v[156:157], v[144:145], v[136:137]
	s_wait_dscnt 0x0
	v_fmac_f64_e32 v[156:157], v[146:147], v[138:139]
	s_wait_loadcnt 0x1
	s_delay_alu instid0(VALU_DEP_1)
	v_fmac_f64_e32 v[156:157], v[126:127], v[140:141]
	ds_load_2addr_b64 v[134:137], v2 offset0:117 offset1:118
	ds_load_b64 v[126:127], v2 offset:952
	s_wait_dscnt 0x1
	v_fmac_f64_e32 v[156:157], v[128:129], v[134:135]
	s_wait_loadcnt 0x0
	s_delay_alu instid0(VALU_DEP_1) | instskip(SKIP_1) | instid1(VALU_DEP_1)
	v_fmac_f64_e32 v[156:157], v[130:131], v[136:137]
	s_wait_dscnt 0x0
	v_fmac_f64_e32 v[156:157], v[132:133], v[126:127]
	s_delay_alu instid0(VALU_DEP_1)
	v_add_f64_e64 v[124:125], v[124:125], -v[156:157]
	scratch_store_b64 off, v[124:125], off offset:352
	s_wait_xcnt 0x0
	v_cmpx_lt_u32_e32 43, v0
	s_cbranch_execz .LBB123_283
; %bb.282:
	scratch_load_b64 v[124:125], off, off offset:344
	v_mov_b64_e32 v[126:127], 0
	scratch_store_b64 off, v[126:127], off offset:344
	s_wait_loadcnt 0x0
	ds_store_b64 v1, v[124:125]
.LBB123_283:
	s_wait_xcnt 0x0
	s_or_b32 exec_lo, exec_lo, s0
	s_wait_storecnt_dscnt 0x0
	s_barrier_signal -1
	s_barrier_wait -1
	s_clause 0x5
	scratch_load_b128 v[124:127], off, off offset:344
	scratch_load_b128 v[128:131], off, off offset:360
	;; [unrolled: 1-line block ×6, first 2 shown]
	ds_load_b128 v[148:151], v2 offset:832
	ds_load_b128 v[152:155], v2 offset:848
	s_mov_b32 s0, exec_lo
	s_wait_loadcnt_dscnt 0x501
	v_fma_f64 v[156:157], v[126:127], v[148:149], 0
	s_wait_loadcnt 0x4
	s_delay_alu instid0(VALU_DEP_1) | instskip(SKIP_4) | instid1(VALU_DEP_1)
	v_fmac_f64_e32 v[156:157], v[128:129], v[150:151]
	scratch_load_b128 v[126:129], off, off offset:440
	s_wait_dscnt 0x0
	v_fmac_f64_e32 v[156:157], v[130:131], v[152:153]
	s_wait_loadcnt 0x4
	v_fmac_f64_e32 v[156:157], v[132:133], v[154:155]
	scratch_load_b128 v[130:133], off, off offset:456
	ds_load_b128 v[148:151], v2 offset:864
	ds_load_b128 v[152:155], v2 offset:880
	s_wait_dscnt 0x1
	v_fmac_f64_e32 v[156:157], v[134:135], v[148:149]
	scratch_load_b64 v[148:149], off, off offset:472
	s_wait_loadcnt 0x5
	v_fmac_f64_e32 v[156:157], v[136:137], v[150:151]
	s_wait_dscnt 0x0
	s_delay_alu instid0(VALU_DEP_1) | instskip(SKIP_1) | instid1(VALU_DEP_1)
	v_fmac_f64_e32 v[156:157], v[138:139], v[152:153]
	s_wait_loadcnt 0x4
	v_fmac_f64_e32 v[156:157], v[140:141], v[154:155]
	ds_load_b128 v[134:137], v2 offset:896
	ds_load_b128 v[138:141], v2 offset:912
	s_wait_dscnt 0x1
	v_fmac_f64_e32 v[156:157], v[142:143], v[134:135]
	s_wait_loadcnt 0x3
	s_delay_alu instid0(VALU_DEP_1) | instskip(SKIP_1) | instid1(VALU_DEP_1)
	v_fmac_f64_e32 v[156:157], v[144:145], v[136:137]
	s_wait_dscnt 0x0
	v_fmac_f64_e32 v[156:157], v[146:147], v[138:139]
	s_wait_loadcnt 0x2
	s_delay_alu instid0(VALU_DEP_1)
	v_fmac_f64_e32 v[156:157], v[126:127], v[140:141]
	ds_load_b128 v[134:137], v2 offset:928
	ds_load_b128 v[138:141], v2 offset:944
	s_wait_dscnt 0x1
	v_fmac_f64_e32 v[156:157], v[128:129], v[134:135]
	s_wait_loadcnt 0x1
	s_delay_alu instid0(VALU_DEP_1) | instskip(SKIP_1) | instid1(VALU_DEP_1)
	v_fmac_f64_e32 v[156:157], v[130:131], v[136:137]
	s_wait_dscnt 0x0
	v_fmac_f64_e32 v[156:157], v[132:133], v[138:139]
	s_wait_loadcnt 0x0
	s_delay_alu instid0(VALU_DEP_1) | instskip(NEXT) | instid1(VALU_DEP_1)
	v_fmac_f64_e32 v[156:157], v[148:149], v[140:141]
	v_add_f64_e64 v[2:3], v[124:125], -v[156:157]
	scratch_store_b64 off, v[2:3], off offset:344
	s_wait_xcnt 0x0
	v_cmpx_lt_u32_e32 42, v0
	s_cbranch_execz .LBB123_285
; %bb.284:
	scratch_load_b64 v[2:3], off, off offset:336
	v_mov_b64_e32 v[124:125], 0
	scratch_store_b64 off, v[124:125], off offset:336
	s_wait_loadcnt 0x0
	ds_store_b64 v1, v[2:3]
.LBB123_285:
	s_wait_xcnt 0x0
	s_or_b32 exec_lo, exec_lo, s0
	s_wait_storecnt_dscnt 0x0
	s_barrier_signal -1
	s_barrier_wait -1
	s_clause 0x5
	scratch_load_b128 v[124:127], off, off offset:336
	scratch_load_b128 v[128:131], off, off offset:352
	scratch_load_b128 v[132:135], off, off offset:368
	scratch_load_b128 v[136:139], off, off offset:384
	scratch_load_b128 v[140:143], off, off offset:400
	scratch_load_b128 v[144:147], off, off offset:416
	v_mov_b32_e32 v2, 0
	ds_load_2addr_b64 v[148:151], v2 offset0:103 offset1:104
	ds_load_2addr_b64 v[152:155], v2 offset0:105 offset1:106
	s_mov_b32 s0, exec_lo
	s_wait_loadcnt_dscnt 0x501
	v_fma_f64 v[156:157], v[126:127], v[148:149], 0
	s_wait_loadcnt 0x4
	s_delay_alu instid0(VALU_DEP_1) | instskip(SKIP_4) | instid1(VALU_DEP_1)
	v_fmac_f64_e32 v[156:157], v[128:129], v[150:151]
	scratch_load_b128 v[126:129], off, off offset:432
	s_wait_dscnt 0x0
	v_fmac_f64_e32 v[156:157], v[130:131], v[152:153]
	s_wait_loadcnt 0x4
	v_fmac_f64_e32 v[156:157], v[132:133], v[154:155]
	scratch_load_b128 v[130:133], off, off offset:448
	ds_load_2addr_b64 v[148:151], v2 offset0:107 offset1:108
	ds_load_2addr_b64 v[152:155], v2 offset0:109 offset1:110
	s_wait_dscnt 0x1
	v_fmac_f64_e32 v[156:157], v[134:135], v[148:149]
	s_wait_loadcnt 0x4
	s_delay_alu instid0(VALU_DEP_1) | instskip(SKIP_4) | instid1(VALU_DEP_1)
	v_fmac_f64_e32 v[156:157], v[136:137], v[150:151]
	scratch_load_b128 v[134:137], off, off offset:464
	s_wait_dscnt 0x0
	v_fmac_f64_e32 v[156:157], v[138:139], v[152:153]
	s_wait_loadcnt 0x4
	v_fmac_f64_e32 v[156:157], v[140:141], v[154:155]
	ds_load_2addr_b64 v[138:141], v2 offset0:111 offset1:112
	ds_load_2addr_b64 v[148:151], v2 offset0:113 offset1:114
	s_wait_dscnt 0x1
	v_fmac_f64_e32 v[156:157], v[142:143], v[138:139]
	s_wait_loadcnt 0x3
	s_delay_alu instid0(VALU_DEP_1)
	v_fmac_f64_e32 v[156:157], v[144:145], v[140:141]
	ds_load_2addr_b64 v[138:141], v2 offset0:115 offset1:116
	ds_load_2addr_b64 v[142:145], v2 offset0:117 offset1:118
	s_wait_dscnt 0x2
	v_fmac_f64_e32 v[156:157], v[146:147], v[148:149]
	s_wait_loadcnt 0x2
	s_delay_alu instid0(VALU_DEP_1) | instskip(SKIP_4) | instid1(VALU_DEP_1)
	v_fmac_f64_e32 v[156:157], v[126:127], v[150:151]
	ds_load_b64 v[126:127], v2 offset:952
	s_wait_dscnt 0x2
	v_fmac_f64_e32 v[156:157], v[128:129], v[138:139]
	s_wait_loadcnt 0x1
	v_fmac_f64_e32 v[156:157], v[130:131], v[140:141]
	s_wait_dscnt 0x1
	s_delay_alu instid0(VALU_DEP_1) | instskip(SKIP_1) | instid1(VALU_DEP_1)
	v_fmac_f64_e32 v[156:157], v[132:133], v[142:143]
	s_wait_loadcnt 0x0
	v_fmac_f64_e32 v[156:157], v[134:135], v[144:145]
	s_wait_dscnt 0x0
	s_delay_alu instid0(VALU_DEP_1) | instskip(NEXT) | instid1(VALU_DEP_1)
	v_fmac_f64_e32 v[156:157], v[136:137], v[126:127]
	v_add_f64_e64 v[124:125], v[124:125], -v[156:157]
	scratch_store_b64 off, v[124:125], off offset:336
	s_wait_xcnt 0x0
	v_cmpx_lt_u32_e32 41, v0
	s_cbranch_execz .LBB123_287
; %bb.286:
	scratch_load_b64 v[124:125], off, off offset:328
	v_mov_b64_e32 v[126:127], 0
	scratch_store_b64 off, v[126:127], off offset:328
	s_wait_loadcnt 0x0
	ds_store_b64 v1, v[124:125]
.LBB123_287:
	s_wait_xcnt 0x0
	s_or_b32 exec_lo, exec_lo, s0
	s_wait_storecnt_dscnt 0x0
	s_barrier_signal -1
	s_barrier_wait -1
	s_clause 0x5
	scratch_load_b128 v[124:127], off, off offset:328
	scratch_load_b128 v[128:131], off, off offset:344
	;; [unrolled: 1-line block ×6, first 2 shown]
	ds_load_b128 v[148:151], v2 offset:816
	ds_load_b128 v[152:155], v2 offset:832
	s_mov_b32 s0, exec_lo
	s_wait_loadcnt_dscnt 0x501
	v_fma_f64 v[156:157], v[126:127], v[148:149], 0
	s_wait_loadcnt 0x4
	s_delay_alu instid0(VALU_DEP_1) | instskip(SKIP_4) | instid1(VALU_DEP_1)
	v_fmac_f64_e32 v[156:157], v[128:129], v[150:151]
	scratch_load_b128 v[126:129], off, off offset:424
	s_wait_dscnt 0x0
	v_fmac_f64_e32 v[156:157], v[130:131], v[152:153]
	s_wait_loadcnt 0x4
	v_fmac_f64_e32 v[156:157], v[132:133], v[154:155]
	scratch_load_b128 v[130:133], off, off offset:440
	ds_load_b128 v[148:151], v2 offset:848
	ds_load_b128 v[152:155], v2 offset:864
	s_wait_dscnt 0x1
	v_fmac_f64_e32 v[156:157], v[134:135], v[148:149]
	s_wait_loadcnt 0x4
	s_delay_alu instid0(VALU_DEP_1)
	v_fmac_f64_e32 v[156:157], v[136:137], v[150:151]
	scratch_load_b128 v[134:137], off, off offset:456
	s_wait_dscnt 0x0
	v_fmac_f64_e32 v[156:157], v[138:139], v[152:153]
	scratch_load_b64 v[152:153], off, off offset:472
	s_wait_loadcnt 0x5
	v_fmac_f64_e32 v[156:157], v[140:141], v[154:155]
	ds_load_b128 v[138:141], v2 offset:880
	ds_load_b128 v[148:151], v2 offset:896
	s_wait_dscnt 0x1
	v_fmac_f64_e32 v[156:157], v[142:143], v[138:139]
	s_wait_loadcnt 0x4
	s_delay_alu instid0(VALU_DEP_1)
	v_fmac_f64_e32 v[156:157], v[144:145], v[140:141]
	ds_load_b128 v[138:141], v2 offset:912
	ds_load_b128 v[142:145], v2 offset:928
	s_wait_dscnt 0x2
	v_fmac_f64_e32 v[156:157], v[146:147], v[148:149]
	s_wait_loadcnt 0x3
	s_delay_alu instid0(VALU_DEP_1) | instskip(SKIP_1) | instid1(VALU_DEP_1)
	v_fmac_f64_e32 v[156:157], v[126:127], v[150:151]
	s_wait_dscnt 0x1
	v_fmac_f64_e32 v[156:157], v[128:129], v[138:139]
	ds_load_b128 v[126:129], v2 offset:944
	s_wait_loadcnt 0x2
	v_fmac_f64_e32 v[156:157], v[130:131], v[140:141]
	s_wait_dscnt 0x1
	s_delay_alu instid0(VALU_DEP_1) | instskip(SKIP_1) | instid1(VALU_DEP_1)
	v_fmac_f64_e32 v[156:157], v[132:133], v[142:143]
	s_wait_loadcnt 0x1
	v_fmac_f64_e32 v[156:157], v[134:135], v[144:145]
	s_wait_dscnt 0x0
	s_delay_alu instid0(VALU_DEP_1) | instskip(SKIP_1) | instid1(VALU_DEP_1)
	v_fmac_f64_e32 v[156:157], v[136:137], v[126:127]
	s_wait_loadcnt 0x0
	v_fmac_f64_e32 v[156:157], v[152:153], v[128:129]
	s_delay_alu instid0(VALU_DEP_1)
	v_add_f64_e64 v[2:3], v[124:125], -v[156:157]
	scratch_store_b64 off, v[2:3], off offset:328
	s_wait_xcnt 0x0
	v_cmpx_lt_u32_e32 40, v0
	s_cbranch_execz .LBB123_289
; %bb.288:
	scratch_load_b64 v[2:3], off, off offset:320
	v_mov_b64_e32 v[124:125], 0
	scratch_store_b64 off, v[124:125], off offset:320
	s_wait_loadcnt 0x0
	ds_store_b64 v1, v[2:3]
.LBB123_289:
	s_wait_xcnt 0x0
	s_or_b32 exec_lo, exec_lo, s0
	s_wait_storecnt_dscnt 0x0
	s_barrier_signal -1
	s_barrier_wait -1
	s_clause 0x5
	scratch_load_b128 v[124:127], off, off offset:320
	scratch_load_b128 v[128:131], off, off offset:336
	;; [unrolled: 1-line block ×6, first 2 shown]
	v_mov_b32_e32 v2, 0
	ds_load_2addr_b64 v[148:151], v2 offset0:101 offset1:102
	ds_load_2addr_b64 v[152:155], v2 offset0:103 offset1:104
	s_mov_b32 s0, exec_lo
	s_wait_loadcnt_dscnt 0x501
	v_fma_f64 v[156:157], v[126:127], v[148:149], 0
	s_wait_loadcnt 0x4
	s_delay_alu instid0(VALU_DEP_1) | instskip(SKIP_4) | instid1(VALU_DEP_1)
	v_fmac_f64_e32 v[156:157], v[128:129], v[150:151]
	scratch_load_b128 v[126:129], off, off offset:416
	s_wait_dscnt 0x0
	v_fmac_f64_e32 v[156:157], v[130:131], v[152:153]
	s_wait_loadcnt 0x4
	v_fmac_f64_e32 v[156:157], v[132:133], v[154:155]
	scratch_load_b128 v[130:133], off, off offset:432
	ds_load_2addr_b64 v[148:151], v2 offset0:105 offset1:106
	ds_load_2addr_b64 v[152:155], v2 offset0:107 offset1:108
	s_wait_dscnt 0x1
	v_fmac_f64_e32 v[156:157], v[134:135], v[148:149]
	s_wait_loadcnt 0x4
	s_delay_alu instid0(VALU_DEP_1) | instskip(SKIP_4) | instid1(VALU_DEP_1)
	v_fmac_f64_e32 v[156:157], v[136:137], v[150:151]
	scratch_load_b128 v[134:137], off, off offset:448
	s_wait_dscnt 0x0
	v_fmac_f64_e32 v[156:157], v[138:139], v[152:153]
	s_wait_loadcnt 0x4
	v_fmac_f64_e32 v[156:157], v[140:141], v[154:155]
	scratch_load_b128 v[138:141], off, off offset:464
	ds_load_2addr_b64 v[148:151], v2 offset0:109 offset1:110
	ds_load_2addr_b64 v[152:155], v2 offset0:111 offset1:112
	s_wait_dscnt 0x1
	v_fmac_f64_e32 v[156:157], v[142:143], v[148:149]
	s_wait_loadcnt 0x4
	s_delay_alu instid0(VALU_DEP_1) | instskip(SKIP_1) | instid1(VALU_DEP_1)
	v_fmac_f64_e32 v[156:157], v[144:145], v[150:151]
	s_wait_dscnt 0x0
	v_fmac_f64_e32 v[156:157], v[146:147], v[152:153]
	ds_load_2addr_b64 v[142:145], v2 offset0:113 offset1:114
	ds_load_2addr_b64 v[146:149], v2 offset0:115 offset1:116
	s_wait_loadcnt 0x3
	v_fmac_f64_e32 v[156:157], v[126:127], v[154:155]
	s_wait_dscnt 0x1
	s_delay_alu instid0(VALU_DEP_1) | instskip(SKIP_1) | instid1(VALU_DEP_1)
	v_fmac_f64_e32 v[156:157], v[128:129], v[142:143]
	s_wait_loadcnt 0x2
	v_fmac_f64_e32 v[156:157], v[130:131], v[144:145]
	ds_load_2addr_b64 v[126:129], v2 offset0:117 offset1:118
	ds_load_b64 v[130:131], v2 offset:952
	s_wait_dscnt 0x2
	v_fmac_f64_e32 v[156:157], v[132:133], v[146:147]
	s_wait_loadcnt 0x1
	s_delay_alu instid0(VALU_DEP_1) | instskip(SKIP_1) | instid1(VALU_DEP_1)
	v_fmac_f64_e32 v[156:157], v[134:135], v[148:149]
	s_wait_dscnt 0x1
	v_fmac_f64_e32 v[156:157], v[136:137], v[126:127]
	s_wait_loadcnt 0x0
	s_delay_alu instid0(VALU_DEP_1) | instskip(SKIP_1) | instid1(VALU_DEP_1)
	v_fmac_f64_e32 v[156:157], v[138:139], v[128:129]
	s_wait_dscnt 0x0
	v_fmac_f64_e32 v[156:157], v[140:141], v[130:131]
	s_delay_alu instid0(VALU_DEP_1)
	v_add_f64_e64 v[124:125], v[124:125], -v[156:157]
	scratch_store_b64 off, v[124:125], off offset:320
	s_wait_xcnt 0x0
	v_cmpx_lt_u32_e32 39, v0
	s_cbranch_execz .LBB123_291
; %bb.290:
	scratch_load_b64 v[124:125], off, off offset:312
	v_mov_b64_e32 v[126:127], 0
	scratch_store_b64 off, v[126:127], off offset:312
	s_wait_loadcnt 0x0
	ds_store_b64 v1, v[124:125]
.LBB123_291:
	s_wait_xcnt 0x0
	s_or_b32 exec_lo, exec_lo, s0
	s_wait_storecnt_dscnt 0x0
	s_barrier_signal -1
	s_barrier_wait -1
	s_clause 0x5
	scratch_load_b128 v[124:127], off, off offset:312
	scratch_load_b128 v[128:131], off, off offset:328
	scratch_load_b128 v[132:135], off, off offset:344
	scratch_load_b128 v[136:139], off, off offset:360
	scratch_load_b128 v[140:143], off, off offset:376
	scratch_load_b128 v[144:147], off, off offset:392
	ds_load_b128 v[148:151], v2 offset:800
	ds_load_b128 v[152:155], v2 offset:816
	s_mov_b32 s0, exec_lo
	s_wait_loadcnt_dscnt 0x501
	v_fma_f64 v[156:157], v[126:127], v[148:149], 0
	s_wait_loadcnt 0x4
	s_delay_alu instid0(VALU_DEP_1) | instskip(SKIP_4) | instid1(VALU_DEP_1)
	v_fmac_f64_e32 v[156:157], v[128:129], v[150:151]
	scratch_load_b128 v[126:129], off, off offset:408
	s_wait_dscnt 0x0
	v_fmac_f64_e32 v[156:157], v[130:131], v[152:153]
	s_wait_loadcnt 0x4
	v_fmac_f64_e32 v[156:157], v[132:133], v[154:155]
	scratch_load_b128 v[130:133], off, off offset:424
	ds_load_b128 v[148:151], v2 offset:832
	ds_load_b128 v[152:155], v2 offset:848
	s_wait_dscnt 0x1
	v_fmac_f64_e32 v[156:157], v[134:135], v[148:149]
	s_wait_loadcnt 0x4
	s_delay_alu instid0(VALU_DEP_1) | instskip(SKIP_4) | instid1(VALU_DEP_1)
	v_fmac_f64_e32 v[156:157], v[136:137], v[150:151]
	scratch_load_b128 v[134:137], off, off offset:440
	s_wait_dscnt 0x0
	v_fmac_f64_e32 v[156:157], v[138:139], v[152:153]
	s_wait_loadcnt 0x4
	v_fmac_f64_e32 v[156:157], v[140:141], v[154:155]
	scratch_load_b128 v[138:141], off, off offset:456
	ds_load_b128 v[148:151], v2 offset:864
	ds_load_b128 v[152:155], v2 offset:880
	s_wait_dscnt 0x1
	v_fmac_f64_e32 v[156:157], v[142:143], v[148:149]
	s_wait_loadcnt 0x4
	s_delay_alu instid0(VALU_DEP_1)
	v_fmac_f64_e32 v[156:157], v[144:145], v[150:151]
	scratch_load_b64 v[150:151], off, off offset:472
	s_wait_dscnt 0x0
	v_fmac_f64_e32 v[156:157], v[146:147], v[152:153]
	ds_load_b128 v[142:145], v2 offset:896
	ds_load_b128 v[146:149], v2 offset:912
	s_wait_loadcnt 0x4
	v_fmac_f64_e32 v[156:157], v[126:127], v[154:155]
	s_wait_dscnt 0x1
	s_delay_alu instid0(VALU_DEP_1) | instskip(SKIP_1) | instid1(VALU_DEP_1)
	v_fmac_f64_e32 v[156:157], v[128:129], v[142:143]
	s_wait_loadcnt 0x3
	v_fmac_f64_e32 v[156:157], v[130:131], v[144:145]
	s_wait_dscnt 0x0
	s_delay_alu instid0(VALU_DEP_1)
	v_fmac_f64_e32 v[156:157], v[132:133], v[146:147]
	ds_load_b128 v[126:129], v2 offset:928
	ds_load_b128 v[130:133], v2 offset:944
	s_wait_loadcnt 0x2
	v_fmac_f64_e32 v[156:157], v[134:135], v[148:149]
	s_wait_dscnt 0x1
	s_delay_alu instid0(VALU_DEP_1) | instskip(SKIP_1) | instid1(VALU_DEP_1)
	v_fmac_f64_e32 v[156:157], v[136:137], v[126:127]
	s_wait_loadcnt 0x1
	v_fmac_f64_e32 v[156:157], v[138:139], v[128:129]
	s_wait_dscnt 0x0
	s_delay_alu instid0(VALU_DEP_1) | instskip(SKIP_1) | instid1(VALU_DEP_1)
	v_fmac_f64_e32 v[156:157], v[140:141], v[130:131]
	s_wait_loadcnt 0x0
	v_fmac_f64_e32 v[156:157], v[150:151], v[132:133]
	s_delay_alu instid0(VALU_DEP_1)
	v_add_f64_e64 v[2:3], v[124:125], -v[156:157]
	scratch_store_b64 off, v[2:3], off offset:312
	s_wait_xcnt 0x0
	v_cmpx_lt_u32_e32 38, v0
	s_cbranch_execz .LBB123_293
; %bb.292:
	scratch_load_b64 v[2:3], off, off offset:304
	v_mov_b64_e32 v[124:125], 0
	scratch_store_b64 off, v[124:125], off offset:304
	s_wait_loadcnt 0x0
	ds_store_b64 v1, v[2:3]
.LBB123_293:
	s_wait_xcnt 0x0
	s_or_b32 exec_lo, exec_lo, s0
	s_wait_storecnt_dscnt 0x0
	s_barrier_signal -1
	s_barrier_wait -1
	s_clause 0x5
	scratch_load_b128 v[124:127], off, off offset:304
	scratch_load_b128 v[128:131], off, off offset:320
	scratch_load_b128 v[132:135], off, off offset:336
	scratch_load_b128 v[136:139], off, off offset:352
	scratch_load_b128 v[140:143], off, off offset:368
	scratch_load_b128 v[144:147], off, off offset:384
	v_mov_b32_e32 v2, 0
	ds_load_2addr_b64 v[148:151], v2 offset0:99 offset1:100
	ds_load_2addr_b64 v[152:155], v2 offset0:101 offset1:102
	s_mov_b32 s0, exec_lo
	s_wait_loadcnt_dscnt 0x501
	v_fma_f64 v[156:157], v[126:127], v[148:149], 0
	s_wait_loadcnt 0x4
	s_delay_alu instid0(VALU_DEP_1) | instskip(SKIP_4) | instid1(VALU_DEP_1)
	v_fmac_f64_e32 v[156:157], v[128:129], v[150:151]
	scratch_load_b128 v[126:129], off, off offset:400
	s_wait_dscnt 0x0
	v_fmac_f64_e32 v[156:157], v[130:131], v[152:153]
	s_wait_loadcnt 0x4
	v_fmac_f64_e32 v[156:157], v[132:133], v[154:155]
	scratch_load_b128 v[130:133], off, off offset:416
	ds_load_2addr_b64 v[148:151], v2 offset0:103 offset1:104
	ds_load_2addr_b64 v[152:155], v2 offset0:105 offset1:106
	s_wait_dscnt 0x1
	v_fmac_f64_e32 v[156:157], v[134:135], v[148:149]
	s_wait_loadcnt 0x4
	s_delay_alu instid0(VALU_DEP_1) | instskip(SKIP_4) | instid1(VALU_DEP_1)
	v_fmac_f64_e32 v[156:157], v[136:137], v[150:151]
	scratch_load_b128 v[134:137], off, off offset:432
	s_wait_dscnt 0x0
	v_fmac_f64_e32 v[156:157], v[138:139], v[152:153]
	s_wait_loadcnt 0x4
	v_fmac_f64_e32 v[156:157], v[140:141], v[154:155]
	scratch_load_b128 v[138:141], off, off offset:448
	ds_load_2addr_b64 v[148:151], v2 offset0:107 offset1:108
	ds_load_2addr_b64 v[152:155], v2 offset0:109 offset1:110
	s_wait_dscnt 0x1
	v_fmac_f64_e32 v[156:157], v[142:143], v[148:149]
	s_wait_loadcnt 0x4
	s_delay_alu instid0(VALU_DEP_1)
	v_fmac_f64_e32 v[156:157], v[144:145], v[150:151]
	scratch_load_b128 v[142:145], off, off offset:464
	s_wait_dscnt 0x0
	v_fmac_f64_e32 v[156:157], v[146:147], v[152:153]
	ds_load_2addr_b64 v[146:149], v2 offset0:111 offset1:112
	ds_load_2addr_b64 v[150:153], v2 offset0:113 offset1:114
	s_wait_loadcnt 0x4
	v_fmac_f64_e32 v[156:157], v[126:127], v[154:155]
	s_wait_dscnt 0x1
	s_delay_alu instid0(VALU_DEP_1) | instskip(SKIP_1) | instid1(VALU_DEP_1)
	v_fmac_f64_e32 v[156:157], v[128:129], v[146:147]
	s_wait_loadcnt 0x3
	v_fmac_f64_e32 v[156:157], v[130:131], v[148:149]
	s_wait_dscnt 0x0
	s_delay_alu instid0(VALU_DEP_1)
	v_fmac_f64_e32 v[156:157], v[132:133], v[150:151]
	ds_load_2addr_b64 v[126:129], v2 offset0:115 offset1:116
	ds_load_2addr_b64 v[130:133], v2 offset0:117 offset1:118
	s_wait_loadcnt 0x2
	v_fmac_f64_e32 v[156:157], v[134:135], v[152:153]
	s_wait_dscnt 0x1
	s_delay_alu instid0(VALU_DEP_1) | instskip(SKIP_4) | instid1(VALU_DEP_1)
	v_fmac_f64_e32 v[156:157], v[136:137], v[126:127]
	ds_load_b64 v[126:127], v2 offset:952
	s_wait_loadcnt 0x1
	v_fmac_f64_e32 v[156:157], v[138:139], v[128:129]
	s_wait_dscnt 0x1
	v_fmac_f64_e32 v[156:157], v[140:141], v[130:131]
	s_wait_loadcnt 0x0
	s_delay_alu instid0(VALU_DEP_1) | instskip(SKIP_1) | instid1(VALU_DEP_1)
	v_fmac_f64_e32 v[156:157], v[142:143], v[132:133]
	s_wait_dscnt 0x0
	v_fmac_f64_e32 v[156:157], v[144:145], v[126:127]
	s_delay_alu instid0(VALU_DEP_1)
	v_add_f64_e64 v[124:125], v[124:125], -v[156:157]
	scratch_store_b64 off, v[124:125], off offset:304
	s_wait_xcnt 0x0
	v_cmpx_lt_u32_e32 37, v0
	s_cbranch_execz .LBB123_295
; %bb.294:
	scratch_load_b64 v[124:125], off, off offset:296
	v_mov_b64_e32 v[126:127], 0
	scratch_store_b64 off, v[126:127], off offset:296
	s_wait_loadcnt 0x0
	ds_store_b64 v1, v[124:125]
.LBB123_295:
	s_wait_xcnt 0x0
	s_or_b32 exec_lo, exec_lo, s0
	s_wait_storecnt_dscnt 0x0
	s_barrier_signal -1
	s_barrier_wait -1
	s_clause 0x5
	scratch_load_b128 v[124:127], off, off offset:296
	scratch_load_b128 v[128:131], off, off offset:312
	;; [unrolled: 1-line block ×6, first 2 shown]
	ds_load_b128 v[148:151], v2 offset:784
	ds_load_b128 v[152:155], v2 offset:800
	scratch_load_b128 v[156:159], off, off offset:392
	s_mov_b32 s0, exec_lo
	s_wait_loadcnt_dscnt 0x601
	v_fma_f64 v[160:161], v[126:127], v[148:149], 0
	s_wait_loadcnt 0x5
	s_delay_alu instid0(VALU_DEP_1) | instskip(SKIP_4) | instid1(VALU_DEP_1)
	v_fmac_f64_e32 v[160:161], v[128:129], v[150:151]
	scratch_load_b128 v[126:129], off, off offset:408
	s_wait_dscnt 0x0
	v_fmac_f64_e32 v[160:161], v[130:131], v[152:153]
	s_wait_loadcnt 0x5
	v_fmac_f64_e32 v[160:161], v[132:133], v[154:155]
	ds_load_b128 v[130:133], v2 offset:816
	ds_load_b128 v[148:151], v2 offset:832
	s_wait_dscnt 0x1
	v_fmac_f64_e32 v[160:161], v[134:135], v[130:131]
	s_wait_loadcnt 0x4
	s_delay_alu instid0(VALU_DEP_1)
	v_fmac_f64_e32 v[160:161], v[136:137], v[132:133]
	s_clause 0x1
	scratch_load_b128 v[130:133], off, off offset:424
	scratch_load_b128 v[134:137], off, off offset:440
	s_wait_dscnt 0x0
	v_fmac_f64_e32 v[160:161], v[138:139], v[148:149]
	s_wait_loadcnt 0x5
	s_delay_alu instid0(VALU_DEP_1)
	v_fmac_f64_e32 v[160:161], v[140:141], v[150:151]
	ds_load_b128 v[138:141], v2 offset:848
	ds_load_b128 v[148:151], v2 offset:864
	s_wait_dscnt 0x1
	v_fmac_f64_e32 v[160:161], v[142:143], v[138:139]
	s_wait_loadcnt 0x4
	s_delay_alu instid0(VALU_DEP_1) | instskip(SKIP_4) | instid1(VALU_DEP_1)
	v_fmac_f64_e32 v[160:161], v[144:145], v[140:141]
	scratch_load_b128 v[138:141], off, off offset:456
	s_wait_dscnt 0x0
	v_fmac_f64_e32 v[160:161], v[146:147], v[148:149]
	s_wait_loadcnt 0x4
	v_fmac_f64_e32 v[160:161], v[156:157], v[150:151]
	scratch_load_b64 v[150:151], off, off offset:472
	ds_load_b128 v[142:145], v2 offset:880
	ds_load_b128 v[146:149], v2 offset:896
	s_wait_dscnt 0x1
	v_fmac_f64_e32 v[160:161], v[158:159], v[142:143]
	s_wait_loadcnt 0x4
	s_delay_alu instid0(VALU_DEP_1) | instskip(SKIP_1) | instid1(VALU_DEP_1)
	v_fmac_f64_e32 v[160:161], v[126:127], v[144:145]
	s_wait_dscnt 0x0
	v_fmac_f64_e32 v[160:161], v[128:129], v[146:147]
	ds_load_b128 v[126:129], v2 offset:912
	ds_load_b128 v[142:145], v2 offset:928
	s_wait_loadcnt 0x3
	v_fmac_f64_e32 v[160:161], v[130:131], v[148:149]
	s_wait_dscnt 0x1
	s_delay_alu instid0(VALU_DEP_1) | instskip(SKIP_1) | instid1(VALU_DEP_1)
	v_fmac_f64_e32 v[160:161], v[132:133], v[126:127]
	s_wait_loadcnt 0x2
	v_fmac_f64_e32 v[160:161], v[134:135], v[128:129]
	ds_load_b128 v[126:129], v2 offset:944
	s_wait_dscnt 0x1
	v_fmac_f64_e32 v[160:161], v[136:137], v[142:143]
	s_wait_loadcnt 0x1
	s_delay_alu instid0(VALU_DEP_1) | instskip(SKIP_1) | instid1(VALU_DEP_1)
	v_fmac_f64_e32 v[160:161], v[138:139], v[144:145]
	s_wait_dscnt 0x0
	v_fmac_f64_e32 v[160:161], v[140:141], v[126:127]
	s_wait_loadcnt 0x0
	s_delay_alu instid0(VALU_DEP_1) | instskip(NEXT) | instid1(VALU_DEP_1)
	v_fmac_f64_e32 v[160:161], v[150:151], v[128:129]
	v_add_f64_e64 v[2:3], v[124:125], -v[160:161]
	scratch_store_b64 off, v[2:3], off offset:296
	s_wait_xcnt 0x0
	v_cmpx_lt_u32_e32 36, v0
	s_cbranch_execz .LBB123_297
; %bb.296:
	scratch_load_b64 v[2:3], off, off offset:288
	v_mov_b64_e32 v[124:125], 0
	scratch_store_b64 off, v[124:125], off offset:288
	s_wait_loadcnt 0x0
	ds_store_b64 v1, v[2:3]
.LBB123_297:
	s_wait_xcnt 0x0
	s_or_b32 exec_lo, exec_lo, s0
	s_wait_storecnt_dscnt 0x0
	s_barrier_signal -1
	s_barrier_wait -1
	s_clause 0x5
	scratch_load_b128 v[124:127], off, off offset:288
	scratch_load_b128 v[128:131], off, off offset:304
	;; [unrolled: 1-line block ×6, first 2 shown]
	v_mov_b32_e32 v2, 0
	ds_load_2addr_b64 v[148:151], v2 offset0:97 offset1:98
	ds_load_2addr_b64 v[152:155], v2 offset0:99 offset1:100
	scratch_load_b128 v[156:159], off, off offset:384
	s_mov_b32 s0, exec_lo
	s_wait_loadcnt_dscnt 0x601
	v_fma_f64 v[160:161], v[126:127], v[148:149], 0
	s_wait_loadcnt 0x5
	s_delay_alu instid0(VALU_DEP_1) | instskip(SKIP_4) | instid1(VALU_DEP_1)
	v_fmac_f64_e32 v[160:161], v[128:129], v[150:151]
	scratch_load_b128 v[126:129], off, off offset:400
	s_wait_dscnt 0x0
	v_fmac_f64_e32 v[160:161], v[130:131], v[152:153]
	s_wait_loadcnt 0x5
	v_fmac_f64_e32 v[160:161], v[132:133], v[154:155]
	ds_load_2addr_b64 v[130:133], v2 offset0:101 offset1:102
	ds_load_2addr_b64 v[148:151], v2 offset0:103 offset1:104
	s_wait_dscnt 0x1
	v_fmac_f64_e32 v[160:161], v[134:135], v[130:131]
	s_wait_loadcnt 0x4
	s_delay_alu instid0(VALU_DEP_1)
	v_fmac_f64_e32 v[160:161], v[136:137], v[132:133]
	s_clause 0x1
	scratch_load_b128 v[130:133], off, off offset:416
	scratch_load_b128 v[134:137], off, off offset:432
	s_wait_dscnt 0x0
	v_fmac_f64_e32 v[160:161], v[138:139], v[148:149]
	s_wait_loadcnt 0x5
	s_delay_alu instid0(VALU_DEP_1)
	v_fmac_f64_e32 v[160:161], v[140:141], v[150:151]
	ds_load_2addr_b64 v[138:141], v2 offset0:105 offset1:106
	ds_load_2addr_b64 v[148:151], v2 offset0:107 offset1:108
	s_wait_dscnt 0x1
	v_fmac_f64_e32 v[160:161], v[142:143], v[138:139]
	s_wait_loadcnt 0x4
	s_delay_alu instid0(VALU_DEP_1)
	v_fmac_f64_e32 v[160:161], v[144:145], v[140:141]
	s_clause 0x1
	scratch_load_b128 v[138:141], off, off offset:448
	scratch_load_b128 v[142:145], off, off offset:464
	s_wait_dscnt 0x0
	v_fmac_f64_e32 v[160:161], v[146:147], v[148:149]
	s_wait_loadcnt 0x5
	s_delay_alu instid0(VALU_DEP_1)
	v_fmac_f64_e32 v[160:161], v[156:157], v[150:151]
	ds_load_2addr_b64 v[146:149], v2 offset0:109 offset1:110
	ds_load_2addr_b64 v[150:153], v2 offset0:111 offset1:112
	s_wait_dscnt 0x1
	v_fmac_f64_e32 v[160:161], v[158:159], v[146:147]
	s_wait_loadcnt 0x4
	s_delay_alu instid0(VALU_DEP_1) | instskip(SKIP_1) | instid1(VALU_DEP_1)
	v_fmac_f64_e32 v[160:161], v[126:127], v[148:149]
	s_wait_dscnt 0x0
	v_fmac_f64_e32 v[160:161], v[128:129], v[150:151]
	ds_load_2addr_b64 v[126:129], v2 offset0:113 offset1:114
	ds_load_2addr_b64 v[146:149], v2 offset0:115 offset1:116
	s_wait_loadcnt 0x3
	v_fmac_f64_e32 v[160:161], v[130:131], v[152:153]
	s_wait_dscnt 0x1
	s_delay_alu instid0(VALU_DEP_1) | instskip(SKIP_1) | instid1(VALU_DEP_1)
	v_fmac_f64_e32 v[160:161], v[132:133], v[126:127]
	s_wait_loadcnt 0x2
	v_fmac_f64_e32 v[160:161], v[134:135], v[128:129]
	ds_load_2addr_b64 v[126:129], v2 offset0:117 offset1:118
	ds_load_b64 v[130:131], v2 offset:952
	s_wait_dscnt 0x2
	v_fmac_f64_e32 v[160:161], v[136:137], v[146:147]
	s_wait_loadcnt 0x1
	s_delay_alu instid0(VALU_DEP_1) | instskip(SKIP_1) | instid1(VALU_DEP_1)
	v_fmac_f64_e32 v[160:161], v[138:139], v[148:149]
	s_wait_dscnt 0x1
	v_fmac_f64_e32 v[160:161], v[140:141], v[126:127]
	s_wait_loadcnt 0x0
	s_delay_alu instid0(VALU_DEP_1) | instskip(SKIP_1) | instid1(VALU_DEP_1)
	v_fmac_f64_e32 v[160:161], v[142:143], v[128:129]
	s_wait_dscnt 0x0
	v_fmac_f64_e32 v[160:161], v[144:145], v[130:131]
	s_delay_alu instid0(VALU_DEP_1)
	v_add_f64_e64 v[124:125], v[124:125], -v[160:161]
	scratch_store_b64 off, v[124:125], off offset:288
	s_wait_xcnt 0x0
	v_cmpx_lt_u32_e32 35, v0
	s_cbranch_execz .LBB123_299
; %bb.298:
	scratch_load_b64 v[124:125], off, off offset:280
	v_mov_b64_e32 v[126:127], 0
	scratch_store_b64 off, v[126:127], off offset:280
	s_wait_loadcnt 0x0
	ds_store_b64 v1, v[124:125]
.LBB123_299:
	s_wait_xcnt 0x0
	s_or_b32 exec_lo, exec_lo, s0
	s_wait_storecnt_dscnt 0x0
	s_barrier_signal -1
	s_barrier_wait -1
	s_clause 0x5
	scratch_load_b128 v[124:127], off, off offset:280
	scratch_load_b128 v[128:131], off, off offset:296
	;; [unrolled: 1-line block ×6, first 2 shown]
	ds_load_b128 v[148:151], v2 offset:768
	ds_load_b128 v[152:155], v2 offset:784
	scratch_load_b128 v[156:159], off, off offset:376
	s_mov_b32 s0, exec_lo
	s_wait_loadcnt_dscnt 0x601
	v_fma_f64 v[160:161], v[126:127], v[148:149], 0
	s_wait_loadcnt 0x5
	s_delay_alu instid0(VALU_DEP_1) | instskip(SKIP_4) | instid1(VALU_DEP_1)
	v_fmac_f64_e32 v[160:161], v[128:129], v[150:151]
	scratch_load_b128 v[126:129], off, off offset:392
	s_wait_dscnt 0x0
	v_fmac_f64_e32 v[160:161], v[130:131], v[152:153]
	s_wait_loadcnt 0x5
	v_fmac_f64_e32 v[160:161], v[132:133], v[154:155]
	ds_load_b128 v[130:133], v2 offset:800
	ds_load_b128 v[148:151], v2 offset:816
	s_wait_dscnt 0x1
	v_fmac_f64_e32 v[160:161], v[134:135], v[130:131]
	s_wait_loadcnt 0x4
	s_delay_alu instid0(VALU_DEP_1)
	v_fmac_f64_e32 v[160:161], v[136:137], v[132:133]
	s_clause 0x1
	scratch_load_b128 v[130:133], off, off offset:408
	scratch_load_b128 v[134:137], off, off offset:424
	s_wait_dscnt 0x0
	v_fmac_f64_e32 v[160:161], v[138:139], v[148:149]
	s_wait_loadcnt 0x5
	s_delay_alu instid0(VALU_DEP_1)
	v_fmac_f64_e32 v[160:161], v[140:141], v[150:151]
	ds_load_b128 v[138:141], v2 offset:832
	ds_load_b128 v[148:151], v2 offset:848
	s_wait_dscnt 0x1
	v_fmac_f64_e32 v[160:161], v[142:143], v[138:139]
	s_wait_loadcnt 0x4
	s_delay_alu instid0(VALU_DEP_1)
	v_fmac_f64_e32 v[160:161], v[144:145], v[140:141]
	s_clause 0x1
	scratch_load_b128 v[138:141], off, off offset:440
	scratch_load_b128 v[142:145], off, off offset:456
	s_wait_dscnt 0x0
	v_fmac_f64_e32 v[160:161], v[146:147], v[148:149]
	s_wait_loadcnt 0x5
	s_delay_alu instid0(VALU_DEP_1)
	v_fmac_f64_e32 v[160:161], v[156:157], v[150:151]
	ds_load_b128 v[146:149], v2 offset:864
	ds_load_b128 v[150:153], v2 offset:880
	scratch_load_b64 v[154:155], off, off offset:472
	s_wait_dscnt 0x1
	v_fmac_f64_e32 v[160:161], v[158:159], v[146:147]
	s_wait_loadcnt 0x5
	s_delay_alu instid0(VALU_DEP_1) | instskip(SKIP_1) | instid1(VALU_DEP_1)
	v_fmac_f64_e32 v[160:161], v[126:127], v[148:149]
	s_wait_dscnt 0x0
	v_fmac_f64_e32 v[160:161], v[128:129], v[150:151]
	ds_load_b128 v[126:129], v2 offset:896
	ds_load_b128 v[146:149], v2 offset:912
	s_wait_loadcnt 0x4
	v_fmac_f64_e32 v[160:161], v[130:131], v[152:153]
	s_wait_dscnt 0x1
	s_delay_alu instid0(VALU_DEP_1) | instskip(SKIP_1) | instid1(VALU_DEP_1)
	v_fmac_f64_e32 v[160:161], v[132:133], v[126:127]
	s_wait_loadcnt 0x3
	v_fmac_f64_e32 v[160:161], v[134:135], v[128:129]
	ds_load_b128 v[126:129], v2 offset:928
	ds_load_b128 v[130:133], v2 offset:944
	s_wait_dscnt 0x2
	v_fmac_f64_e32 v[160:161], v[136:137], v[146:147]
	s_wait_loadcnt 0x2
	s_delay_alu instid0(VALU_DEP_1) | instskip(SKIP_1) | instid1(VALU_DEP_1)
	v_fmac_f64_e32 v[160:161], v[138:139], v[148:149]
	s_wait_dscnt 0x1
	v_fmac_f64_e32 v[160:161], v[140:141], v[126:127]
	s_wait_loadcnt 0x1
	s_delay_alu instid0(VALU_DEP_1) | instskip(SKIP_1) | instid1(VALU_DEP_1)
	v_fmac_f64_e32 v[160:161], v[142:143], v[128:129]
	s_wait_dscnt 0x0
	v_fmac_f64_e32 v[160:161], v[144:145], v[130:131]
	s_wait_loadcnt 0x0
	s_delay_alu instid0(VALU_DEP_1) | instskip(NEXT) | instid1(VALU_DEP_1)
	v_fmac_f64_e32 v[160:161], v[154:155], v[132:133]
	v_add_f64_e64 v[2:3], v[124:125], -v[160:161]
	scratch_store_b64 off, v[2:3], off offset:280
	s_wait_xcnt 0x0
	v_cmpx_lt_u32_e32 34, v0
	s_cbranch_execz .LBB123_301
; %bb.300:
	scratch_load_b64 v[2:3], off, off offset:272
	v_mov_b64_e32 v[124:125], 0
	scratch_store_b64 off, v[124:125], off offset:272
	s_wait_loadcnt 0x0
	ds_store_b64 v1, v[2:3]
.LBB123_301:
	s_wait_xcnt 0x0
	s_or_b32 exec_lo, exec_lo, s0
	s_wait_storecnt_dscnt 0x0
	s_barrier_signal -1
	s_barrier_wait -1
	s_clause 0x5
	scratch_load_b128 v[124:127], off, off offset:272
	scratch_load_b128 v[128:131], off, off offset:288
	;; [unrolled: 1-line block ×6, first 2 shown]
	v_mov_b32_e32 v2, 0
	ds_load_2addr_b64 v[148:151], v2 offset0:95 offset1:96
	ds_load_2addr_b64 v[152:155], v2 offset0:97 offset1:98
	scratch_load_b128 v[156:159], off, off offset:368
	s_mov_b32 s0, exec_lo
	s_wait_loadcnt_dscnt 0x601
	v_fma_f64 v[160:161], v[126:127], v[148:149], 0
	s_wait_loadcnt 0x5
	s_delay_alu instid0(VALU_DEP_1) | instskip(SKIP_4) | instid1(VALU_DEP_1)
	v_fmac_f64_e32 v[160:161], v[128:129], v[150:151]
	scratch_load_b128 v[126:129], off, off offset:384
	s_wait_dscnt 0x0
	v_fmac_f64_e32 v[160:161], v[130:131], v[152:153]
	s_wait_loadcnt 0x5
	v_fmac_f64_e32 v[160:161], v[132:133], v[154:155]
	ds_load_2addr_b64 v[130:133], v2 offset0:99 offset1:100
	ds_load_2addr_b64 v[148:151], v2 offset0:101 offset1:102
	s_wait_dscnt 0x1
	v_fmac_f64_e32 v[160:161], v[134:135], v[130:131]
	s_wait_loadcnt 0x4
	s_delay_alu instid0(VALU_DEP_1)
	v_fmac_f64_e32 v[160:161], v[136:137], v[132:133]
	s_clause 0x1
	scratch_load_b128 v[130:133], off, off offset:400
	scratch_load_b128 v[134:137], off, off offset:416
	s_wait_dscnt 0x0
	v_fmac_f64_e32 v[160:161], v[138:139], v[148:149]
	s_wait_loadcnt 0x5
	s_delay_alu instid0(VALU_DEP_1)
	v_fmac_f64_e32 v[160:161], v[140:141], v[150:151]
	ds_load_2addr_b64 v[138:141], v2 offset0:103 offset1:104
	ds_load_2addr_b64 v[148:151], v2 offset0:105 offset1:106
	s_wait_dscnt 0x1
	v_fmac_f64_e32 v[160:161], v[142:143], v[138:139]
	s_wait_loadcnt 0x4
	s_delay_alu instid0(VALU_DEP_1)
	v_fmac_f64_e32 v[160:161], v[144:145], v[140:141]
	s_clause 0x1
	scratch_load_b128 v[138:141], off, off offset:432
	scratch_load_b128 v[142:145], off, off offset:448
	s_wait_dscnt 0x0
	v_fmac_f64_e32 v[160:161], v[146:147], v[148:149]
	s_wait_loadcnt 0x5
	s_delay_alu instid0(VALU_DEP_1)
	v_fmac_f64_e32 v[160:161], v[156:157], v[150:151]
	ds_load_2addr_b64 v[146:149], v2 offset0:107 offset1:108
	ds_load_2addr_b64 v[150:153], v2 offset0:109 offset1:110
	s_wait_dscnt 0x1
	v_fmac_f64_e32 v[160:161], v[158:159], v[146:147]
	s_wait_loadcnt 0x4
	s_delay_alu instid0(VALU_DEP_1) | instskip(SKIP_4) | instid1(VALU_DEP_1)
	v_fmac_f64_e32 v[160:161], v[126:127], v[148:149]
	scratch_load_b128 v[146:149], off, off offset:464
	s_wait_dscnt 0x0
	v_fmac_f64_e32 v[160:161], v[128:129], v[150:151]
	s_wait_loadcnt 0x4
	v_fmac_f64_e32 v[160:161], v[130:131], v[152:153]
	ds_load_2addr_b64 v[126:129], v2 offset0:111 offset1:112
	ds_load_2addr_b64 v[150:153], v2 offset0:113 offset1:114
	s_wait_dscnt 0x1
	v_fmac_f64_e32 v[160:161], v[132:133], v[126:127]
	s_wait_loadcnt 0x3
	s_delay_alu instid0(VALU_DEP_1)
	v_fmac_f64_e32 v[160:161], v[134:135], v[128:129]
	ds_load_2addr_b64 v[126:129], v2 offset0:115 offset1:116
	ds_load_2addr_b64 v[130:133], v2 offset0:117 offset1:118
	s_wait_dscnt 0x2
	v_fmac_f64_e32 v[160:161], v[136:137], v[150:151]
	s_wait_loadcnt 0x2
	s_delay_alu instid0(VALU_DEP_1) | instskip(SKIP_1) | instid1(VALU_DEP_1)
	v_fmac_f64_e32 v[160:161], v[138:139], v[152:153]
	s_wait_dscnt 0x1
	v_fmac_f64_e32 v[160:161], v[140:141], v[126:127]
	ds_load_b64 v[126:127], v2 offset:952
	s_wait_loadcnt 0x1
	v_fmac_f64_e32 v[160:161], v[142:143], v[128:129]
	s_wait_dscnt 0x1
	s_delay_alu instid0(VALU_DEP_1) | instskip(SKIP_1) | instid1(VALU_DEP_1)
	v_fmac_f64_e32 v[160:161], v[144:145], v[130:131]
	s_wait_loadcnt 0x0
	v_fmac_f64_e32 v[160:161], v[146:147], v[132:133]
	s_wait_dscnt 0x0
	s_delay_alu instid0(VALU_DEP_1) | instskip(NEXT) | instid1(VALU_DEP_1)
	v_fmac_f64_e32 v[160:161], v[148:149], v[126:127]
	v_add_f64_e64 v[124:125], v[124:125], -v[160:161]
	scratch_store_b64 off, v[124:125], off offset:272
	s_wait_xcnt 0x0
	v_cmpx_lt_u32_e32 33, v0
	s_cbranch_execz .LBB123_303
; %bb.302:
	scratch_load_b64 v[124:125], off, off offset:264
	v_mov_b64_e32 v[126:127], 0
	scratch_store_b64 off, v[126:127], off offset:264
	s_wait_loadcnt 0x0
	ds_store_b64 v1, v[124:125]
.LBB123_303:
	s_wait_xcnt 0x0
	s_or_b32 exec_lo, exec_lo, s0
	s_wait_storecnt_dscnt 0x0
	s_barrier_signal -1
	s_barrier_wait -1
	s_clause 0x5
	scratch_load_b128 v[124:127], off, off offset:264
	scratch_load_b128 v[128:131], off, off offset:280
	;; [unrolled: 1-line block ×6, first 2 shown]
	ds_load_b128 v[148:151], v2 offset:752
	ds_load_b128 v[152:155], v2 offset:768
	scratch_load_b128 v[156:159], off, off offset:360
	s_mov_b32 s0, exec_lo
	s_wait_loadcnt_dscnt 0x601
	v_fma_f64 v[160:161], v[126:127], v[148:149], 0
	s_wait_loadcnt 0x5
	s_delay_alu instid0(VALU_DEP_1) | instskip(SKIP_4) | instid1(VALU_DEP_1)
	v_fmac_f64_e32 v[160:161], v[128:129], v[150:151]
	scratch_load_b128 v[126:129], off, off offset:376
	s_wait_dscnt 0x0
	v_fmac_f64_e32 v[160:161], v[130:131], v[152:153]
	s_wait_loadcnt 0x5
	v_fmac_f64_e32 v[160:161], v[132:133], v[154:155]
	ds_load_b128 v[130:133], v2 offset:784
	ds_load_b128 v[148:151], v2 offset:800
	scratch_load_b128 v[152:155], off, off offset:392
	s_wait_dscnt 0x1
	v_fmac_f64_e32 v[160:161], v[134:135], v[130:131]
	s_wait_loadcnt 0x5
	s_delay_alu instid0(VALU_DEP_1) | instskip(SKIP_4) | instid1(VALU_DEP_1)
	v_fmac_f64_e32 v[160:161], v[136:137], v[132:133]
	scratch_load_b128 v[130:133], off, off offset:408
	s_wait_dscnt 0x0
	v_fmac_f64_e32 v[160:161], v[138:139], v[148:149]
	s_wait_loadcnt 0x5
	v_fmac_f64_e32 v[160:161], v[140:141], v[150:151]
	ds_load_b128 v[134:137], v2 offset:816
	ds_load_b128 v[138:141], v2 offset:832
	s_wait_dscnt 0x1
	v_fmac_f64_e32 v[160:161], v[142:143], v[134:135]
	s_wait_loadcnt 0x4
	s_delay_alu instid0(VALU_DEP_1) | instskip(SKIP_4) | instid1(VALU_DEP_1)
	v_fmac_f64_e32 v[160:161], v[144:145], v[136:137]
	scratch_load_b128 v[134:137], off, off offset:424
	s_wait_dscnt 0x0
	v_fmac_f64_e32 v[160:161], v[146:147], v[138:139]
	s_wait_loadcnt 0x4
	v_fmac_f64_e32 v[160:161], v[156:157], v[140:141]
	scratch_load_b128 v[138:141], off, off offset:440
	ds_load_b128 v[142:145], v2 offset:848
	ds_load_b128 v[146:149], v2 offset:864
	scratch_load_b64 v[150:151], off, off offset:472
	s_wait_dscnt 0x1
	v_fmac_f64_e32 v[160:161], v[158:159], v[142:143]
	s_wait_loadcnt 0x5
	s_delay_alu instid0(VALU_DEP_1) | instskip(SKIP_4) | instid1(VALU_DEP_1)
	v_fmac_f64_e32 v[160:161], v[126:127], v[144:145]
	scratch_load_b128 v[142:145], off, off offset:456
	s_wait_dscnt 0x0
	v_fmac_f64_e32 v[160:161], v[128:129], v[146:147]
	s_wait_loadcnt 0x5
	v_fmac_f64_e32 v[160:161], v[152:153], v[148:149]
	ds_load_b128 v[126:129], v2 offset:880
	ds_load_b128 v[146:149], v2 offset:896
	s_wait_dscnt 0x1
	v_fmac_f64_e32 v[160:161], v[154:155], v[126:127]
	s_wait_loadcnt 0x4
	s_delay_alu instid0(VALU_DEP_1) | instskip(SKIP_1) | instid1(VALU_DEP_1)
	v_fmac_f64_e32 v[160:161], v[130:131], v[128:129]
	s_wait_dscnt 0x0
	v_fmac_f64_e32 v[160:161], v[132:133], v[146:147]
	ds_load_b128 v[126:129], v2 offset:912
	ds_load_b128 v[130:133], v2 offset:928
	s_wait_loadcnt 0x3
	v_fmac_f64_e32 v[160:161], v[134:135], v[148:149]
	s_wait_dscnt 0x1
	s_delay_alu instid0(VALU_DEP_1) | instskip(SKIP_1) | instid1(VALU_DEP_1)
	v_fmac_f64_e32 v[160:161], v[136:137], v[126:127]
	s_wait_loadcnt 0x2
	v_fmac_f64_e32 v[160:161], v[138:139], v[128:129]
	ds_load_b128 v[126:129], v2 offset:944
	s_wait_dscnt 0x1
	v_fmac_f64_e32 v[160:161], v[140:141], v[130:131]
	s_wait_loadcnt 0x0
	s_delay_alu instid0(VALU_DEP_1) | instskip(SKIP_1) | instid1(VALU_DEP_1)
	v_fmac_f64_e32 v[160:161], v[142:143], v[132:133]
	s_wait_dscnt 0x0
	v_fmac_f64_e32 v[160:161], v[144:145], v[126:127]
	s_delay_alu instid0(VALU_DEP_1) | instskip(NEXT) | instid1(VALU_DEP_1)
	v_fmac_f64_e32 v[160:161], v[150:151], v[128:129]
	v_add_f64_e64 v[2:3], v[124:125], -v[160:161]
	scratch_store_b64 off, v[2:3], off offset:264
	s_wait_xcnt 0x0
	v_cmpx_lt_u32_e32 32, v0
	s_cbranch_execz .LBB123_305
; %bb.304:
	scratch_load_b64 v[2:3], off, off offset:256
	v_mov_b64_e32 v[124:125], 0
	scratch_store_b64 off, v[124:125], off offset:256
	s_wait_loadcnt 0x0
	ds_store_b64 v1, v[2:3]
.LBB123_305:
	s_wait_xcnt 0x0
	s_or_b32 exec_lo, exec_lo, s0
	s_wait_storecnt_dscnt 0x0
	s_barrier_signal -1
	s_barrier_wait -1
	s_clause 0x5
	scratch_load_b128 v[124:127], off, off offset:256
	scratch_load_b128 v[128:131], off, off offset:272
	;; [unrolled: 1-line block ×6, first 2 shown]
	v_mov_b32_e32 v2, 0
	ds_load_2addr_b64 v[148:151], v2 offset0:93 offset1:94
	ds_load_2addr_b64 v[152:155], v2 offset0:95 offset1:96
	scratch_load_b128 v[156:159], off, off offset:352
	s_mov_b32 s0, exec_lo
	s_wait_loadcnt_dscnt 0x601
	v_fma_f64 v[160:161], v[126:127], v[148:149], 0
	s_wait_loadcnt 0x5
	s_delay_alu instid0(VALU_DEP_1) | instskip(SKIP_4) | instid1(VALU_DEP_1)
	v_fmac_f64_e32 v[160:161], v[128:129], v[150:151]
	scratch_load_b128 v[126:129], off, off offset:368
	s_wait_dscnt 0x0
	v_fmac_f64_e32 v[160:161], v[130:131], v[152:153]
	s_wait_loadcnt 0x5
	v_fmac_f64_e32 v[160:161], v[132:133], v[154:155]
	ds_load_2addr_b64 v[130:133], v2 offset0:97 offset1:98
	ds_load_2addr_b64 v[148:151], v2 offset0:99 offset1:100
	scratch_load_b128 v[152:155], off, off offset:384
	s_wait_dscnt 0x1
	v_fmac_f64_e32 v[160:161], v[134:135], v[130:131]
	s_wait_loadcnt 0x5
	s_delay_alu instid0(VALU_DEP_1) | instskip(SKIP_4) | instid1(VALU_DEP_1)
	v_fmac_f64_e32 v[160:161], v[136:137], v[132:133]
	scratch_load_b128 v[130:133], off, off offset:400
	s_wait_dscnt 0x0
	v_fmac_f64_e32 v[160:161], v[138:139], v[148:149]
	s_wait_loadcnt 0x5
	v_fmac_f64_e32 v[160:161], v[140:141], v[150:151]
	ds_load_2addr_b64 v[134:137], v2 offset0:101 offset1:102
	ds_load_2addr_b64 v[138:141], v2 offset0:103 offset1:104
	s_wait_dscnt 0x1
	v_fmac_f64_e32 v[160:161], v[142:143], v[134:135]
	s_wait_loadcnt 0x4
	s_delay_alu instid0(VALU_DEP_1) | instskip(SKIP_4) | instid1(VALU_DEP_1)
	v_fmac_f64_e32 v[160:161], v[144:145], v[136:137]
	scratch_load_b128 v[134:137], off, off offset:416
	s_wait_dscnt 0x0
	v_fmac_f64_e32 v[160:161], v[146:147], v[138:139]
	s_wait_loadcnt 0x4
	v_fmac_f64_e32 v[160:161], v[156:157], v[140:141]
	scratch_load_b128 v[138:141], off, off offset:432
	ds_load_2addr_b64 v[142:145], v2 offset0:105 offset1:106
	ds_load_2addr_b64 v[146:149], v2 offset0:107 offset1:108
	s_wait_dscnt 0x1
	v_fmac_f64_e32 v[160:161], v[158:159], v[142:143]
	s_wait_loadcnt 0x4
	s_delay_alu instid0(VALU_DEP_1)
	v_fmac_f64_e32 v[160:161], v[126:127], v[144:145]
	scratch_load_b128 v[142:145], off, off offset:448
	s_wait_dscnt 0x0
	v_fmac_f64_e32 v[160:161], v[128:129], v[146:147]
	scratch_load_b128 v[126:129], off, off offset:464
	s_wait_loadcnt 0x5
	v_fmac_f64_e32 v[160:161], v[152:153], v[148:149]
	ds_load_2addr_b64 v[146:149], v2 offset0:109 offset1:110
	ds_load_2addr_b64 v[150:153], v2 offset0:111 offset1:112
	s_wait_dscnt 0x1
	v_fmac_f64_e32 v[160:161], v[154:155], v[146:147]
	s_wait_loadcnt 0x4
	s_delay_alu instid0(VALU_DEP_1) | instskip(SKIP_1) | instid1(VALU_DEP_1)
	v_fmac_f64_e32 v[160:161], v[130:131], v[148:149]
	s_wait_dscnt 0x0
	v_fmac_f64_e32 v[160:161], v[132:133], v[150:151]
	ds_load_2addr_b64 v[130:133], v2 offset0:113 offset1:114
	ds_load_2addr_b64 v[146:149], v2 offset0:115 offset1:116
	s_wait_loadcnt 0x3
	v_fmac_f64_e32 v[160:161], v[134:135], v[152:153]
	s_wait_dscnt 0x1
	s_delay_alu instid0(VALU_DEP_1) | instskip(SKIP_1) | instid1(VALU_DEP_1)
	v_fmac_f64_e32 v[160:161], v[136:137], v[130:131]
	s_wait_loadcnt 0x2
	v_fmac_f64_e32 v[160:161], v[138:139], v[132:133]
	ds_load_2addr_b64 v[130:133], v2 offset0:117 offset1:118
	ds_load_b64 v[134:135], v2 offset:952
	s_wait_dscnt 0x2
	v_fmac_f64_e32 v[160:161], v[140:141], v[146:147]
	s_wait_loadcnt 0x1
	s_delay_alu instid0(VALU_DEP_1) | instskip(SKIP_1) | instid1(VALU_DEP_1)
	v_fmac_f64_e32 v[160:161], v[142:143], v[148:149]
	s_wait_dscnt 0x1
	v_fmac_f64_e32 v[160:161], v[144:145], v[130:131]
	s_wait_loadcnt 0x0
	s_delay_alu instid0(VALU_DEP_1) | instskip(SKIP_1) | instid1(VALU_DEP_1)
	v_fmac_f64_e32 v[160:161], v[126:127], v[132:133]
	s_wait_dscnt 0x0
	v_fmac_f64_e32 v[160:161], v[128:129], v[134:135]
	s_delay_alu instid0(VALU_DEP_1)
	v_add_f64_e64 v[124:125], v[124:125], -v[160:161]
	scratch_store_b64 off, v[124:125], off offset:256
	s_wait_xcnt 0x0
	v_cmpx_lt_u32_e32 31, v0
	s_cbranch_execz .LBB123_307
; %bb.306:
	scratch_load_b64 v[124:125], off, off offset:248
	v_mov_b64_e32 v[126:127], 0
	scratch_store_b64 off, v[126:127], off offset:248
	s_wait_loadcnt 0x0
	ds_store_b64 v1, v[124:125]
.LBB123_307:
	s_wait_xcnt 0x0
	s_or_b32 exec_lo, exec_lo, s0
	s_wait_storecnt_dscnt 0x0
	s_barrier_signal -1
	s_barrier_wait -1
	s_clause 0x5
	scratch_load_b128 v[124:127], off, off offset:248
	scratch_load_b128 v[128:131], off, off offset:264
	;; [unrolled: 1-line block ×6, first 2 shown]
	ds_load_b128 v[148:151], v2 offset:736
	ds_load_b128 v[152:155], v2 offset:752
	scratch_load_b128 v[156:159], off, off offset:344
	s_mov_b32 s0, exec_lo
	s_wait_loadcnt_dscnt 0x601
	v_fma_f64 v[160:161], v[126:127], v[148:149], 0
	s_wait_loadcnt 0x5
	s_delay_alu instid0(VALU_DEP_1) | instskip(SKIP_4) | instid1(VALU_DEP_1)
	v_fmac_f64_e32 v[160:161], v[128:129], v[150:151]
	scratch_load_b128 v[126:129], off, off offset:360
	s_wait_dscnt 0x0
	v_fmac_f64_e32 v[160:161], v[130:131], v[152:153]
	s_wait_loadcnt 0x5
	v_fmac_f64_e32 v[160:161], v[132:133], v[154:155]
	ds_load_b128 v[130:133], v2 offset:768
	ds_load_b128 v[148:151], v2 offset:784
	scratch_load_b128 v[152:155], off, off offset:376
	s_wait_dscnt 0x1
	v_fmac_f64_e32 v[160:161], v[134:135], v[130:131]
	s_wait_loadcnt 0x5
	s_delay_alu instid0(VALU_DEP_1) | instskip(SKIP_4) | instid1(VALU_DEP_1)
	v_fmac_f64_e32 v[160:161], v[136:137], v[132:133]
	scratch_load_b128 v[130:133], off, off offset:392
	s_wait_dscnt 0x0
	v_fmac_f64_e32 v[160:161], v[138:139], v[148:149]
	s_wait_loadcnt 0x5
	v_fmac_f64_e32 v[160:161], v[140:141], v[150:151]
	ds_load_b128 v[134:137], v2 offset:800
	ds_load_b128 v[138:141], v2 offset:816
	s_wait_dscnt 0x1
	v_fmac_f64_e32 v[160:161], v[142:143], v[134:135]
	s_wait_loadcnt 0x4
	s_delay_alu instid0(VALU_DEP_1) | instskip(SKIP_4) | instid1(VALU_DEP_1)
	v_fmac_f64_e32 v[160:161], v[144:145], v[136:137]
	scratch_load_b128 v[134:137], off, off offset:408
	s_wait_dscnt 0x0
	v_fmac_f64_e32 v[160:161], v[146:147], v[138:139]
	s_wait_loadcnt 0x4
	v_fmac_f64_e32 v[160:161], v[156:157], v[140:141]
	scratch_load_b128 v[138:141], off, off offset:424
	ds_load_b128 v[142:145], v2 offset:832
	ds_load_b128 v[146:149], v2 offset:848
	s_wait_dscnt 0x1
	v_fmac_f64_e32 v[160:161], v[158:159], v[142:143]
	s_wait_loadcnt 0x4
	s_delay_alu instid0(VALU_DEP_1)
	v_fmac_f64_e32 v[160:161], v[126:127], v[144:145]
	scratch_load_b128 v[142:145], off, off offset:440
	s_wait_dscnt 0x0
	v_fmac_f64_e32 v[160:161], v[128:129], v[146:147]
	scratch_load_b128 v[126:129], off, off offset:456
	s_wait_loadcnt 0x5
	v_fmac_f64_e32 v[160:161], v[152:153], v[148:149]
	ds_load_b128 v[146:149], v2 offset:864
	ds_load_b128 v[150:153], v2 offset:880
	s_wait_dscnt 0x1
	v_fmac_f64_e32 v[160:161], v[154:155], v[146:147]
	scratch_load_b64 v[154:155], off, off offset:472
	s_wait_loadcnt 0x5
	v_fmac_f64_e32 v[160:161], v[130:131], v[148:149]
	s_wait_dscnt 0x0
	s_delay_alu instid0(VALU_DEP_1)
	v_fmac_f64_e32 v[160:161], v[132:133], v[150:151]
	ds_load_b128 v[130:133], v2 offset:896
	ds_load_b128 v[146:149], v2 offset:912
	s_wait_loadcnt 0x4
	v_fmac_f64_e32 v[160:161], v[134:135], v[152:153]
	s_wait_dscnt 0x1
	s_delay_alu instid0(VALU_DEP_1) | instskip(SKIP_1) | instid1(VALU_DEP_1)
	v_fmac_f64_e32 v[160:161], v[136:137], v[130:131]
	s_wait_loadcnt 0x3
	v_fmac_f64_e32 v[160:161], v[138:139], v[132:133]
	ds_load_b128 v[130:133], v2 offset:928
	ds_load_b128 v[134:137], v2 offset:944
	s_wait_dscnt 0x2
	v_fmac_f64_e32 v[160:161], v[140:141], v[146:147]
	s_wait_loadcnt 0x2
	s_delay_alu instid0(VALU_DEP_1) | instskip(SKIP_1) | instid1(VALU_DEP_1)
	v_fmac_f64_e32 v[160:161], v[142:143], v[148:149]
	s_wait_dscnt 0x1
	v_fmac_f64_e32 v[160:161], v[144:145], v[130:131]
	s_wait_loadcnt 0x1
	s_delay_alu instid0(VALU_DEP_1) | instskip(SKIP_1) | instid1(VALU_DEP_1)
	v_fmac_f64_e32 v[160:161], v[126:127], v[132:133]
	s_wait_dscnt 0x0
	v_fmac_f64_e32 v[160:161], v[128:129], v[134:135]
	s_wait_loadcnt 0x0
	s_delay_alu instid0(VALU_DEP_1) | instskip(NEXT) | instid1(VALU_DEP_1)
	v_fmac_f64_e32 v[160:161], v[154:155], v[136:137]
	v_add_f64_e64 v[2:3], v[124:125], -v[160:161]
	scratch_store_b64 off, v[2:3], off offset:248
	s_wait_xcnt 0x0
	v_cmpx_lt_u32_e32 30, v0
	s_cbranch_execz .LBB123_309
; %bb.308:
	scratch_load_b64 v[2:3], off, off offset:240
	v_mov_b64_e32 v[124:125], 0
	scratch_store_b64 off, v[124:125], off offset:240
	s_wait_loadcnt 0x0
	ds_store_b64 v1, v[2:3]
.LBB123_309:
	s_wait_xcnt 0x0
	s_or_b32 exec_lo, exec_lo, s0
	s_wait_storecnt_dscnt 0x0
	s_barrier_signal -1
	s_barrier_wait -1
	s_clause 0x5
	scratch_load_b128 v[124:127], off, off offset:240
	scratch_load_b128 v[128:131], off, off offset:256
	;; [unrolled: 1-line block ×6, first 2 shown]
	v_mov_b32_e32 v2, 0
	ds_load_2addr_b64 v[148:151], v2 offset0:91 offset1:92
	ds_load_2addr_b64 v[152:155], v2 offset0:93 offset1:94
	scratch_load_b128 v[156:159], off, off offset:336
	s_mov_b32 s0, exec_lo
	s_wait_loadcnt_dscnt 0x601
	v_fma_f64 v[160:161], v[126:127], v[148:149], 0
	s_wait_loadcnt 0x5
	s_delay_alu instid0(VALU_DEP_1) | instskip(SKIP_4) | instid1(VALU_DEP_1)
	v_fmac_f64_e32 v[160:161], v[128:129], v[150:151]
	scratch_load_b128 v[126:129], off, off offset:352
	s_wait_dscnt 0x0
	v_fmac_f64_e32 v[160:161], v[130:131], v[152:153]
	s_wait_loadcnt 0x5
	v_fmac_f64_e32 v[160:161], v[132:133], v[154:155]
	ds_load_2addr_b64 v[130:133], v2 offset0:95 offset1:96
	ds_load_2addr_b64 v[148:151], v2 offset0:97 offset1:98
	scratch_load_b128 v[152:155], off, off offset:368
	s_wait_dscnt 0x1
	v_fmac_f64_e32 v[160:161], v[134:135], v[130:131]
	s_wait_loadcnt 0x5
	s_delay_alu instid0(VALU_DEP_1) | instskip(SKIP_4) | instid1(VALU_DEP_1)
	v_fmac_f64_e32 v[160:161], v[136:137], v[132:133]
	scratch_load_b128 v[130:133], off, off offset:384
	s_wait_dscnt 0x0
	v_fmac_f64_e32 v[160:161], v[138:139], v[148:149]
	s_wait_loadcnt 0x5
	v_fmac_f64_e32 v[160:161], v[140:141], v[150:151]
	ds_load_2addr_b64 v[134:137], v2 offset0:99 offset1:100
	ds_load_2addr_b64 v[138:141], v2 offset0:101 offset1:102
	s_wait_dscnt 0x1
	v_fmac_f64_e32 v[160:161], v[142:143], v[134:135]
	s_wait_loadcnt 0x4
	s_delay_alu instid0(VALU_DEP_1) | instskip(SKIP_4) | instid1(VALU_DEP_1)
	v_fmac_f64_e32 v[160:161], v[144:145], v[136:137]
	scratch_load_b128 v[134:137], off, off offset:400
	s_wait_dscnt 0x0
	v_fmac_f64_e32 v[160:161], v[146:147], v[138:139]
	s_wait_loadcnt 0x4
	v_fmac_f64_e32 v[160:161], v[156:157], v[140:141]
	scratch_load_b128 v[138:141], off, off offset:416
	ds_load_2addr_b64 v[142:145], v2 offset0:103 offset1:104
	ds_load_2addr_b64 v[146:149], v2 offset0:105 offset1:106
	s_wait_dscnt 0x1
	v_fmac_f64_e32 v[160:161], v[158:159], v[142:143]
	s_wait_loadcnt 0x4
	s_delay_alu instid0(VALU_DEP_1)
	v_fmac_f64_e32 v[160:161], v[126:127], v[144:145]
	scratch_load_b128 v[142:145], off, off offset:432
	s_wait_dscnt 0x0
	v_fmac_f64_e32 v[160:161], v[128:129], v[146:147]
	scratch_load_b128 v[126:129], off, off offset:448
	s_wait_loadcnt 0x5
	v_fmac_f64_e32 v[160:161], v[152:153], v[148:149]
	ds_load_2addr_b64 v[146:149], v2 offset0:107 offset1:108
	ds_load_2addr_b64 v[150:153], v2 offset0:109 offset1:110
	s_wait_dscnt 0x1
	v_fmac_f64_e32 v[160:161], v[154:155], v[146:147]
	s_wait_loadcnt 0x4
	s_delay_alu instid0(VALU_DEP_1) | instskip(SKIP_4) | instid1(VALU_DEP_1)
	v_fmac_f64_e32 v[160:161], v[130:131], v[148:149]
	scratch_load_b128 v[146:149], off, off offset:464
	s_wait_dscnt 0x0
	v_fmac_f64_e32 v[160:161], v[132:133], v[150:151]
	s_wait_loadcnt 0x4
	v_fmac_f64_e32 v[160:161], v[134:135], v[152:153]
	ds_load_2addr_b64 v[130:133], v2 offset0:111 offset1:112
	ds_load_2addr_b64 v[150:153], v2 offset0:113 offset1:114
	s_wait_dscnt 0x1
	v_fmac_f64_e32 v[160:161], v[136:137], v[130:131]
	s_wait_loadcnt 0x3
	s_delay_alu instid0(VALU_DEP_1)
	v_fmac_f64_e32 v[160:161], v[138:139], v[132:133]
	ds_load_2addr_b64 v[130:133], v2 offset0:115 offset1:116
	ds_load_2addr_b64 v[134:137], v2 offset0:117 offset1:118
	s_wait_dscnt 0x2
	v_fmac_f64_e32 v[160:161], v[140:141], v[150:151]
	s_wait_loadcnt 0x2
	s_delay_alu instid0(VALU_DEP_1) | instskip(SKIP_1) | instid1(VALU_DEP_1)
	v_fmac_f64_e32 v[160:161], v[142:143], v[152:153]
	s_wait_dscnt 0x1
	v_fmac_f64_e32 v[160:161], v[144:145], v[130:131]
	s_wait_loadcnt 0x1
	s_delay_alu instid0(VALU_DEP_1) | instskip(SKIP_4) | instid1(VALU_DEP_1)
	v_fmac_f64_e32 v[160:161], v[126:127], v[132:133]
	ds_load_b64 v[126:127], v2 offset:952
	s_wait_dscnt 0x1
	v_fmac_f64_e32 v[160:161], v[128:129], v[134:135]
	s_wait_loadcnt 0x0
	v_fmac_f64_e32 v[160:161], v[146:147], v[136:137]
	s_wait_dscnt 0x0
	s_delay_alu instid0(VALU_DEP_1) | instskip(NEXT) | instid1(VALU_DEP_1)
	v_fmac_f64_e32 v[160:161], v[148:149], v[126:127]
	v_add_f64_e64 v[124:125], v[124:125], -v[160:161]
	scratch_store_b64 off, v[124:125], off offset:240
	s_wait_xcnt 0x0
	v_cmpx_lt_u32_e32 29, v0
	s_cbranch_execz .LBB123_311
; %bb.310:
	scratch_load_b64 v[124:125], off, off offset:232
	v_mov_b64_e32 v[126:127], 0
	scratch_store_b64 off, v[126:127], off offset:232
	s_wait_loadcnt 0x0
	ds_store_b64 v1, v[124:125]
.LBB123_311:
	s_wait_xcnt 0x0
	s_or_b32 exec_lo, exec_lo, s0
	s_wait_storecnt_dscnt 0x0
	s_barrier_signal -1
	s_barrier_wait -1
	s_clause 0x5
	scratch_load_b128 v[124:127], off, off offset:232
	scratch_load_b128 v[128:131], off, off offset:248
	;; [unrolled: 1-line block ×6, first 2 shown]
	ds_load_b128 v[148:151], v2 offset:720
	ds_load_b128 v[152:155], v2 offset:736
	scratch_load_b128 v[156:159], off, off offset:328
	s_mov_b32 s0, exec_lo
	s_wait_loadcnt_dscnt 0x601
	v_fma_f64 v[160:161], v[126:127], v[148:149], 0
	s_wait_loadcnt 0x5
	s_delay_alu instid0(VALU_DEP_1) | instskip(SKIP_4) | instid1(VALU_DEP_1)
	v_fmac_f64_e32 v[160:161], v[128:129], v[150:151]
	scratch_load_b128 v[126:129], off, off offset:344
	s_wait_dscnt 0x0
	v_fmac_f64_e32 v[160:161], v[130:131], v[152:153]
	s_wait_loadcnt 0x5
	v_fmac_f64_e32 v[160:161], v[132:133], v[154:155]
	ds_load_b128 v[130:133], v2 offset:752
	ds_load_b128 v[148:151], v2 offset:768
	scratch_load_b128 v[152:155], off, off offset:360
	s_wait_dscnt 0x1
	v_fmac_f64_e32 v[160:161], v[134:135], v[130:131]
	s_wait_loadcnt 0x5
	s_delay_alu instid0(VALU_DEP_1) | instskip(SKIP_4) | instid1(VALU_DEP_1)
	v_fmac_f64_e32 v[160:161], v[136:137], v[132:133]
	scratch_load_b128 v[130:133], off, off offset:376
	s_wait_dscnt 0x0
	v_fmac_f64_e32 v[160:161], v[138:139], v[148:149]
	s_wait_loadcnt 0x5
	v_fmac_f64_e32 v[160:161], v[140:141], v[150:151]
	ds_load_b128 v[134:137], v2 offset:784
	ds_load_b128 v[138:141], v2 offset:800
	scratch_load_b128 v[148:151], off, off offset:392
	s_wait_dscnt 0x1
	v_fmac_f64_e32 v[160:161], v[142:143], v[134:135]
	s_wait_loadcnt 0x5
	s_delay_alu instid0(VALU_DEP_1) | instskip(SKIP_4) | instid1(VALU_DEP_1)
	v_fmac_f64_e32 v[160:161], v[144:145], v[136:137]
	scratch_load_b128 v[134:137], off, off offset:408
	s_wait_dscnt 0x0
	v_fmac_f64_e32 v[160:161], v[146:147], v[138:139]
	s_wait_loadcnt 0x5
	v_fmac_f64_e32 v[160:161], v[156:157], v[140:141]
	ds_load_b128 v[138:141], v2 offset:816
	ds_load_b128 v[142:145], v2 offset:832
	s_wait_dscnt 0x1
	v_fmac_f64_e32 v[160:161], v[158:159], v[138:139]
	s_wait_loadcnt 0x4
	s_delay_alu instid0(VALU_DEP_1)
	v_fmac_f64_e32 v[160:161], v[126:127], v[140:141]
	scratch_load_b128 v[138:141], off, off offset:424
	s_wait_dscnt 0x0
	v_fmac_f64_e32 v[160:161], v[128:129], v[142:143]
	scratch_load_b128 v[126:129], off, off offset:440
	s_wait_loadcnt 0x5
	v_fmac_f64_e32 v[160:161], v[152:153], v[144:145]
	ds_load_b128 v[142:145], v2 offset:848
	ds_load_b128 v[156:159], v2 offset:864
	scratch_load_b64 v[152:153], off, off offset:472
	s_wait_dscnt 0x1
	v_fmac_f64_e32 v[160:161], v[154:155], v[142:143]
	s_wait_loadcnt 0x5
	s_delay_alu instid0(VALU_DEP_1) | instskip(SKIP_4) | instid1(VALU_DEP_1)
	v_fmac_f64_e32 v[160:161], v[130:131], v[144:145]
	scratch_load_b128 v[142:145], off, off offset:456
	s_wait_dscnt 0x0
	v_fmac_f64_e32 v[160:161], v[132:133], v[156:157]
	s_wait_loadcnt 0x5
	v_fmac_f64_e32 v[160:161], v[148:149], v[158:159]
	ds_load_b128 v[130:133], v2 offset:880
	ds_load_b128 v[146:149], v2 offset:896
	s_wait_dscnt 0x1
	v_fmac_f64_e32 v[160:161], v[150:151], v[130:131]
	s_wait_loadcnt 0x4
	s_delay_alu instid0(VALU_DEP_1) | instskip(SKIP_1) | instid1(VALU_DEP_1)
	v_fmac_f64_e32 v[160:161], v[134:135], v[132:133]
	s_wait_dscnt 0x0
	v_fmac_f64_e32 v[160:161], v[136:137], v[146:147]
	ds_load_b128 v[130:133], v2 offset:912
	ds_load_b128 v[134:137], v2 offset:928
	s_wait_loadcnt 0x3
	v_fmac_f64_e32 v[160:161], v[138:139], v[148:149]
	s_wait_dscnt 0x1
	s_delay_alu instid0(VALU_DEP_1) | instskip(SKIP_1) | instid1(VALU_DEP_1)
	v_fmac_f64_e32 v[160:161], v[140:141], v[130:131]
	s_wait_loadcnt 0x2
	v_fmac_f64_e32 v[160:161], v[126:127], v[132:133]
	s_wait_dscnt 0x0
	s_delay_alu instid0(VALU_DEP_1) | instskip(SKIP_4) | instid1(VALU_DEP_1)
	v_fmac_f64_e32 v[160:161], v[128:129], v[134:135]
	ds_load_b128 v[126:129], v2 offset:944
	s_wait_loadcnt 0x0
	v_fmac_f64_e32 v[160:161], v[142:143], v[136:137]
	s_wait_dscnt 0x0
	v_fmac_f64_e32 v[160:161], v[144:145], v[126:127]
	s_delay_alu instid0(VALU_DEP_1) | instskip(NEXT) | instid1(VALU_DEP_1)
	v_fmac_f64_e32 v[160:161], v[152:153], v[128:129]
	v_add_f64_e64 v[2:3], v[124:125], -v[160:161]
	scratch_store_b64 off, v[2:3], off offset:232
	s_wait_xcnt 0x0
	v_cmpx_lt_u32_e32 28, v0
	s_cbranch_execz .LBB123_313
; %bb.312:
	scratch_load_b64 v[2:3], off, off offset:224
	v_mov_b64_e32 v[124:125], 0
	scratch_store_b64 off, v[124:125], off offset:224
	s_wait_loadcnt 0x0
	ds_store_b64 v1, v[2:3]
.LBB123_313:
	s_wait_xcnt 0x0
	s_or_b32 exec_lo, exec_lo, s0
	s_wait_storecnt_dscnt 0x0
	s_barrier_signal -1
	s_barrier_wait -1
	s_clause 0x5
	scratch_load_b128 v[124:127], off, off offset:224
	scratch_load_b128 v[128:131], off, off offset:240
	;; [unrolled: 1-line block ×6, first 2 shown]
	v_mov_b32_e32 v2, 0
	ds_load_2addr_b64 v[148:151], v2 offset0:89 offset1:90
	ds_load_2addr_b64 v[152:155], v2 offset0:91 offset1:92
	scratch_load_b128 v[156:159], off, off offset:320
	s_mov_b32 s0, exec_lo
	s_wait_loadcnt_dscnt 0x601
	v_fma_f64 v[160:161], v[126:127], v[148:149], 0
	s_wait_loadcnt 0x5
	s_delay_alu instid0(VALU_DEP_1) | instskip(SKIP_4) | instid1(VALU_DEP_1)
	v_fmac_f64_e32 v[160:161], v[128:129], v[150:151]
	scratch_load_b128 v[126:129], off, off offset:336
	s_wait_dscnt 0x0
	v_fmac_f64_e32 v[160:161], v[130:131], v[152:153]
	s_wait_loadcnt 0x5
	v_fmac_f64_e32 v[160:161], v[132:133], v[154:155]
	ds_load_2addr_b64 v[130:133], v2 offset0:93 offset1:94
	ds_load_2addr_b64 v[148:151], v2 offset0:95 offset1:96
	scratch_load_b128 v[152:155], off, off offset:352
	s_wait_dscnt 0x1
	v_fmac_f64_e32 v[160:161], v[134:135], v[130:131]
	s_wait_loadcnt 0x5
	s_delay_alu instid0(VALU_DEP_1) | instskip(SKIP_4) | instid1(VALU_DEP_1)
	v_fmac_f64_e32 v[160:161], v[136:137], v[132:133]
	scratch_load_b128 v[130:133], off, off offset:368
	s_wait_dscnt 0x0
	v_fmac_f64_e32 v[160:161], v[138:139], v[148:149]
	s_wait_loadcnt 0x5
	v_fmac_f64_e32 v[160:161], v[140:141], v[150:151]
	ds_load_2addr_b64 v[134:137], v2 offset0:97 offset1:98
	ds_load_2addr_b64 v[138:141], v2 offset0:99 offset1:100
	scratch_load_b128 v[148:151], off, off offset:384
	s_wait_dscnt 0x1
	v_fmac_f64_e32 v[160:161], v[142:143], v[134:135]
	s_wait_loadcnt 0x5
	s_delay_alu instid0(VALU_DEP_1) | instskip(SKIP_4) | instid1(VALU_DEP_1)
	v_fmac_f64_e32 v[160:161], v[144:145], v[136:137]
	scratch_load_b128 v[134:137], off, off offset:400
	s_wait_dscnt 0x0
	v_fmac_f64_e32 v[160:161], v[146:147], v[138:139]
	s_wait_loadcnt 0x5
	v_fmac_f64_e32 v[160:161], v[156:157], v[140:141]
	ds_load_2addr_b64 v[138:141], v2 offset0:101 offset1:102
	ds_load_2addr_b64 v[142:145], v2 offset0:103 offset1:104
	s_wait_dscnt 0x1
	v_fmac_f64_e32 v[160:161], v[158:159], v[138:139]
	s_wait_loadcnt 0x4
	s_delay_alu instid0(VALU_DEP_1)
	v_fmac_f64_e32 v[160:161], v[126:127], v[140:141]
	scratch_load_b128 v[138:141], off, off offset:416
	s_wait_dscnt 0x0
	v_fmac_f64_e32 v[160:161], v[128:129], v[142:143]
	scratch_load_b128 v[126:129], off, off offset:432
	s_wait_loadcnt 0x5
	v_fmac_f64_e32 v[160:161], v[152:153], v[144:145]
	ds_load_2addr_b64 v[142:145], v2 offset0:105 offset1:106
	ds_load_2addr_b64 v[156:159], v2 offset0:107 offset1:108
	s_wait_dscnt 0x1
	v_fmac_f64_e32 v[160:161], v[154:155], v[142:143]
	s_wait_loadcnt 0x4
	s_delay_alu instid0(VALU_DEP_1)
	v_fmac_f64_e32 v[160:161], v[130:131], v[144:145]
	scratch_load_b128 v[142:145], off, off offset:448
	s_wait_dscnt 0x0
	v_fmac_f64_e32 v[160:161], v[132:133], v[156:157]
	scratch_load_b128 v[130:133], off, off offset:464
	s_wait_loadcnt 0x5
	v_fmac_f64_e32 v[160:161], v[148:149], v[158:159]
	ds_load_2addr_b64 v[146:149], v2 offset0:109 offset1:110
	ds_load_2addr_b64 v[152:155], v2 offset0:111 offset1:112
	s_wait_dscnt 0x1
	v_fmac_f64_e32 v[160:161], v[150:151], v[146:147]
	s_wait_loadcnt 0x4
	s_delay_alu instid0(VALU_DEP_1) | instskip(SKIP_1) | instid1(VALU_DEP_1)
	v_fmac_f64_e32 v[160:161], v[134:135], v[148:149]
	s_wait_dscnt 0x0
	v_fmac_f64_e32 v[160:161], v[136:137], v[152:153]
	ds_load_2addr_b64 v[134:137], v2 offset0:113 offset1:114
	ds_load_2addr_b64 v[146:149], v2 offset0:115 offset1:116
	s_wait_loadcnt 0x3
	v_fmac_f64_e32 v[160:161], v[138:139], v[154:155]
	s_wait_dscnt 0x1
	s_delay_alu instid0(VALU_DEP_1) | instskip(SKIP_1) | instid1(VALU_DEP_1)
	v_fmac_f64_e32 v[160:161], v[140:141], v[134:135]
	s_wait_loadcnt 0x2
	v_fmac_f64_e32 v[160:161], v[126:127], v[136:137]
	s_wait_dscnt 0x0
	s_delay_alu instid0(VALU_DEP_1)
	v_fmac_f64_e32 v[160:161], v[128:129], v[146:147]
	ds_load_2addr_b64 v[126:129], v2 offset0:117 offset1:118
	ds_load_b64 v[134:135], v2 offset:952
	s_wait_loadcnt 0x1
	v_fmac_f64_e32 v[160:161], v[142:143], v[148:149]
	s_wait_dscnt 0x1
	s_delay_alu instid0(VALU_DEP_1) | instskip(SKIP_1) | instid1(VALU_DEP_1)
	v_fmac_f64_e32 v[160:161], v[144:145], v[126:127]
	s_wait_loadcnt 0x0
	v_fmac_f64_e32 v[160:161], v[130:131], v[128:129]
	s_wait_dscnt 0x0
	s_delay_alu instid0(VALU_DEP_1) | instskip(NEXT) | instid1(VALU_DEP_1)
	v_fmac_f64_e32 v[160:161], v[132:133], v[134:135]
	v_add_f64_e64 v[124:125], v[124:125], -v[160:161]
	scratch_store_b64 off, v[124:125], off offset:224
	s_wait_xcnt 0x0
	v_cmpx_lt_u32_e32 27, v0
	s_cbranch_execz .LBB123_315
; %bb.314:
	scratch_load_b64 v[124:125], off, off offset:216
	v_mov_b64_e32 v[126:127], 0
	scratch_store_b64 off, v[126:127], off offset:216
	s_wait_loadcnt 0x0
	ds_store_b64 v1, v[124:125]
.LBB123_315:
	s_wait_xcnt 0x0
	s_or_b32 exec_lo, exec_lo, s0
	s_wait_storecnt_dscnt 0x0
	s_barrier_signal -1
	s_barrier_wait -1
	s_clause 0x5
	scratch_load_b128 v[124:127], off, off offset:216
	scratch_load_b128 v[128:131], off, off offset:232
	;; [unrolled: 1-line block ×6, first 2 shown]
	ds_load_b128 v[148:151], v2 offset:704
	ds_load_b128 v[152:155], v2 offset:720
	scratch_load_b128 v[156:159], off, off offset:312
	s_mov_b32 s0, exec_lo
	s_wait_loadcnt_dscnt 0x601
	v_fma_f64 v[160:161], v[126:127], v[148:149], 0
	s_wait_loadcnt 0x5
	s_delay_alu instid0(VALU_DEP_1) | instskip(SKIP_4) | instid1(VALU_DEP_1)
	v_fmac_f64_e32 v[160:161], v[128:129], v[150:151]
	scratch_load_b128 v[126:129], off, off offset:328
	s_wait_dscnt 0x0
	v_fmac_f64_e32 v[160:161], v[130:131], v[152:153]
	s_wait_loadcnt 0x5
	v_fmac_f64_e32 v[160:161], v[132:133], v[154:155]
	ds_load_b128 v[130:133], v2 offset:736
	ds_load_b128 v[148:151], v2 offset:752
	scratch_load_b128 v[152:155], off, off offset:344
	s_wait_dscnt 0x1
	v_fmac_f64_e32 v[160:161], v[134:135], v[130:131]
	s_wait_loadcnt 0x5
	s_delay_alu instid0(VALU_DEP_1) | instskip(SKIP_4) | instid1(VALU_DEP_1)
	v_fmac_f64_e32 v[160:161], v[136:137], v[132:133]
	scratch_load_b128 v[130:133], off, off offset:360
	s_wait_dscnt 0x0
	v_fmac_f64_e32 v[160:161], v[138:139], v[148:149]
	s_wait_loadcnt 0x5
	v_fmac_f64_e32 v[160:161], v[140:141], v[150:151]
	ds_load_b128 v[134:137], v2 offset:768
	ds_load_b128 v[138:141], v2 offset:784
	scratch_load_b128 v[148:151], off, off offset:376
	s_wait_dscnt 0x1
	v_fmac_f64_e32 v[160:161], v[142:143], v[134:135]
	s_wait_loadcnt 0x5
	s_delay_alu instid0(VALU_DEP_1) | instskip(SKIP_4) | instid1(VALU_DEP_1)
	v_fmac_f64_e32 v[160:161], v[144:145], v[136:137]
	scratch_load_b128 v[134:137], off, off offset:392
	s_wait_dscnt 0x0
	v_fmac_f64_e32 v[160:161], v[146:147], v[138:139]
	s_wait_loadcnt 0x5
	v_fmac_f64_e32 v[160:161], v[156:157], v[140:141]
	ds_load_b128 v[138:141], v2 offset:800
	ds_load_b128 v[142:145], v2 offset:816
	s_wait_dscnt 0x1
	v_fmac_f64_e32 v[160:161], v[158:159], v[138:139]
	s_wait_loadcnt 0x4
	s_delay_alu instid0(VALU_DEP_1)
	v_fmac_f64_e32 v[160:161], v[126:127], v[140:141]
	scratch_load_b128 v[138:141], off, off offset:408
	s_wait_dscnt 0x0
	v_fmac_f64_e32 v[160:161], v[128:129], v[142:143]
	scratch_load_b128 v[126:129], off, off offset:424
	s_wait_loadcnt 0x5
	v_fmac_f64_e32 v[160:161], v[152:153], v[144:145]
	ds_load_b128 v[142:145], v2 offset:832
	ds_load_b128 v[156:159], v2 offset:848
	s_wait_dscnt 0x1
	v_fmac_f64_e32 v[160:161], v[154:155], v[142:143]
	s_wait_loadcnt 0x4
	s_delay_alu instid0(VALU_DEP_1)
	v_fmac_f64_e32 v[160:161], v[130:131], v[144:145]
	scratch_load_b128 v[142:145], off, off offset:440
	s_wait_dscnt 0x0
	v_fmac_f64_e32 v[160:161], v[132:133], v[156:157]
	scratch_load_b128 v[130:133], off, off offset:456
	s_wait_loadcnt 0x5
	v_fmac_f64_e32 v[160:161], v[148:149], v[158:159]
	ds_load_b128 v[146:149], v2 offset:864
	ds_load_b128 v[152:155], v2 offset:880
	s_wait_dscnt 0x1
	v_fmac_f64_e32 v[160:161], v[150:151], v[146:147]
	scratch_load_b64 v[150:151], off, off offset:472
	s_wait_loadcnt 0x5
	v_fmac_f64_e32 v[160:161], v[134:135], v[148:149]
	s_wait_dscnt 0x0
	s_delay_alu instid0(VALU_DEP_1)
	v_fmac_f64_e32 v[160:161], v[136:137], v[152:153]
	ds_load_b128 v[134:137], v2 offset:896
	ds_load_b128 v[146:149], v2 offset:912
	s_wait_loadcnt 0x4
	v_fmac_f64_e32 v[160:161], v[138:139], v[154:155]
	s_wait_dscnt 0x1
	s_delay_alu instid0(VALU_DEP_1) | instskip(SKIP_1) | instid1(VALU_DEP_1)
	v_fmac_f64_e32 v[160:161], v[140:141], v[134:135]
	s_wait_loadcnt 0x3
	v_fmac_f64_e32 v[160:161], v[126:127], v[136:137]
	s_wait_dscnt 0x0
	s_delay_alu instid0(VALU_DEP_1)
	v_fmac_f64_e32 v[160:161], v[128:129], v[146:147]
	ds_load_b128 v[126:129], v2 offset:928
	ds_load_b128 v[134:137], v2 offset:944
	s_wait_loadcnt 0x2
	v_fmac_f64_e32 v[160:161], v[142:143], v[148:149]
	s_wait_dscnt 0x1
	s_delay_alu instid0(VALU_DEP_1) | instskip(SKIP_1) | instid1(VALU_DEP_1)
	v_fmac_f64_e32 v[160:161], v[144:145], v[126:127]
	s_wait_loadcnt 0x1
	v_fmac_f64_e32 v[160:161], v[130:131], v[128:129]
	s_wait_dscnt 0x0
	s_delay_alu instid0(VALU_DEP_1) | instskip(SKIP_1) | instid1(VALU_DEP_1)
	v_fmac_f64_e32 v[160:161], v[132:133], v[134:135]
	s_wait_loadcnt 0x0
	v_fmac_f64_e32 v[160:161], v[150:151], v[136:137]
	s_delay_alu instid0(VALU_DEP_1)
	v_add_f64_e64 v[2:3], v[124:125], -v[160:161]
	scratch_store_b64 off, v[2:3], off offset:216
	s_wait_xcnt 0x0
	v_cmpx_lt_u32_e32 26, v0
	s_cbranch_execz .LBB123_317
; %bb.316:
	scratch_load_b64 v[2:3], off, off offset:208
	v_mov_b64_e32 v[124:125], 0
	scratch_store_b64 off, v[124:125], off offset:208
	s_wait_loadcnt 0x0
	ds_store_b64 v1, v[2:3]
.LBB123_317:
	s_wait_xcnt 0x0
	s_or_b32 exec_lo, exec_lo, s0
	s_wait_storecnt_dscnt 0x0
	s_barrier_signal -1
	s_barrier_wait -1
	s_clause 0x5
	scratch_load_b128 v[124:127], off, off offset:208
	scratch_load_b128 v[128:131], off, off offset:224
	scratch_load_b128 v[132:135], off, off offset:240
	scratch_load_b128 v[136:139], off, off offset:256
	scratch_load_b128 v[140:143], off, off offset:272
	scratch_load_b128 v[144:147], off, off offset:288
	v_mov_b32_e32 v2, 0
	ds_load_2addr_b64 v[148:151], v2 offset0:87 offset1:88
	ds_load_2addr_b64 v[152:155], v2 offset0:89 offset1:90
	scratch_load_b128 v[156:159], off, off offset:304
	s_mov_b32 s0, exec_lo
	s_wait_loadcnt_dscnt 0x601
	v_fma_f64 v[160:161], v[126:127], v[148:149], 0
	s_wait_loadcnt 0x5
	s_delay_alu instid0(VALU_DEP_1) | instskip(SKIP_4) | instid1(VALU_DEP_1)
	v_fmac_f64_e32 v[160:161], v[128:129], v[150:151]
	scratch_load_b128 v[126:129], off, off offset:320
	s_wait_dscnt 0x0
	v_fmac_f64_e32 v[160:161], v[130:131], v[152:153]
	s_wait_loadcnt 0x5
	v_fmac_f64_e32 v[160:161], v[132:133], v[154:155]
	ds_load_2addr_b64 v[130:133], v2 offset0:91 offset1:92
	ds_load_2addr_b64 v[148:151], v2 offset0:93 offset1:94
	scratch_load_b128 v[152:155], off, off offset:336
	s_wait_dscnt 0x1
	v_fmac_f64_e32 v[160:161], v[134:135], v[130:131]
	s_wait_loadcnt 0x5
	s_delay_alu instid0(VALU_DEP_1) | instskip(SKIP_4) | instid1(VALU_DEP_1)
	v_fmac_f64_e32 v[160:161], v[136:137], v[132:133]
	scratch_load_b128 v[130:133], off, off offset:352
	s_wait_dscnt 0x0
	v_fmac_f64_e32 v[160:161], v[138:139], v[148:149]
	s_wait_loadcnt 0x5
	v_fmac_f64_e32 v[160:161], v[140:141], v[150:151]
	ds_load_2addr_b64 v[134:137], v2 offset0:95 offset1:96
	ds_load_2addr_b64 v[138:141], v2 offset0:97 offset1:98
	scratch_load_b128 v[148:151], off, off offset:368
	s_wait_dscnt 0x1
	v_fmac_f64_e32 v[160:161], v[142:143], v[134:135]
	s_wait_loadcnt 0x5
	s_delay_alu instid0(VALU_DEP_1) | instskip(SKIP_4) | instid1(VALU_DEP_1)
	v_fmac_f64_e32 v[160:161], v[144:145], v[136:137]
	scratch_load_b128 v[134:137], off, off offset:384
	s_wait_dscnt 0x0
	v_fmac_f64_e32 v[160:161], v[146:147], v[138:139]
	s_wait_loadcnt 0x5
	v_fmac_f64_e32 v[160:161], v[156:157], v[140:141]
	ds_load_2addr_b64 v[138:141], v2 offset0:99 offset1:100
	ds_load_2addr_b64 v[142:145], v2 offset0:101 offset1:102
	s_wait_dscnt 0x1
	v_fmac_f64_e32 v[160:161], v[158:159], v[138:139]
	s_wait_loadcnt 0x4
	s_delay_alu instid0(VALU_DEP_1)
	v_fmac_f64_e32 v[160:161], v[126:127], v[140:141]
	scratch_load_b128 v[138:141], off, off offset:400
	s_wait_dscnt 0x0
	v_fmac_f64_e32 v[160:161], v[128:129], v[142:143]
	scratch_load_b128 v[126:129], off, off offset:416
	s_wait_loadcnt 0x5
	v_fmac_f64_e32 v[160:161], v[152:153], v[144:145]
	ds_load_2addr_b64 v[142:145], v2 offset0:103 offset1:104
	ds_load_2addr_b64 v[156:159], v2 offset0:105 offset1:106
	s_wait_dscnt 0x1
	v_fmac_f64_e32 v[160:161], v[154:155], v[142:143]
	s_wait_loadcnt 0x4
	s_delay_alu instid0(VALU_DEP_1)
	v_fmac_f64_e32 v[160:161], v[130:131], v[144:145]
	scratch_load_b128 v[142:145], off, off offset:432
	s_wait_dscnt 0x0
	v_fmac_f64_e32 v[160:161], v[132:133], v[156:157]
	scratch_load_b128 v[130:133], off, off offset:448
	s_wait_loadcnt 0x5
	v_fmac_f64_e32 v[160:161], v[148:149], v[158:159]
	ds_load_2addr_b64 v[146:149], v2 offset0:107 offset1:108
	ds_load_2addr_b64 v[152:155], v2 offset0:109 offset1:110
	s_wait_dscnt 0x1
	v_fmac_f64_e32 v[160:161], v[150:151], v[146:147]
	s_wait_loadcnt 0x4
	s_delay_alu instid0(VALU_DEP_1)
	v_fmac_f64_e32 v[160:161], v[134:135], v[148:149]
	scratch_load_b128 v[146:149], off, off offset:464
	s_wait_dscnt 0x0
	v_fmac_f64_e32 v[160:161], v[136:137], v[152:153]
	ds_load_2addr_b64 v[134:137], v2 offset0:111 offset1:112
	ds_load_2addr_b64 v[150:153], v2 offset0:113 offset1:114
	s_wait_loadcnt 0x4
	v_fmac_f64_e32 v[160:161], v[138:139], v[154:155]
	s_wait_dscnt 0x1
	s_delay_alu instid0(VALU_DEP_1) | instskip(SKIP_1) | instid1(VALU_DEP_1)
	v_fmac_f64_e32 v[160:161], v[140:141], v[134:135]
	s_wait_loadcnt 0x3
	v_fmac_f64_e32 v[160:161], v[126:127], v[136:137]
	s_wait_dscnt 0x0
	s_delay_alu instid0(VALU_DEP_1)
	v_fmac_f64_e32 v[160:161], v[128:129], v[150:151]
	ds_load_2addr_b64 v[126:129], v2 offset0:115 offset1:116
	ds_load_2addr_b64 v[134:137], v2 offset0:117 offset1:118
	s_wait_loadcnt 0x2
	v_fmac_f64_e32 v[160:161], v[142:143], v[152:153]
	s_wait_dscnt 0x1
	s_delay_alu instid0(VALU_DEP_1) | instskip(SKIP_4) | instid1(VALU_DEP_1)
	v_fmac_f64_e32 v[160:161], v[144:145], v[126:127]
	ds_load_b64 v[126:127], v2 offset:952
	s_wait_loadcnt 0x1
	v_fmac_f64_e32 v[160:161], v[130:131], v[128:129]
	s_wait_dscnt 0x1
	v_fmac_f64_e32 v[160:161], v[132:133], v[134:135]
	s_wait_loadcnt 0x0
	s_delay_alu instid0(VALU_DEP_1) | instskip(SKIP_1) | instid1(VALU_DEP_1)
	v_fmac_f64_e32 v[160:161], v[146:147], v[136:137]
	s_wait_dscnt 0x0
	v_fmac_f64_e32 v[160:161], v[148:149], v[126:127]
	s_delay_alu instid0(VALU_DEP_1)
	v_add_f64_e64 v[124:125], v[124:125], -v[160:161]
	scratch_store_b64 off, v[124:125], off offset:208
	s_wait_xcnt 0x0
	v_cmpx_lt_u32_e32 25, v0
	s_cbranch_execz .LBB123_319
; %bb.318:
	scratch_load_b64 v[124:125], off, off offset:200
	v_mov_b64_e32 v[126:127], 0
	scratch_store_b64 off, v[126:127], off offset:200
	s_wait_loadcnt 0x0
	ds_store_b64 v1, v[124:125]
.LBB123_319:
	s_wait_xcnt 0x0
	s_or_b32 exec_lo, exec_lo, s0
	s_wait_storecnt_dscnt 0x0
	s_barrier_signal -1
	s_barrier_wait -1
	s_clause 0x5
	scratch_load_b128 v[124:127], off, off offset:200
	scratch_load_b128 v[128:131], off, off offset:216
	;; [unrolled: 1-line block ×6, first 2 shown]
	ds_load_b128 v[148:151], v2 offset:688
	ds_load_b128 v[152:155], v2 offset:704
	scratch_load_b128 v[156:159], off, off offset:296
	s_mov_b32 s0, exec_lo
	s_wait_loadcnt_dscnt 0x601
	v_fma_f64 v[160:161], v[126:127], v[148:149], 0
	s_wait_loadcnt 0x5
	s_delay_alu instid0(VALU_DEP_1) | instskip(SKIP_4) | instid1(VALU_DEP_1)
	v_fmac_f64_e32 v[160:161], v[128:129], v[150:151]
	scratch_load_b128 v[126:129], off, off offset:312
	s_wait_dscnt 0x0
	v_fmac_f64_e32 v[160:161], v[130:131], v[152:153]
	s_wait_loadcnt 0x5
	v_fmac_f64_e32 v[160:161], v[132:133], v[154:155]
	ds_load_b128 v[130:133], v2 offset:720
	ds_load_b128 v[148:151], v2 offset:736
	scratch_load_b128 v[152:155], off, off offset:328
	s_wait_dscnt 0x1
	v_fmac_f64_e32 v[160:161], v[134:135], v[130:131]
	s_wait_loadcnt 0x5
	s_delay_alu instid0(VALU_DEP_1) | instskip(SKIP_4) | instid1(VALU_DEP_1)
	v_fmac_f64_e32 v[160:161], v[136:137], v[132:133]
	scratch_load_b128 v[130:133], off, off offset:344
	s_wait_dscnt 0x0
	v_fmac_f64_e32 v[160:161], v[138:139], v[148:149]
	s_wait_loadcnt 0x5
	v_fmac_f64_e32 v[160:161], v[140:141], v[150:151]
	ds_load_b128 v[134:137], v2 offset:752
	ds_load_b128 v[138:141], v2 offset:768
	scratch_load_b128 v[148:151], off, off offset:360
	s_wait_dscnt 0x1
	v_fmac_f64_e32 v[160:161], v[142:143], v[134:135]
	s_wait_loadcnt 0x5
	s_delay_alu instid0(VALU_DEP_1) | instskip(SKIP_4) | instid1(VALU_DEP_1)
	v_fmac_f64_e32 v[160:161], v[144:145], v[136:137]
	scratch_load_b128 v[134:137], off, off offset:376
	s_wait_dscnt 0x0
	v_fmac_f64_e32 v[160:161], v[146:147], v[138:139]
	s_wait_loadcnt 0x5
	v_fmac_f64_e32 v[160:161], v[156:157], v[140:141]
	ds_load_b128 v[138:141], v2 offset:784
	ds_load_b128 v[142:145], v2 offset:800
	s_wait_dscnt 0x1
	v_fmac_f64_e32 v[160:161], v[158:159], v[138:139]
	scratch_load_b128 v[156:159], off, off offset:392
	s_wait_loadcnt 0x5
	v_fmac_f64_e32 v[160:161], v[126:127], v[140:141]
	s_wait_dscnt 0x0
	s_delay_alu instid0(VALU_DEP_1)
	v_fmac_f64_e32 v[160:161], v[128:129], v[142:143]
	scratch_load_b128 v[126:129], off, off offset:408
	s_wait_loadcnt 0x5
	v_fmac_f64_e32 v[160:161], v[152:153], v[144:145]
	ds_load_b128 v[138:141], v2 offset:816
	ds_load_b128 v[142:145], v2 offset:832
	s_wait_dscnt 0x1
	v_fmac_f64_e32 v[160:161], v[154:155], v[138:139]
	s_wait_loadcnt 0x4
	s_delay_alu instid0(VALU_DEP_1)
	v_fmac_f64_e32 v[160:161], v[130:131], v[140:141]
	scratch_load_b128 v[138:141], off, off offset:424
	s_wait_dscnt 0x0
	v_fmac_f64_e32 v[160:161], v[132:133], v[142:143]
	scratch_load_b128 v[130:133], off, off offset:440
	s_wait_loadcnt 0x5
	v_fmac_f64_e32 v[160:161], v[148:149], v[144:145]
	ds_load_b128 v[142:145], v2 offset:848
	ds_load_b128 v[146:149], v2 offset:864
	s_wait_dscnt 0x1
	v_fmac_f64_e32 v[160:161], v[150:151], v[142:143]
	scratch_load_b64 v[150:151], off, off offset:472
	s_wait_loadcnt 0x5
	v_fmac_f64_e32 v[160:161], v[134:135], v[144:145]
	scratch_load_b128 v[142:145], off, off offset:456
	s_wait_dscnt 0x0
	v_fmac_f64_e32 v[160:161], v[136:137], v[146:147]
	s_wait_loadcnt 0x5
	s_delay_alu instid0(VALU_DEP_1)
	v_fmac_f64_e32 v[160:161], v[156:157], v[148:149]
	ds_load_b128 v[134:137], v2 offset:880
	ds_load_b128 v[146:149], v2 offset:896
	s_wait_dscnt 0x1
	v_fmac_f64_e32 v[160:161], v[158:159], v[134:135]
	s_wait_loadcnt 0x4
	s_delay_alu instid0(VALU_DEP_1) | instskip(SKIP_1) | instid1(VALU_DEP_1)
	v_fmac_f64_e32 v[160:161], v[126:127], v[136:137]
	s_wait_dscnt 0x0
	v_fmac_f64_e32 v[160:161], v[128:129], v[146:147]
	ds_load_b128 v[126:129], v2 offset:912
	ds_load_b128 v[134:137], v2 offset:928
	s_wait_loadcnt 0x3
	v_fmac_f64_e32 v[160:161], v[138:139], v[148:149]
	s_wait_dscnt 0x1
	s_delay_alu instid0(VALU_DEP_1) | instskip(SKIP_1) | instid1(VALU_DEP_1)
	v_fmac_f64_e32 v[160:161], v[140:141], v[126:127]
	s_wait_loadcnt 0x2
	v_fmac_f64_e32 v[160:161], v[130:131], v[128:129]
	ds_load_b128 v[126:129], v2 offset:944
	s_wait_dscnt 0x1
	v_fmac_f64_e32 v[160:161], v[132:133], v[134:135]
	s_wait_loadcnt 0x0
	s_delay_alu instid0(VALU_DEP_1) | instskip(SKIP_1) | instid1(VALU_DEP_1)
	v_fmac_f64_e32 v[160:161], v[142:143], v[136:137]
	s_wait_dscnt 0x0
	v_fmac_f64_e32 v[160:161], v[144:145], v[126:127]
	s_delay_alu instid0(VALU_DEP_1) | instskip(NEXT) | instid1(VALU_DEP_1)
	v_fmac_f64_e32 v[160:161], v[150:151], v[128:129]
	v_add_f64_e64 v[2:3], v[124:125], -v[160:161]
	scratch_store_b64 off, v[2:3], off offset:200
	s_wait_xcnt 0x0
	v_cmpx_lt_u32_e32 24, v0
	s_cbranch_execz .LBB123_321
; %bb.320:
	scratch_load_b64 v[2:3], off, off offset:192
	v_mov_b64_e32 v[124:125], 0
	scratch_store_b64 off, v[124:125], off offset:192
	s_wait_loadcnt 0x0
	ds_store_b64 v1, v[2:3]
.LBB123_321:
	s_wait_xcnt 0x0
	s_or_b32 exec_lo, exec_lo, s0
	s_wait_storecnt_dscnt 0x0
	s_barrier_signal -1
	s_barrier_wait -1
	s_clause 0x5
	scratch_load_b128 v[124:127], off, off offset:192
	scratch_load_b128 v[128:131], off, off offset:208
	scratch_load_b128 v[132:135], off, off offset:224
	scratch_load_b128 v[136:139], off, off offset:240
	scratch_load_b128 v[140:143], off, off offset:256
	scratch_load_b128 v[144:147], off, off offset:272
	v_mov_b32_e32 v2, 0
	ds_load_2addr_b64 v[148:151], v2 offset0:85 offset1:86
	ds_load_2addr_b64 v[152:155], v2 offset0:87 offset1:88
	scratch_load_b128 v[156:159], off, off offset:288
	s_mov_b32 s0, exec_lo
	s_wait_loadcnt_dscnt 0x601
	v_fma_f64 v[160:161], v[126:127], v[148:149], 0
	s_wait_loadcnt 0x5
	s_delay_alu instid0(VALU_DEP_1) | instskip(SKIP_4) | instid1(VALU_DEP_1)
	v_fmac_f64_e32 v[160:161], v[128:129], v[150:151]
	scratch_load_b128 v[126:129], off, off offset:304
	s_wait_dscnt 0x0
	v_fmac_f64_e32 v[160:161], v[130:131], v[152:153]
	s_wait_loadcnt 0x5
	v_fmac_f64_e32 v[160:161], v[132:133], v[154:155]
	ds_load_2addr_b64 v[130:133], v2 offset0:89 offset1:90
	ds_load_2addr_b64 v[148:151], v2 offset0:91 offset1:92
	scratch_load_b128 v[152:155], off, off offset:320
	s_wait_dscnt 0x1
	v_fmac_f64_e32 v[160:161], v[134:135], v[130:131]
	s_wait_loadcnt 0x5
	s_delay_alu instid0(VALU_DEP_1) | instskip(SKIP_4) | instid1(VALU_DEP_1)
	v_fmac_f64_e32 v[160:161], v[136:137], v[132:133]
	scratch_load_b128 v[130:133], off, off offset:336
	s_wait_dscnt 0x0
	v_fmac_f64_e32 v[160:161], v[138:139], v[148:149]
	s_wait_loadcnt 0x5
	v_fmac_f64_e32 v[160:161], v[140:141], v[150:151]
	ds_load_2addr_b64 v[134:137], v2 offset0:93 offset1:94
	ds_load_2addr_b64 v[138:141], v2 offset0:95 offset1:96
	scratch_load_b128 v[148:151], off, off offset:352
	s_wait_dscnt 0x1
	v_fmac_f64_e32 v[160:161], v[142:143], v[134:135]
	s_wait_loadcnt 0x5
	s_delay_alu instid0(VALU_DEP_1) | instskip(SKIP_4) | instid1(VALU_DEP_1)
	v_fmac_f64_e32 v[160:161], v[144:145], v[136:137]
	scratch_load_b128 v[134:137], off, off offset:368
	s_wait_dscnt 0x0
	v_fmac_f64_e32 v[160:161], v[146:147], v[138:139]
	s_wait_loadcnt 0x5
	v_fmac_f64_e32 v[160:161], v[156:157], v[140:141]
	ds_load_2addr_b64 v[138:141], v2 offset0:97 offset1:98
	ds_load_2addr_b64 v[142:145], v2 offset0:99 offset1:100
	s_wait_dscnt 0x1
	v_fmac_f64_e32 v[160:161], v[158:159], v[138:139]
	scratch_load_b128 v[156:159], off, off offset:384
	s_wait_loadcnt 0x5
	v_fmac_f64_e32 v[160:161], v[126:127], v[140:141]
	s_wait_dscnt 0x0
	s_delay_alu instid0(VALU_DEP_1)
	v_fmac_f64_e32 v[160:161], v[128:129], v[142:143]
	scratch_load_b128 v[126:129], off, off offset:400
	s_wait_loadcnt 0x5
	v_fmac_f64_e32 v[160:161], v[152:153], v[144:145]
	ds_load_2addr_b64 v[138:141], v2 offset0:101 offset1:102
	ds_load_2addr_b64 v[142:145], v2 offset0:103 offset1:104
	s_wait_dscnt 0x1
	v_fmac_f64_e32 v[160:161], v[154:155], v[138:139]
	s_wait_loadcnt 0x4
	s_delay_alu instid0(VALU_DEP_1)
	v_fmac_f64_e32 v[160:161], v[130:131], v[140:141]
	scratch_load_b128 v[138:141], off, off offset:416
	s_wait_dscnt 0x0
	v_fmac_f64_e32 v[160:161], v[132:133], v[142:143]
	scratch_load_b128 v[130:133], off, off offset:432
	s_wait_loadcnt 0x5
	v_fmac_f64_e32 v[160:161], v[148:149], v[144:145]
	ds_load_2addr_b64 v[142:145], v2 offset0:105 offset1:106
	ds_load_2addr_b64 v[146:149], v2 offset0:107 offset1:108
	s_wait_dscnt 0x1
	v_fmac_f64_e32 v[160:161], v[150:151], v[142:143]
	s_wait_loadcnt 0x4
	s_delay_alu instid0(VALU_DEP_1)
	v_fmac_f64_e32 v[160:161], v[134:135], v[144:145]
	scratch_load_b128 v[142:145], off, off offset:448
	s_wait_dscnt 0x0
	v_fmac_f64_e32 v[160:161], v[136:137], v[146:147]
	scratch_load_b128 v[134:137], off, off offset:464
	s_wait_loadcnt 0x5
	v_fmac_f64_e32 v[160:161], v[156:157], v[148:149]
	ds_load_2addr_b64 v[146:149], v2 offset0:109 offset1:110
	ds_load_2addr_b64 v[150:153], v2 offset0:111 offset1:112
	s_wait_dscnt 0x1
	v_fmac_f64_e32 v[160:161], v[158:159], v[146:147]
	s_wait_loadcnt 0x4
	s_delay_alu instid0(VALU_DEP_1) | instskip(SKIP_1) | instid1(VALU_DEP_1)
	v_fmac_f64_e32 v[160:161], v[126:127], v[148:149]
	s_wait_dscnt 0x0
	v_fmac_f64_e32 v[160:161], v[128:129], v[150:151]
	ds_load_2addr_b64 v[126:129], v2 offset0:113 offset1:114
	ds_load_2addr_b64 v[146:149], v2 offset0:115 offset1:116
	s_wait_loadcnt 0x3
	v_fmac_f64_e32 v[160:161], v[138:139], v[152:153]
	s_wait_dscnt 0x1
	s_delay_alu instid0(VALU_DEP_1) | instskip(SKIP_1) | instid1(VALU_DEP_1)
	v_fmac_f64_e32 v[160:161], v[140:141], v[126:127]
	s_wait_loadcnt 0x2
	v_fmac_f64_e32 v[160:161], v[130:131], v[128:129]
	ds_load_2addr_b64 v[126:129], v2 offset0:117 offset1:118
	ds_load_b64 v[130:131], v2 offset:952
	s_wait_dscnt 0x2
	v_fmac_f64_e32 v[160:161], v[132:133], v[146:147]
	s_wait_loadcnt 0x1
	s_delay_alu instid0(VALU_DEP_1) | instskip(SKIP_1) | instid1(VALU_DEP_1)
	v_fmac_f64_e32 v[160:161], v[142:143], v[148:149]
	s_wait_dscnt 0x1
	v_fmac_f64_e32 v[160:161], v[144:145], v[126:127]
	s_wait_loadcnt 0x0
	s_delay_alu instid0(VALU_DEP_1) | instskip(SKIP_1) | instid1(VALU_DEP_1)
	v_fmac_f64_e32 v[160:161], v[134:135], v[128:129]
	s_wait_dscnt 0x0
	v_fmac_f64_e32 v[160:161], v[136:137], v[130:131]
	s_delay_alu instid0(VALU_DEP_1)
	v_add_f64_e64 v[124:125], v[124:125], -v[160:161]
	scratch_store_b64 off, v[124:125], off offset:192
	s_wait_xcnt 0x0
	v_cmpx_lt_u32_e32 23, v0
	s_cbranch_execz .LBB123_323
; %bb.322:
	scratch_load_b64 v[124:125], off, off offset:184
	v_mov_b64_e32 v[126:127], 0
	scratch_store_b64 off, v[126:127], off offset:184
	s_wait_loadcnt 0x0
	ds_store_b64 v1, v[124:125]
.LBB123_323:
	s_wait_xcnt 0x0
	s_or_b32 exec_lo, exec_lo, s0
	s_wait_storecnt_dscnt 0x0
	s_barrier_signal -1
	s_barrier_wait -1
	s_clause 0x5
	scratch_load_b128 v[124:127], off, off offset:184
	scratch_load_b128 v[128:131], off, off offset:200
	;; [unrolled: 1-line block ×6, first 2 shown]
	ds_load_b128 v[148:151], v2 offset:672
	ds_load_b128 v[152:155], v2 offset:688
	scratch_load_b128 v[156:159], off, off offset:280
	s_mov_b32 s0, exec_lo
	s_wait_loadcnt_dscnt 0x601
	v_fma_f64 v[160:161], v[126:127], v[148:149], 0
	s_wait_loadcnt 0x5
	s_delay_alu instid0(VALU_DEP_1) | instskip(SKIP_4) | instid1(VALU_DEP_1)
	v_fmac_f64_e32 v[160:161], v[128:129], v[150:151]
	scratch_load_b128 v[126:129], off, off offset:296
	s_wait_dscnt 0x0
	v_fmac_f64_e32 v[160:161], v[130:131], v[152:153]
	s_wait_loadcnt 0x5
	v_fmac_f64_e32 v[160:161], v[132:133], v[154:155]
	ds_load_b128 v[130:133], v2 offset:704
	ds_load_b128 v[148:151], v2 offset:720
	scratch_load_b128 v[152:155], off, off offset:312
	s_wait_dscnt 0x1
	v_fmac_f64_e32 v[160:161], v[134:135], v[130:131]
	s_wait_loadcnt 0x5
	s_delay_alu instid0(VALU_DEP_1) | instskip(SKIP_4) | instid1(VALU_DEP_1)
	v_fmac_f64_e32 v[160:161], v[136:137], v[132:133]
	scratch_load_b128 v[130:133], off, off offset:328
	s_wait_dscnt 0x0
	v_fmac_f64_e32 v[160:161], v[138:139], v[148:149]
	s_wait_loadcnt 0x5
	v_fmac_f64_e32 v[160:161], v[140:141], v[150:151]
	ds_load_b128 v[134:137], v2 offset:736
	ds_load_b128 v[138:141], v2 offset:752
	scratch_load_b128 v[148:151], off, off offset:344
	s_wait_dscnt 0x1
	v_fmac_f64_e32 v[160:161], v[142:143], v[134:135]
	s_wait_loadcnt 0x5
	s_delay_alu instid0(VALU_DEP_1) | instskip(SKIP_4) | instid1(VALU_DEP_1)
	v_fmac_f64_e32 v[160:161], v[144:145], v[136:137]
	scratch_load_b128 v[134:137], off, off offset:360
	s_wait_dscnt 0x0
	v_fmac_f64_e32 v[160:161], v[146:147], v[138:139]
	s_wait_loadcnt 0x5
	v_fmac_f64_e32 v[160:161], v[156:157], v[140:141]
	ds_load_b128 v[138:141], v2 offset:768
	ds_load_b128 v[142:145], v2 offset:784
	s_wait_dscnt 0x1
	v_fmac_f64_e32 v[160:161], v[158:159], v[138:139]
	scratch_load_b128 v[156:159], off, off offset:376
	s_wait_loadcnt 0x5
	v_fmac_f64_e32 v[160:161], v[126:127], v[140:141]
	s_wait_dscnt 0x0
	s_delay_alu instid0(VALU_DEP_1)
	v_fmac_f64_e32 v[160:161], v[128:129], v[142:143]
	scratch_load_b128 v[126:129], off, off offset:392
	s_wait_loadcnt 0x5
	v_fmac_f64_e32 v[160:161], v[152:153], v[144:145]
	ds_load_b128 v[138:141], v2 offset:800
	ds_load_b128 v[142:145], v2 offset:816
	s_wait_dscnt 0x1
	v_fmac_f64_e32 v[160:161], v[154:155], v[138:139]
	s_wait_loadcnt 0x4
	s_delay_alu instid0(VALU_DEP_1)
	v_fmac_f64_e32 v[160:161], v[130:131], v[140:141]
	scratch_load_b128 v[138:141], off, off offset:408
	s_wait_dscnt 0x0
	v_fmac_f64_e32 v[160:161], v[132:133], v[142:143]
	scratch_load_b128 v[130:133], off, off offset:424
	s_wait_loadcnt 0x5
	v_fmac_f64_e32 v[160:161], v[148:149], v[144:145]
	ds_load_b128 v[142:145], v2 offset:832
	ds_load_b128 v[146:149], v2 offset:848
	s_wait_dscnt 0x1
	v_fmac_f64_e32 v[160:161], v[150:151], v[142:143]
	s_wait_loadcnt 0x4
	s_delay_alu instid0(VALU_DEP_1)
	v_fmac_f64_e32 v[160:161], v[134:135], v[144:145]
	scratch_load_b128 v[142:145], off, off offset:440
	s_wait_dscnt 0x0
	v_fmac_f64_e32 v[160:161], v[136:137], v[146:147]
	scratch_load_b128 v[134:137], off, off offset:456
	s_wait_loadcnt 0x5
	v_fmac_f64_e32 v[160:161], v[156:157], v[148:149]
	ds_load_b128 v[146:149], v2 offset:864
	ds_load_b128 v[150:153], v2 offset:880
	scratch_load_b64 v[154:155], off, off offset:472
	s_wait_dscnt 0x1
	v_fmac_f64_e32 v[160:161], v[158:159], v[146:147]
	s_wait_loadcnt 0x5
	s_delay_alu instid0(VALU_DEP_1) | instskip(SKIP_1) | instid1(VALU_DEP_1)
	v_fmac_f64_e32 v[160:161], v[126:127], v[148:149]
	s_wait_dscnt 0x0
	v_fmac_f64_e32 v[160:161], v[128:129], v[150:151]
	ds_load_b128 v[126:129], v2 offset:896
	ds_load_b128 v[146:149], v2 offset:912
	s_wait_loadcnt 0x4
	v_fmac_f64_e32 v[160:161], v[138:139], v[152:153]
	s_wait_dscnt 0x1
	s_delay_alu instid0(VALU_DEP_1) | instskip(SKIP_1) | instid1(VALU_DEP_1)
	v_fmac_f64_e32 v[160:161], v[140:141], v[126:127]
	s_wait_loadcnt 0x3
	v_fmac_f64_e32 v[160:161], v[130:131], v[128:129]
	s_wait_dscnt 0x0
	s_delay_alu instid0(VALU_DEP_1)
	v_fmac_f64_e32 v[160:161], v[132:133], v[146:147]
	ds_load_b128 v[126:129], v2 offset:928
	ds_load_b128 v[130:133], v2 offset:944
	s_wait_loadcnt 0x2
	v_fmac_f64_e32 v[160:161], v[142:143], v[148:149]
	s_wait_dscnt 0x1
	s_delay_alu instid0(VALU_DEP_1) | instskip(SKIP_1) | instid1(VALU_DEP_1)
	v_fmac_f64_e32 v[160:161], v[144:145], v[126:127]
	s_wait_loadcnt 0x1
	v_fmac_f64_e32 v[160:161], v[134:135], v[128:129]
	s_wait_dscnt 0x0
	s_delay_alu instid0(VALU_DEP_1) | instskip(SKIP_1) | instid1(VALU_DEP_1)
	v_fmac_f64_e32 v[160:161], v[136:137], v[130:131]
	s_wait_loadcnt 0x0
	v_fmac_f64_e32 v[160:161], v[154:155], v[132:133]
	s_delay_alu instid0(VALU_DEP_1)
	v_add_f64_e64 v[2:3], v[124:125], -v[160:161]
	scratch_store_b64 off, v[2:3], off offset:184
	s_wait_xcnt 0x0
	v_cmpx_lt_u32_e32 22, v0
	s_cbranch_execz .LBB123_325
; %bb.324:
	scratch_load_b64 v[2:3], off, off offset:176
	v_mov_b64_e32 v[124:125], 0
	scratch_store_b64 off, v[124:125], off offset:176
	s_wait_loadcnt 0x0
	ds_store_b64 v1, v[2:3]
.LBB123_325:
	s_wait_xcnt 0x0
	s_or_b32 exec_lo, exec_lo, s0
	s_wait_storecnt_dscnt 0x0
	s_barrier_signal -1
	s_barrier_wait -1
	s_clause 0x5
	scratch_load_b128 v[124:127], off, off offset:176
	scratch_load_b128 v[128:131], off, off offset:192
	;; [unrolled: 1-line block ×6, first 2 shown]
	v_mov_b32_e32 v2, 0
	ds_load_2addr_b64 v[148:151], v2 offset0:83 offset1:84
	ds_load_2addr_b64 v[152:155], v2 offset0:85 offset1:86
	scratch_load_b128 v[156:159], off, off offset:272
	s_mov_b32 s0, exec_lo
	s_wait_loadcnt_dscnt 0x601
	v_fma_f64 v[160:161], v[126:127], v[148:149], 0
	s_wait_loadcnt 0x5
	s_delay_alu instid0(VALU_DEP_1) | instskip(SKIP_4) | instid1(VALU_DEP_1)
	v_fmac_f64_e32 v[160:161], v[128:129], v[150:151]
	scratch_load_b128 v[126:129], off, off offset:288
	s_wait_dscnt 0x0
	v_fmac_f64_e32 v[160:161], v[130:131], v[152:153]
	s_wait_loadcnt 0x5
	v_fmac_f64_e32 v[160:161], v[132:133], v[154:155]
	ds_load_2addr_b64 v[130:133], v2 offset0:87 offset1:88
	ds_load_2addr_b64 v[148:151], v2 offset0:89 offset1:90
	scratch_load_b128 v[152:155], off, off offset:304
	s_wait_dscnt 0x1
	v_fmac_f64_e32 v[160:161], v[134:135], v[130:131]
	s_wait_loadcnt 0x5
	s_delay_alu instid0(VALU_DEP_1) | instskip(SKIP_4) | instid1(VALU_DEP_1)
	v_fmac_f64_e32 v[160:161], v[136:137], v[132:133]
	scratch_load_b128 v[130:133], off, off offset:320
	s_wait_dscnt 0x0
	v_fmac_f64_e32 v[160:161], v[138:139], v[148:149]
	s_wait_loadcnt 0x5
	v_fmac_f64_e32 v[160:161], v[140:141], v[150:151]
	ds_load_2addr_b64 v[134:137], v2 offset0:91 offset1:92
	ds_load_2addr_b64 v[138:141], v2 offset0:93 offset1:94
	scratch_load_b128 v[148:151], off, off offset:336
	s_wait_dscnt 0x1
	v_fmac_f64_e32 v[160:161], v[142:143], v[134:135]
	s_wait_loadcnt 0x5
	s_delay_alu instid0(VALU_DEP_1) | instskip(SKIP_4) | instid1(VALU_DEP_1)
	v_fmac_f64_e32 v[160:161], v[144:145], v[136:137]
	scratch_load_b128 v[134:137], off, off offset:352
	s_wait_dscnt 0x0
	v_fmac_f64_e32 v[160:161], v[146:147], v[138:139]
	s_wait_loadcnt 0x5
	v_fmac_f64_e32 v[160:161], v[156:157], v[140:141]
	ds_load_2addr_b64 v[138:141], v2 offset0:95 offset1:96
	ds_load_2addr_b64 v[142:145], v2 offset0:97 offset1:98
	s_wait_dscnt 0x1
	v_fmac_f64_e32 v[160:161], v[158:159], v[138:139]
	scratch_load_b128 v[156:159], off, off offset:368
	s_wait_loadcnt 0x5
	v_fmac_f64_e32 v[160:161], v[126:127], v[140:141]
	s_wait_dscnt 0x0
	s_delay_alu instid0(VALU_DEP_1)
	v_fmac_f64_e32 v[160:161], v[128:129], v[142:143]
	scratch_load_b128 v[126:129], off, off offset:384
	s_wait_loadcnt 0x5
	v_fmac_f64_e32 v[160:161], v[152:153], v[144:145]
	ds_load_2addr_b64 v[138:141], v2 offset0:99 offset1:100
	ds_load_2addr_b64 v[142:145], v2 offset0:101 offset1:102
	s_wait_dscnt 0x1
	v_fmac_f64_e32 v[160:161], v[154:155], v[138:139]
	s_wait_loadcnt 0x4
	s_delay_alu instid0(VALU_DEP_1)
	v_fmac_f64_e32 v[160:161], v[130:131], v[140:141]
	scratch_load_b128 v[138:141], off, off offset:400
	s_wait_dscnt 0x0
	v_fmac_f64_e32 v[160:161], v[132:133], v[142:143]
	scratch_load_b128 v[130:133], off, off offset:416
	s_wait_loadcnt 0x5
	v_fmac_f64_e32 v[160:161], v[148:149], v[144:145]
	ds_load_2addr_b64 v[142:145], v2 offset0:103 offset1:104
	ds_load_2addr_b64 v[146:149], v2 offset0:105 offset1:106
	s_wait_dscnt 0x1
	v_fmac_f64_e32 v[160:161], v[150:151], v[142:143]
	s_wait_loadcnt 0x4
	s_delay_alu instid0(VALU_DEP_1)
	v_fmac_f64_e32 v[160:161], v[134:135], v[144:145]
	scratch_load_b128 v[142:145], off, off offset:432
	s_wait_dscnt 0x0
	v_fmac_f64_e32 v[160:161], v[136:137], v[146:147]
	scratch_load_b128 v[134:137], off, off offset:448
	s_wait_loadcnt 0x5
	v_fmac_f64_e32 v[160:161], v[156:157], v[148:149]
	ds_load_2addr_b64 v[146:149], v2 offset0:107 offset1:108
	ds_load_2addr_b64 v[150:153], v2 offset0:109 offset1:110
	s_wait_dscnt 0x1
	v_fmac_f64_e32 v[160:161], v[158:159], v[146:147]
	s_wait_loadcnt 0x4
	s_delay_alu instid0(VALU_DEP_1) | instskip(SKIP_4) | instid1(VALU_DEP_1)
	v_fmac_f64_e32 v[160:161], v[126:127], v[148:149]
	scratch_load_b128 v[146:149], off, off offset:464
	s_wait_dscnt 0x0
	v_fmac_f64_e32 v[160:161], v[128:129], v[150:151]
	s_wait_loadcnt 0x4
	v_fmac_f64_e32 v[160:161], v[138:139], v[152:153]
	ds_load_2addr_b64 v[126:129], v2 offset0:111 offset1:112
	ds_load_2addr_b64 v[150:153], v2 offset0:113 offset1:114
	s_wait_dscnt 0x1
	v_fmac_f64_e32 v[160:161], v[140:141], v[126:127]
	s_wait_loadcnt 0x3
	s_delay_alu instid0(VALU_DEP_1) | instskip(SKIP_1) | instid1(VALU_DEP_1)
	v_fmac_f64_e32 v[160:161], v[130:131], v[128:129]
	s_wait_dscnt 0x0
	v_fmac_f64_e32 v[160:161], v[132:133], v[150:151]
	ds_load_2addr_b64 v[126:129], v2 offset0:115 offset1:116
	ds_load_2addr_b64 v[130:133], v2 offset0:117 offset1:118
	s_wait_loadcnt 0x2
	v_fmac_f64_e32 v[160:161], v[142:143], v[152:153]
	s_wait_dscnt 0x1
	s_delay_alu instid0(VALU_DEP_1) | instskip(SKIP_4) | instid1(VALU_DEP_1)
	v_fmac_f64_e32 v[160:161], v[144:145], v[126:127]
	ds_load_b64 v[126:127], v2 offset:952
	s_wait_loadcnt 0x1
	v_fmac_f64_e32 v[160:161], v[134:135], v[128:129]
	s_wait_dscnt 0x1
	v_fmac_f64_e32 v[160:161], v[136:137], v[130:131]
	s_wait_loadcnt 0x0
	s_delay_alu instid0(VALU_DEP_1) | instskip(SKIP_1) | instid1(VALU_DEP_1)
	v_fmac_f64_e32 v[160:161], v[146:147], v[132:133]
	s_wait_dscnt 0x0
	v_fmac_f64_e32 v[160:161], v[148:149], v[126:127]
	s_delay_alu instid0(VALU_DEP_1)
	v_add_f64_e64 v[124:125], v[124:125], -v[160:161]
	scratch_store_b64 off, v[124:125], off offset:176
	s_wait_xcnt 0x0
	v_cmpx_lt_u32_e32 21, v0
	s_cbranch_execz .LBB123_327
; %bb.326:
	scratch_load_b64 v[124:125], off, off offset:168
	v_mov_b64_e32 v[126:127], 0
	scratch_store_b64 off, v[126:127], off offset:168
	s_wait_loadcnt 0x0
	ds_store_b64 v1, v[124:125]
.LBB123_327:
	s_wait_xcnt 0x0
	s_or_b32 exec_lo, exec_lo, s0
	s_wait_storecnt_dscnt 0x0
	s_barrier_signal -1
	s_barrier_wait -1
	s_clause 0x5
	scratch_load_b128 v[124:127], off, off offset:168
	scratch_load_b128 v[128:131], off, off offset:184
	;; [unrolled: 1-line block ×6, first 2 shown]
	ds_load_b128 v[148:151], v2 offset:656
	ds_load_b128 v[152:155], v2 offset:672
	scratch_load_b128 v[156:159], off, off offset:264
	s_mov_b32 s0, exec_lo
	s_wait_loadcnt_dscnt 0x601
	v_fma_f64 v[160:161], v[126:127], v[148:149], 0
	s_wait_loadcnt 0x5
	s_delay_alu instid0(VALU_DEP_1) | instskip(SKIP_4) | instid1(VALU_DEP_1)
	v_fmac_f64_e32 v[160:161], v[128:129], v[150:151]
	scratch_load_b128 v[126:129], off, off offset:280
	s_wait_dscnt 0x0
	v_fmac_f64_e32 v[160:161], v[130:131], v[152:153]
	s_wait_loadcnt 0x5
	v_fmac_f64_e32 v[160:161], v[132:133], v[154:155]
	ds_load_b128 v[130:133], v2 offset:688
	ds_load_b128 v[148:151], v2 offset:704
	scratch_load_b128 v[152:155], off, off offset:296
	s_wait_dscnt 0x1
	v_fmac_f64_e32 v[160:161], v[134:135], v[130:131]
	s_wait_loadcnt 0x5
	s_delay_alu instid0(VALU_DEP_1) | instskip(SKIP_4) | instid1(VALU_DEP_1)
	v_fmac_f64_e32 v[160:161], v[136:137], v[132:133]
	scratch_load_b128 v[130:133], off, off offset:312
	s_wait_dscnt 0x0
	v_fmac_f64_e32 v[160:161], v[138:139], v[148:149]
	s_wait_loadcnt 0x5
	v_fmac_f64_e32 v[160:161], v[140:141], v[150:151]
	ds_load_b128 v[134:137], v2 offset:720
	ds_load_b128 v[138:141], v2 offset:736
	scratch_load_b128 v[148:151], off, off offset:328
	s_wait_dscnt 0x1
	v_fmac_f64_e32 v[160:161], v[142:143], v[134:135]
	s_wait_loadcnt 0x5
	s_delay_alu instid0(VALU_DEP_1) | instskip(SKIP_4) | instid1(VALU_DEP_1)
	v_fmac_f64_e32 v[160:161], v[144:145], v[136:137]
	scratch_load_b128 v[134:137], off, off offset:344
	s_wait_dscnt 0x0
	v_fmac_f64_e32 v[160:161], v[146:147], v[138:139]
	s_wait_loadcnt 0x5
	v_fmac_f64_e32 v[160:161], v[156:157], v[140:141]
	ds_load_b128 v[138:141], v2 offset:752
	ds_load_b128 v[142:145], v2 offset:768
	s_wait_dscnt 0x1
	v_fmac_f64_e32 v[160:161], v[158:159], v[138:139]
	scratch_load_b128 v[156:159], off, off offset:360
	s_wait_loadcnt 0x5
	v_fmac_f64_e32 v[160:161], v[126:127], v[140:141]
	s_wait_dscnt 0x0
	s_delay_alu instid0(VALU_DEP_1)
	v_fmac_f64_e32 v[160:161], v[128:129], v[142:143]
	scratch_load_b128 v[126:129], off, off offset:376
	s_wait_loadcnt 0x5
	v_fmac_f64_e32 v[160:161], v[152:153], v[144:145]
	ds_load_b128 v[138:141], v2 offset:784
	ds_load_b128 v[142:145], v2 offset:800
	s_wait_dscnt 0x1
	v_fmac_f64_e32 v[160:161], v[154:155], v[138:139]
	scratch_load_b128 v[152:155], off, off offset:392
	s_wait_loadcnt 0x5
	v_fmac_f64_e32 v[160:161], v[130:131], v[140:141]
	s_wait_dscnt 0x0
	s_delay_alu instid0(VALU_DEP_1)
	v_fmac_f64_e32 v[160:161], v[132:133], v[142:143]
	scratch_load_b128 v[130:133], off, off offset:408
	s_wait_loadcnt 0x5
	v_fmac_f64_e32 v[160:161], v[148:149], v[144:145]
	ds_load_b128 v[138:141], v2 offset:816
	ds_load_b128 v[142:145], v2 offset:832
	s_wait_dscnt 0x1
	v_fmac_f64_e32 v[160:161], v[150:151], v[138:139]
	s_wait_loadcnt 0x4
	s_delay_alu instid0(VALU_DEP_1)
	v_fmac_f64_e32 v[160:161], v[134:135], v[140:141]
	scratch_load_b128 v[138:141], off, off offset:424
	s_wait_dscnt 0x0
	v_fmac_f64_e32 v[160:161], v[136:137], v[142:143]
	scratch_load_b128 v[134:137], off, off offset:440
	s_wait_loadcnt 0x5
	v_fmac_f64_e32 v[160:161], v[156:157], v[144:145]
	ds_load_b128 v[142:145], v2 offset:848
	ds_load_b128 v[146:149], v2 offset:864
	scratch_load_b64 v[150:151], off, off offset:472
	s_wait_dscnt 0x1
	v_fmac_f64_e32 v[160:161], v[158:159], v[142:143]
	s_wait_loadcnt 0x5
	s_delay_alu instid0(VALU_DEP_1) | instskip(SKIP_4) | instid1(VALU_DEP_1)
	v_fmac_f64_e32 v[160:161], v[126:127], v[144:145]
	scratch_load_b128 v[142:145], off, off offset:456
	s_wait_dscnt 0x0
	v_fmac_f64_e32 v[160:161], v[128:129], v[146:147]
	s_wait_loadcnt 0x5
	v_fmac_f64_e32 v[160:161], v[152:153], v[148:149]
	ds_load_b128 v[126:129], v2 offset:880
	ds_load_b128 v[146:149], v2 offset:896
	s_wait_dscnt 0x1
	v_fmac_f64_e32 v[160:161], v[154:155], v[126:127]
	s_wait_loadcnt 0x4
	s_delay_alu instid0(VALU_DEP_1) | instskip(SKIP_1) | instid1(VALU_DEP_1)
	v_fmac_f64_e32 v[160:161], v[130:131], v[128:129]
	s_wait_dscnt 0x0
	v_fmac_f64_e32 v[160:161], v[132:133], v[146:147]
	ds_load_b128 v[126:129], v2 offset:912
	ds_load_b128 v[130:133], v2 offset:928
	s_wait_loadcnt 0x3
	v_fmac_f64_e32 v[160:161], v[138:139], v[148:149]
	s_wait_dscnt 0x1
	s_delay_alu instid0(VALU_DEP_1) | instskip(SKIP_1) | instid1(VALU_DEP_1)
	v_fmac_f64_e32 v[160:161], v[140:141], v[126:127]
	s_wait_loadcnt 0x2
	v_fmac_f64_e32 v[160:161], v[134:135], v[128:129]
	ds_load_b128 v[126:129], v2 offset:944
	s_wait_dscnt 0x1
	v_fmac_f64_e32 v[160:161], v[136:137], v[130:131]
	s_wait_loadcnt 0x0
	s_delay_alu instid0(VALU_DEP_1) | instskip(SKIP_1) | instid1(VALU_DEP_1)
	v_fmac_f64_e32 v[160:161], v[142:143], v[132:133]
	s_wait_dscnt 0x0
	v_fmac_f64_e32 v[160:161], v[144:145], v[126:127]
	s_delay_alu instid0(VALU_DEP_1) | instskip(NEXT) | instid1(VALU_DEP_1)
	v_fmac_f64_e32 v[160:161], v[150:151], v[128:129]
	v_add_f64_e64 v[2:3], v[124:125], -v[160:161]
	scratch_store_b64 off, v[2:3], off offset:168
	s_wait_xcnt 0x0
	v_cmpx_lt_u32_e32 20, v0
	s_cbranch_execz .LBB123_329
; %bb.328:
	scratch_load_b64 v[2:3], off, off offset:160
	v_mov_b64_e32 v[124:125], 0
	scratch_store_b64 off, v[124:125], off offset:160
	s_wait_loadcnt 0x0
	ds_store_b64 v1, v[2:3]
.LBB123_329:
	s_wait_xcnt 0x0
	s_or_b32 exec_lo, exec_lo, s0
	s_wait_storecnt_dscnt 0x0
	s_barrier_signal -1
	s_barrier_wait -1
	s_clause 0x5
	scratch_load_b128 v[124:127], off, off offset:160
	scratch_load_b128 v[128:131], off, off offset:176
	;; [unrolled: 1-line block ×6, first 2 shown]
	v_mov_b32_e32 v2, 0
	ds_load_2addr_b64 v[148:151], v2 offset0:81 offset1:82
	ds_load_2addr_b64 v[152:155], v2 offset0:83 offset1:84
	scratch_load_b128 v[156:159], off, off offset:256
	s_mov_b32 s0, exec_lo
	s_wait_loadcnt_dscnt 0x601
	v_fma_f64 v[160:161], v[126:127], v[148:149], 0
	s_wait_loadcnt 0x5
	s_delay_alu instid0(VALU_DEP_1) | instskip(SKIP_4) | instid1(VALU_DEP_1)
	v_fmac_f64_e32 v[160:161], v[128:129], v[150:151]
	scratch_load_b128 v[126:129], off, off offset:272
	s_wait_dscnt 0x0
	v_fmac_f64_e32 v[160:161], v[130:131], v[152:153]
	s_wait_loadcnt 0x5
	v_fmac_f64_e32 v[160:161], v[132:133], v[154:155]
	ds_load_2addr_b64 v[130:133], v2 offset0:85 offset1:86
	ds_load_2addr_b64 v[148:151], v2 offset0:87 offset1:88
	scratch_load_b128 v[152:155], off, off offset:288
	s_wait_dscnt 0x1
	v_fmac_f64_e32 v[160:161], v[134:135], v[130:131]
	s_wait_loadcnt 0x5
	s_delay_alu instid0(VALU_DEP_1) | instskip(SKIP_4) | instid1(VALU_DEP_1)
	v_fmac_f64_e32 v[160:161], v[136:137], v[132:133]
	scratch_load_b128 v[130:133], off, off offset:304
	s_wait_dscnt 0x0
	v_fmac_f64_e32 v[160:161], v[138:139], v[148:149]
	s_wait_loadcnt 0x5
	v_fmac_f64_e32 v[160:161], v[140:141], v[150:151]
	ds_load_2addr_b64 v[134:137], v2 offset0:89 offset1:90
	ds_load_2addr_b64 v[138:141], v2 offset0:91 offset1:92
	scratch_load_b128 v[148:151], off, off offset:320
	s_wait_dscnt 0x1
	v_fmac_f64_e32 v[160:161], v[142:143], v[134:135]
	s_wait_loadcnt 0x5
	s_delay_alu instid0(VALU_DEP_1) | instskip(SKIP_4) | instid1(VALU_DEP_1)
	v_fmac_f64_e32 v[160:161], v[144:145], v[136:137]
	scratch_load_b128 v[134:137], off, off offset:336
	s_wait_dscnt 0x0
	v_fmac_f64_e32 v[160:161], v[146:147], v[138:139]
	s_wait_loadcnt 0x5
	v_fmac_f64_e32 v[160:161], v[156:157], v[140:141]
	ds_load_2addr_b64 v[138:141], v2 offset0:93 offset1:94
	ds_load_2addr_b64 v[142:145], v2 offset0:95 offset1:96
	s_wait_dscnt 0x1
	v_fmac_f64_e32 v[160:161], v[158:159], v[138:139]
	scratch_load_b128 v[156:159], off, off offset:352
	s_wait_loadcnt 0x5
	v_fmac_f64_e32 v[160:161], v[126:127], v[140:141]
	s_wait_dscnt 0x0
	s_delay_alu instid0(VALU_DEP_1)
	v_fmac_f64_e32 v[160:161], v[128:129], v[142:143]
	scratch_load_b128 v[126:129], off, off offset:368
	s_wait_loadcnt 0x5
	v_fmac_f64_e32 v[160:161], v[152:153], v[144:145]
	ds_load_2addr_b64 v[138:141], v2 offset0:97 offset1:98
	ds_load_2addr_b64 v[142:145], v2 offset0:99 offset1:100
	s_wait_dscnt 0x1
	v_fmac_f64_e32 v[160:161], v[154:155], v[138:139]
	scratch_load_b128 v[152:155], off, off offset:384
	s_wait_loadcnt 0x5
	v_fmac_f64_e32 v[160:161], v[130:131], v[140:141]
	s_wait_dscnt 0x0
	s_delay_alu instid0(VALU_DEP_1)
	v_fmac_f64_e32 v[160:161], v[132:133], v[142:143]
	scratch_load_b128 v[130:133], off, off offset:400
	s_wait_loadcnt 0x5
	v_fmac_f64_e32 v[160:161], v[148:149], v[144:145]
	ds_load_2addr_b64 v[138:141], v2 offset0:101 offset1:102
	ds_load_2addr_b64 v[142:145], v2 offset0:103 offset1:104
	s_wait_dscnt 0x1
	v_fmac_f64_e32 v[160:161], v[150:151], v[138:139]
	s_wait_loadcnt 0x4
	s_delay_alu instid0(VALU_DEP_1)
	v_fmac_f64_e32 v[160:161], v[134:135], v[140:141]
	scratch_load_b128 v[138:141], off, off offset:416
	s_wait_dscnt 0x0
	v_fmac_f64_e32 v[160:161], v[136:137], v[142:143]
	scratch_load_b128 v[134:137], off, off offset:432
	s_wait_loadcnt 0x5
	v_fmac_f64_e32 v[160:161], v[156:157], v[144:145]
	ds_load_2addr_b64 v[142:145], v2 offset0:105 offset1:106
	ds_load_2addr_b64 v[146:149], v2 offset0:107 offset1:108
	s_wait_dscnt 0x1
	v_fmac_f64_e32 v[160:161], v[158:159], v[142:143]
	s_wait_loadcnt 0x4
	s_delay_alu instid0(VALU_DEP_1)
	v_fmac_f64_e32 v[160:161], v[126:127], v[144:145]
	scratch_load_b128 v[142:145], off, off offset:448
	s_wait_dscnt 0x0
	v_fmac_f64_e32 v[160:161], v[128:129], v[146:147]
	scratch_load_b128 v[126:129], off, off offset:464
	s_wait_loadcnt 0x5
	v_fmac_f64_e32 v[160:161], v[152:153], v[148:149]
	ds_load_2addr_b64 v[146:149], v2 offset0:109 offset1:110
	ds_load_2addr_b64 v[150:153], v2 offset0:111 offset1:112
	s_wait_dscnt 0x1
	v_fmac_f64_e32 v[160:161], v[154:155], v[146:147]
	s_wait_loadcnt 0x4
	s_delay_alu instid0(VALU_DEP_1) | instskip(SKIP_1) | instid1(VALU_DEP_1)
	v_fmac_f64_e32 v[160:161], v[130:131], v[148:149]
	s_wait_dscnt 0x0
	v_fmac_f64_e32 v[160:161], v[132:133], v[150:151]
	ds_load_2addr_b64 v[130:133], v2 offset0:113 offset1:114
	ds_load_2addr_b64 v[146:149], v2 offset0:115 offset1:116
	s_wait_loadcnt 0x3
	v_fmac_f64_e32 v[160:161], v[138:139], v[152:153]
	s_wait_dscnt 0x1
	s_delay_alu instid0(VALU_DEP_1) | instskip(SKIP_1) | instid1(VALU_DEP_1)
	v_fmac_f64_e32 v[160:161], v[140:141], v[130:131]
	s_wait_loadcnt 0x2
	v_fmac_f64_e32 v[160:161], v[134:135], v[132:133]
	ds_load_2addr_b64 v[130:133], v2 offset0:117 offset1:118
	ds_load_b64 v[134:135], v2 offset:952
	s_wait_dscnt 0x2
	v_fmac_f64_e32 v[160:161], v[136:137], v[146:147]
	s_wait_loadcnt 0x1
	s_delay_alu instid0(VALU_DEP_1) | instskip(SKIP_1) | instid1(VALU_DEP_1)
	v_fmac_f64_e32 v[160:161], v[142:143], v[148:149]
	s_wait_dscnt 0x1
	v_fmac_f64_e32 v[160:161], v[144:145], v[130:131]
	s_wait_loadcnt 0x0
	s_delay_alu instid0(VALU_DEP_1) | instskip(SKIP_1) | instid1(VALU_DEP_1)
	v_fmac_f64_e32 v[160:161], v[126:127], v[132:133]
	s_wait_dscnt 0x0
	v_fmac_f64_e32 v[160:161], v[128:129], v[134:135]
	s_delay_alu instid0(VALU_DEP_1)
	v_add_f64_e64 v[124:125], v[124:125], -v[160:161]
	scratch_store_b64 off, v[124:125], off offset:160
	s_wait_xcnt 0x0
	v_cmpx_lt_u32_e32 19, v0
	s_cbranch_execz .LBB123_331
; %bb.330:
	scratch_load_b64 v[124:125], off, off offset:152
	v_mov_b64_e32 v[126:127], 0
	scratch_store_b64 off, v[126:127], off offset:152
	s_wait_loadcnt 0x0
	ds_store_b64 v1, v[124:125]
.LBB123_331:
	s_wait_xcnt 0x0
	s_or_b32 exec_lo, exec_lo, s0
	s_wait_storecnt_dscnt 0x0
	s_barrier_signal -1
	s_barrier_wait -1
	s_clause 0x5
	scratch_load_b128 v[124:127], off, off offset:152
	scratch_load_b128 v[128:131], off, off offset:168
	;; [unrolled: 1-line block ×6, first 2 shown]
	ds_load_b128 v[148:151], v2 offset:640
	ds_load_b128 v[152:155], v2 offset:656
	scratch_load_b128 v[156:159], off, off offset:248
	s_mov_b32 s0, exec_lo
	s_wait_loadcnt_dscnt 0x601
	v_fma_f64 v[160:161], v[126:127], v[148:149], 0
	s_wait_loadcnt 0x5
	s_delay_alu instid0(VALU_DEP_1) | instskip(SKIP_4) | instid1(VALU_DEP_1)
	v_fmac_f64_e32 v[160:161], v[128:129], v[150:151]
	scratch_load_b128 v[126:129], off, off offset:264
	s_wait_dscnt 0x0
	v_fmac_f64_e32 v[160:161], v[130:131], v[152:153]
	s_wait_loadcnt 0x5
	v_fmac_f64_e32 v[160:161], v[132:133], v[154:155]
	ds_load_b128 v[130:133], v2 offset:672
	ds_load_b128 v[148:151], v2 offset:688
	scratch_load_b128 v[152:155], off, off offset:280
	s_wait_dscnt 0x1
	v_fmac_f64_e32 v[160:161], v[134:135], v[130:131]
	s_wait_loadcnt 0x5
	s_delay_alu instid0(VALU_DEP_1) | instskip(SKIP_4) | instid1(VALU_DEP_1)
	v_fmac_f64_e32 v[160:161], v[136:137], v[132:133]
	scratch_load_b128 v[130:133], off, off offset:296
	s_wait_dscnt 0x0
	v_fmac_f64_e32 v[160:161], v[138:139], v[148:149]
	s_wait_loadcnt 0x5
	v_fmac_f64_e32 v[160:161], v[140:141], v[150:151]
	ds_load_b128 v[134:137], v2 offset:704
	ds_load_b128 v[138:141], v2 offset:720
	scratch_load_b128 v[148:151], off, off offset:312
	s_wait_dscnt 0x1
	v_fmac_f64_e32 v[160:161], v[142:143], v[134:135]
	s_wait_loadcnt 0x5
	s_delay_alu instid0(VALU_DEP_1) | instskip(SKIP_4) | instid1(VALU_DEP_1)
	v_fmac_f64_e32 v[160:161], v[144:145], v[136:137]
	scratch_load_b128 v[134:137], off, off offset:328
	s_wait_dscnt 0x0
	v_fmac_f64_e32 v[160:161], v[146:147], v[138:139]
	s_wait_loadcnt 0x5
	v_fmac_f64_e32 v[160:161], v[156:157], v[140:141]
	ds_load_b128 v[138:141], v2 offset:736
	ds_load_b128 v[142:145], v2 offset:752
	s_wait_dscnt 0x1
	v_fmac_f64_e32 v[160:161], v[158:159], v[138:139]
	scratch_load_b128 v[156:159], off, off offset:344
	s_wait_loadcnt 0x5
	v_fmac_f64_e32 v[160:161], v[126:127], v[140:141]
	s_wait_dscnt 0x0
	s_delay_alu instid0(VALU_DEP_1)
	v_fmac_f64_e32 v[160:161], v[128:129], v[142:143]
	scratch_load_b128 v[126:129], off, off offset:360
	s_wait_loadcnt 0x5
	v_fmac_f64_e32 v[160:161], v[152:153], v[144:145]
	ds_load_b128 v[138:141], v2 offset:768
	ds_load_b128 v[142:145], v2 offset:784
	s_wait_dscnt 0x1
	v_fmac_f64_e32 v[160:161], v[154:155], v[138:139]
	scratch_load_b128 v[152:155], off, off offset:376
	s_wait_loadcnt 0x5
	v_fmac_f64_e32 v[160:161], v[130:131], v[140:141]
	s_wait_dscnt 0x0
	s_delay_alu instid0(VALU_DEP_1)
	v_fmac_f64_e32 v[160:161], v[132:133], v[142:143]
	scratch_load_b128 v[130:133], off, off offset:392
	s_wait_loadcnt 0x5
	v_fmac_f64_e32 v[160:161], v[148:149], v[144:145]
	ds_load_b128 v[138:141], v2 offset:800
	ds_load_b128 v[142:145], v2 offset:816
	s_wait_dscnt 0x1
	v_fmac_f64_e32 v[160:161], v[150:151], v[138:139]
	s_wait_loadcnt 0x4
	s_delay_alu instid0(VALU_DEP_1)
	v_fmac_f64_e32 v[160:161], v[134:135], v[140:141]
	scratch_load_b128 v[138:141], off, off offset:408
	s_wait_dscnt 0x0
	v_fmac_f64_e32 v[160:161], v[136:137], v[142:143]
	scratch_load_b128 v[134:137], off, off offset:424
	s_wait_loadcnt 0x5
	v_fmac_f64_e32 v[160:161], v[156:157], v[144:145]
	ds_load_b128 v[142:145], v2 offset:832
	ds_load_b128 v[146:149], v2 offset:848
	s_wait_dscnt 0x1
	v_fmac_f64_e32 v[160:161], v[158:159], v[142:143]
	s_wait_loadcnt 0x4
	s_delay_alu instid0(VALU_DEP_1)
	v_fmac_f64_e32 v[160:161], v[126:127], v[144:145]
	scratch_load_b128 v[142:145], off, off offset:440
	s_wait_dscnt 0x0
	v_fmac_f64_e32 v[160:161], v[128:129], v[146:147]
	scratch_load_b128 v[126:129], off, off offset:456
	s_wait_loadcnt 0x5
	v_fmac_f64_e32 v[160:161], v[152:153], v[148:149]
	ds_load_b128 v[146:149], v2 offset:864
	ds_load_b128 v[150:153], v2 offset:880
	s_wait_dscnt 0x1
	v_fmac_f64_e32 v[160:161], v[154:155], v[146:147]
	scratch_load_b64 v[154:155], off, off offset:472
	s_wait_loadcnt 0x5
	v_fmac_f64_e32 v[160:161], v[130:131], v[148:149]
	s_wait_dscnt 0x0
	s_delay_alu instid0(VALU_DEP_1)
	v_fmac_f64_e32 v[160:161], v[132:133], v[150:151]
	ds_load_b128 v[130:133], v2 offset:896
	ds_load_b128 v[146:149], v2 offset:912
	s_wait_loadcnt 0x4
	v_fmac_f64_e32 v[160:161], v[138:139], v[152:153]
	s_wait_dscnt 0x1
	s_delay_alu instid0(VALU_DEP_1) | instskip(SKIP_1) | instid1(VALU_DEP_1)
	v_fmac_f64_e32 v[160:161], v[140:141], v[130:131]
	s_wait_loadcnt 0x3
	v_fmac_f64_e32 v[160:161], v[134:135], v[132:133]
	s_wait_dscnt 0x0
	s_delay_alu instid0(VALU_DEP_1)
	v_fmac_f64_e32 v[160:161], v[136:137], v[146:147]
	ds_load_b128 v[130:133], v2 offset:928
	ds_load_b128 v[134:137], v2 offset:944
	s_wait_loadcnt 0x2
	v_fmac_f64_e32 v[160:161], v[142:143], v[148:149]
	s_wait_dscnt 0x1
	s_delay_alu instid0(VALU_DEP_1) | instskip(SKIP_1) | instid1(VALU_DEP_1)
	v_fmac_f64_e32 v[160:161], v[144:145], v[130:131]
	s_wait_loadcnt 0x1
	v_fmac_f64_e32 v[160:161], v[126:127], v[132:133]
	s_wait_dscnt 0x0
	s_delay_alu instid0(VALU_DEP_1) | instskip(SKIP_1) | instid1(VALU_DEP_1)
	v_fmac_f64_e32 v[160:161], v[128:129], v[134:135]
	s_wait_loadcnt 0x0
	v_fmac_f64_e32 v[160:161], v[154:155], v[136:137]
	s_delay_alu instid0(VALU_DEP_1)
	v_add_f64_e64 v[2:3], v[124:125], -v[160:161]
	scratch_store_b64 off, v[2:3], off offset:152
	s_wait_xcnt 0x0
	v_cmpx_lt_u32_e32 18, v0
	s_cbranch_execz .LBB123_333
; %bb.332:
	scratch_load_b64 v[2:3], off, off offset:144
	v_mov_b64_e32 v[124:125], 0
	scratch_store_b64 off, v[124:125], off offset:144
	s_wait_loadcnt 0x0
	ds_store_b64 v1, v[2:3]
.LBB123_333:
	s_wait_xcnt 0x0
	s_or_b32 exec_lo, exec_lo, s0
	s_wait_storecnt_dscnt 0x0
	s_barrier_signal -1
	s_barrier_wait -1
	s_clause 0x5
	scratch_load_b128 v[124:127], off, off offset:144
	scratch_load_b128 v[128:131], off, off offset:160
	;; [unrolled: 1-line block ×6, first 2 shown]
	v_mov_b32_e32 v2, 0
	ds_load_2addr_b64 v[148:151], v2 offset0:79 offset1:80
	ds_load_2addr_b64 v[152:155], v2 offset0:81 offset1:82
	scratch_load_b128 v[156:159], off, off offset:240
	s_mov_b32 s0, exec_lo
	s_wait_loadcnt_dscnt 0x601
	v_fma_f64 v[160:161], v[126:127], v[148:149], 0
	s_wait_loadcnt 0x5
	s_delay_alu instid0(VALU_DEP_1) | instskip(SKIP_4) | instid1(VALU_DEP_1)
	v_fmac_f64_e32 v[160:161], v[128:129], v[150:151]
	scratch_load_b128 v[126:129], off, off offset:256
	s_wait_dscnt 0x0
	v_fmac_f64_e32 v[160:161], v[130:131], v[152:153]
	s_wait_loadcnt 0x5
	v_fmac_f64_e32 v[160:161], v[132:133], v[154:155]
	ds_load_2addr_b64 v[130:133], v2 offset0:83 offset1:84
	ds_load_2addr_b64 v[148:151], v2 offset0:85 offset1:86
	scratch_load_b128 v[152:155], off, off offset:272
	s_wait_dscnt 0x1
	v_fmac_f64_e32 v[160:161], v[134:135], v[130:131]
	s_wait_loadcnt 0x5
	s_delay_alu instid0(VALU_DEP_1) | instskip(SKIP_4) | instid1(VALU_DEP_1)
	v_fmac_f64_e32 v[160:161], v[136:137], v[132:133]
	scratch_load_b128 v[130:133], off, off offset:288
	s_wait_dscnt 0x0
	v_fmac_f64_e32 v[160:161], v[138:139], v[148:149]
	s_wait_loadcnt 0x5
	v_fmac_f64_e32 v[160:161], v[140:141], v[150:151]
	ds_load_2addr_b64 v[134:137], v2 offset0:87 offset1:88
	ds_load_2addr_b64 v[138:141], v2 offset0:89 offset1:90
	scratch_load_b128 v[148:151], off, off offset:304
	s_wait_dscnt 0x1
	v_fmac_f64_e32 v[160:161], v[142:143], v[134:135]
	s_wait_loadcnt 0x5
	s_delay_alu instid0(VALU_DEP_1) | instskip(SKIP_4) | instid1(VALU_DEP_1)
	v_fmac_f64_e32 v[160:161], v[144:145], v[136:137]
	scratch_load_b128 v[134:137], off, off offset:320
	s_wait_dscnt 0x0
	v_fmac_f64_e32 v[160:161], v[146:147], v[138:139]
	s_wait_loadcnt 0x5
	v_fmac_f64_e32 v[160:161], v[156:157], v[140:141]
	ds_load_2addr_b64 v[138:141], v2 offset0:91 offset1:92
	ds_load_2addr_b64 v[142:145], v2 offset0:93 offset1:94
	s_wait_dscnt 0x1
	v_fmac_f64_e32 v[160:161], v[158:159], v[138:139]
	scratch_load_b128 v[156:159], off, off offset:336
	s_wait_loadcnt 0x5
	v_fmac_f64_e32 v[160:161], v[126:127], v[140:141]
	s_wait_dscnt 0x0
	s_delay_alu instid0(VALU_DEP_1)
	v_fmac_f64_e32 v[160:161], v[128:129], v[142:143]
	scratch_load_b128 v[126:129], off, off offset:352
	s_wait_loadcnt 0x5
	v_fmac_f64_e32 v[160:161], v[152:153], v[144:145]
	ds_load_2addr_b64 v[138:141], v2 offset0:95 offset1:96
	ds_load_2addr_b64 v[142:145], v2 offset0:97 offset1:98
	s_wait_dscnt 0x1
	v_fmac_f64_e32 v[160:161], v[154:155], v[138:139]
	scratch_load_b128 v[152:155], off, off offset:368
	s_wait_loadcnt 0x5
	v_fmac_f64_e32 v[160:161], v[130:131], v[140:141]
	s_wait_dscnt 0x0
	s_delay_alu instid0(VALU_DEP_1)
	v_fmac_f64_e32 v[160:161], v[132:133], v[142:143]
	scratch_load_b128 v[130:133], off, off offset:384
	s_wait_loadcnt 0x5
	v_fmac_f64_e32 v[160:161], v[148:149], v[144:145]
	ds_load_2addr_b64 v[138:141], v2 offset0:99 offset1:100
	ds_load_2addr_b64 v[142:145], v2 offset0:101 offset1:102
	s_wait_dscnt 0x1
	v_fmac_f64_e32 v[160:161], v[150:151], v[138:139]
	s_wait_loadcnt 0x4
	s_delay_alu instid0(VALU_DEP_1)
	v_fmac_f64_e32 v[160:161], v[134:135], v[140:141]
	scratch_load_b128 v[138:141], off, off offset:400
	s_wait_dscnt 0x0
	v_fmac_f64_e32 v[160:161], v[136:137], v[142:143]
	scratch_load_b128 v[134:137], off, off offset:416
	s_wait_loadcnt 0x5
	v_fmac_f64_e32 v[160:161], v[156:157], v[144:145]
	ds_load_2addr_b64 v[142:145], v2 offset0:103 offset1:104
	ds_load_2addr_b64 v[146:149], v2 offset0:105 offset1:106
	s_wait_dscnt 0x1
	v_fmac_f64_e32 v[160:161], v[158:159], v[142:143]
	s_wait_loadcnt 0x4
	s_delay_alu instid0(VALU_DEP_1)
	v_fmac_f64_e32 v[160:161], v[126:127], v[144:145]
	scratch_load_b128 v[142:145], off, off offset:432
	s_wait_dscnt 0x0
	v_fmac_f64_e32 v[160:161], v[128:129], v[146:147]
	scratch_load_b128 v[126:129], off, off offset:448
	s_wait_loadcnt 0x5
	v_fmac_f64_e32 v[160:161], v[152:153], v[148:149]
	ds_load_2addr_b64 v[146:149], v2 offset0:107 offset1:108
	ds_load_2addr_b64 v[150:153], v2 offset0:109 offset1:110
	s_wait_dscnt 0x1
	v_fmac_f64_e32 v[160:161], v[154:155], v[146:147]
	s_wait_loadcnt 0x4
	s_delay_alu instid0(VALU_DEP_1) | instskip(SKIP_4) | instid1(VALU_DEP_1)
	v_fmac_f64_e32 v[160:161], v[130:131], v[148:149]
	scratch_load_b128 v[146:149], off, off offset:464
	s_wait_dscnt 0x0
	v_fmac_f64_e32 v[160:161], v[132:133], v[150:151]
	s_wait_loadcnt 0x4
	v_fmac_f64_e32 v[160:161], v[138:139], v[152:153]
	ds_load_2addr_b64 v[130:133], v2 offset0:111 offset1:112
	ds_load_2addr_b64 v[150:153], v2 offset0:113 offset1:114
	s_wait_dscnt 0x1
	v_fmac_f64_e32 v[160:161], v[140:141], v[130:131]
	s_wait_loadcnt 0x3
	s_delay_alu instid0(VALU_DEP_1) | instskip(SKIP_1) | instid1(VALU_DEP_1)
	v_fmac_f64_e32 v[160:161], v[134:135], v[132:133]
	s_wait_dscnt 0x0
	v_fmac_f64_e32 v[160:161], v[136:137], v[150:151]
	ds_load_2addr_b64 v[130:133], v2 offset0:115 offset1:116
	ds_load_2addr_b64 v[134:137], v2 offset0:117 offset1:118
	s_wait_loadcnt 0x2
	v_fmac_f64_e32 v[160:161], v[142:143], v[152:153]
	s_wait_dscnt 0x1
	s_delay_alu instid0(VALU_DEP_1) | instskip(SKIP_1) | instid1(VALU_DEP_1)
	v_fmac_f64_e32 v[160:161], v[144:145], v[130:131]
	s_wait_loadcnt 0x1
	v_fmac_f64_e32 v[160:161], v[126:127], v[132:133]
	ds_load_b64 v[126:127], v2 offset:952
	s_wait_dscnt 0x1
	v_fmac_f64_e32 v[160:161], v[128:129], v[134:135]
	s_wait_loadcnt 0x0
	s_delay_alu instid0(VALU_DEP_1) | instskip(SKIP_1) | instid1(VALU_DEP_1)
	v_fmac_f64_e32 v[160:161], v[146:147], v[136:137]
	s_wait_dscnt 0x0
	v_fmac_f64_e32 v[160:161], v[148:149], v[126:127]
	s_delay_alu instid0(VALU_DEP_1)
	v_add_f64_e64 v[124:125], v[124:125], -v[160:161]
	scratch_store_b64 off, v[124:125], off offset:144
	s_wait_xcnt 0x0
	v_cmpx_lt_u32_e32 17, v0
	s_cbranch_execz .LBB123_335
; %bb.334:
	scratch_load_b64 v[124:125], off, off offset:136
	v_mov_b64_e32 v[126:127], 0
	scratch_store_b64 off, v[126:127], off offset:136
	s_wait_loadcnt 0x0
	ds_store_b64 v1, v[124:125]
.LBB123_335:
	s_wait_xcnt 0x0
	s_or_b32 exec_lo, exec_lo, s0
	s_wait_storecnt_dscnt 0x0
	s_barrier_signal -1
	s_barrier_wait -1
	s_clause 0x5
	scratch_load_b128 v[124:127], off, off offset:136
	scratch_load_b128 v[128:131], off, off offset:152
	scratch_load_b128 v[132:135], off, off offset:168
	scratch_load_b128 v[136:139], off, off offset:184
	scratch_load_b128 v[140:143], off, off offset:200
	scratch_load_b128 v[144:147], off, off offset:216
	ds_load_b128 v[148:151], v2 offset:624
	ds_load_b128 v[152:155], v2 offset:640
	scratch_load_b128 v[156:159], off, off offset:232
	s_mov_b32 s0, exec_lo
	s_wait_loadcnt_dscnt 0x601
	v_fma_f64 v[160:161], v[126:127], v[148:149], 0
	s_wait_loadcnt 0x5
	s_delay_alu instid0(VALU_DEP_1) | instskip(SKIP_4) | instid1(VALU_DEP_1)
	v_fmac_f64_e32 v[160:161], v[128:129], v[150:151]
	scratch_load_b128 v[126:129], off, off offset:248
	s_wait_dscnt 0x0
	v_fmac_f64_e32 v[160:161], v[130:131], v[152:153]
	s_wait_loadcnt 0x5
	v_fmac_f64_e32 v[160:161], v[132:133], v[154:155]
	ds_load_b128 v[130:133], v2 offset:656
	ds_load_b128 v[148:151], v2 offset:672
	scratch_load_b128 v[152:155], off, off offset:264
	s_wait_dscnt 0x1
	v_fmac_f64_e32 v[160:161], v[134:135], v[130:131]
	s_wait_loadcnt 0x5
	s_delay_alu instid0(VALU_DEP_1) | instskip(SKIP_4) | instid1(VALU_DEP_1)
	v_fmac_f64_e32 v[160:161], v[136:137], v[132:133]
	scratch_load_b128 v[130:133], off, off offset:280
	s_wait_dscnt 0x0
	v_fmac_f64_e32 v[160:161], v[138:139], v[148:149]
	s_wait_loadcnt 0x5
	v_fmac_f64_e32 v[160:161], v[140:141], v[150:151]
	ds_load_b128 v[134:137], v2 offset:688
	ds_load_b128 v[138:141], v2 offset:704
	scratch_load_b128 v[148:151], off, off offset:296
	s_wait_dscnt 0x1
	v_fmac_f64_e32 v[160:161], v[142:143], v[134:135]
	s_wait_loadcnt 0x5
	s_delay_alu instid0(VALU_DEP_1) | instskip(SKIP_4) | instid1(VALU_DEP_1)
	v_fmac_f64_e32 v[160:161], v[144:145], v[136:137]
	scratch_load_b128 v[134:137], off, off offset:312
	s_wait_dscnt 0x0
	v_fmac_f64_e32 v[160:161], v[146:147], v[138:139]
	s_wait_loadcnt 0x5
	v_fmac_f64_e32 v[160:161], v[156:157], v[140:141]
	ds_load_b128 v[138:141], v2 offset:720
	ds_load_b128 v[142:145], v2 offset:736
	s_wait_dscnt 0x1
	v_fmac_f64_e32 v[160:161], v[158:159], v[138:139]
	scratch_load_b128 v[156:159], off, off offset:328
	s_wait_loadcnt 0x5
	v_fmac_f64_e32 v[160:161], v[126:127], v[140:141]
	s_wait_dscnt 0x0
	s_delay_alu instid0(VALU_DEP_1)
	v_fmac_f64_e32 v[160:161], v[128:129], v[142:143]
	scratch_load_b128 v[126:129], off, off offset:344
	s_wait_loadcnt 0x5
	v_fmac_f64_e32 v[160:161], v[152:153], v[144:145]
	ds_load_b128 v[138:141], v2 offset:752
	ds_load_b128 v[142:145], v2 offset:768
	s_wait_dscnt 0x1
	v_fmac_f64_e32 v[160:161], v[154:155], v[138:139]
	scratch_load_b128 v[152:155], off, off offset:360
	s_wait_loadcnt 0x5
	v_fmac_f64_e32 v[160:161], v[130:131], v[140:141]
	s_wait_dscnt 0x0
	s_delay_alu instid0(VALU_DEP_1)
	v_fmac_f64_e32 v[160:161], v[132:133], v[142:143]
	scratch_load_b128 v[130:133], off, off offset:376
	s_wait_loadcnt 0x5
	v_fmac_f64_e32 v[160:161], v[148:149], v[144:145]
	ds_load_b128 v[138:141], v2 offset:784
	ds_load_b128 v[142:145], v2 offset:800
	scratch_load_b128 v[146:149], off, off offset:392
	s_wait_dscnt 0x1
	v_fmac_f64_e32 v[160:161], v[150:151], v[138:139]
	s_wait_loadcnt 0x5
	s_delay_alu instid0(VALU_DEP_1) | instskip(SKIP_1) | instid1(VALU_DEP_1)
	v_fmac_f64_e32 v[160:161], v[134:135], v[140:141]
	s_wait_dscnt 0x0
	v_fmac_f64_e32 v[160:161], v[136:137], v[142:143]
	scratch_load_b128 v[134:137], off, off offset:408
	s_wait_loadcnt 0x5
	v_fmac_f64_e32 v[160:161], v[156:157], v[144:145]
	ds_load_b128 v[138:141], v2 offset:816
	ds_load_b128 v[142:145], v2 offset:832
	s_wait_dscnt 0x1
	v_fmac_f64_e32 v[160:161], v[158:159], v[138:139]
	s_wait_loadcnt 0x4
	s_delay_alu instid0(VALU_DEP_1)
	v_fmac_f64_e32 v[160:161], v[126:127], v[140:141]
	scratch_load_b128 v[138:141], off, off offset:424
	s_wait_dscnt 0x0
	v_fmac_f64_e32 v[160:161], v[128:129], v[142:143]
	scratch_load_b128 v[126:129], off, off offset:440
	s_wait_loadcnt 0x5
	v_fmac_f64_e32 v[160:161], v[152:153], v[144:145]
	ds_load_b128 v[142:145], v2 offset:848
	ds_load_b128 v[150:153], v2 offset:864
	s_wait_dscnt 0x1
	v_fmac_f64_e32 v[160:161], v[154:155], v[142:143]
	s_wait_loadcnt 0x4
	s_delay_alu instid0(VALU_DEP_1) | instskip(SKIP_4) | instid1(VALU_DEP_1)
	v_fmac_f64_e32 v[160:161], v[130:131], v[144:145]
	scratch_load_b128 v[142:145], off, off offset:456
	s_wait_dscnt 0x0
	v_fmac_f64_e32 v[160:161], v[132:133], v[150:151]
	s_wait_loadcnt 0x4
	v_fmac_f64_e32 v[160:161], v[146:147], v[152:153]
	scratch_load_b64 v[146:147], off, off offset:472
	ds_load_b128 v[130:133], v2 offset:880
	ds_load_b128 v[150:153], v2 offset:896
	s_wait_dscnt 0x1
	v_fmac_f64_e32 v[160:161], v[148:149], v[130:131]
	s_wait_loadcnt 0x4
	s_delay_alu instid0(VALU_DEP_1) | instskip(SKIP_1) | instid1(VALU_DEP_1)
	v_fmac_f64_e32 v[160:161], v[134:135], v[132:133]
	s_wait_dscnt 0x0
	v_fmac_f64_e32 v[160:161], v[136:137], v[150:151]
	ds_load_b128 v[130:133], v2 offset:912
	ds_load_b128 v[134:137], v2 offset:928
	s_wait_loadcnt 0x3
	v_fmac_f64_e32 v[160:161], v[138:139], v[152:153]
	s_wait_dscnt 0x1
	s_delay_alu instid0(VALU_DEP_1) | instskip(SKIP_1) | instid1(VALU_DEP_1)
	v_fmac_f64_e32 v[160:161], v[140:141], v[130:131]
	s_wait_loadcnt 0x2
	v_fmac_f64_e32 v[160:161], v[126:127], v[132:133]
	s_wait_dscnt 0x0
	s_delay_alu instid0(VALU_DEP_1) | instskip(SKIP_4) | instid1(VALU_DEP_1)
	v_fmac_f64_e32 v[160:161], v[128:129], v[134:135]
	ds_load_b128 v[126:129], v2 offset:944
	s_wait_loadcnt 0x1
	v_fmac_f64_e32 v[160:161], v[142:143], v[136:137]
	s_wait_dscnt 0x0
	v_fmac_f64_e32 v[160:161], v[144:145], v[126:127]
	s_wait_loadcnt 0x0
	s_delay_alu instid0(VALU_DEP_1) | instskip(NEXT) | instid1(VALU_DEP_1)
	v_fmac_f64_e32 v[160:161], v[146:147], v[128:129]
	v_add_f64_e64 v[2:3], v[124:125], -v[160:161]
	scratch_store_b64 off, v[2:3], off offset:136
	s_wait_xcnt 0x0
	v_cmpx_lt_u32_e32 16, v0
	s_cbranch_execz .LBB123_337
; %bb.336:
	scratch_load_b64 v[2:3], off, off offset:128
	v_mov_b64_e32 v[124:125], 0
	scratch_store_b64 off, v[124:125], off offset:128
	s_wait_loadcnt 0x0
	ds_store_b64 v1, v[2:3]
.LBB123_337:
	s_wait_xcnt 0x0
	s_or_b32 exec_lo, exec_lo, s0
	s_wait_storecnt_dscnt 0x0
	s_barrier_signal -1
	s_barrier_wait -1
	s_clause 0x5
	scratch_load_b128 v[124:127], off, off offset:128
	scratch_load_b128 v[128:131], off, off offset:144
	;; [unrolled: 1-line block ×6, first 2 shown]
	v_mov_b32_e32 v2, 0
	ds_load_2addr_b64 v[148:151], v2 offset0:77 offset1:78
	ds_load_2addr_b64 v[152:155], v2 offset0:79 offset1:80
	scratch_load_b128 v[156:159], off, off offset:224
	s_mov_b32 s0, exec_lo
	s_wait_loadcnt_dscnt 0x601
	v_fma_f64 v[160:161], v[126:127], v[148:149], 0
	s_wait_loadcnt 0x5
	s_delay_alu instid0(VALU_DEP_1) | instskip(SKIP_4) | instid1(VALU_DEP_1)
	v_fmac_f64_e32 v[160:161], v[128:129], v[150:151]
	scratch_load_b128 v[126:129], off, off offset:240
	s_wait_dscnt 0x0
	v_fmac_f64_e32 v[160:161], v[130:131], v[152:153]
	s_wait_loadcnt 0x5
	v_fmac_f64_e32 v[160:161], v[132:133], v[154:155]
	ds_load_2addr_b64 v[130:133], v2 offset0:81 offset1:82
	ds_load_2addr_b64 v[148:151], v2 offset0:83 offset1:84
	scratch_load_b128 v[152:155], off, off offset:256
	s_wait_dscnt 0x1
	v_fmac_f64_e32 v[160:161], v[134:135], v[130:131]
	s_wait_loadcnt 0x5
	s_delay_alu instid0(VALU_DEP_1) | instskip(SKIP_4) | instid1(VALU_DEP_1)
	v_fmac_f64_e32 v[160:161], v[136:137], v[132:133]
	scratch_load_b128 v[130:133], off, off offset:272
	s_wait_dscnt 0x0
	v_fmac_f64_e32 v[160:161], v[138:139], v[148:149]
	s_wait_loadcnt 0x5
	v_fmac_f64_e32 v[160:161], v[140:141], v[150:151]
	ds_load_2addr_b64 v[134:137], v2 offset0:85 offset1:86
	ds_load_2addr_b64 v[138:141], v2 offset0:87 offset1:88
	scratch_load_b128 v[148:151], off, off offset:288
	s_wait_dscnt 0x1
	v_fmac_f64_e32 v[160:161], v[142:143], v[134:135]
	s_wait_loadcnt 0x5
	s_delay_alu instid0(VALU_DEP_1) | instskip(SKIP_4) | instid1(VALU_DEP_1)
	v_fmac_f64_e32 v[160:161], v[144:145], v[136:137]
	scratch_load_b128 v[134:137], off, off offset:304
	s_wait_dscnt 0x0
	v_fmac_f64_e32 v[160:161], v[146:147], v[138:139]
	s_wait_loadcnt 0x5
	v_fmac_f64_e32 v[160:161], v[156:157], v[140:141]
	ds_load_2addr_b64 v[138:141], v2 offset0:89 offset1:90
	ds_load_2addr_b64 v[142:145], v2 offset0:91 offset1:92
	s_wait_dscnt 0x1
	v_fmac_f64_e32 v[160:161], v[158:159], v[138:139]
	scratch_load_b128 v[156:159], off, off offset:320
	s_wait_loadcnt 0x5
	v_fmac_f64_e32 v[160:161], v[126:127], v[140:141]
	s_wait_dscnt 0x0
	s_delay_alu instid0(VALU_DEP_1)
	v_fmac_f64_e32 v[160:161], v[128:129], v[142:143]
	scratch_load_b128 v[126:129], off, off offset:336
	s_wait_loadcnt 0x5
	v_fmac_f64_e32 v[160:161], v[152:153], v[144:145]
	ds_load_2addr_b64 v[138:141], v2 offset0:93 offset1:94
	ds_load_2addr_b64 v[142:145], v2 offset0:95 offset1:96
	s_wait_dscnt 0x1
	v_fmac_f64_e32 v[160:161], v[154:155], v[138:139]
	scratch_load_b128 v[152:155], off, off offset:352
	s_wait_loadcnt 0x5
	v_fmac_f64_e32 v[160:161], v[130:131], v[140:141]
	s_wait_dscnt 0x0
	s_delay_alu instid0(VALU_DEP_1)
	v_fmac_f64_e32 v[160:161], v[132:133], v[142:143]
	scratch_load_b128 v[130:133], off, off offset:368
	s_wait_loadcnt 0x5
	v_fmac_f64_e32 v[160:161], v[148:149], v[144:145]
	ds_load_2addr_b64 v[138:141], v2 offset0:97 offset1:98
	ds_load_2addr_b64 v[142:145], v2 offset0:99 offset1:100
	scratch_load_b128 v[146:149], off, off offset:384
	s_wait_dscnt 0x1
	v_fmac_f64_e32 v[160:161], v[150:151], v[138:139]
	s_wait_loadcnt 0x5
	s_delay_alu instid0(VALU_DEP_1) | instskip(SKIP_1) | instid1(VALU_DEP_1)
	v_fmac_f64_e32 v[160:161], v[134:135], v[140:141]
	s_wait_dscnt 0x0
	v_fmac_f64_e32 v[160:161], v[136:137], v[142:143]
	scratch_load_b128 v[134:137], off, off offset:400
	s_wait_loadcnt 0x5
	v_fmac_f64_e32 v[160:161], v[156:157], v[144:145]
	ds_load_2addr_b64 v[138:141], v2 offset0:101 offset1:102
	ds_load_2addr_b64 v[142:145], v2 offset0:103 offset1:104
	s_wait_dscnt 0x1
	v_fmac_f64_e32 v[160:161], v[158:159], v[138:139]
	s_wait_loadcnt 0x4
	s_delay_alu instid0(VALU_DEP_1)
	v_fmac_f64_e32 v[160:161], v[126:127], v[140:141]
	scratch_load_b128 v[138:141], off, off offset:416
	s_wait_dscnt 0x0
	v_fmac_f64_e32 v[160:161], v[128:129], v[142:143]
	scratch_load_b128 v[126:129], off, off offset:432
	s_wait_loadcnt 0x5
	v_fmac_f64_e32 v[160:161], v[152:153], v[144:145]
	ds_load_2addr_b64 v[142:145], v2 offset0:105 offset1:106
	ds_load_2addr_b64 v[150:153], v2 offset0:107 offset1:108
	s_wait_dscnt 0x1
	v_fmac_f64_e32 v[160:161], v[154:155], v[142:143]
	s_wait_loadcnt 0x4
	s_delay_alu instid0(VALU_DEP_1)
	v_fmac_f64_e32 v[160:161], v[130:131], v[144:145]
	scratch_load_b128 v[142:145], off, off offset:448
	s_wait_dscnt 0x0
	v_fmac_f64_e32 v[160:161], v[132:133], v[150:151]
	scratch_load_b128 v[130:133], off, off offset:464
	s_wait_loadcnt 0x5
	v_fmac_f64_e32 v[160:161], v[146:147], v[152:153]
	ds_load_2addr_b64 v[150:153], v2 offset0:109 offset1:110
	ds_load_2addr_b64 v[154:157], v2 offset0:111 offset1:112
	s_wait_dscnt 0x1
	v_fmac_f64_e32 v[160:161], v[148:149], v[150:151]
	s_wait_loadcnt 0x4
	s_delay_alu instid0(VALU_DEP_1) | instskip(SKIP_1) | instid1(VALU_DEP_1)
	v_fmac_f64_e32 v[160:161], v[134:135], v[152:153]
	s_wait_dscnt 0x0
	v_fmac_f64_e32 v[160:161], v[136:137], v[154:155]
	ds_load_2addr_b64 v[134:137], v2 offset0:113 offset1:114
	ds_load_2addr_b64 v[146:149], v2 offset0:115 offset1:116
	s_wait_loadcnt 0x3
	v_fmac_f64_e32 v[160:161], v[138:139], v[156:157]
	s_wait_dscnt 0x1
	s_delay_alu instid0(VALU_DEP_1) | instskip(SKIP_1) | instid1(VALU_DEP_1)
	v_fmac_f64_e32 v[160:161], v[140:141], v[134:135]
	s_wait_loadcnt 0x2
	v_fmac_f64_e32 v[160:161], v[126:127], v[136:137]
	s_wait_dscnt 0x0
	s_delay_alu instid0(VALU_DEP_1)
	v_fmac_f64_e32 v[160:161], v[128:129], v[146:147]
	ds_load_2addr_b64 v[126:129], v2 offset0:117 offset1:118
	ds_load_b64 v[134:135], v2 offset:952
	s_wait_loadcnt 0x1
	v_fmac_f64_e32 v[160:161], v[142:143], v[148:149]
	s_wait_dscnt 0x1
	s_delay_alu instid0(VALU_DEP_1) | instskip(SKIP_1) | instid1(VALU_DEP_1)
	v_fmac_f64_e32 v[160:161], v[144:145], v[126:127]
	s_wait_loadcnt 0x0
	v_fmac_f64_e32 v[160:161], v[130:131], v[128:129]
	s_wait_dscnt 0x0
	s_delay_alu instid0(VALU_DEP_1) | instskip(NEXT) | instid1(VALU_DEP_1)
	v_fmac_f64_e32 v[160:161], v[132:133], v[134:135]
	v_add_f64_e64 v[124:125], v[124:125], -v[160:161]
	scratch_store_b64 off, v[124:125], off offset:128
	s_wait_xcnt 0x0
	v_cmpx_lt_u32_e32 15, v0
	s_cbranch_execz .LBB123_339
; %bb.338:
	scratch_load_b64 v[124:125], off, off offset:120
	v_mov_b64_e32 v[126:127], 0
	scratch_store_b64 off, v[126:127], off offset:120
	s_wait_loadcnt 0x0
	ds_store_b64 v1, v[124:125]
.LBB123_339:
	s_wait_xcnt 0x0
	s_or_b32 exec_lo, exec_lo, s0
	s_wait_storecnt_dscnt 0x0
	s_barrier_signal -1
	s_barrier_wait -1
	s_clause 0x5
	scratch_load_b128 v[124:127], off, off offset:120
	scratch_load_b128 v[128:131], off, off offset:136
	;; [unrolled: 1-line block ×6, first 2 shown]
	ds_load_b128 v[148:151], v2 offset:608
	ds_load_b128 v[152:155], v2 offset:624
	scratch_load_b128 v[156:159], off, off offset:216
	s_mov_b32 s0, exec_lo
	s_wait_loadcnt_dscnt 0x601
	v_fma_f64 v[160:161], v[126:127], v[148:149], 0
	s_wait_loadcnt 0x5
	s_delay_alu instid0(VALU_DEP_1) | instskip(SKIP_4) | instid1(VALU_DEP_1)
	v_fmac_f64_e32 v[160:161], v[128:129], v[150:151]
	scratch_load_b128 v[126:129], off, off offset:232
	s_wait_dscnt 0x0
	v_fmac_f64_e32 v[160:161], v[130:131], v[152:153]
	s_wait_loadcnt 0x5
	v_fmac_f64_e32 v[160:161], v[132:133], v[154:155]
	ds_load_b128 v[130:133], v2 offset:640
	ds_load_b128 v[148:151], v2 offset:656
	scratch_load_b128 v[152:155], off, off offset:248
	s_wait_dscnt 0x1
	v_fmac_f64_e32 v[160:161], v[134:135], v[130:131]
	s_wait_loadcnt 0x5
	s_delay_alu instid0(VALU_DEP_1) | instskip(SKIP_4) | instid1(VALU_DEP_1)
	v_fmac_f64_e32 v[160:161], v[136:137], v[132:133]
	scratch_load_b128 v[130:133], off, off offset:264
	s_wait_dscnt 0x0
	v_fmac_f64_e32 v[160:161], v[138:139], v[148:149]
	s_wait_loadcnt 0x5
	v_fmac_f64_e32 v[160:161], v[140:141], v[150:151]
	ds_load_b128 v[134:137], v2 offset:672
	ds_load_b128 v[138:141], v2 offset:688
	scratch_load_b128 v[148:151], off, off offset:280
	s_wait_dscnt 0x1
	v_fmac_f64_e32 v[160:161], v[142:143], v[134:135]
	s_wait_loadcnt 0x5
	s_delay_alu instid0(VALU_DEP_1) | instskip(SKIP_4) | instid1(VALU_DEP_1)
	v_fmac_f64_e32 v[160:161], v[144:145], v[136:137]
	scratch_load_b128 v[134:137], off, off offset:296
	s_wait_dscnt 0x0
	v_fmac_f64_e32 v[160:161], v[146:147], v[138:139]
	s_wait_loadcnt 0x5
	v_fmac_f64_e32 v[160:161], v[156:157], v[140:141]
	ds_load_b128 v[138:141], v2 offset:704
	ds_load_b128 v[142:145], v2 offset:720
	s_wait_dscnt 0x1
	v_fmac_f64_e32 v[160:161], v[158:159], v[138:139]
	scratch_load_b128 v[156:159], off, off offset:312
	s_wait_loadcnt 0x5
	v_fmac_f64_e32 v[160:161], v[126:127], v[140:141]
	s_wait_dscnt 0x0
	s_delay_alu instid0(VALU_DEP_1)
	v_fmac_f64_e32 v[160:161], v[128:129], v[142:143]
	scratch_load_b128 v[126:129], off, off offset:328
	s_wait_loadcnt 0x5
	v_fmac_f64_e32 v[160:161], v[152:153], v[144:145]
	ds_load_b128 v[138:141], v2 offset:736
	ds_load_b128 v[142:145], v2 offset:752
	s_wait_dscnt 0x1
	v_fmac_f64_e32 v[160:161], v[154:155], v[138:139]
	scratch_load_b128 v[152:155], off, off offset:344
	s_wait_loadcnt 0x5
	v_fmac_f64_e32 v[160:161], v[130:131], v[140:141]
	s_wait_dscnt 0x0
	s_delay_alu instid0(VALU_DEP_1)
	v_fmac_f64_e32 v[160:161], v[132:133], v[142:143]
	scratch_load_b128 v[130:133], off, off offset:360
	s_wait_loadcnt 0x5
	v_fmac_f64_e32 v[160:161], v[148:149], v[144:145]
	ds_load_b128 v[138:141], v2 offset:768
	ds_load_b128 v[142:145], v2 offset:784
	scratch_load_b128 v[146:149], off, off offset:376
	s_wait_dscnt 0x1
	v_fmac_f64_e32 v[160:161], v[150:151], v[138:139]
	s_wait_loadcnt 0x5
	s_delay_alu instid0(VALU_DEP_1) | instskip(SKIP_1) | instid1(VALU_DEP_1)
	v_fmac_f64_e32 v[160:161], v[134:135], v[140:141]
	s_wait_dscnt 0x0
	v_fmac_f64_e32 v[160:161], v[136:137], v[142:143]
	scratch_load_b128 v[134:137], off, off offset:392
	s_wait_loadcnt 0x5
	v_fmac_f64_e32 v[160:161], v[156:157], v[144:145]
	ds_load_b128 v[138:141], v2 offset:800
	ds_load_b128 v[142:145], v2 offset:816
	s_wait_dscnt 0x1
	v_fmac_f64_e32 v[160:161], v[158:159], v[138:139]
	s_wait_loadcnt 0x4
	s_delay_alu instid0(VALU_DEP_1)
	v_fmac_f64_e32 v[160:161], v[126:127], v[140:141]
	scratch_load_b128 v[138:141], off, off offset:408
	s_wait_dscnt 0x0
	v_fmac_f64_e32 v[160:161], v[128:129], v[142:143]
	scratch_load_b128 v[126:129], off, off offset:424
	s_wait_loadcnt 0x5
	v_fmac_f64_e32 v[160:161], v[152:153], v[144:145]
	ds_load_b128 v[142:145], v2 offset:832
	ds_load_b128 v[150:153], v2 offset:848
	s_wait_dscnt 0x1
	v_fmac_f64_e32 v[160:161], v[154:155], v[142:143]
	s_wait_loadcnt 0x4
	s_delay_alu instid0(VALU_DEP_1)
	v_fmac_f64_e32 v[160:161], v[130:131], v[144:145]
	scratch_load_b128 v[142:145], off, off offset:440
	s_wait_dscnt 0x0
	v_fmac_f64_e32 v[160:161], v[132:133], v[150:151]
	scratch_load_b128 v[130:133], off, off offset:456
	s_wait_loadcnt 0x5
	v_fmac_f64_e32 v[160:161], v[146:147], v[152:153]
	ds_load_b128 v[150:153], v2 offset:864
	ds_load_b128 v[154:157], v2 offset:880
	s_wait_dscnt 0x1
	v_fmac_f64_e32 v[160:161], v[148:149], v[150:151]
	scratch_load_b64 v[150:151], off, off offset:472
	s_wait_loadcnt 0x5
	v_fmac_f64_e32 v[160:161], v[134:135], v[152:153]
	s_wait_dscnt 0x0
	s_delay_alu instid0(VALU_DEP_1)
	v_fmac_f64_e32 v[160:161], v[136:137], v[154:155]
	ds_load_b128 v[134:137], v2 offset:896
	ds_load_b128 v[146:149], v2 offset:912
	s_wait_loadcnt 0x4
	v_fmac_f64_e32 v[160:161], v[138:139], v[156:157]
	s_wait_dscnt 0x1
	s_delay_alu instid0(VALU_DEP_1) | instskip(SKIP_1) | instid1(VALU_DEP_1)
	v_fmac_f64_e32 v[160:161], v[140:141], v[134:135]
	s_wait_loadcnt 0x3
	v_fmac_f64_e32 v[160:161], v[126:127], v[136:137]
	s_wait_dscnt 0x0
	s_delay_alu instid0(VALU_DEP_1)
	v_fmac_f64_e32 v[160:161], v[128:129], v[146:147]
	ds_load_b128 v[126:129], v2 offset:928
	ds_load_b128 v[134:137], v2 offset:944
	s_wait_loadcnt 0x2
	v_fmac_f64_e32 v[160:161], v[142:143], v[148:149]
	s_wait_dscnt 0x1
	s_delay_alu instid0(VALU_DEP_1) | instskip(SKIP_1) | instid1(VALU_DEP_1)
	v_fmac_f64_e32 v[160:161], v[144:145], v[126:127]
	s_wait_loadcnt 0x1
	v_fmac_f64_e32 v[160:161], v[130:131], v[128:129]
	s_wait_dscnt 0x0
	s_delay_alu instid0(VALU_DEP_1) | instskip(SKIP_1) | instid1(VALU_DEP_1)
	v_fmac_f64_e32 v[160:161], v[132:133], v[134:135]
	s_wait_loadcnt 0x0
	v_fmac_f64_e32 v[160:161], v[150:151], v[136:137]
	s_delay_alu instid0(VALU_DEP_1)
	v_add_f64_e64 v[2:3], v[124:125], -v[160:161]
	scratch_store_b64 off, v[2:3], off offset:120
	s_wait_xcnt 0x0
	v_cmpx_lt_u32_e32 14, v0
	s_cbranch_execz .LBB123_341
; %bb.340:
	scratch_load_b64 v[2:3], off, off offset:112
	v_mov_b64_e32 v[124:125], 0
	scratch_store_b64 off, v[124:125], off offset:112
	s_wait_loadcnt 0x0
	ds_store_b64 v1, v[2:3]
.LBB123_341:
	s_wait_xcnt 0x0
	s_or_b32 exec_lo, exec_lo, s0
	s_wait_storecnt_dscnt 0x0
	s_barrier_signal -1
	s_barrier_wait -1
	s_clause 0x5
	scratch_load_b128 v[124:127], off, off offset:112
	scratch_load_b128 v[128:131], off, off offset:128
	;; [unrolled: 1-line block ×6, first 2 shown]
	v_mov_b32_e32 v2, 0
	ds_load_2addr_b64 v[148:151], v2 offset0:75 offset1:76
	ds_load_2addr_b64 v[152:155], v2 offset0:77 offset1:78
	scratch_load_b128 v[156:159], off, off offset:208
	s_mov_b32 s0, exec_lo
	s_wait_loadcnt_dscnt 0x601
	v_fma_f64 v[160:161], v[126:127], v[148:149], 0
	s_wait_loadcnt 0x5
	s_delay_alu instid0(VALU_DEP_1) | instskip(SKIP_4) | instid1(VALU_DEP_1)
	v_fmac_f64_e32 v[160:161], v[128:129], v[150:151]
	scratch_load_b128 v[126:129], off, off offset:224
	s_wait_dscnt 0x0
	v_fmac_f64_e32 v[160:161], v[130:131], v[152:153]
	s_wait_loadcnt 0x5
	v_fmac_f64_e32 v[160:161], v[132:133], v[154:155]
	ds_load_2addr_b64 v[130:133], v2 offset0:79 offset1:80
	ds_load_2addr_b64 v[148:151], v2 offset0:81 offset1:82
	scratch_load_b128 v[152:155], off, off offset:240
	s_wait_dscnt 0x1
	v_fmac_f64_e32 v[160:161], v[134:135], v[130:131]
	s_wait_loadcnt 0x5
	s_delay_alu instid0(VALU_DEP_1) | instskip(SKIP_4) | instid1(VALU_DEP_1)
	v_fmac_f64_e32 v[160:161], v[136:137], v[132:133]
	scratch_load_b128 v[130:133], off, off offset:256
	s_wait_dscnt 0x0
	v_fmac_f64_e32 v[160:161], v[138:139], v[148:149]
	s_wait_loadcnt 0x5
	v_fmac_f64_e32 v[160:161], v[140:141], v[150:151]
	ds_load_2addr_b64 v[134:137], v2 offset0:83 offset1:84
	ds_load_2addr_b64 v[138:141], v2 offset0:85 offset1:86
	scratch_load_b128 v[148:151], off, off offset:272
	s_wait_dscnt 0x1
	v_fmac_f64_e32 v[160:161], v[142:143], v[134:135]
	s_wait_loadcnt 0x5
	s_delay_alu instid0(VALU_DEP_1) | instskip(SKIP_4) | instid1(VALU_DEP_1)
	v_fmac_f64_e32 v[160:161], v[144:145], v[136:137]
	scratch_load_b128 v[134:137], off, off offset:288
	s_wait_dscnt 0x0
	v_fmac_f64_e32 v[160:161], v[146:147], v[138:139]
	s_wait_loadcnt 0x5
	v_fmac_f64_e32 v[160:161], v[156:157], v[140:141]
	ds_load_2addr_b64 v[138:141], v2 offset0:87 offset1:88
	ds_load_2addr_b64 v[142:145], v2 offset0:89 offset1:90
	s_wait_dscnt 0x1
	v_fmac_f64_e32 v[160:161], v[158:159], v[138:139]
	scratch_load_b128 v[156:159], off, off offset:304
	s_wait_loadcnt 0x5
	v_fmac_f64_e32 v[160:161], v[126:127], v[140:141]
	s_wait_dscnt 0x0
	s_delay_alu instid0(VALU_DEP_1)
	v_fmac_f64_e32 v[160:161], v[128:129], v[142:143]
	scratch_load_b128 v[126:129], off, off offset:320
	s_wait_loadcnt 0x5
	v_fmac_f64_e32 v[160:161], v[152:153], v[144:145]
	ds_load_2addr_b64 v[138:141], v2 offset0:91 offset1:92
	ds_load_2addr_b64 v[142:145], v2 offset0:93 offset1:94
	s_wait_dscnt 0x1
	v_fmac_f64_e32 v[160:161], v[154:155], v[138:139]
	scratch_load_b128 v[152:155], off, off offset:336
	s_wait_loadcnt 0x5
	v_fmac_f64_e32 v[160:161], v[130:131], v[140:141]
	s_wait_dscnt 0x0
	s_delay_alu instid0(VALU_DEP_1)
	v_fmac_f64_e32 v[160:161], v[132:133], v[142:143]
	scratch_load_b128 v[130:133], off, off offset:352
	s_wait_loadcnt 0x5
	v_fmac_f64_e32 v[160:161], v[148:149], v[144:145]
	ds_load_2addr_b64 v[138:141], v2 offset0:95 offset1:96
	ds_load_2addr_b64 v[142:145], v2 offset0:97 offset1:98
	scratch_load_b128 v[146:149], off, off offset:368
	s_wait_dscnt 0x1
	v_fmac_f64_e32 v[160:161], v[150:151], v[138:139]
	s_wait_loadcnt 0x5
	s_delay_alu instid0(VALU_DEP_1) | instskip(SKIP_1) | instid1(VALU_DEP_1)
	v_fmac_f64_e32 v[160:161], v[134:135], v[140:141]
	s_wait_dscnt 0x0
	v_fmac_f64_e32 v[160:161], v[136:137], v[142:143]
	scratch_load_b128 v[134:137], off, off offset:384
	s_wait_loadcnt 0x5
	v_fmac_f64_e32 v[160:161], v[156:157], v[144:145]
	ds_load_2addr_b64 v[138:141], v2 offset0:99 offset1:100
	ds_load_2addr_b64 v[142:145], v2 offset0:101 offset1:102
	s_wait_dscnt 0x1
	v_fmac_f64_e32 v[160:161], v[158:159], v[138:139]
	s_wait_loadcnt 0x4
	s_delay_alu instid0(VALU_DEP_1)
	v_fmac_f64_e32 v[160:161], v[126:127], v[140:141]
	scratch_load_b128 v[138:141], off, off offset:400
	s_wait_dscnt 0x0
	v_fmac_f64_e32 v[160:161], v[128:129], v[142:143]
	scratch_load_b128 v[126:129], off, off offset:416
	s_wait_loadcnt 0x5
	v_fmac_f64_e32 v[160:161], v[152:153], v[144:145]
	ds_load_2addr_b64 v[142:145], v2 offset0:103 offset1:104
	ds_load_2addr_b64 v[150:153], v2 offset0:105 offset1:106
	s_wait_dscnt 0x1
	v_fmac_f64_e32 v[160:161], v[154:155], v[142:143]
	s_wait_loadcnt 0x4
	s_delay_alu instid0(VALU_DEP_1)
	v_fmac_f64_e32 v[160:161], v[130:131], v[144:145]
	scratch_load_b128 v[142:145], off, off offset:432
	s_wait_dscnt 0x0
	v_fmac_f64_e32 v[160:161], v[132:133], v[150:151]
	scratch_load_b128 v[130:133], off, off offset:448
	s_wait_loadcnt 0x5
	v_fmac_f64_e32 v[160:161], v[146:147], v[152:153]
	ds_load_2addr_b64 v[150:153], v2 offset0:107 offset1:108
	ds_load_2addr_b64 v[154:157], v2 offset0:109 offset1:110
	s_wait_dscnt 0x1
	v_fmac_f64_e32 v[160:161], v[148:149], v[150:151]
	scratch_load_b128 v[146:149], off, off offset:464
	s_wait_loadcnt 0x5
	v_fmac_f64_e32 v[160:161], v[134:135], v[152:153]
	s_wait_dscnt 0x0
	s_delay_alu instid0(VALU_DEP_1)
	v_fmac_f64_e32 v[160:161], v[136:137], v[154:155]
	ds_load_2addr_b64 v[134:137], v2 offset0:111 offset1:112
	ds_load_2addr_b64 v[150:153], v2 offset0:113 offset1:114
	s_wait_loadcnt 0x4
	v_fmac_f64_e32 v[160:161], v[138:139], v[156:157]
	s_wait_dscnt 0x1
	s_delay_alu instid0(VALU_DEP_1) | instskip(SKIP_1) | instid1(VALU_DEP_1)
	v_fmac_f64_e32 v[160:161], v[140:141], v[134:135]
	s_wait_loadcnt 0x3
	v_fmac_f64_e32 v[160:161], v[126:127], v[136:137]
	s_wait_dscnt 0x0
	s_delay_alu instid0(VALU_DEP_1)
	v_fmac_f64_e32 v[160:161], v[128:129], v[150:151]
	ds_load_2addr_b64 v[126:129], v2 offset0:115 offset1:116
	ds_load_2addr_b64 v[134:137], v2 offset0:117 offset1:118
	s_wait_loadcnt 0x2
	v_fmac_f64_e32 v[160:161], v[142:143], v[152:153]
	s_wait_dscnt 0x1
	s_delay_alu instid0(VALU_DEP_1) | instskip(SKIP_4) | instid1(VALU_DEP_1)
	v_fmac_f64_e32 v[160:161], v[144:145], v[126:127]
	ds_load_b64 v[126:127], v2 offset:952
	s_wait_loadcnt 0x1
	v_fmac_f64_e32 v[160:161], v[130:131], v[128:129]
	s_wait_dscnt 0x1
	v_fmac_f64_e32 v[160:161], v[132:133], v[134:135]
	s_wait_loadcnt 0x0
	s_delay_alu instid0(VALU_DEP_1) | instskip(SKIP_1) | instid1(VALU_DEP_1)
	v_fmac_f64_e32 v[160:161], v[146:147], v[136:137]
	s_wait_dscnt 0x0
	v_fmac_f64_e32 v[160:161], v[148:149], v[126:127]
	s_delay_alu instid0(VALU_DEP_1)
	v_add_f64_e64 v[124:125], v[124:125], -v[160:161]
	scratch_store_b64 off, v[124:125], off offset:112
	s_wait_xcnt 0x0
	v_cmpx_lt_u32_e32 13, v0
	s_cbranch_execz .LBB123_343
; %bb.342:
	scratch_load_b64 v[124:125], off, off offset:104
	v_mov_b64_e32 v[126:127], 0
	scratch_store_b64 off, v[126:127], off offset:104
	s_wait_loadcnt 0x0
	ds_store_b64 v1, v[124:125]
.LBB123_343:
	s_wait_xcnt 0x0
	s_or_b32 exec_lo, exec_lo, s0
	s_wait_storecnt_dscnt 0x0
	s_barrier_signal -1
	s_barrier_wait -1
	s_clause 0x5
	scratch_load_b128 v[124:127], off, off offset:104
	scratch_load_b128 v[128:131], off, off offset:120
	;; [unrolled: 1-line block ×6, first 2 shown]
	ds_load_b128 v[148:151], v2 offset:592
	ds_load_b128 v[152:155], v2 offset:608
	scratch_load_b128 v[156:159], off, off offset:200
	s_mov_b32 s0, exec_lo
	s_wait_loadcnt_dscnt 0x601
	v_fma_f64 v[160:161], v[126:127], v[148:149], 0
	s_wait_loadcnt 0x5
	s_delay_alu instid0(VALU_DEP_1) | instskip(SKIP_4) | instid1(VALU_DEP_1)
	v_fmac_f64_e32 v[160:161], v[128:129], v[150:151]
	scratch_load_b128 v[126:129], off, off offset:216
	s_wait_dscnt 0x0
	v_fmac_f64_e32 v[160:161], v[130:131], v[152:153]
	s_wait_loadcnt 0x5
	v_fmac_f64_e32 v[160:161], v[132:133], v[154:155]
	ds_load_b128 v[130:133], v2 offset:624
	ds_load_b128 v[148:151], v2 offset:640
	scratch_load_b128 v[152:155], off, off offset:232
	s_wait_dscnt 0x1
	v_fmac_f64_e32 v[160:161], v[134:135], v[130:131]
	s_wait_loadcnt 0x5
	s_delay_alu instid0(VALU_DEP_1) | instskip(SKIP_4) | instid1(VALU_DEP_1)
	v_fmac_f64_e32 v[160:161], v[136:137], v[132:133]
	scratch_load_b128 v[130:133], off, off offset:248
	s_wait_dscnt 0x0
	v_fmac_f64_e32 v[160:161], v[138:139], v[148:149]
	s_wait_loadcnt 0x5
	v_fmac_f64_e32 v[160:161], v[140:141], v[150:151]
	ds_load_b128 v[134:137], v2 offset:656
	ds_load_b128 v[138:141], v2 offset:672
	scratch_load_b128 v[148:151], off, off offset:264
	s_wait_dscnt 0x1
	v_fmac_f64_e32 v[160:161], v[142:143], v[134:135]
	s_wait_loadcnt 0x5
	s_delay_alu instid0(VALU_DEP_1) | instskip(SKIP_4) | instid1(VALU_DEP_1)
	v_fmac_f64_e32 v[160:161], v[144:145], v[136:137]
	scratch_load_b128 v[134:137], off, off offset:280
	s_wait_dscnt 0x0
	v_fmac_f64_e32 v[160:161], v[146:147], v[138:139]
	s_wait_loadcnt 0x5
	v_fmac_f64_e32 v[160:161], v[156:157], v[140:141]
	ds_load_b128 v[138:141], v2 offset:688
	ds_load_b128 v[142:145], v2 offset:704
	s_wait_dscnt 0x1
	v_fmac_f64_e32 v[160:161], v[158:159], v[138:139]
	scratch_load_b128 v[156:159], off, off offset:296
	s_wait_loadcnt 0x5
	v_fmac_f64_e32 v[160:161], v[126:127], v[140:141]
	s_wait_dscnt 0x0
	s_delay_alu instid0(VALU_DEP_1)
	v_fmac_f64_e32 v[160:161], v[128:129], v[142:143]
	scratch_load_b128 v[126:129], off, off offset:312
	s_wait_loadcnt 0x5
	v_fmac_f64_e32 v[160:161], v[152:153], v[144:145]
	ds_load_b128 v[138:141], v2 offset:720
	ds_load_b128 v[142:145], v2 offset:736
	s_wait_dscnt 0x1
	v_fmac_f64_e32 v[160:161], v[154:155], v[138:139]
	scratch_load_b128 v[152:155], off, off offset:328
	s_wait_loadcnt 0x5
	v_fmac_f64_e32 v[160:161], v[130:131], v[140:141]
	s_wait_dscnt 0x0
	s_delay_alu instid0(VALU_DEP_1)
	v_fmac_f64_e32 v[160:161], v[132:133], v[142:143]
	scratch_load_b128 v[130:133], off, off offset:344
	s_wait_loadcnt 0x5
	v_fmac_f64_e32 v[160:161], v[148:149], v[144:145]
	ds_load_b128 v[138:141], v2 offset:752
	ds_load_b128 v[142:145], v2 offset:768
	scratch_load_b128 v[146:149], off, off offset:360
	s_wait_dscnt 0x1
	v_fmac_f64_e32 v[160:161], v[150:151], v[138:139]
	s_wait_loadcnt 0x5
	s_delay_alu instid0(VALU_DEP_1) | instskip(SKIP_1) | instid1(VALU_DEP_1)
	v_fmac_f64_e32 v[160:161], v[134:135], v[140:141]
	s_wait_dscnt 0x0
	v_fmac_f64_e32 v[160:161], v[136:137], v[142:143]
	scratch_load_b128 v[134:137], off, off offset:376
	s_wait_loadcnt 0x5
	v_fmac_f64_e32 v[160:161], v[156:157], v[144:145]
	ds_load_b128 v[138:141], v2 offset:784
	ds_load_b128 v[142:145], v2 offset:800
	s_wait_dscnt 0x1
	v_fmac_f64_e32 v[160:161], v[158:159], v[138:139]
	scratch_load_b128 v[156:159], off, off offset:392
	s_wait_loadcnt 0x5
	v_fmac_f64_e32 v[160:161], v[126:127], v[140:141]
	s_wait_dscnt 0x0
	s_delay_alu instid0(VALU_DEP_1)
	v_fmac_f64_e32 v[160:161], v[128:129], v[142:143]
	scratch_load_b128 v[126:129], off, off offset:408
	s_wait_loadcnt 0x5
	v_fmac_f64_e32 v[160:161], v[152:153], v[144:145]
	ds_load_b128 v[138:141], v2 offset:816
	ds_load_b128 v[142:145], v2 offset:832
	s_wait_dscnt 0x1
	v_fmac_f64_e32 v[160:161], v[154:155], v[138:139]
	s_wait_loadcnt 0x4
	s_delay_alu instid0(VALU_DEP_1)
	v_fmac_f64_e32 v[160:161], v[130:131], v[140:141]
	scratch_load_b128 v[138:141], off, off offset:424
	s_wait_dscnt 0x0
	v_fmac_f64_e32 v[160:161], v[132:133], v[142:143]
	scratch_load_b128 v[130:133], off, off offset:440
	s_wait_loadcnt 0x5
	v_fmac_f64_e32 v[160:161], v[146:147], v[144:145]
	ds_load_b128 v[142:145], v2 offset:848
	ds_load_b128 v[150:153], v2 offset:864
	s_wait_dscnt 0x1
	v_fmac_f64_e32 v[160:161], v[148:149], v[142:143]
	s_wait_loadcnt 0x4
	s_delay_alu instid0(VALU_DEP_1)
	v_fmac_f64_e32 v[160:161], v[134:135], v[144:145]
	scratch_load_b128 v[142:145], off, off offset:456
	s_wait_dscnt 0x0
	v_fmac_f64_e32 v[160:161], v[136:137], v[150:151]
	scratch_load_b64 v[150:151], off, off offset:472
	ds_load_b128 v[134:137], v2 offset:880
	ds_load_b128 v[146:149], v2 offset:896
	s_wait_loadcnt 0x5
	v_fmac_f64_e32 v[160:161], v[156:157], v[152:153]
	s_wait_dscnt 0x1
	s_delay_alu instid0(VALU_DEP_1) | instskip(SKIP_1) | instid1(VALU_DEP_1)
	v_fmac_f64_e32 v[160:161], v[158:159], v[134:135]
	s_wait_loadcnt 0x4
	v_fmac_f64_e32 v[160:161], v[126:127], v[136:137]
	s_wait_dscnt 0x0
	s_delay_alu instid0(VALU_DEP_1)
	v_fmac_f64_e32 v[160:161], v[128:129], v[146:147]
	ds_load_b128 v[126:129], v2 offset:912
	ds_load_b128 v[134:137], v2 offset:928
	s_wait_loadcnt 0x3
	v_fmac_f64_e32 v[160:161], v[138:139], v[148:149]
	s_wait_dscnt 0x1
	s_delay_alu instid0(VALU_DEP_1) | instskip(SKIP_1) | instid1(VALU_DEP_1)
	v_fmac_f64_e32 v[160:161], v[140:141], v[126:127]
	s_wait_loadcnt 0x2
	v_fmac_f64_e32 v[160:161], v[130:131], v[128:129]
	ds_load_b128 v[126:129], v2 offset:944
	s_wait_dscnt 0x1
	v_fmac_f64_e32 v[160:161], v[132:133], v[134:135]
	s_wait_loadcnt 0x1
	s_delay_alu instid0(VALU_DEP_1) | instskip(SKIP_1) | instid1(VALU_DEP_1)
	v_fmac_f64_e32 v[160:161], v[142:143], v[136:137]
	s_wait_dscnt 0x0
	v_fmac_f64_e32 v[160:161], v[144:145], v[126:127]
	s_wait_loadcnt 0x0
	s_delay_alu instid0(VALU_DEP_1) | instskip(NEXT) | instid1(VALU_DEP_1)
	v_fmac_f64_e32 v[160:161], v[150:151], v[128:129]
	v_add_f64_e64 v[2:3], v[124:125], -v[160:161]
	scratch_store_b64 off, v[2:3], off offset:104
	s_wait_xcnt 0x0
	v_cmpx_lt_u32_e32 12, v0
	s_cbranch_execz .LBB123_345
; %bb.344:
	scratch_load_b64 v[2:3], off, off offset:96
	v_mov_b64_e32 v[124:125], 0
	scratch_store_b64 off, v[124:125], off offset:96
	s_wait_loadcnt 0x0
	ds_store_b64 v1, v[2:3]
.LBB123_345:
	s_wait_xcnt 0x0
	s_or_b32 exec_lo, exec_lo, s0
	s_wait_storecnt_dscnt 0x0
	s_barrier_signal -1
	s_barrier_wait -1
	s_clause 0x5
	scratch_load_b128 v[124:127], off, off offset:96
	scratch_load_b128 v[128:131], off, off offset:112
	;; [unrolled: 1-line block ×6, first 2 shown]
	v_mov_b32_e32 v2, 0
	ds_load_2addr_b64 v[148:151], v2 offset0:73 offset1:74
	ds_load_2addr_b64 v[152:155], v2 offset0:75 offset1:76
	scratch_load_b128 v[156:159], off, off offset:192
	s_mov_b32 s0, exec_lo
	s_wait_loadcnt_dscnt 0x601
	v_fma_f64 v[160:161], v[126:127], v[148:149], 0
	s_wait_loadcnt 0x5
	s_delay_alu instid0(VALU_DEP_1) | instskip(SKIP_4) | instid1(VALU_DEP_1)
	v_fmac_f64_e32 v[160:161], v[128:129], v[150:151]
	scratch_load_b128 v[126:129], off, off offset:208
	s_wait_dscnt 0x0
	v_fmac_f64_e32 v[160:161], v[130:131], v[152:153]
	s_wait_loadcnt 0x5
	v_fmac_f64_e32 v[160:161], v[132:133], v[154:155]
	ds_load_2addr_b64 v[130:133], v2 offset0:77 offset1:78
	ds_load_2addr_b64 v[148:151], v2 offset0:79 offset1:80
	scratch_load_b128 v[152:155], off, off offset:224
	s_wait_dscnt 0x1
	v_fmac_f64_e32 v[160:161], v[134:135], v[130:131]
	s_wait_loadcnt 0x5
	s_delay_alu instid0(VALU_DEP_1) | instskip(SKIP_4) | instid1(VALU_DEP_1)
	v_fmac_f64_e32 v[160:161], v[136:137], v[132:133]
	scratch_load_b128 v[130:133], off, off offset:240
	s_wait_dscnt 0x0
	v_fmac_f64_e32 v[160:161], v[138:139], v[148:149]
	s_wait_loadcnt 0x5
	v_fmac_f64_e32 v[160:161], v[140:141], v[150:151]
	ds_load_2addr_b64 v[134:137], v2 offset0:81 offset1:82
	ds_load_2addr_b64 v[138:141], v2 offset0:83 offset1:84
	scratch_load_b128 v[148:151], off, off offset:256
	s_wait_dscnt 0x1
	v_fmac_f64_e32 v[160:161], v[142:143], v[134:135]
	s_wait_loadcnt 0x5
	s_delay_alu instid0(VALU_DEP_1) | instskip(SKIP_4) | instid1(VALU_DEP_1)
	v_fmac_f64_e32 v[160:161], v[144:145], v[136:137]
	scratch_load_b128 v[134:137], off, off offset:272
	s_wait_dscnt 0x0
	v_fmac_f64_e32 v[160:161], v[146:147], v[138:139]
	s_wait_loadcnt 0x5
	v_fmac_f64_e32 v[160:161], v[156:157], v[140:141]
	ds_load_2addr_b64 v[138:141], v2 offset0:85 offset1:86
	ds_load_2addr_b64 v[142:145], v2 offset0:87 offset1:88
	s_wait_dscnt 0x1
	v_fmac_f64_e32 v[160:161], v[158:159], v[138:139]
	scratch_load_b128 v[156:159], off, off offset:288
	s_wait_loadcnt 0x5
	v_fmac_f64_e32 v[160:161], v[126:127], v[140:141]
	s_wait_dscnt 0x0
	s_delay_alu instid0(VALU_DEP_1)
	v_fmac_f64_e32 v[160:161], v[128:129], v[142:143]
	scratch_load_b128 v[126:129], off, off offset:304
	s_wait_loadcnt 0x5
	v_fmac_f64_e32 v[160:161], v[152:153], v[144:145]
	ds_load_2addr_b64 v[138:141], v2 offset0:89 offset1:90
	ds_load_2addr_b64 v[142:145], v2 offset0:91 offset1:92
	s_wait_dscnt 0x1
	v_fmac_f64_e32 v[160:161], v[154:155], v[138:139]
	scratch_load_b128 v[152:155], off, off offset:320
	s_wait_loadcnt 0x5
	v_fmac_f64_e32 v[160:161], v[130:131], v[140:141]
	s_wait_dscnt 0x0
	s_delay_alu instid0(VALU_DEP_1)
	v_fmac_f64_e32 v[160:161], v[132:133], v[142:143]
	scratch_load_b128 v[130:133], off, off offset:336
	s_wait_loadcnt 0x5
	v_fmac_f64_e32 v[160:161], v[148:149], v[144:145]
	ds_load_2addr_b64 v[138:141], v2 offset0:93 offset1:94
	ds_load_2addr_b64 v[142:145], v2 offset0:95 offset1:96
	scratch_load_b128 v[146:149], off, off offset:352
	s_wait_dscnt 0x1
	v_fmac_f64_e32 v[160:161], v[150:151], v[138:139]
	s_wait_loadcnt 0x5
	s_delay_alu instid0(VALU_DEP_1) | instskip(SKIP_1) | instid1(VALU_DEP_1)
	v_fmac_f64_e32 v[160:161], v[134:135], v[140:141]
	s_wait_dscnt 0x0
	v_fmac_f64_e32 v[160:161], v[136:137], v[142:143]
	scratch_load_b128 v[134:137], off, off offset:368
	s_wait_loadcnt 0x5
	v_fmac_f64_e32 v[160:161], v[156:157], v[144:145]
	ds_load_2addr_b64 v[138:141], v2 offset0:97 offset1:98
	ds_load_2addr_b64 v[142:145], v2 offset0:99 offset1:100
	s_wait_dscnt 0x1
	v_fmac_f64_e32 v[160:161], v[158:159], v[138:139]
	scratch_load_b128 v[156:159], off, off offset:384
	s_wait_loadcnt 0x5
	v_fmac_f64_e32 v[160:161], v[126:127], v[140:141]
	s_wait_dscnt 0x0
	s_delay_alu instid0(VALU_DEP_1)
	v_fmac_f64_e32 v[160:161], v[128:129], v[142:143]
	scratch_load_b128 v[126:129], off, off offset:400
	s_wait_loadcnt 0x5
	v_fmac_f64_e32 v[160:161], v[152:153], v[144:145]
	ds_load_2addr_b64 v[138:141], v2 offset0:101 offset1:102
	ds_load_2addr_b64 v[142:145], v2 offset0:103 offset1:104
	s_wait_dscnt 0x1
	v_fmac_f64_e32 v[160:161], v[154:155], v[138:139]
	s_wait_loadcnt 0x4
	s_delay_alu instid0(VALU_DEP_1)
	v_fmac_f64_e32 v[160:161], v[130:131], v[140:141]
	scratch_load_b128 v[138:141], off, off offset:416
	s_wait_dscnt 0x0
	v_fmac_f64_e32 v[160:161], v[132:133], v[142:143]
	scratch_load_b128 v[130:133], off, off offset:432
	s_wait_loadcnt 0x5
	v_fmac_f64_e32 v[160:161], v[146:147], v[144:145]
	ds_load_2addr_b64 v[142:145], v2 offset0:105 offset1:106
	ds_load_2addr_b64 v[150:153], v2 offset0:107 offset1:108
	s_wait_dscnt 0x1
	v_fmac_f64_e32 v[160:161], v[148:149], v[142:143]
	s_wait_loadcnt 0x4
	s_delay_alu instid0(VALU_DEP_1)
	v_fmac_f64_e32 v[160:161], v[134:135], v[144:145]
	scratch_load_b128 v[142:145], off, off offset:448
	s_wait_dscnt 0x0
	v_fmac_f64_e32 v[160:161], v[136:137], v[150:151]
	scratch_load_b128 v[134:137], off, off offset:464
	s_wait_loadcnt 0x5
	v_fmac_f64_e32 v[160:161], v[156:157], v[152:153]
	ds_load_2addr_b64 v[146:149], v2 offset0:109 offset1:110
	ds_load_2addr_b64 v[150:153], v2 offset0:111 offset1:112
	s_wait_dscnt 0x1
	v_fmac_f64_e32 v[160:161], v[158:159], v[146:147]
	s_wait_loadcnt 0x4
	s_delay_alu instid0(VALU_DEP_1) | instskip(SKIP_1) | instid1(VALU_DEP_1)
	v_fmac_f64_e32 v[160:161], v[126:127], v[148:149]
	s_wait_dscnt 0x0
	v_fmac_f64_e32 v[160:161], v[128:129], v[150:151]
	ds_load_2addr_b64 v[126:129], v2 offset0:113 offset1:114
	ds_load_2addr_b64 v[146:149], v2 offset0:115 offset1:116
	s_wait_loadcnt 0x3
	v_fmac_f64_e32 v[160:161], v[138:139], v[152:153]
	s_wait_dscnt 0x1
	s_delay_alu instid0(VALU_DEP_1) | instskip(SKIP_1) | instid1(VALU_DEP_1)
	v_fmac_f64_e32 v[160:161], v[140:141], v[126:127]
	s_wait_loadcnt 0x2
	v_fmac_f64_e32 v[160:161], v[130:131], v[128:129]
	ds_load_2addr_b64 v[126:129], v2 offset0:117 offset1:118
	ds_load_b64 v[130:131], v2 offset:952
	s_wait_dscnt 0x2
	v_fmac_f64_e32 v[160:161], v[132:133], v[146:147]
	s_wait_loadcnt 0x1
	s_delay_alu instid0(VALU_DEP_1) | instskip(SKIP_1) | instid1(VALU_DEP_1)
	v_fmac_f64_e32 v[160:161], v[142:143], v[148:149]
	s_wait_dscnt 0x1
	v_fmac_f64_e32 v[160:161], v[144:145], v[126:127]
	s_wait_loadcnt 0x0
	s_delay_alu instid0(VALU_DEP_1) | instskip(SKIP_1) | instid1(VALU_DEP_1)
	v_fmac_f64_e32 v[160:161], v[134:135], v[128:129]
	s_wait_dscnt 0x0
	v_fmac_f64_e32 v[160:161], v[136:137], v[130:131]
	s_delay_alu instid0(VALU_DEP_1)
	v_add_f64_e64 v[124:125], v[124:125], -v[160:161]
	scratch_store_b64 off, v[124:125], off offset:96
	s_wait_xcnt 0x0
	v_cmpx_lt_u32_e32 11, v0
	s_cbranch_execz .LBB123_347
; %bb.346:
	scratch_load_b64 v[124:125], off, off offset:88
	v_mov_b64_e32 v[126:127], 0
	scratch_store_b64 off, v[126:127], off offset:88
	s_wait_loadcnt 0x0
	ds_store_b64 v1, v[124:125]
.LBB123_347:
	s_wait_xcnt 0x0
	s_or_b32 exec_lo, exec_lo, s0
	s_wait_storecnt_dscnt 0x0
	s_barrier_signal -1
	s_barrier_wait -1
	s_clause 0x5
	scratch_load_b128 v[124:127], off, off offset:88
	scratch_load_b128 v[128:131], off, off offset:104
	;; [unrolled: 1-line block ×6, first 2 shown]
	ds_load_b128 v[148:151], v2 offset:576
	ds_load_b128 v[152:155], v2 offset:592
	scratch_load_b128 v[156:159], off, off offset:184
	s_mov_b32 s0, exec_lo
	s_wait_loadcnt_dscnt 0x601
	v_fma_f64 v[160:161], v[126:127], v[148:149], 0
	s_wait_loadcnt 0x5
	s_delay_alu instid0(VALU_DEP_1) | instskip(SKIP_4) | instid1(VALU_DEP_1)
	v_fmac_f64_e32 v[160:161], v[128:129], v[150:151]
	scratch_load_b128 v[126:129], off, off offset:200
	s_wait_dscnt 0x0
	v_fmac_f64_e32 v[160:161], v[130:131], v[152:153]
	s_wait_loadcnt 0x5
	v_fmac_f64_e32 v[160:161], v[132:133], v[154:155]
	ds_load_b128 v[130:133], v2 offset:608
	ds_load_b128 v[148:151], v2 offset:624
	scratch_load_b128 v[152:155], off, off offset:216
	s_wait_dscnt 0x1
	v_fmac_f64_e32 v[160:161], v[134:135], v[130:131]
	s_wait_loadcnt 0x5
	s_delay_alu instid0(VALU_DEP_1) | instskip(SKIP_4) | instid1(VALU_DEP_1)
	v_fmac_f64_e32 v[160:161], v[136:137], v[132:133]
	scratch_load_b128 v[130:133], off, off offset:232
	s_wait_dscnt 0x0
	v_fmac_f64_e32 v[160:161], v[138:139], v[148:149]
	s_wait_loadcnt 0x5
	v_fmac_f64_e32 v[160:161], v[140:141], v[150:151]
	ds_load_b128 v[134:137], v2 offset:640
	ds_load_b128 v[138:141], v2 offset:656
	scratch_load_b128 v[148:151], off, off offset:248
	s_wait_dscnt 0x1
	v_fmac_f64_e32 v[160:161], v[142:143], v[134:135]
	s_wait_loadcnt 0x5
	s_delay_alu instid0(VALU_DEP_1) | instskip(SKIP_4) | instid1(VALU_DEP_1)
	v_fmac_f64_e32 v[160:161], v[144:145], v[136:137]
	scratch_load_b128 v[134:137], off, off offset:264
	s_wait_dscnt 0x0
	v_fmac_f64_e32 v[160:161], v[146:147], v[138:139]
	s_wait_loadcnt 0x5
	v_fmac_f64_e32 v[160:161], v[156:157], v[140:141]
	ds_load_b128 v[138:141], v2 offset:672
	ds_load_b128 v[142:145], v2 offset:688
	s_wait_dscnt 0x1
	v_fmac_f64_e32 v[160:161], v[158:159], v[138:139]
	scratch_load_b128 v[156:159], off, off offset:280
	s_wait_loadcnt 0x5
	v_fmac_f64_e32 v[160:161], v[126:127], v[140:141]
	s_wait_dscnt 0x0
	s_delay_alu instid0(VALU_DEP_1)
	v_fmac_f64_e32 v[160:161], v[128:129], v[142:143]
	scratch_load_b128 v[126:129], off, off offset:296
	s_wait_loadcnt 0x5
	v_fmac_f64_e32 v[160:161], v[152:153], v[144:145]
	ds_load_b128 v[138:141], v2 offset:704
	ds_load_b128 v[142:145], v2 offset:720
	s_wait_dscnt 0x1
	v_fmac_f64_e32 v[160:161], v[154:155], v[138:139]
	scratch_load_b128 v[152:155], off, off offset:312
	s_wait_loadcnt 0x5
	v_fmac_f64_e32 v[160:161], v[130:131], v[140:141]
	s_wait_dscnt 0x0
	s_delay_alu instid0(VALU_DEP_1)
	v_fmac_f64_e32 v[160:161], v[132:133], v[142:143]
	scratch_load_b128 v[130:133], off, off offset:328
	s_wait_loadcnt 0x5
	v_fmac_f64_e32 v[160:161], v[148:149], v[144:145]
	ds_load_b128 v[138:141], v2 offset:736
	ds_load_b128 v[142:145], v2 offset:752
	scratch_load_b128 v[146:149], off, off offset:344
	s_wait_dscnt 0x1
	v_fmac_f64_e32 v[160:161], v[150:151], v[138:139]
	s_wait_loadcnt 0x5
	s_delay_alu instid0(VALU_DEP_1) | instskip(SKIP_1) | instid1(VALU_DEP_1)
	v_fmac_f64_e32 v[160:161], v[134:135], v[140:141]
	s_wait_dscnt 0x0
	v_fmac_f64_e32 v[160:161], v[136:137], v[142:143]
	scratch_load_b128 v[134:137], off, off offset:360
	s_wait_loadcnt 0x5
	v_fmac_f64_e32 v[160:161], v[156:157], v[144:145]
	ds_load_b128 v[138:141], v2 offset:768
	ds_load_b128 v[142:145], v2 offset:784
	s_wait_dscnt 0x1
	v_fmac_f64_e32 v[160:161], v[158:159], v[138:139]
	scratch_load_b128 v[156:159], off, off offset:376
	s_wait_loadcnt 0x5
	v_fmac_f64_e32 v[160:161], v[126:127], v[140:141]
	s_wait_dscnt 0x0
	s_delay_alu instid0(VALU_DEP_1)
	v_fmac_f64_e32 v[160:161], v[128:129], v[142:143]
	scratch_load_b128 v[126:129], off, off offset:392
	s_wait_loadcnt 0x5
	v_fmac_f64_e32 v[160:161], v[152:153], v[144:145]
	ds_load_b128 v[138:141], v2 offset:800
	ds_load_b128 v[142:145], v2 offset:816
	s_wait_dscnt 0x1
	v_fmac_f64_e32 v[160:161], v[154:155], v[138:139]
	s_wait_loadcnt 0x4
	s_delay_alu instid0(VALU_DEP_1)
	v_fmac_f64_e32 v[160:161], v[130:131], v[140:141]
	scratch_load_b128 v[138:141], off, off offset:408
	s_wait_dscnt 0x0
	v_fmac_f64_e32 v[160:161], v[132:133], v[142:143]
	scratch_load_b128 v[130:133], off, off offset:424
	s_wait_loadcnt 0x5
	v_fmac_f64_e32 v[160:161], v[146:147], v[144:145]
	ds_load_b128 v[142:145], v2 offset:832
	ds_load_b128 v[150:153], v2 offset:848
	s_wait_dscnt 0x1
	v_fmac_f64_e32 v[160:161], v[148:149], v[142:143]
	s_wait_loadcnt 0x4
	s_delay_alu instid0(VALU_DEP_1)
	v_fmac_f64_e32 v[160:161], v[134:135], v[144:145]
	scratch_load_b128 v[142:145], off, off offset:440
	s_wait_dscnt 0x0
	v_fmac_f64_e32 v[160:161], v[136:137], v[150:151]
	scratch_load_b128 v[134:137], off, off offset:456
	s_wait_loadcnt 0x5
	v_fmac_f64_e32 v[160:161], v[156:157], v[152:153]
	ds_load_b128 v[146:149], v2 offset:864
	ds_load_b128 v[150:153], v2 offset:880
	scratch_load_b64 v[154:155], off, off offset:472
	s_wait_dscnt 0x1
	v_fmac_f64_e32 v[160:161], v[158:159], v[146:147]
	s_wait_loadcnt 0x5
	s_delay_alu instid0(VALU_DEP_1) | instskip(SKIP_1) | instid1(VALU_DEP_1)
	v_fmac_f64_e32 v[160:161], v[126:127], v[148:149]
	s_wait_dscnt 0x0
	v_fmac_f64_e32 v[160:161], v[128:129], v[150:151]
	ds_load_b128 v[126:129], v2 offset:896
	ds_load_b128 v[146:149], v2 offset:912
	s_wait_loadcnt 0x4
	v_fmac_f64_e32 v[160:161], v[138:139], v[152:153]
	s_wait_dscnt 0x1
	s_delay_alu instid0(VALU_DEP_1) | instskip(SKIP_1) | instid1(VALU_DEP_1)
	v_fmac_f64_e32 v[160:161], v[140:141], v[126:127]
	s_wait_loadcnt 0x3
	v_fmac_f64_e32 v[160:161], v[130:131], v[128:129]
	s_wait_dscnt 0x0
	s_delay_alu instid0(VALU_DEP_1)
	v_fmac_f64_e32 v[160:161], v[132:133], v[146:147]
	ds_load_b128 v[126:129], v2 offset:928
	ds_load_b128 v[130:133], v2 offset:944
	s_wait_loadcnt 0x2
	v_fmac_f64_e32 v[160:161], v[142:143], v[148:149]
	s_wait_dscnt 0x1
	s_delay_alu instid0(VALU_DEP_1) | instskip(SKIP_1) | instid1(VALU_DEP_1)
	v_fmac_f64_e32 v[160:161], v[144:145], v[126:127]
	s_wait_loadcnt 0x1
	v_fmac_f64_e32 v[160:161], v[134:135], v[128:129]
	s_wait_dscnt 0x0
	s_delay_alu instid0(VALU_DEP_1) | instskip(SKIP_1) | instid1(VALU_DEP_1)
	v_fmac_f64_e32 v[160:161], v[136:137], v[130:131]
	s_wait_loadcnt 0x0
	v_fmac_f64_e32 v[160:161], v[154:155], v[132:133]
	s_delay_alu instid0(VALU_DEP_1)
	v_add_f64_e64 v[2:3], v[124:125], -v[160:161]
	scratch_store_b64 off, v[2:3], off offset:88
	s_wait_xcnt 0x0
	v_cmpx_lt_u32_e32 10, v0
	s_cbranch_execz .LBB123_349
; %bb.348:
	scratch_load_b64 v[2:3], off, off offset:80
	v_mov_b64_e32 v[124:125], 0
	scratch_store_b64 off, v[124:125], off offset:80
	s_wait_loadcnt 0x0
	ds_store_b64 v1, v[2:3]
.LBB123_349:
	s_wait_xcnt 0x0
	s_or_b32 exec_lo, exec_lo, s0
	s_wait_storecnt_dscnt 0x0
	s_barrier_signal -1
	s_barrier_wait -1
	s_clause 0x5
	scratch_load_b128 v[124:127], off, off offset:80
	scratch_load_b128 v[128:131], off, off offset:96
	;; [unrolled: 1-line block ×6, first 2 shown]
	v_mov_b32_e32 v2, 0
	ds_load_2addr_b64 v[148:151], v2 offset0:71 offset1:72
	ds_load_2addr_b64 v[152:155], v2 offset0:73 offset1:74
	scratch_load_b128 v[156:159], off, off offset:176
	s_mov_b32 s0, exec_lo
	s_wait_loadcnt_dscnt 0x601
	v_fma_f64 v[160:161], v[126:127], v[148:149], 0
	s_wait_loadcnt 0x5
	s_delay_alu instid0(VALU_DEP_1) | instskip(SKIP_4) | instid1(VALU_DEP_1)
	v_fmac_f64_e32 v[160:161], v[128:129], v[150:151]
	scratch_load_b128 v[126:129], off, off offset:192
	s_wait_dscnt 0x0
	v_fmac_f64_e32 v[160:161], v[130:131], v[152:153]
	s_wait_loadcnt 0x5
	v_fmac_f64_e32 v[160:161], v[132:133], v[154:155]
	ds_load_2addr_b64 v[130:133], v2 offset0:75 offset1:76
	ds_load_2addr_b64 v[148:151], v2 offset0:77 offset1:78
	scratch_load_b128 v[152:155], off, off offset:208
	s_wait_dscnt 0x1
	v_fmac_f64_e32 v[160:161], v[134:135], v[130:131]
	s_wait_loadcnt 0x5
	s_delay_alu instid0(VALU_DEP_1) | instskip(SKIP_4) | instid1(VALU_DEP_1)
	v_fmac_f64_e32 v[160:161], v[136:137], v[132:133]
	scratch_load_b128 v[130:133], off, off offset:224
	s_wait_dscnt 0x0
	v_fmac_f64_e32 v[160:161], v[138:139], v[148:149]
	s_wait_loadcnt 0x5
	v_fmac_f64_e32 v[160:161], v[140:141], v[150:151]
	ds_load_2addr_b64 v[134:137], v2 offset0:79 offset1:80
	ds_load_2addr_b64 v[138:141], v2 offset0:81 offset1:82
	scratch_load_b128 v[148:151], off, off offset:240
	s_wait_dscnt 0x1
	v_fmac_f64_e32 v[160:161], v[142:143], v[134:135]
	s_wait_loadcnt 0x5
	s_delay_alu instid0(VALU_DEP_1) | instskip(SKIP_4) | instid1(VALU_DEP_1)
	v_fmac_f64_e32 v[160:161], v[144:145], v[136:137]
	scratch_load_b128 v[134:137], off, off offset:256
	s_wait_dscnt 0x0
	v_fmac_f64_e32 v[160:161], v[146:147], v[138:139]
	s_wait_loadcnt 0x5
	v_fmac_f64_e32 v[160:161], v[156:157], v[140:141]
	ds_load_2addr_b64 v[138:141], v2 offset0:83 offset1:84
	ds_load_2addr_b64 v[142:145], v2 offset0:85 offset1:86
	s_wait_dscnt 0x1
	v_fmac_f64_e32 v[160:161], v[158:159], v[138:139]
	scratch_load_b128 v[156:159], off, off offset:272
	s_wait_loadcnt 0x5
	v_fmac_f64_e32 v[160:161], v[126:127], v[140:141]
	s_wait_dscnt 0x0
	s_delay_alu instid0(VALU_DEP_1)
	v_fmac_f64_e32 v[160:161], v[128:129], v[142:143]
	scratch_load_b128 v[126:129], off, off offset:288
	s_wait_loadcnt 0x5
	v_fmac_f64_e32 v[160:161], v[152:153], v[144:145]
	ds_load_2addr_b64 v[138:141], v2 offset0:87 offset1:88
	ds_load_2addr_b64 v[142:145], v2 offset0:89 offset1:90
	s_wait_dscnt 0x1
	v_fmac_f64_e32 v[160:161], v[154:155], v[138:139]
	scratch_load_b128 v[152:155], off, off offset:304
	s_wait_loadcnt 0x5
	v_fmac_f64_e32 v[160:161], v[130:131], v[140:141]
	s_wait_dscnt 0x0
	s_delay_alu instid0(VALU_DEP_1)
	v_fmac_f64_e32 v[160:161], v[132:133], v[142:143]
	scratch_load_b128 v[130:133], off, off offset:320
	s_wait_loadcnt 0x5
	v_fmac_f64_e32 v[160:161], v[148:149], v[144:145]
	ds_load_2addr_b64 v[138:141], v2 offset0:91 offset1:92
	ds_load_2addr_b64 v[142:145], v2 offset0:93 offset1:94
	scratch_load_b128 v[146:149], off, off offset:336
	s_wait_dscnt 0x1
	v_fmac_f64_e32 v[160:161], v[150:151], v[138:139]
	s_wait_loadcnt 0x5
	s_delay_alu instid0(VALU_DEP_1) | instskip(SKIP_1) | instid1(VALU_DEP_1)
	v_fmac_f64_e32 v[160:161], v[134:135], v[140:141]
	s_wait_dscnt 0x0
	v_fmac_f64_e32 v[160:161], v[136:137], v[142:143]
	scratch_load_b128 v[134:137], off, off offset:352
	s_wait_loadcnt 0x5
	v_fmac_f64_e32 v[160:161], v[156:157], v[144:145]
	ds_load_2addr_b64 v[138:141], v2 offset0:95 offset1:96
	ds_load_2addr_b64 v[142:145], v2 offset0:97 offset1:98
	s_wait_dscnt 0x1
	v_fmac_f64_e32 v[160:161], v[158:159], v[138:139]
	scratch_load_b128 v[156:159], off, off offset:368
	s_wait_loadcnt 0x5
	v_fmac_f64_e32 v[160:161], v[126:127], v[140:141]
	s_wait_dscnt 0x0
	s_delay_alu instid0(VALU_DEP_1)
	v_fmac_f64_e32 v[160:161], v[128:129], v[142:143]
	scratch_load_b128 v[126:129], off, off offset:384
	s_wait_loadcnt 0x5
	v_fmac_f64_e32 v[160:161], v[152:153], v[144:145]
	ds_load_2addr_b64 v[138:141], v2 offset0:99 offset1:100
	ds_load_2addr_b64 v[142:145], v2 offset0:101 offset1:102
	s_wait_dscnt 0x1
	v_fmac_f64_e32 v[160:161], v[154:155], v[138:139]
	s_wait_loadcnt 0x4
	s_delay_alu instid0(VALU_DEP_1)
	v_fmac_f64_e32 v[160:161], v[130:131], v[140:141]
	scratch_load_b128 v[138:141], off, off offset:400
	s_wait_dscnt 0x0
	v_fmac_f64_e32 v[160:161], v[132:133], v[142:143]
	scratch_load_b128 v[130:133], off, off offset:416
	s_wait_loadcnt 0x5
	v_fmac_f64_e32 v[160:161], v[146:147], v[144:145]
	ds_load_2addr_b64 v[142:145], v2 offset0:103 offset1:104
	ds_load_2addr_b64 v[150:153], v2 offset0:105 offset1:106
	s_wait_dscnt 0x1
	v_fmac_f64_e32 v[160:161], v[148:149], v[142:143]
	s_wait_loadcnt 0x4
	s_delay_alu instid0(VALU_DEP_1)
	v_fmac_f64_e32 v[160:161], v[134:135], v[144:145]
	scratch_load_b128 v[142:145], off, off offset:432
	s_wait_dscnt 0x0
	v_fmac_f64_e32 v[160:161], v[136:137], v[150:151]
	scratch_load_b128 v[134:137], off, off offset:448
	s_wait_loadcnt 0x5
	v_fmac_f64_e32 v[160:161], v[156:157], v[152:153]
	ds_load_2addr_b64 v[146:149], v2 offset0:107 offset1:108
	ds_load_2addr_b64 v[150:153], v2 offset0:109 offset1:110
	s_wait_dscnt 0x1
	v_fmac_f64_e32 v[160:161], v[158:159], v[146:147]
	s_wait_loadcnt 0x4
	s_delay_alu instid0(VALU_DEP_1) | instskip(SKIP_4) | instid1(VALU_DEP_1)
	v_fmac_f64_e32 v[160:161], v[126:127], v[148:149]
	scratch_load_b128 v[146:149], off, off offset:464
	s_wait_dscnt 0x0
	v_fmac_f64_e32 v[160:161], v[128:129], v[150:151]
	s_wait_loadcnt 0x4
	v_fmac_f64_e32 v[160:161], v[138:139], v[152:153]
	ds_load_2addr_b64 v[126:129], v2 offset0:111 offset1:112
	ds_load_2addr_b64 v[150:153], v2 offset0:113 offset1:114
	s_wait_dscnt 0x1
	v_fmac_f64_e32 v[160:161], v[140:141], v[126:127]
	s_wait_loadcnt 0x3
	s_delay_alu instid0(VALU_DEP_1) | instskip(SKIP_1) | instid1(VALU_DEP_1)
	v_fmac_f64_e32 v[160:161], v[130:131], v[128:129]
	s_wait_dscnt 0x0
	v_fmac_f64_e32 v[160:161], v[132:133], v[150:151]
	ds_load_2addr_b64 v[126:129], v2 offset0:115 offset1:116
	ds_load_2addr_b64 v[130:133], v2 offset0:117 offset1:118
	s_wait_loadcnt 0x2
	v_fmac_f64_e32 v[160:161], v[142:143], v[152:153]
	s_wait_dscnt 0x1
	s_delay_alu instid0(VALU_DEP_1) | instskip(SKIP_4) | instid1(VALU_DEP_1)
	v_fmac_f64_e32 v[160:161], v[144:145], v[126:127]
	ds_load_b64 v[126:127], v2 offset:952
	s_wait_loadcnt 0x1
	v_fmac_f64_e32 v[160:161], v[134:135], v[128:129]
	s_wait_dscnt 0x1
	v_fmac_f64_e32 v[160:161], v[136:137], v[130:131]
	s_wait_loadcnt 0x0
	s_delay_alu instid0(VALU_DEP_1) | instskip(SKIP_1) | instid1(VALU_DEP_1)
	v_fmac_f64_e32 v[160:161], v[146:147], v[132:133]
	s_wait_dscnt 0x0
	v_fmac_f64_e32 v[160:161], v[148:149], v[126:127]
	s_delay_alu instid0(VALU_DEP_1)
	v_add_f64_e64 v[124:125], v[124:125], -v[160:161]
	scratch_store_b64 off, v[124:125], off offset:80
	s_wait_xcnt 0x0
	v_cmpx_lt_u32_e32 9, v0
	s_cbranch_execz .LBB123_351
; %bb.350:
	scratch_load_b64 v[124:125], off, off offset:72
	v_mov_b64_e32 v[126:127], 0
	scratch_store_b64 off, v[126:127], off offset:72
	s_wait_loadcnt 0x0
	ds_store_b64 v1, v[124:125]
.LBB123_351:
	s_wait_xcnt 0x0
	s_or_b32 exec_lo, exec_lo, s0
	s_wait_storecnt_dscnt 0x0
	s_barrier_signal -1
	s_barrier_wait -1
	s_clause 0x5
	scratch_load_b128 v[124:127], off, off offset:72
	scratch_load_b128 v[128:131], off, off offset:88
	;; [unrolled: 1-line block ×6, first 2 shown]
	ds_load_b128 v[148:151], v2 offset:560
	ds_load_b128 v[152:155], v2 offset:576
	scratch_load_b128 v[156:159], off, off offset:168
	s_mov_b32 s0, exec_lo
	s_wait_loadcnt_dscnt 0x601
	v_fma_f64 v[160:161], v[126:127], v[148:149], 0
	s_wait_loadcnt 0x5
	s_delay_alu instid0(VALU_DEP_1) | instskip(SKIP_4) | instid1(VALU_DEP_1)
	v_fmac_f64_e32 v[160:161], v[128:129], v[150:151]
	scratch_load_b128 v[126:129], off, off offset:184
	s_wait_dscnt 0x0
	v_fmac_f64_e32 v[160:161], v[130:131], v[152:153]
	s_wait_loadcnt 0x5
	v_fmac_f64_e32 v[160:161], v[132:133], v[154:155]
	ds_load_b128 v[130:133], v2 offset:592
	ds_load_b128 v[148:151], v2 offset:608
	scratch_load_b128 v[152:155], off, off offset:200
	s_wait_dscnt 0x1
	v_fmac_f64_e32 v[160:161], v[134:135], v[130:131]
	s_wait_loadcnt 0x5
	s_delay_alu instid0(VALU_DEP_1) | instskip(SKIP_4) | instid1(VALU_DEP_1)
	v_fmac_f64_e32 v[160:161], v[136:137], v[132:133]
	scratch_load_b128 v[130:133], off, off offset:216
	s_wait_dscnt 0x0
	v_fmac_f64_e32 v[160:161], v[138:139], v[148:149]
	s_wait_loadcnt 0x5
	v_fmac_f64_e32 v[160:161], v[140:141], v[150:151]
	ds_load_b128 v[134:137], v2 offset:624
	ds_load_b128 v[138:141], v2 offset:640
	scratch_load_b128 v[148:151], off, off offset:232
	s_wait_dscnt 0x1
	v_fmac_f64_e32 v[160:161], v[142:143], v[134:135]
	s_wait_loadcnt 0x5
	s_delay_alu instid0(VALU_DEP_1) | instskip(SKIP_4) | instid1(VALU_DEP_1)
	v_fmac_f64_e32 v[160:161], v[144:145], v[136:137]
	scratch_load_b128 v[134:137], off, off offset:248
	s_wait_dscnt 0x0
	v_fmac_f64_e32 v[160:161], v[146:147], v[138:139]
	s_wait_loadcnt 0x5
	v_fmac_f64_e32 v[160:161], v[156:157], v[140:141]
	ds_load_b128 v[138:141], v2 offset:656
	ds_load_b128 v[142:145], v2 offset:672
	s_wait_dscnt 0x1
	v_fmac_f64_e32 v[160:161], v[158:159], v[138:139]
	scratch_load_b128 v[156:159], off, off offset:264
	s_wait_loadcnt 0x5
	v_fmac_f64_e32 v[160:161], v[126:127], v[140:141]
	s_wait_dscnt 0x0
	s_delay_alu instid0(VALU_DEP_1)
	v_fmac_f64_e32 v[160:161], v[128:129], v[142:143]
	scratch_load_b128 v[126:129], off, off offset:280
	s_wait_loadcnt 0x5
	v_fmac_f64_e32 v[160:161], v[152:153], v[144:145]
	ds_load_b128 v[138:141], v2 offset:688
	ds_load_b128 v[142:145], v2 offset:704
	s_wait_dscnt 0x1
	v_fmac_f64_e32 v[160:161], v[154:155], v[138:139]
	scratch_load_b128 v[152:155], off, off offset:296
	s_wait_loadcnt 0x5
	v_fmac_f64_e32 v[160:161], v[130:131], v[140:141]
	s_wait_dscnt 0x0
	s_delay_alu instid0(VALU_DEP_1)
	v_fmac_f64_e32 v[160:161], v[132:133], v[142:143]
	scratch_load_b128 v[130:133], off, off offset:312
	s_wait_loadcnt 0x5
	v_fmac_f64_e32 v[160:161], v[148:149], v[144:145]
	ds_load_b128 v[138:141], v2 offset:720
	ds_load_b128 v[142:145], v2 offset:736
	scratch_load_b128 v[146:149], off, off offset:328
	s_wait_dscnt 0x1
	v_fmac_f64_e32 v[160:161], v[150:151], v[138:139]
	s_wait_loadcnt 0x5
	s_delay_alu instid0(VALU_DEP_1) | instskip(SKIP_1) | instid1(VALU_DEP_1)
	v_fmac_f64_e32 v[160:161], v[134:135], v[140:141]
	s_wait_dscnt 0x0
	v_fmac_f64_e32 v[160:161], v[136:137], v[142:143]
	scratch_load_b128 v[134:137], off, off offset:344
	s_wait_loadcnt 0x5
	v_fmac_f64_e32 v[160:161], v[156:157], v[144:145]
	ds_load_b128 v[138:141], v2 offset:752
	ds_load_b128 v[142:145], v2 offset:768
	s_wait_dscnt 0x1
	v_fmac_f64_e32 v[160:161], v[158:159], v[138:139]
	scratch_load_b128 v[156:159], off, off offset:360
	s_wait_loadcnt 0x5
	v_fmac_f64_e32 v[160:161], v[126:127], v[140:141]
	s_wait_dscnt 0x0
	s_delay_alu instid0(VALU_DEP_1)
	v_fmac_f64_e32 v[160:161], v[128:129], v[142:143]
	scratch_load_b128 v[126:129], off, off offset:376
	s_wait_loadcnt 0x5
	v_fmac_f64_e32 v[160:161], v[152:153], v[144:145]
	ds_load_b128 v[138:141], v2 offset:784
	ds_load_b128 v[142:145], v2 offset:800
	scratch_load_b128 v[150:153], off, off offset:392
	s_wait_dscnt 0x1
	v_fmac_f64_e32 v[160:161], v[154:155], v[138:139]
	s_wait_loadcnt 0x5
	s_delay_alu instid0(VALU_DEP_1) | instskip(SKIP_1) | instid1(VALU_DEP_1)
	v_fmac_f64_e32 v[160:161], v[130:131], v[140:141]
	s_wait_dscnt 0x0
	v_fmac_f64_e32 v[160:161], v[132:133], v[142:143]
	scratch_load_b128 v[130:133], off, off offset:408
	s_wait_loadcnt 0x5
	v_fmac_f64_e32 v[160:161], v[146:147], v[144:145]
	ds_load_b128 v[138:141], v2 offset:816
	ds_load_b128 v[142:145], v2 offset:832
	s_wait_dscnt 0x1
	v_fmac_f64_e32 v[160:161], v[148:149], v[138:139]
	s_wait_loadcnt 0x4
	s_delay_alu instid0(VALU_DEP_1)
	v_fmac_f64_e32 v[160:161], v[134:135], v[140:141]
	scratch_load_b128 v[138:141], off, off offset:424
	s_wait_dscnt 0x0
	v_fmac_f64_e32 v[160:161], v[136:137], v[142:143]
	scratch_load_b128 v[134:137], off, off offset:440
	s_wait_loadcnt 0x5
	v_fmac_f64_e32 v[160:161], v[156:157], v[144:145]
	ds_load_b128 v[142:145], v2 offset:848
	ds_load_b128 v[146:149], v2 offset:864
	s_wait_dscnt 0x1
	v_fmac_f64_e32 v[160:161], v[158:159], v[142:143]
	s_wait_loadcnt 0x4
	s_delay_alu instid0(VALU_DEP_1) | instskip(SKIP_4) | instid1(VALU_DEP_1)
	v_fmac_f64_e32 v[160:161], v[126:127], v[144:145]
	scratch_load_b128 v[142:145], off, off offset:456
	s_wait_dscnt 0x0
	v_fmac_f64_e32 v[160:161], v[128:129], v[146:147]
	s_wait_loadcnt 0x4
	v_fmac_f64_e32 v[160:161], v[150:151], v[148:149]
	scratch_load_b64 v[150:151], off, off offset:472
	ds_load_b128 v[126:129], v2 offset:880
	ds_load_b128 v[146:149], v2 offset:896
	s_wait_dscnt 0x1
	v_fmac_f64_e32 v[160:161], v[152:153], v[126:127]
	s_wait_loadcnt 0x4
	s_delay_alu instid0(VALU_DEP_1) | instskip(SKIP_1) | instid1(VALU_DEP_1)
	v_fmac_f64_e32 v[160:161], v[130:131], v[128:129]
	s_wait_dscnt 0x0
	v_fmac_f64_e32 v[160:161], v[132:133], v[146:147]
	ds_load_b128 v[126:129], v2 offset:912
	ds_load_b128 v[130:133], v2 offset:928
	s_wait_loadcnt 0x3
	v_fmac_f64_e32 v[160:161], v[138:139], v[148:149]
	s_wait_dscnt 0x1
	s_delay_alu instid0(VALU_DEP_1) | instskip(SKIP_1) | instid1(VALU_DEP_1)
	v_fmac_f64_e32 v[160:161], v[140:141], v[126:127]
	s_wait_loadcnt 0x2
	v_fmac_f64_e32 v[160:161], v[134:135], v[128:129]
	ds_load_b128 v[126:129], v2 offset:944
	s_wait_dscnt 0x1
	v_fmac_f64_e32 v[160:161], v[136:137], v[130:131]
	s_wait_loadcnt 0x1
	s_delay_alu instid0(VALU_DEP_1) | instskip(SKIP_1) | instid1(VALU_DEP_1)
	v_fmac_f64_e32 v[160:161], v[142:143], v[132:133]
	s_wait_dscnt 0x0
	v_fmac_f64_e32 v[160:161], v[144:145], v[126:127]
	s_wait_loadcnt 0x0
	s_delay_alu instid0(VALU_DEP_1) | instskip(NEXT) | instid1(VALU_DEP_1)
	v_fmac_f64_e32 v[160:161], v[150:151], v[128:129]
	v_add_f64_e64 v[2:3], v[124:125], -v[160:161]
	scratch_store_b64 off, v[2:3], off offset:72
	s_wait_xcnt 0x0
	v_cmpx_lt_u32_e32 8, v0
	s_cbranch_execz .LBB123_353
; %bb.352:
	scratch_load_b64 v[2:3], off, off offset:64
	v_mov_b64_e32 v[124:125], 0
	scratch_store_b64 off, v[124:125], off offset:64
	s_wait_loadcnt 0x0
	ds_store_b64 v1, v[2:3]
.LBB123_353:
	s_wait_xcnt 0x0
	s_or_b32 exec_lo, exec_lo, s0
	s_wait_storecnt_dscnt 0x0
	s_barrier_signal -1
	s_barrier_wait -1
	s_clause 0x5
	scratch_load_b128 v[124:127], off, off offset:64
	scratch_load_b128 v[128:131], off, off offset:80
	;; [unrolled: 1-line block ×6, first 2 shown]
	v_mov_b32_e32 v2, 0
	ds_load_2addr_b64 v[148:151], v2 offset0:69 offset1:70
	ds_load_2addr_b64 v[152:155], v2 offset0:71 offset1:72
	scratch_load_b128 v[156:159], off, off offset:160
	s_mov_b32 s0, exec_lo
	s_wait_loadcnt_dscnt 0x601
	v_fma_f64 v[160:161], v[126:127], v[148:149], 0
	s_wait_loadcnt 0x5
	s_delay_alu instid0(VALU_DEP_1) | instskip(SKIP_4) | instid1(VALU_DEP_1)
	v_fmac_f64_e32 v[160:161], v[128:129], v[150:151]
	scratch_load_b128 v[126:129], off, off offset:176
	s_wait_dscnt 0x0
	v_fmac_f64_e32 v[160:161], v[130:131], v[152:153]
	s_wait_loadcnt 0x5
	v_fmac_f64_e32 v[160:161], v[132:133], v[154:155]
	ds_load_2addr_b64 v[130:133], v2 offset0:73 offset1:74
	ds_load_2addr_b64 v[148:151], v2 offset0:75 offset1:76
	scratch_load_b128 v[152:155], off, off offset:192
	s_wait_dscnt 0x1
	v_fmac_f64_e32 v[160:161], v[134:135], v[130:131]
	s_wait_loadcnt 0x5
	s_delay_alu instid0(VALU_DEP_1) | instskip(SKIP_4) | instid1(VALU_DEP_1)
	v_fmac_f64_e32 v[160:161], v[136:137], v[132:133]
	scratch_load_b128 v[130:133], off, off offset:208
	s_wait_dscnt 0x0
	v_fmac_f64_e32 v[160:161], v[138:139], v[148:149]
	s_wait_loadcnt 0x5
	v_fmac_f64_e32 v[160:161], v[140:141], v[150:151]
	ds_load_2addr_b64 v[134:137], v2 offset0:77 offset1:78
	ds_load_2addr_b64 v[138:141], v2 offset0:79 offset1:80
	scratch_load_b128 v[148:151], off, off offset:224
	s_wait_dscnt 0x1
	v_fmac_f64_e32 v[160:161], v[142:143], v[134:135]
	s_wait_loadcnt 0x5
	s_delay_alu instid0(VALU_DEP_1) | instskip(SKIP_4) | instid1(VALU_DEP_1)
	v_fmac_f64_e32 v[160:161], v[144:145], v[136:137]
	scratch_load_b128 v[134:137], off, off offset:240
	s_wait_dscnt 0x0
	v_fmac_f64_e32 v[160:161], v[146:147], v[138:139]
	s_wait_loadcnt 0x5
	v_fmac_f64_e32 v[160:161], v[156:157], v[140:141]
	ds_load_2addr_b64 v[138:141], v2 offset0:81 offset1:82
	ds_load_2addr_b64 v[142:145], v2 offset0:83 offset1:84
	s_wait_dscnt 0x1
	v_fmac_f64_e32 v[160:161], v[158:159], v[138:139]
	scratch_load_b128 v[156:159], off, off offset:256
	s_wait_loadcnt 0x5
	v_fmac_f64_e32 v[160:161], v[126:127], v[140:141]
	s_wait_dscnt 0x0
	s_delay_alu instid0(VALU_DEP_1)
	v_fmac_f64_e32 v[160:161], v[128:129], v[142:143]
	scratch_load_b128 v[126:129], off, off offset:272
	s_wait_loadcnt 0x5
	v_fmac_f64_e32 v[160:161], v[152:153], v[144:145]
	ds_load_2addr_b64 v[138:141], v2 offset0:85 offset1:86
	ds_load_2addr_b64 v[142:145], v2 offset0:87 offset1:88
	s_wait_dscnt 0x1
	v_fmac_f64_e32 v[160:161], v[154:155], v[138:139]
	scratch_load_b128 v[152:155], off, off offset:288
	s_wait_loadcnt 0x5
	v_fmac_f64_e32 v[160:161], v[130:131], v[140:141]
	s_wait_dscnt 0x0
	s_delay_alu instid0(VALU_DEP_1)
	v_fmac_f64_e32 v[160:161], v[132:133], v[142:143]
	scratch_load_b128 v[130:133], off, off offset:304
	s_wait_loadcnt 0x5
	v_fmac_f64_e32 v[160:161], v[148:149], v[144:145]
	ds_load_2addr_b64 v[138:141], v2 offset0:89 offset1:90
	ds_load_2addr_b64 v[142:145], v2 offset0:91 offset1:92
	scratch_load_b128 v[146:149], off, off offset:320
	s_wait_dscnt 0x1
	v_fmac_f64_e32 v[160:161], v[150:151], v[138:139]
	s_wait_loadcnt 0x5
	s_delay_alu instid0(VALU_DEP_1) | instskip(SKIP_1) | instid1(VALU_DEP_1)
	v_fmac_f64_e32 v[160:161], v[134:135], v[140:141]
	s_wait_dscnt 0x0
	v_fmac_f64_e32 v[160:161], v[136:137], v[142:143]
	scratch_load_b128 v[134:137], off, off offset:336
	s_wait_loadcnt 0x5
	v_fmac_f64_e32 v[160:161], v[156:157], v[144:145]
	ds_load_2addr_b64 v[138:141], v2 offset0:93 offset1:94
	ds_load_2addr_b64 v[142:145], v2 offset0:95 offset1:96
	s_wait_dscnt 0x1
	v_fmac_f64_e32 v[160:161], v[158:159], v[138:139]
	scratch_load_b128 v[156:159], off, off offset:352
	s_wait_loadcnt 0x5
	v_fmac_f64_e32 v[160:161], v[126:127], v[140:141]
	s_wait_dscnt 0x0
	s_delay_alu instid0(VALU_DEP_1)
	v_fmac_f64_e32 v[160:161], v[128:129], v[142:143]
	scratch_load_b128 v[126:129], off, off offset:368
	s_wait_loadcnt 0x5
	v_fmac_f64_e32 v[160:161], v[152:153], v[144:145]
	ds_load_2addr_b64 v[138:141], v2 offset0:97 offset1:98
	ds_load_2addr_b64 v[142:145], v2 offset0:99 offset1:100
	scratch_load_b128 v[150:153], off, off offset:384
	s_wait_dscnt 0x1
	v_fmac_f64_e32 v[160:161], v[154:155], v[138:139]
	s_wait_loadcnt 0x5
	s_delay_alu instid0(VALU_DEP_1) | instskip(SKIP_1) | instid1(VALU_DEP_1)
	v_fmac_f64_e32 v[160:161], v[130:131], v[140:141]
	s_wait_dscnt 0x0
	v_fmac_f64_e32 v[160:161], v[132:133], v[142:143]
	scratch_load_b128 v[130:133], off, off offset:400
	s_wait_loadcnt 0x5
	v_fmac_f64_e32 v[160:161], v[146:147], v[144:145]
	ds_load_2addr_b64 v[138:141], v2 offset0:101 offset1:102
	ds_load_2addr_b64 v[142:145], v2 offset0:103 offset1:104
	s_wait_dscnt 0x1
	v_fmac_f64_e32 v[160:161], v[148:149], v[138:139]
	s_wait_loadcnt 0x4
	s_delay_alu instid0(VALU_DEP_1)
	v_fmac_f64_e32 v[160:161], v[134:135], v[140:141]
	scratch_load_b128 v[138:141], off, off offset:416
	s_wait_dscnt 0x0
	v_fmac_f64_e32 v[160:161], v[136:137], v[142:143]
	scratch_load_b128 v[134:137], off, off offset:432
	s_wait_loadcnt 0x5
	v_fmac_f64_e32 v[160:161], v[156:157], v[144:145]
	ds_load_2addr_b64 v[142:145], v2 offset0:105 offset1:106
	ds_load_2addr_b64 v[146:149], v2 offset0:107 offset1:108
	s_wait_dscnt 0x1
	v_fmac_f64_e32 v[160:161], v[158:159], v[142:143]
	s_wait_loadcnt 0x4
	s_delay_alu instid0(VALU_DEP_1)
	v_fmac_f64_e32 v[160:161], v[126:127], v[144:145]
	scratch_load_b128 v[142:145], off, off offset:448
	s_wait_dscnt 0x0
	v_fmac_f64_e32 v[160:161], v[128:129], v[146:147]
	scratch_load_b128 v[126:129], off, off offset:464
	s_wait_loadcnt 0x5
	v_fmac_f64_e32 v[160:161], v[150:151], v[148:149]
	ds_load_2addr_b64 v[146:149], v2 offset0:109 offset1:110
	ds_load_2addr_b64 v[154:157], v2 offset0:111 offset1:112
	s_wait_dscnt 0x1
	v_fmac_f64_e32 v[160:161], v[152:153], v[146:147]
	s_wait_loadcnt 0x4
	s_delay_alu instid0(VALU_DEP_1) | instskip(SKIP_1) | instid1(VALU_DEP_1)
	v_fmac_f64_e32 v[160:161], v[130:131], v[148:149]
	s_wait_dscnt 0x0
	v_fmac_f64_e32 v[160:161], v[132:133], v[154:155]
	ds_load_2addr_b64 v[130:133], v2 offset0:113 offset1:114
	ds_load_2addr_b64 v[146:149], v2 offset0:115 offset1:116
	s_wait_loadcnt 0x3
	v_fmac_f64_e32 v[160:161], v[138:139], v[156:157]
	s_wait_dscnt 0x1
	s_delay_alu instid0(VALU_DEP_1) | instskip(SKIP_1) | instid1(VALU_DEP_1)
	v_fmac_f64_e32 v[160:161], v[140:141], v[130:131]
	s_wait_loadcnt 0x2
	v_fmac_f64_e32 v[160:161], v[134:135], v[132:133]
	ds_load_2addr_b64 v[130:133], v2 offset0:117 offset1:118
	ds_load_b64 v[134:135], v2 offset:952
	s_wait_dscnt 0x2
	v_fmac_f64_e32 v[160:161], v[136:137], v[146:147]
	s_wait_loadcnt 0x1
	s_delay_alu instid0(VALU_DEP_1) | instskip(SKIP_1) | instid1(VALU_DEP_1)
	v_fmac_f64_e32 v[160:161], v[142:143], v[148:149]
	s_wait_dscnt 0x1
	v_fmac_f64_e32 v[160:161], v[144:145], v[130:131]
	s_wait_loadcnt 0x0
	s_delay_alu instid0(VALU_DEP_1) | instskip(SKIP_1) | instid1(VALU_DEP_1)
	v_fmac_f64_e32 v[160:161], v[126:127], v[132:133]
	s_wait_dscnt 0x0
	v_fmac_f64_e32 v[160:161], v[128:129], v[134:135]
	s_delay_alu instid0(VALU_DEP_1)
	v_add_f64_e64 v[124:125], v[124:125], -v[160:161]
	scratch_store_b64 off, v[124:125], off offset:64
	s_wait_xcnt 0x0
	v_cmpx_lt_u32_e32 7, v0
	s_cbranch_execz .LBB123_355
; %bb.354:
	scratch_load_b64 v[124:125], off, off offset:56
	v_mov_b64_e32 v[126:127], 0
	scratch_store_b64 off, v[126:127], off offset:56
	s_wait_loadcnt 0x0
	ds_store_b64 v1, v[124:125]
.LBB123_355:
	s_wait_xcnt 0x0
	s_or_b32 exec_lo, exec_lo, s0
	s_wait_storecnt_dscnt 0x0
	s_barrier_signal -1
	s_barrier_wait -1
	s_clause 0x5
	scratch_load_b128 v[124:127], off, off offset:56
	scratch_load_b128 v[128:131], off, off offset:72
	;; [unrolled: 1-line block ×6, first 2 shown]
	ds_load_b128 v[148:151], v2 offset:544
	ds_load_b128 v[152:155], v2 offset:560
	scratch_load_b128 v[156:159], off, off offset:152
	s_mov_b32 s0, exec_lo
	s_wait_loadcnt_dscnt 0x601
	v_fma_f64 v[160:161], v[126:127], v[148:149], 0
	s_wait_loadcnt 0x5
	s_delay_alu instid0(VALU_DEP_1) | instskip(SKIP_4) | instid1(VALU_DEP_1)
	v_fmac_f64_e32 v[160:161], v[128:129], v[150:151]
	scratch_load_b128 v[126:129], off, off offset:168
	s_wait_dscnt 0x0
	v_fmac_f64_e32 v[160:161], v[130:131], v[152:153]
	s_wait_loadcnt 0x5
	v_fmac_f64_e32 v[160:161], v[132:133], v[154:155]
	ds_load_b128 v[130:133], v2 offset:576
	ds_load_b128 v[148:151], v2 offset:592
	scratch_load_b128 v[152:155], off, off offset:184
	s_wait_dscnt 0x1
	v_fmac_f64_e32 v[160:161], v[134:135], v[130:131]
	s_wait_loadcnt 0x5
	s_delay_alu instid0(VALU_DEP_1) | instskip(SKIP_4) | instid1(VALU_DEP_1)
	v_fmac_f64_e32 v[160:161], v[136:137], v[132:133]
	scratch_load_b128 v[130:133], off, off offset:200
	s_wait_dscnt 0x0
	v_fmac_f64_e32 v[160:161], v[138:139], v[148:149]
	s_wait_loadcnt 0x5
	v_fmac_f64_e32 v[160:161], v[140:141], v[150:151]
	ds_load_b128 v[134:137], v2 offset:608
	ds_load_b128 v[138:141], v2 offset:624
	scratch_load_b128 v[148:151], off, off offset:216
	s_wait_dscnt 0x1
	v_fmac_f64_e32 v[160:161], v[142:143], v[134:135]
	s_wait_loadcnt 0x5
	s_delay_alu instid0(VALU_DEP_1) | instskip(SKIP_4) | instid1(VALU_DEP_1)
	v_fmac_f64_e32 v[160:161], v[144:145], v[136:137]
	scratch_load_b128 v[134:137], off, off offset:232
	s_wait_dscnt 0x0
	v_fmac_f64_e32 v[160:161], v[146:147], v[138:139]
	s_wait_loadcnt 0x5
	v_fmac_f64_e32 v[160:161], v[156:157], v[140:141]
	ds_load_b128 v[138:141], v2 offset:640
	ds_load_b128 v[142:145], v2 offset:656
	s_wait_dscnt 0x1
	v_fmac_f64_e32 v[160:161], v[158:159], v[138:139]
	scratch_load_b128 v[156:159], off, off offset:248
	s_wait_loadcnt 0x5
	v_fmac_f64_e32 v[160:161], v[126:127], v[140:141]
	s_wait_dscnt 0x0
	s_delay_alu instid0(VALU_DEP_1)
	v_fmac_f64_e32 v[160:161], v[128:129], v[142:143]
	scratch_load_b128 v[126:129], off, off offset:264
	s_wait_loadcnt 0x5
	v_fmac_f64_e32 v[160:161], v[152:153], v[144:145]
	ds_load_b128 v[138:141], v2 offset:672
	ds_load_b128 v[142:145], v2 offset:688
	s_wait_dscnt 0x1
	v_fmac_f64_e32 v[160:161], v[154:155], v[138:139]
	scratch_load_b128 v[152:155], off, off offset:280
	s_wait_loadcnt 0x5
	v_fmac_f64_e32 v[160:161], v[130:131], v[140:141]
	s_wait_dscnt 0x0
	s_delay_alu instid0(VALU_DEP_1)
	v_fmac_f64_e32 v[160:161], v[132:133], v[142:143]
	scratch_load_b128 v[130:133], off, off offset:296
	s_wait_loadcnt 0x5
	v_fmac_f64_e32 v[160:161], v[148:149], v[144:145]
	ds_load_b128 v[138:141], v2 offset:704
	ds_load_b128 v[142:145], v2 offset:720
	scratch_load_b128 v[146:149], off, off offset:312
	s_wait_dscnt 0x1
	v_fmac_f64_e32 v[160:161], v[150:151], v[138:139]
	s_wait_loadcnt 0x5
	s_delay_alu instid0(VALU_DEP_1) | instskip(SKIP_1) | instid1(VALU_DEP_1)
	v_fmac_f64_e32 v[160:161], v[134:135], v[140:141]
	s_wait_dscnt 0x0
	v_fmac_f64_e32 v[160:161], v[136:137], v[142:143]
	scratch_load_b128 v[134:137], off, off offset:328
	s_wait_loadcnt 0x5
	v_fmac_f64_e32 v[160:161], v[156:157], v[144:145]
	ds_load_b128 v[138:141], v2 offset:736
	ds_load_b128 v[142:145], v2 offset:752
	s_wait_dscnt 0x1
	v_fmac_f64_e32 v[160:161], v[158:159], v[138:139]
	scratch_load_b128 v[156:159], off, off offset:344
	s_wait_loadcnt 0x5
	v_fmac_f64_e32 v[160:161], v[126:127], v[140:141]
	s_wait_dscnt 0x0
	s_delay_alu instid0(VALU_DEP_1)
	v_fmac_f64_e32 v[160:161], v[128:129], v[142:143]
	scratch_load_b128 v[126:129], off, off offset:360
	s_wait_loadcnt 0x5
	v_fmac_f64_e32 v[160:161], v[152:153], v[144:145]
	ds_load_b128 v[138:141], v2 offset:768
	ds_load_b128 v[142:145], v2 offset:784
	scratch_load_b128 v[150:153], off, off offset:376
	s_wait_dscnt 0x1
	v_fmac_f64_e32 v[160:161], v[154:155], v[138:139]
	s_wait_loadcnt 0x5
	s_delay_alu instid0(VALU_DEP_1) | instskip(SKIP_1) | instid1(VALU_DEP_1)
	v_fmac_f64_e32 v[160:161], v[130:131], v[140:141]
	s_wait_dscnt 0x0
	v_fmac_f64_e32 v[160:161], v[132:133], v[142:143]
	scratch_load_b128 v[130:133], off, off offset:392
	s_wait_loadcnt 0x5
	v_fmac_f64_e32 v[160:161], v[146:147], v[144:145]
	ds_load_b128 v[138:141], v2 offset:800
	ds_load_b128 v[142:145], v2 offset:816
	s_wait_dscnt 0x1
	v_fmac_f64_e32 v[160:161], v[148:149], v[138:139]
	s_wait_loadcnt 0x4
	s_delay_alu instid0(VALU_DEP_1)
	v_fmac_f64_e32 v[160:161], v[134:135], v[140:141]
	scratch_load_b128 v[138:141], off, off offset:408
	s_wait_dscnt 0x0
	v_fmac_f64_e32 v[160:161], v[136:137], v[142:143]
	scratch_load_b128 v[134:137], off, off offset:424
	s_wait_loadcnt 0x5
	v_fmac_f64_e32 v[160:161], v[156:157], v[144:145]
	ds_load_b128 v[142:145], v2 offset:832
	ds_load_b128 v[146:149], v2 offset:848
	s_wait_dscnt 0x1
	v_fmac_f64_e32 v[160:161], v[158:159], v[142:143]
	s_wait_loadcnt 0x4
	s_delay_alu instid0(VALU_DEP_1)
	v_fmac_f64_e32 v[160:161], v[126:127], v[144:145]
	scratch_load_b128 v[142:145], off, off offset:440
	s_wait_dscnt 0x0
	v_fmac_f64_e32 v[160:161], v[128:129], v[146:147]
	scratch_load_b128 v[126:129], off, off offset:456
	s_wait_loadcnt 0x5
	v_fmac_f64_e32 v[160:161], v[150:151], v[148:149]
	ds_load_b128 v[146:149], v2 offset:864
	ds_load_b128 v[154:157], v2 offset:880
	scratch_load_b64 v[150:151], off, off offset:472
	s_wait_dscnt 0x1
	v_fmac_f64_e32 v[160:161], v[152:153], v[146:147]
	s_wait_loadcnt 0x5
	s_delay_alu instid0(VALU_DEP_1) | instskip(SKIP_1) | instid1(VALU_DEP_1)
	v_fmac_f64_e32 v[160:161], v[130:131], v[148:149]
	s_wait_dscnt 0x0
	v_fmac_f64_e32 v[160:161], v[132:133], v[154:155]
	ds_load_b128 v[130:133], v2 offset:896
	ds_load_b128 v[146:149], v2 offset:912
	s_wait_loadcnt 0x4
	v_fmac_f64_e32 v[160:161], v[138:139], v[156:157]
	s_wait_dscnt 0x1
	s_delay_alu instid0(VALU_DEP_1) | instskip(SKIP_1) | instid1(VALU_DEP_1)
	v_fmac_f64_e32 v[160:161], v[140:141], v[130:131]
	s_wait_loadcnt 0x3
	v_fmac_f64_e32 v[160:161], v[134:135], v[132:133]
	s_wait_dscnt 0x0
	s_delay_alu instid0(VALU_DEP_1)
	v_fmac_f64_e32 v[160:161], v[136:137], v[146:147]
	ds_load_b128 v[130:133], v2 offset:928
	ds_load_b128 v[134:137], v2 offset:944
	s_wait_loadcnt 0x2
	v_fmac_f64_e32 v[160:161], v[142:143], v[148:149]
	s_wait_dscnt 0x1
	s_delay_alu instid0(VALU_DEP_1) | instskip(SKIP_1) | instid1(VALU_DEP_1)
	v_fmac_f64_e32 v[160:161], v[144:145], v[130:131]
	s_wait_loadcnt 0x1
	v_fmac_f64_e32 v[160:161], v[126:127], v[132:133]
	s_wait_dscnt 0x0
	s_delay_alu instid0(VALU_DEP_1) | instskip(SKIP_1) | instid1(VALU_DEP_1)
	v_fmac_f64_e32 v[160:161], v[128:129], v[134:135]
	s_wait_loadcnt 0x0
	v_fmac_f64_e32 v[160:161], v[150:151], v[136:137]
	s_delay_alu instid0(VALU_DEP_1)
	v_add_f64_e64 v[2:3], v[124:125], -v[160:161]
	scratch_store_b64 off, v[2:3], off offset:56
	s_wait_xcnt 0x0
	v_cmpx_lt_u32_e32 6, v0
	s_cbranch_execz .LBB123_357
; %bb.356:
	scratch_load_b64 v[2:3], off, off offset:48
	v_mov_b64_e32 v[124:125], 0
	scratch_store_b64 off, v[124:125], off offset:48
	s_wait_loadcnt 0x0
	ds_store_b64 v1, v[2:3]
.LBB123_357:
	s_wait_xcnt 0x0
	s_or_b32 exec_lo, exec_lo, s0
	s_wait_storecnt_dscnt 0x0
	s_barrier_signal -1
	s_barrier_wait -1
	s_clause 0x5
	scratch_load_b128 v[124:127], off, off offset:48
	scratch_load_b128 v[128:131], off, off offset:64
	;; [unrolled: 1-line block ×6, first 2 shown]
	v_mov_b32_e32 v2, 0
	ds_load_2addr_b64 v[148:151], v2 offset0:67 offset1:68
	ds_load_2addr_b64 v[152:155], v2 offset0:69 offset1:70
	scratch_load_b128 v[156:159], off, off offset:144
	s_mov_b32 s0, exec_lo
	s_wait_loadcnt_dscnt 0x601
	v_fma_f64 v[160:161], v[126:127], v[148:149], 0
	s_wait_loadcnt 0x5
	s_delay_alu instid0(VALU_DEP_1) | instskip(SKIP_4) | instid1(VALU_DEP_1)
	v_fmac_f64_e32 v[160:161], v[128:129], v[150:151]
	scratch_load_b128 v[126:129], off, off offset:160
	s_wait_dscnt 0x0
	v_fmac_f64_e32 v[160:161], v[130:131], v[152:153]
	s_wait_loadcnt 0x5
	v_fmac_f64_e32 v[160:161], v[132:133], v[154:155]
	ds_load_2addr_b64 v[130:133], v2 offset0:71 offset1:72
	ds_load_2addr_b64 v[148:151], v2 offset0:73 offset1:74
	scratch_load_b128 v[152:155], off, off offset:176
	s_wait_dscnt 0x1
	v_fmac_f64_e32 v[160:161], v[134:135], v[130:131]
	s_wait_loadcnt 0x5
	s_delay_alu instid0(VALU_DEP_1) | instskip(SKIP_4) | instid1(VALU_DEP_1)
	v_fmac_f64_e32 v[160:161], v[136:137], v[132:133]
	scratch_load_b128 v[130:133], off, off offset:192
	s_wait_dscnt 0x0
	v_fmac_f64_e32 v[160:161], v[138:139], v[148:149]
	s_wait_loadcnt 0x5
	v_fmac_f64_e32 v[160:161], v[140:141], v[150:151]
	ds_load_2addr_b64 v[134:137], v2 offset0:75 offset1:76
	ds_load_2addr_b64 v[138:141], v2 offset0:77 offset1:78
	scratch_load_b128 v[148:151], off, off offset:208
	s_wait_dscnt 0x1
	v_fmac_f64_e32 v[160:161], v[142:143], v[134:135]
	s_wait_loadcnt 0x5
	s_delay_alu instid0(VALU_DEP_1) | instskip(SKIP_4) | instid1(VALU_DEP_1)
	v_fmac_f64_e32 v[160:161], v[144:145], v[136:137]
	scratch_load_b128 v[134:137], off, off offset:224
	s_wait_dscnt 0x0
	v_fmac_f64_e32 v[160:161], v[146:147], v[138:139]
	s_wait_loadcnt 0x5
	v_fmac_f64_e32 v[160:161], v[156:157], v[140:141]
	ds_load_2addr_b64 v[138:141], v2 offset0:79 offset1:80
	ds_load_2addr_b64 v[142:145], v2 offset0:81 offset1:82
	s_wait_dscnt 0x1
	v_fmac_f64_e32 v[160:161], v[158:159], v[138:139]
	scratch_load_b128 v[156:159], off, off offset:240
	s_wait_loadcnt 0x5
	v_fmac_f64_e32 v[160:161], v[126:127], v[140:141]
	s_wait_dscnt 0x0
	s_delay_alu instid0(VALU_DEP_1)
	v_fmac_f64_e32 v[160:161], v[128:129], v[142:143]
	scratch_load_b128 v[126:129], off, off offset:256
	s_wait_loadcnt 0x5
	v_fmac_f64_e32 v[160:161], v[152:153], v[144:145]
	ds_load_2addr_b64 v[138:141], v2 offset0:83 offset1:84
	ds_load_2addr_b64 v[142:145], v2 offset0:85 offset1:86
	s_wait_dscnt 0x1
	v_fmac_f64_e32 v[160:161], v[154:155], v[138:139]
	scratch_load_b128 v[152:155], off, off offset:272
	s_wait_loadcnt 0x5
	v_fmac_f64_e32 v[160:161], v[130:131], v[140:141]
	s_wait_dscnt 0x0
	s_delay_alu instid0(VALU_DEP_1)
	v_fmac_f64_e32 v[160:161], v[132:133], v[142:143]
	scratch_load_b128 v[130:133], off, off offset:288
	s_wait_loadcnt 0x5
	v_fmac_f64_e32 v[160:161], v[148:149], v[144:145]
	ds_load_2addr_b64 v[138:141], v2 offset0:87 offset1:88
	ds_load_2addr_b64 v[142:145], v2 offset0:89 offset1:90
	scratch_load_b128 v[146:149], off, off offset:304
	s_wait_dscnt 0x1
	v_fmac_f64_e32 v[160:161], v[150:151], v[138:139]
	s_wait_loadcnt 0x5
	s_delay_alu instid0(VALU_DEP_1) | instskip(SKIP_1) | instid1(VALU_DEP_1)
	v_fmac_f64_e32 v[160:161], v[134:135], v[140:141]
	s_wait_dscnt 0x0
	v_fmac_f64_e32 v[160:161], v[136:137], v[142:143]
	scratch_load_b128 v[134:137], off, off offset:320
	s_wait_loadcnt 0x5
	v_fmac_f64_e32 v[160:161], v[156:157], v[144:145]
	ds_load_2addr_b64 v[138:141], v2 offset0:91 offset1:92
	ds_load_2addr_b64 v[142:145], v2 offset0:93 offset1:94
	s_wait_dscnt 0x1
	v_fmac_f64_e32 v[160:161], v[158:159], v[138:139]
	scratch_load_b128 v[156:159], off, off offset:336
	s_wait_loadcnt 0x5
	v_fmac_f64_e32 v[160:161], v[126:127], v[140:141]
	s_wait_dscnt 0x0
	s_delay_alu instid0(VALU_DEP_1)
	v_fmac_f64_e32 v[160:161], v[128:129], v[142:143]
	scratch_load_b128 v[126:129], off, off offset:352
	s_wait_loadcnt 0x5
	v_fmac_f64_e32 v[160:161], v[152:153], v[144:145]
	ds_load_2addr_b64 v[138:141], v2 offset0:95 offset1:96
	ds_load_2addr_b64 v[142:145], v2 offset0:97 offset1:98
	scratch_load_b128 v[150:153], off, off offset:368
	s_wait_dscnt 0x1
	v_fmac_f64_e32 v[160:161], v[154:155], v[138:139]
	s_wait_loadcnt 0x5
	s_delay_alu instid0(VALU_DEP_1) | instskip(SKIP_1) | instid1(VALU_DEP_1)
	v_fmac_f64_e32 v[160:161], v[130:131], v[140:141]
	s_wait_dscnt 0x0
	v_fmac_f64_e32 v[160:161], v[132:133], v[142:143]
	scratch_load_b128 v[130:133], off, off offset:384
	s_wait_loadcnt 0x5
	v_fmac_f64_e32 v[160:161], v[146:147], v[144:145]
	ds_load_2addr_b64 v[138:141], v2 offset0:99 offset1:100
	ds_load_2addr_b64 v[142:145], v2 offset0:101 offset1:102
	s_wait_dscnt 0x1
	v_fmac_f64_e32 v[160:161], v[148:149], v[138:139]
	s_wait_loadcnt 0x4
	s_delay_alu instid0(VALU_DEP_1)
	v_fmac_f64_e32 v[160:161], v[134:135], v[140:141]
	scratch_load_b128 v[138:141], off, off offset:400
	s_wait_dscnt 0x0
	v_fmac_f64_e32 v[160:161], v[136:137], v[142:143]
	scratch_load_b128 v[134:137], off, off offset:416
	s_wait_loadcnt 0x5
	v_fmac_f64_e32 v[160:161], v[156:157], v[144:145]
	ds_load_2addr_b64 v[142:145], v2 offset0:103 offset1:104
	ds_load_2addr_b64 v[146:149], v2 offset0:105 offset1:106
	s_wait_dscnt 0x1
	v_fmac_f64_e32 v[160:161], v[158:159], v[142:143]
	s_wait_loadcnt 0x4
	s_delay_alu instid0(VALU_DEP_1)
	v_fmac_f64_e32 v[160:161], v[126:127], v[144:145]
	scratch_load_b128 v[142:145], off, off offset:432
	;; [unrolled: 13-line block ×3, first 2 shown]
	s_wait_dscnt 0x0
	v_fmac_f64_e32 v[160:161], v[132:133], v[154:155]
	ds_load_2addr_b64 v[130:133], v2 offset0:111 offset1:112
	ds_load_2addr_b64 v[150:153], v2 offset0:113 offset1:114
	s_wait_loadcnt 0x4
	v_fmac_f64_e32 v[160:161], v[138:139], v[156:157]
	s_wait_dscnt 0x1
	s_delay_alu instid0(VALU_DEP_1) | instskip(SKIP_1) | instid1(VALU_DEP_1)
	v_fmac_f64_e32 v[160:161], v[140:141], v[130:131]
	s_wait_loadcnt 0x3
	v_fmac_f64_e32 v[160:161], v[134:135], v[132:133]
	s_wait_dscnt 0x0
	s_delay_alu instid0(VALU_DEP_1)
	v_fmac_f64_e32 v[160:161], v[136:137], v[150:151]
	ds_load_2addr_b64 v[130:133], v2 offset0:115 offset1:116
	ds_load_2addr_b64 v[134:137], v2 offset0:117 offset1:118
	s_wait_loadcnt 0x2
	v_fmac_f64_e32 v[160:161], v[142:143], v[152:153]
	s_wait_dscnt 0x1
	s_delay_alu instid0(VALU_DEP_1) | instskip(SKIP_1) | instid1(VALU_DEP_1)
	v_fmac_f64_e32 v[160:161], v[144:145], v[130:131]
	s_wait_loadcnt 0x1
	v_fmac_f64_e32 v[160:161], v[126:127], v[132:133]
	ds_load_b64 v[126:127], v2 offset:952
	s_wait_dscnt 0x1
	v_fmac_f64_e32 v[160:161], v[128:129], v[134:135]
	s_wait_loadcnt 0x0
	s_delay_alu instid0(VALU_DEP_1) | instskip(SKIP_1) | instid1(VALU_DEP_1)
	v_fmac_f64_e32 v[160:161], v[146:147], v[136:137]
	s_wait_dscnt 0x0
	v_fmac_f64_e32 v[160:161], v[148:149], v[126:127]
	s_delay_alu instid0(VALU_DEP_1)
	v_add_f64_e64 v[124:125], v[124:125], -v[160:161]
	scratch_store_b64 off, v[124:125], off offset:48
	s_wait_xcnt 0x0
	v_cmpx_lt_u32_e32 5, v0
	s_cbranch_execz .LBB123_359
; %bb.358:
	scratch_load_b64 v[124:125], off, off offset:40
	v_mov_b64_e32 v[126:127], 0
	scratch_store_b64 off, v[126:127], off offset:40
	s_wait_loadcnt 0x0
	ds_store_b64 v1, v[124:125]
.LBB123_359:
	s_wait_xcnt 0x0
	s_or_b32 exec_lo, exec_lo, s0
	s_wait_storecnt_dscnt 0x0
	s_barrier_signal -1
	s_barrier_wait -1
	s_clause 0x5
	scratch_load_b128 v[124:127], off, off offset:40
	scratch_load_b128 v[128:131], off, off offset:56
	;; [unrolled: 1-line block ×6, first 2 shown]
	ds_load_b128 v[148:151], v2 offset:528
	ds_load_b128 v[152:155], v2 offset:544
	scratch_load_b128 v[156:159], off, off offset:136
	s_mov_b32 s0, exec_lo
	s_wait_loadcnt_dscnt 0x601
	v_fma_f64 v[160:161], v[126:127], v[148:149], 0
	s_wait_loadcnt 0x5
	s_delay_alu instid0(VALU_DEP_1) | instskip(SKIP_4) | instid1(VALU_DEP_1)
	v_fmac_f64_e32 v[160:161], v[128:129], v[150:151]
	scratch_load_b128 v[126:129], off, off offset:152
	s_wait_dscnt 0x0
	v_fmac_f64_e32 v[160:161], v[130:131], v[152:153]
	s_wait_loadcnt 0x5
	v_fmac_f64_e32 v[160:161], v[132:133], v[154:155]
	ds_load_b128 v[130:133], v2 offset:560
	ds_load_b128 v[148:151], v2 offset:576
	scratch_load_b128 v[152:155], off, off offset:168
	s_wait_dscnt 0x1
	v_fmac_f64_e32 v[160:161], v[134:135], v[130:131]
	s_wait_loadcnt 0x5
	s_delay_alu instid0(VALU_DEP_1) | instskip(SKIP_4) | instid1(VALU_DEP_1)
	v_fmac_f64_e32 v[160:161], v[136:137], v[132:133]
	scratch_load_b128 v[130:133], off, off offset:184
	s_wait_dscnt 0x0
	v_fmac_f64_e32 v[160:161], v[138:139], v[148:149]
	s_wait_loadcnt 0x5
	v_fmac_f64_e32 v[160:161], v[140:141], v[150:151]
	ds_load_b128 v[134:137], v2 offset:592
	ds_load_b128 v[138:141], v2 offset:608
	scratch_load_b128 v[148:151], off, off offset:200
	s_wait_dscnt 0x1
	v_fmac_f64_e32 v[160:161], v[142:143], v[134:135]
	s_wait_loadcnt 0x5
	s_delay_alu instid0(VALU_DEP_1) | instskip(SKIP_4) | instid1(VALU_DEP_1)
	v_fmac_f64_e32 v[160:161], v[144:145], v[136:137]
	scratch_load_b128 v[134:137], off, off offset:216
	s_wait_dscnt 0x0
	v_fmac_f64_e32 v[160:161], v[146:147], v[138:139]
	s_wait_loadcnt 0x5
	v_fmac_f64_e32 v[160:161], v[156:157], v[140:141]
	ds_load_b128 v[138:141], v2 offset:624
	ds_load_b128 v[142:145], v2 offset:640
	s_wait_dscnt 0x1
	v_fmac_f64_e32 v[160:161], v[158:159], v[138:139]
	scratch_load_b128 v[156:159], off, off offset:232
	s_wait_loadcnt 0x5
	v_fmac_f64_e32 v[160:161], v[126:127], v[140:141]
	s_wait_dscnt 0x0
	s_delay_alu instid0(VALU_DEP_1)
	v_fmac_f64_e32 v[160:161], v[128:129], v[142:143]
	scratch_load_b128 v[126:129], off, off offset:248
	s_wait_loadcnt 0x5
	v_fmac_f64_e32 v[160:161], v[152:153], v[144:145]
	ds_load_b128 v[138:141], v2 offset:656
	ds_load_b128 v[142:145], v2 offset:672
	s_wait_dscnt 0x1
	v_fmac_f64_e32 v[160:161], v[154:155], v[138:139]
	scratch_load_b128 v[152:155], off, off offset:264
	s_wait_loadcnt 0x5
	v_fmac_f64_e32 v[160:161], v[130:131], v[140:141]
	s_wait_dscnt 0x0
	s_delay_alu instid0(VALU_DEP_1)
	v_fmac_f64_e32 v[160:161], v[132:133], v[142:143]
	scratch_load_b128 v[130:133], off, off offset:280
	s_wait_loadcnt 0x5
	v_fmac_f64_e32 v[160:161], v[148:149], v[144:145]
	ds_load_b128 v[138:141], v2 offset:688
	ds_load_b128 v[142:145], v2 offset:704
	scratch_load_b128 v[146:149], off, off offset:296
	s_wait_dscnt 0x1
	v_fmac_f64_e32 v[160:161], v[150:151], v[138:139]
	s_wait_loadcnt 0x5
	s_delay_alu instid0(VALU_DEP_1) | instskip(SKIP_1) | instid1(VALU_DEP_1)
	v_fmac_f64_e32 v[160:161], v[134:135], v[140:141]
	s_wait_dscnt 0x0
	v_fmac_f64_e32 v[160:161], v[136:137], v[142:143]
	scratch_load_b128 v[134:137], off, off offset:312
	s_wait_loadcnt 0x5
	v_fmac_f64_e32 v[160:161], v[156:157], v[144:145]
	ds_load_b128 v[138:141], v2 offset:720
	ds_load_b128 v[142:145], v2 offset:736
	s_wait_dscnt 0x1
	v_fmac_f64_e32 v[160:161], v[158:159], v[138:139]
	scratch_load_b128 v[156:159], off, off offset:328
	s_wait_loadcnt 0x5
	v_fmac_f64_e32 v[160:161], v[126:127], v[140:141]
	s_wait_dscnt 0x0
	s_delay_alu instid0(VALU_DEP_1)
	v_fmac_f64_e32 v[160:161], v[128:129], v[142:143]
	scratch_load_b128 v[126:129], off, off offset:344
	s_wait_loadcnt 0x5
	v_fmac_f64_e32 v[160:161], v[152:153], v[144:145]
	ds_load_b128 v[138:141], v2 offset:752
	ds_load_b128 v[142:145], v2 offset:768
	scratch_load_b128 v[150:153], off, off offset:360
	s_wait_dscnt 0x1
	v_fmac_f64_e32 v[160:161], v[154:155], v[138:139]
	s_wait_loadcnt 0x5
	s_delay_alu instid0(VALU_DEP_1) | instskip(SKIP_1) | instid1(VALU_DEP_1)
	v_fmac_f64_e32 v[160:161], v[130:131], v[140:141]
	s_wait_dscnt 0x0
	v_fmac_f64_e32 v[160:161], v[132:133], v[142:143]
	scratch_load_b128 v[130:133], off, off offset:376
	s_wait_loadcnt 0x5
	v_fmac_f64_e32 v[160:161], v[146:147], v[144:145]
	ds_load_b128 v[138:141], v2 offset:784
	ds_load_b128 v[142:145], v2 offset:800
	s_wait_dscnt 0x1
	v_fmac_f64_e32 v[160:161], v[148:149], v[138:139]
	scratch_load_b128 v[146:149], off, off offset:392
	s_wait_loadcnt 0x5
	v_fmac_f64_e32 v[160:161], v[134:135], v[140:141]
	s_wait_dscnt 0x0
	s_delay_alu instid0(VALU_DEP_1)
	v_fmac_f64_e32 v[160:161], v[136:137], v[142:143]
	scratch_load_b128 v[134:137], off, off offset:408
	s_wait_loadcnt 0x5
	v_fmac_f64_e32 v[160:161], v[156:157], v[144:145]
	ds_load_b128 v[138:141], v2 offset:816
	ds_load_b128 v[142:145], v2 offset:832
	s_wait_dscnt 0x1
	v_fmac_f64_e32 v[160:161], v[158:159], v[138:139]
	s_wait_loadcnt 0x4
	s_delay_alu instid0(VALU_DEP_1)
	v_fmac_f64_e32 v[160:161], v[126:127], v[140:141]
	scratch_load_b128 v[138:141], off, off offset:424
	s_wait_dscnt 0x0
	v_fmac_f64_e32 v[160:161], v[128:129], v[142:143]
	scratch_load_b128 v[126:129], off, off offset:440
	s_wait_loadcnt 0x5
	v_fmac_f64_e32 v[160:161], v[150:151], v[144:145]
	ds_load_b128 v[142:145], v2 offset:848
	ds_load_b128 v[154:157], v2 offset:864
	s_wait_dscnt 0x1
	v_fmac_f64_e32 v[160:161], v[152:153], v[142:143]
	s_wait_loadcnt 0x4
	s_delay_alu instid0(VALU_DEP_1) | instskip(SKIP_4) | instid1(VALU_DEP_1)
	v_fmac_f64_e32 v[160:161], v[130:131], v[144:145]
	scratch_load_b128 v[142:145], off, off offset:456
	s_wait_dscnt 0x0
	v_fmac_f64_e32 v[160:161], v[132:133], v[154:155]
	s_wait_loadcnt 0x4
	v_fmac_f64_e32 v[160:161], v[146:147], v[156:157]
	scratch_load_b64 v[146:147], off, off offset:472
	ds_load_b128 v[130:133], v2 offset:880
	ds_load_b128 v[150:153], v2 offset:896
	s_wait_dscnt 0x1
	v_fmac_f64_e32 v[160:161], v[148:149], v[130:131]
	s_wait_loadcnt 0x4
	s_delay_alu instid0(VALU_DEP_1) | instskip(SKIP_1) | instid1(VALU_DEP_1)
	v_fmac_f64_e32 v[160:161], v[134:135], v[132:133]
	s_wait_dscnt 0x0
	v_fmac_f64_e32 v[160:161], v[136:137], v[150:151]
	ds_load_b128 v[130:133], v2 offset:912
	ds_load_b128 v[134:137], v2 offset:928
	s_wait_loadcnt 0x3
	v_fmac_f64_e32 v[160:161], v[138:139], v[152:153]
	s_wait_dscnt 0x1
	s_delay_alu instid0(VALU_DEP_1) | instskip(SKIP_1) | instid1(VALU_DEP_1)
	v_fmac_f64_e32 v[160:161], v[140:141], v[130:131]
	s_wait_loadcnt 0x2
	v_fmac_f64_e32 v[160:161], v[126:127], v[132:133]
	s_wait_dscnt 0x0
	s_delay_alu instid0(VALU_DEP_1) | instskip(SKIP_4) | instid1(VALU_DEP_1)
	v_fmac_f64_e32 v[160:161], v[128:129], v[134:135]
	ds_load_b128 v[126:129], v2 offset:944
	s_wait_loadcnt 0x1
	v_fmac_f64_e32 v[160:161], v[142:143], v[136:137]
	s_wait_dscnt 0x0
	v_fmac_f64_e32 v[160:161], v[144:145], v[126:127]
	s_wait_loadcnt 0x0
	s_delay_alu instid0(VALU_DEP_1) | instskip(NEXT) | instid1(VALU_DEP_1)
	v_fmac_f64_e32 v[160:161], v[146:147], v[128:129]
	v_add_f64_e64 v[2:3], v[124:125], -v[160:161]
	scratch_store_b64 off, v[2:3], off offset:40
	s_wait_xcnt 0x0
	v_cmpx_lt_u32_e32 4, v0
	s_cbranch_execz .LBB123_361
; %bb.360:
	scratch_load_b64 v[2:3], off, off offset:32
	v_mov_b64_e32 v[124:125], 0
	scratch_store_b64 off, v[124:125], off offset:32
	s_wait_loadcnt 0x0
	ds_store_b64 v1, v[2:3]
.LBB123_361:
	s_wait_xcnt 0x0
	s_or_b32 exec_lo, exec_lo, s0
	s_wait_storecnt_dscnt 0x0
	s_barrier_signal -1
	s_barrier_wait -1
	s_clause 0x5
	scratch_load_b128 v[124:127], off, off offset:32
	scratch_load_b128 v[128:131], off, off offset:48
	scratch_load_b128 v[132:135], off, off offset:64
	scratch_load_b128 v[136:139], off, off offset:80
	scratch_load_b128 v[140:143], off, off offset:96
	scratch_load_b128 v[144:147], off, off offset:112
	v_mov_b32_e32 v2, 0
	ds_load_2addr_b64 v[148:151], v2 offset0:65 offset1:66
	ds_load_2addr_b64 v[152:155], v2 offset0:67 offset1:68
	scratch_load_b128 v[156:159], off, off offset:128
	s_mov_b32 s0, exec_lo
	s_wait_loadcnt_dscnt 0x601
	v_fma_f64 v[160:161], v[126:127], v[148:149], 0
	s_wait_loadcnt 0x5
	s_delay_alu instid0(VALU_DEP_1) | instskip(SKIP_4) | instid1(VALU_DEP_1)
	v_fmac_f64_e32 v[160:161], v[128:129], v[150:151]
	scratch_load_b128 v[126:129], off, off offset:144
	s_wait_dscnt 0x0
	v_fmac_f64_e32 v[160:161], v[130:131], v[152:153]
	s_wait_loadcnt 0x5
	v_fmac_f64_e32 v[160:161], v[132:133], v[154:155]
	ds_load_2addr_b64 v[130:133], v2 offset0:69 offset1:70
	ds_load_2addr_b64 v[148:151], v2 offset0:71 offset1:72
	scratch_load_b128 v[152:155], off, off offset:160
	s_wait_dscnt 0x1
	v_fmac_f64_e32 v[160:161], v[134:135], v[130:131]
	s_wait_loadcnt 0x5
	s_delay_alu instid0(VALU_DEP_1) | instskip(SKIP_4) | instid1(VALU_DEP_1)
	v_fmac_f64_e32 v[160:161], v[136:137], v[132:133]
	scratch_load_b128 v[130:133], off, off offset:176
	s_wait_dscnt 0x0
	v_fmac_f64_e32 v[160:161], v[138:139], v[148:149]
	s_wait_loadcnt 0x5
	v_fmac_f64_e32 v[160:161], v[140:141], v[150:151]
	ds_load_2addr_b64 v[134:137], v2 offset0:73 offset1:74
	ds_load_2addr_b64 v[138:141], v2 offset0:75 offset1:76
	scratch_load_b128 v[148:151], off, off offset:192
	s_wait_dscnt 0x1
	v_fmac_f64_e32 v[160:161], v[142:143], v[134:135]
	s_wait_loadcnt 0x5
	s_delay_alu instid0(VALU_DEP_1) | instskip(SKIP_4) | instid1(VALU_DEP_1)
	v_fmac_f64_e32 v[160:161], v[144:145], v[136:137]
	scratch_load_b128 v[134:137], off, off offset:208
	s_wait_dscnt 0x0
	v_fmac_f64_e32 v[160:161], v[146:147], v[138:139]
	s_wait_loadcnt 0x5
	v_fmac_f64_e32 v[160:161], v[156:157], v[140:141]
	ds_load_2addr_b64 v[138:141], v2 offset0:77 offset1:78
	ds_load_2addr_b64 v[142:145], v2 offset0:79 offset1:80
	s_wait_dscnt 0x1
	v_fmac_f64_e32 v[160:161], v[158:159], v[138:139]
	scratch_load_b128 v[156:159], off, off offset:224
	s_wait_loadcnt 0x5
	v_fmac_f64_e32 v[160:161], v[126:127], v[140:141]
	s_wait_dscnt 0x0
	s_delay_alu instid0(VALU_DEP_1)
	v_fmac_f64_e32 v[160:161], v[128:129], v[142:143]
	scratch_load_b128 v[126:129], off, off offset:240
	s_wait_loadcnt 0x5
	v_fmac_f64_e32 v[160:161], v[152:153], v[144:145]
	ds_load_2addr_b64 v[138:141], v2 offset0:81 offset1:82
	ds_load_2addr_b64 v[142:145], v2 offset0:83 offset1:84
	s_wait_dscnt 0x1
	v_fmac_f64_e32 v[160:161], v[154:155], v[138:139]
	scratch_load_b128 v[152:155], off, off offset:256
	s_wait_loadcnt 0x5
	v_fmac_f64_e32 v[160:161], v[130:131], v[140:141]
	s_wait_dscnt 0x0
	s_delay_alu instid0(VALU_DEP_1)
	v_fmac_f64_e32 v[160:161], v[132:133], v[142:143]
	scratch_load_b128 v[130:133], off, off offset:272
	s_wait_loadcnt 0x5
	v_fmac_f64_e32 v[160:161], v[148:149], v[144:145]
	ds_load_2addr_b64 v[138:141], v2 offset0:85 offset1:86
	ds_load_2addr_b64 v[142:145], v2 offset0:87 offset1:88
	scratch_load_b128 v[146:149], off, off offset:288
	s_wait_dscnt 0x1
	v_fmac_f64_e32 v[160:161], v[150:151], v[138:139]
	s_wait_loadcnt 0x5
	s_delay_alu instid0(VALU_DEP_1) | instskip(SKIP_1) | instid1(VALU_DEP_1)
	v_fmac_f64_e32 v[160:161], v[134:135], v[140:141]
	s_wait_dscnt 0x0
	v_fmac_f64_e32 v[160:161], v[136:137], v[142:143]
	scratch_load_b128 v[134:137], off, off offset:304
	s_wait_loadcnt 0x5
	v_fmac_f64_e32 v[160:161], v[156:157], v[144:145]
	ds_load_2addr_b64 v[138:141], v2 offset0:89 offset1:90
	ds_load_2addr_b64 v[142:145], v2 offset0:91 offset1:92
	s_wait_dscnt 0x1
	v_fmac_f64_e32 v[160:161], v[158:159], v[138:139]
	scratch_load_b128 v[156:159], off, off offset:320
	s_wait_loadcnt 0x5
	v_fmac_f64_e32 v[160:161], v[126:127], v[140:141]
	s_wait_dscnt 0x0
	s_delay_alu instid0(VALU_DEP_1)
	v_fmac_f64_e32 v[160:161], v[128:129], v[142:143]
	scratch_load_b128 v[126:129], off, off offset:336
	s_wait_loadcnt 0x5
	v_fmac_f64_e32 v[160:161], v[152:153], v[144:145]
	ds_load_2addr_b64 v[138:141], v2 offset0:93 offset1:94
	ds_load_2addr_b64 v[142:145], v2 offset0:95 offset1:96
	scratch_load_b128 v[150:153], off, off offset:352
	s_wait_dscnt 0x1
	v_fmac_f64_e32 v[160:161], v[154:155], v[138:139]
	s_wait_loadcnt 0x5
	s_delay_alu instid0(VALU_DEP_1) | instskip(SKIP_1) | instid1(VALU_DEP_1)
	v_fmac_f64_e32 v[160:161], v[130:131], v[140:141]
	s_wait_dscnt 0x0
	v_fmac_f64_e32 v[160:161], v[132:133], v[142:143]
	scratch_load_b128 v[130:133], off, off offset:368
	s_wait_loadcnt 0x5
	v_fmac_f64_e32 v[160:161], v[146:147], v[144:145]
	ds_load_2addr_b64 v[138:141], v2 offset0:97 offset1:98
	ds_load_2addr_b64 v[142:145], v2 offset0:99 offset1:100
	s_wait_dscnt 0x1
	v_fmac_f64_e32 v[160:161], v[148:149], v[138:139]
	scratch_load_b128 v[146:149], off, off offset:384
	s_wait_loadcnt 0x5
	v_fmac_f64_e32 v[160:161], v[134:135], v[140:141]
	s_wait_dscnt 0x0
	s_delay_alu instid0(VALU_DEP_1)
	v_fmac_f64_e32 v[160:161], v[136:137], v[142:143]
	scratch_load_b128 v[134:137], off, off offset:400
	s_wait_loadcnt 0x5
	v_fmac_f64_e32 v[160:161], v[156:157], v[144:145]
	ds_load_2addr_b64 v[138:141], v2 offset0:101 offset1:102
	ds_load_2addr_b64 v[142:145], v2 offset0:103 offset1:104
	s_wait_dscnt 0x1
	v_fmac_f64_e32 v[160:161], v[158:159], v[138:139]
	s_wait_loadcnt 0x4
	s_delay_alu instid0(VALU_DEP_1)
	v_fmac_f64_e32 v[160:161], v[126:127], v[140:141]
	scratch_load_b128 v[138:141], off, off offset:416
	s_wait_dscnt 0x0
	v_fmac_f64_e32 v[160:161], v[128:129], v[142:143]
	scratch_load_b128 v[126:129], off, off offset:432
	s_wait_loadcnt 0x5
	v_fmac_f64_e32 v[160:161], v[150:151], v[144:145]
	ds_load_2addr_b64 v[142:145], v2 offset0:105 offset1:106
	ds_load_2addr_b64 v[154:157], v2 offset0:107 offset1:108
	s_wait_dscnt 0x1
	v_fmac_f64_e32 v[160:161], v[152:153], v[142:143]
	s_wait_loadcnt 0x4
	s_delay_alu instid0(VALU_DEP_1)
	v_fmac_f64_e32 v[160:161], v[130:131], v[144:145]
	scratch_load_b128 v[142:145], off, off offset:448
	s_wait_dscnt 0x0
	v_fmac_f64_e32 v[160:161], v[132:133], v[154:155]
	scratch_load_b128 v[130:133], off, off offset:464
	s_wait_loadcnt 0x5
	v_fmac_f64_e32 v[160:161], v[146:147], v[156:157]
	ds_load_2addr_b64 v[150:153], v2 offset0:109 offset1:110
	ds_load_2addr_b64 v[154:157], v2 offset0:111 offset1:112
	s_wait_dscnt 0x1
	v_fmac_f64_e32 v[160:161], v[148:149], v[150:151]
	s_wait_loadcnt 0x4
	s_delay_alu instid0(VALU_DEP_1) | instskip(SKIP_1) | instid1(VALU_DEP_1)
	v_fmac_f64_e32 v[160:161], v[134:135], v[152:153]
	s_wait_dscnt 0x0
	v_fmac_f64_e32 v[160:161], v[136:137], v[154:155]
	ds_load_2addr_b64 v[134:137], v2 offset0:113 offset1:114
	ds_load_2addr_b64 v[146:149], v2 offset0:115 offset1:116
	s_wait_loadcnt 0x3
	v_fmac_f64_e32 v[160:161], v[138:139], v[156:157]
	s_wait_dscnt 0x1
	s_delay_alu instid0(VALU_DEP_1) | instskip(SKIP_1) | instid1(VALU_DEP_1)
	v_fmac_f64_e32 v[160:161], v[140:141], v[134:135]
	s_wait_loadcnt 0x2
	v_fmac_f64_e32 v[160:161], v[126:127], v[136:137]
	s_wait_dscnt 0x0
	s_delay_alu instid0(VALU_DEP_1)
	v_fmac_f64_e32 v[160:161], v[128:129], v[146:147]
	ds_load_2addr_b64 v[126:129], v2 offset0:117 offset1:118
	ds_load_b64 v[134:135], v2 offset:952
	s_wait_loadcnt 0x1
	v_fmac_f64_e32 v[160:161], v[142:143], v[148:149]
	s_wait_dscnt 0x1
	s_delay_alu instid0(VALU_DEP_1) | instskip(SKIP_1) | instid1(VALU_DEP_1)
	v_fmac_f64_e32 v[160:161], v[144:145], v[126:127]
	s_wait_loadcnt 0x0
	v_fmac_f64_e32 v[160:161], v[130:131], v[128:129]
	s_wait_dscnt 0x0
	s_delay_alu instid0(VALU_DEP_1) | instskip(NEXT) | instid1(VALU_DEP_1)
	v_fmac_f64_e32 v[160:161], v[132:133], v[134:135]
	v_add_f64_e64 v[124:125], v[124:125], -v[160:161]
	scratch_store_b64 off, v[124:125], off offset:32
	s_wait_xcnt 0x0
	v_cmpx_lt_u32_e32 3, v0
	s_cbranch_execz .LBB123_363
; %bb.362:
	scratch_load_b64 v[124:125], off, off offset:24
	v_mov_b64_e32 v[126:127], 0
	scratch_store_b64 off, v[126:127], off offset:24
	s_wait_loadcnt 0x0
	ds_store_b64 v1, v[124:125]
.LBB123_363:
	s_wait_xcnt 0x0
	s_or_b32 exec_lo, exec_lo, s0
	s_wait_storecnt_dscnt 0x0
	s_barrier_signal -1
	s_barrier_wait -1
	s_clause 0x5
	scratch_load_b128 v[124:127], off, off offset:24
	scratch_load_b128 v[128:131], off, off offset:40
	;; [unrolled: 1-line block ×6, first 2 shown]
	ds_load_b128 v[148:151], v2 offset:512
	ds_load_b128 v[152:155], v2 offset:528
	scratch_load_b128 v[156:159], off, off offset:120
	s_mov_b32 s0, exec_lo
	s_wait_loadcnt_dscnt 0x601
	v_fma_f64 v[160:161], v[126:127], v[148:149], 0
	s_wait_loadcnt 0x5
	s_delay_alu instid0(VALU_DEP_1) | instskip(SKIP_4) | instid1(VALU_DEP_1)
	v_fmac_f64_e32 v[160:161], v[128:129], v[150:151]
	scratch_load_b128 v[126:129], off, off offset:136
	s_wait_dscnt 0x0
	v_fmac_f64_e32 v[160:161], v[130:131], v[152:153]
	s_wait_loadcnt 0x5
	v_fmac_f64_e32 v[160:161], v[132:133], v[154:155]
	ds_load_b128 v[130:133], v2 offset:544
	ds_load_b128 v[148:151], v2 offset:560
	scratch_load_b128 v[152:155], off, off offset:152
	s_wait_dscnt 0x1
	v_fmac_f64_e32 v[160:161], v[134:135], v[130:131]
	s_wait_loadcnt 0x5
	s_delay_alu instid0(VALU_DEP_1) | instskip(SKIP_4) | instid1(VALU_DEP_1)
	v_fmac_f64_e32 v[160:161], v[136:137], v[132:133]
	scratch_load_b128 v[130:133], off, off offset:168
	s_wait_dscnt 0x0
	v_fmac_f64_e32 v[160:161], v[138:139], v[148:149]
	s_wait_loadcnt 0x5
	v_fmac_f64_e32 v[160:161], v[140:141], v[150:151]
	ds_load_b128 v[134:137], v2 offset:576
	ds_load_b128 v[138:141], v2 offset:592
	scratch_load_b128 v[148:151], off, off offset:184
	s_wait_dscnt 0x1
	v_fmac_f64_e32 v[160:161], v[142:143], v[134:135]
	s_wait_loadcnt 0x5
	s_delay_alu instid0(VALU_DEP_1) | instskip(SKIP_4) | instid1(VALU_DEP_1)
	v_fmac_f64_e32 v[160:161], v[144:145], v[136:137]
	scratch_load_b128 v[134:137], off, off offset:200
	s_wait_dscnt 0x0
	v_fmac_f64_e32 v[160:161], v[146:147], v[138:139]
	s_wait_loadcnt 0x5
	v_fmac_f64_e32 v[160:161], v[156:157], v[140:141]
	ds_load_b128 v[138:141], v2 offset:608
	ds_load_b128 v[142:145], v2 offset:624
	s_wait_dscnt 0x1
	v_fmac_f64_e32 v[160:161], v[158:159], v[138:139]
	scratch_load_b128 v[156:159], off, off offset:216
	s_wait_loadcnt 0x5
	v_fmac_f64_e32 v[160:161], v[126:127], v[140:141]
	s_wait_dscnt 0x0
	s_delay_alu instid0(VALU_DEP_1)
	v_fmac_f64_e32 v[160:161], v[128:129], v[142:143]
	scratch_load_b128 v[126:129], off, off offset:232
	s_wait_loadcnt 0x5
	v_fmac_f64_e32 v[160:161], v[152:153], v[144:145]
	ds_load_b128 v[138:141], v2 offset:640
	ds_load_b128 v[142:145], v2 offset:656
	s_wait_dscnt 0x1
	v_fmac_f64_e32 v[160:161], v[154:155], v[138:139]
	scratch_load_b128 v[152:155], off, off offset:248
	s_wait_loadcnt 0x5
	v_fmac_f64_e32 v[160:161], v[130:131], v[140:141]
	s_wait_dscnt 0x0
	s_delay_alu instid0(VALU_DEP_1)
	v_fmac_f64_e32 v[160:161], v[132:133], v[142:143]
	scratch_load_b128 v[130:133], off, off offset:264
	s_wait_loadcnt 0x5
	v_fmac_f64_e32 v[160:161], v[148:149], v[144:145]
	ds_load_b128 v[138:141], v2 offset:672
	ds_load_b128 v[142:145], v2 offset:688
	scratch_load_b128 v[146:149], off, off offset:280
	s_wait_dscnt 0x1
	v_fmac_f64_e32 v[160:161], v[150:151], v[138:139]
	s_wait_loadcnt 0x5
	s_delay_alu instid0(VALU_DEP_1) | instskip(SKIP_1) | instid1(VALU_DEP_1)
	v_fmac_f64_e32 v[160:161], v[134:135], v[140:141]
	s_wait_dscnt 0x0
	v_fmac_f64_e32 v[160:161], v[136:137], v[142:143]
	scratch_load_b128 v[134:137], off, off offset:296
	s_wait_loadcnt 0x5
	v_fmac_f64_e32 v[160:161], v[156:157], v[144:145]
	ds_load_b128 v[138:141], v2 offset:704
	ds_load_b128 v[142:145], v2 offset:720
	s_wait_dscnt 0x1
	v_fmac_f64_e32 v[160:161], v[158:159], v[138:139]
	scratch_load_b128 v[156:159], off, off offset:312
	s_wait_loadcnt 0x5
	v_fmac_f64_e32 v[160:161], v[126:127], v[140:141]
	s_wait_dscnt 0x0
	s_delay_alu instid0(VALU_DEP_1)
	v_fmac_f64_e32 v[160:161], v[128:129], v[142:143]
	scratch_load_b128 v[126:129], off, off offset:328
	s_wait_loadcnt 0x5
	v_fmac_f64_e32 v[160:161], v[152:153], v[144:145]
	ds_load_b128 v[138:141], v2 offset:736
	ds_load_b128 v[142:145], v2 offset:752
	scratch_load_b128 v[150:153], off, off offset:344
	s_wait_dscnt 0x1
	v_fmac_f64_e32 v[160:161], v[154:155], v[138:139]
	s_wait_loadcnt 0x5
	s_delay_alu instid0(VALU_DEP_1) | instskip(SKIP_1) | instid1(VALU_DEP_1)
	v_fmac_f64_e32 v[160:161], v[130:131], v[140:141]
	s_wait_dscnt 0x0
	v_fmac_f64_e32 v[160:161], v[132:133], v[142:143]
	scratch_load_b128 v[130:133], off, off offset:360
	s_wait_loadcnt 0x5
	v_fmac_f64_e32 v[160:161], v[146:147], v[144:145]
	ds_load_b128 v[138:141], v2 offset:768
	ds_load_b128 v[142:145], v2 offset:784
	s_wait_dscnt 0x1
	v_fmac_f64_e32 v[160:161], v[148:149], v[138:139]
	scratch_load_b128 v[146:149], off, off offset:376
	s_wait_loadcnt 0x5
	v_fmac_f64_e32 v[160:161], v[134:135], v[140:141]
	s_wait_dscnt 0x0
	s_delay_alu instid0(VALU_DEP_1)
	v_fmac_f64_e32 v[160:161], v[136:137], v[142:143]
	scratch_load_b128 v[134:137], off, off offset:392
	s_wait_loadcnt 0x5
	v_fmac_f64_e32 v[160:161], v[156:157], v[144:145]
	ds_load_b128 v[138:141], v2 offset:800
	ds_load_b128 v[142:145], v2 offset:816
	s_wait_dscnt 0x1
	v_fmac_f64_e32 v[160:161], v[158:159], v[138:139]
	s_wait_loadcnt 0x4
	s_delay_alu instid0(VALU_DEP_1)
	v_fmac_f64_e32 v[160:161], v[126:127], v[140:141]
	scratch_load_b128 v[138:141], off, off offset:408
	s_wait_dscnt 0x0
	v_fmac_f64_e32 v[160:161], v[128:129], v[142:143]
	scratch_load_b128 v[126:129], off, off offset:424
	s_wait_loadcnt 0x5
	v_fmac_f64_e32 v[160:161], v[150:151], v[144:145]
	ds_load_b128 v[142:145], v2 offset:832
	ds_load_b128 v[154:157], v2 offset:848
	s_wait_dscnt 0x1
	v_fmac_f64_e32 v[160:161], v[152:153], v[142:143]
	s_wait_loadcnt 0x4
	s_delay_alu instid0(VALU_DEP_1)
	v_fmac_f64_e32 v[160:161], v[130:131], v[144:145]
	scratch_load_b128 v[142:145], off, off offset:440
	s_wait_dscnt 0x0
	v_fmac_f64_e32 v[160:161], v[132:133], v[154:155]
	scratch_load_b128 v[130:133], off, off offset:456
	s_wait_loadcnt 0x5
	v_fmac_f64_e32 v[160:161], v[146:147], v[156:157]
	ds_load_b128 v[150:153], v2 offset:864
	ds_load_b128 v[154:157], v2 offset:880
	s_wait_dscnt 0x1
	v_fmac_f64_e32 v[160:161], v[148:149], v[150:151]
	scratch_load_b64 v[150:151], off, off offset:472
	s_wait_loadcnt 0x5
	v_fmac_f64_e32 v[160:161], v[134:135], v[152:153]
	s_wait_dscnt 0x0
	s_delay_alu instid0(VALU_DEP_1)
	v_fmac_f64_e32 v[160:161], v[136:137], v[154:155]
	ds_load_b128 v[134:137], v2 offset:896
	ds_load_b128 v[146:149], v2 offset:912
	s_wait_loadcnt 0x4
	v_fmac_f64_e32 v[160:161], v[138:139], v[156:157]
	s_wait_dscnt 0x1
	s_delay_alu instid0(VALU_DEP_1) | instskip(SKIP_1) | instid1(VALU_DEP_1)
	v_fmac_f64_e32 v[160:161], v[140:141], v[134:135]
	s_wait_loadcnt 0x3
	v_fmac_f64_e32 v[160:161], v[126:127], v[136:137]
	s_wait_dscnt 0x0
	s_delay_alu instid0(VALU_DEP_1)
	v_fmac_f64_e32 v[160:161], v[128:129], v[146:147]
	ds_load_b128 v[126:129], v2 offset:928
	ds_load_b128 v[134:137], v2 offset:944
	s_wait_loadcnt 0x2
	v_fmac_f64_e32 v[160:161], v[142:143], v[148:149]
	s_wait_dscnt 0x1
	s_delay_alu instid0(VALU_DEP_1) | instskip(SKIP_1) | instid1(VALU_DEP_1)
	v_fmac_f64_e32 v[160:161], v[144:145], v[126:127]
	s_wait_loadcnt 0x1
	v_fmac_f64_e32 v[160:161], v[130:131], v[128:129]
	s_wait_dscnt 0x0
	s_delay_alu instid0(VALU_DEP_1) | instskip(SKIP_1) | instid1(VALU_DEP_1)
	v_fmac_f64_e32 v[160:161], v[132:133], v[134:135]
	s_wait_loadcnt 0x0
	v_fmac_f64_e32 v[160:161], v[150:151], v[136:137]
	s_delay_alu instid0(VALU_DEP_1)
	v_add_f64_e64 v[2:3], v[124:125], -v[160:161]
	scratch_store_b64 off, v[2:3], off offset:24
	s_wait_xcnt 0x0
	v_cmpx_lt_u32_e32 2, v0
	s_cbranch_execz .LBB123_365
; %bb.364:
	scratch_load_b64 v[2:3], off, off offset:16
	v_mov_b64_e32 v[124:125], 0
	scratch_store_b64 off, v[124:125], off offset:16
	s_wait_loadcnt 0x0
	ds_store_b64 v1, v[2:3]
.LBB123_365:
	s_wait_xcnt 0x0
	s_or_b32 exec_lo, exec_lo, s0
	s_wait_storecnt_dscnt 0x0
	s_barrier_signal -1
	s_barrier_wait -1
	s_clause 0x5
	scratch_load_b128 v[124:127], off, off offset:16
	scratch_load_b128 v[128:131], off, off offset:32
	;; [unrolled: 1-line block ×6, first 2 shown]
	v_mov_b32_e32 v2, 0
	ds_load_2addr_b64 v[148:151], v2 offset0:63 offset1:64
	ds_load_2addr_b64 v[152:155], v2 offset0:65 offset1:66
	scratch_load_b128 v[156:159], off, off offset:112
	s_mov_b32 s0, exec_lo
	s_wait_loadcnt_dscnt 0x601
	v_fma_f64 v[160:161], v[126:127], v[148:149], 0
	s_wait_loadcnt 0x5
	s_delay_alu instid0(VALU_DEP_1) | instskip(SKIP_4) | instid1(VALU_DEP_1)
	v_fmac_f64_e32 v[160:161], v[128:129], v[150:151]
	scratch_load_b128 v[126:129], off, off offset:128
	s_wait_dscnt 0x0
	v_fmac_f64_e32 v[160:161], v[130:131], v[152:153]
	s_wait_loadcnt 0x5
	v_fmac_f64_e32 v[160:161], v[132:133], v[154:155]
	ds_load_2addr_b64 v[130:133], v2 offset0:67 offset1:68
	ds_load_2addr_b64 v[148:151], v2 offset0:69 offset1:70
	scratch_load_b128 v[152:155], off, off offset:144
	s_wait_dscnt 0x1
	v_fmac_f64_e32 v[160:161], v[134:135], v[130:131]
	s_wait_loadcnt 0x5
	s_delay_alu instid0(VALU_DEP_1) | instskip(SKIP_4) | instid1(VALU_DEP_1)
	v_fmac_f64_e32 v[160:161], v[136:137], v[132:133]
	scratch_load_b128 v[130:133], off, off offset:160
	s_wait_dscnt 0x0
	v_fmac_f64_e32 v[160:161], v[138:139], v[148:149]
	s_wait_loadcnt 0x5
	v_fmac_f64_e32 v[160:161], v[140:141], v[150:151]
	ds_load_2addr_b64 v[134:137], v2 offset0:71 offset1:72
	ds_load_2addr_b64 v[138:141], v2 offset0:73 offset1:74
	scratch_load_b128 v[148:151], off, off offset:176
	s_wait_dscnt 0x1
	v_fmac_f64_e32 v[160:161], v[142:143], v[134:135]
	s_wait_loadcnt 0x5
	s_delay_alu instid0(VALU_DEP_1) | instskip(SKIP_4) | instid1(VALU_DEP_1)
	v_fmac_f64_e32 v[160:161], v[144:145], v[136:137]
	scratch_load_b128 v[134:137], off, off offset:192
	s_wait_dscnt 0x0
	v_fmac_f64_e32 v[160:161], v[146:147], v[138:139]
	s_wait_loadcnt 0x5
	v_fmac_f64_e32 v[160:161], v[156:157], v[140:141]
	ds_load_2addr_b64 v[138:141], v2 offset0:75 offset1:76
	ds_load_2addr_b64 v[142:145], v2 offset0:77 offset1:78
	s_wait_dscnt 0x1
	v_fmac_f64_e32 v[160:161], v[158:159], v[138:139]
	scratch_load_b128 v[156:159], off, off offset:208
	s_wait_loadcnt 0x5
	v_fmac_f64_e32 v[160:161], v[126:127], v[140:141]
	s_wait_dscnt 0x0
	s_delay_alu instid0(VALU_DEP_1)
	v_fmac_f64_e32 v[160:161], v[128:129], v[142:143]
	scratch_load_b128 v[126:129], off, off offset:224
	s_wait_loadcnt 0x5
	v_fmac_f64_e32 v[160:161], v[152:153], v[144:145]
	ds_load_2addr_b64 v[138:141], v2 offset0:79 offset1:80
	ds_load_2addr_b64 v[142:145], v2 offset0:81 offset1:82
	s_wait_dscnt 0x1
	v_fmac_f64_e32 v[160:161], v[154:155], v[138:139]
	scratch_load_b128 v[152:155], off, off offset:240
	s_wait_loadcnt 0x5
	v_fmac_f64_e32 v[160:161], v[130:131], v[140:141]
	s_wait_dscnt 0x0
	s_delay_alu instid0(VALU_DEP_1)
	v_fmac_f64_e32 v[160:161], v[132:133], v[142:143]
	scratch_load_b128 v[130:133], off, off offset:256
	s_wait_loadcnt 0x5
	v_fmac_f64_e32 v[160:161], v[148:149], v[144:145]
	ds_load_2addr_b64 v[138:141], v2 offset0:83 offset1:84
	ds_load_2addr_b64 v[142:145], v2 offset0:85 offset1:86
	scratch_load_b128 v[146:149], off, off offset:272
	s_wait_dscnt 0x1
	v_fmac_f64_e32 v[160:161], v[150:151], v[138:139]
	s_wait_loadcnt 0x5
	s_delay_alu instid0(VALU_DEP_1) | instskip(SKIP_1) | instid1(VALU_DEP_1)
	v_fmac_f64_e32 v[160:161], v[134:135], v[140:141]
	s_wait_dscnt 0x0
	v_fmac_f64_e32 v[160:161], v[136:137], v[142:143]
	scratch_load_b128 v[134:137], off, off offset:288
	s_wait_loadcnt 0x5
	v_fmac_f64_e32 v[160:161], v[156:157], v[144:145]
	ds_load_2addr_b64 v[138:141], v2 offset0:87 offset1:88
	ds_load_2addr_b64 v[142:145], v2 offset0:89 offset1:90
	s_wait_dscnt 0x1
	v_fmac_f64_e32 v[160:161], v[158:159], v[138:139]
	scratch_load_b128 v[156:159], off, off offset:304
	s_wait_loadcnt 0x5
	v_fmac_f64_e32 v[160:161], v[126:127], v[140:141]
	s_wait_dscnt 0x0
	s_delay_alu instid0(VALU_DEP_1)
	v_fmac_f64_e32 v[160:161], v[128:129], v[142:143]
	scratch_load_b128 v[126:129], off, off offset:320
	s_wait_loadcnt 0x5
	v_fmac_f64_e32 v[160:161], v[152:153], v[144:145]
	ds_load_2addr_b64 v[138:141], v2 offset0:91 offset1:92
	ds_load_2addr_b64 v[142:145], v2 offset0:93 offset1:94
	scratch_load_b128 v[150:153], off, off offset:336
	s_wait_dscnt 0x1
	v_fmac_f64_e32 v[160:161], v[154:155], v[138:139]
	s_wait_loadcnt 0x5
	s_delay_alu instid0(VALU_DEP_1) | instskip(SKIP_1) | instid1(VALU_DEP_1)
	v_fmac_f64_e32 v[160:161], v[130:131], v[140:141]
	s_wait_dscnt 0x0
	v_fmac_f64_e32 v[160:161], v[132:133], v[142:143]
	scratch_load_b128 v[130:133], off, off offset:352
	s_wait_loadcnt 0x5
	v_fmac_f64_e32 v[160:161], v[146:147], v[144:145]
	ds_load_2addr_b64 v[138:141], v2 offset0:95 offset1:96
	ds_load_2addr_b64 v[142:145], v2 offset0:97 offset1:98
	s_wait_dscnt 0x1
	v_fmac_f64_e32 v[160:161], v[148:149], v[138:139]
	scratch_load_b128 v[146:149], off, off offset:368
	s_wait_loadcnt 0x5
	v_fmac_f64_e32 v[160:161], v[134:135], v[140:141]
	s_wait_dscnt 0x0
	s_delay_alu instid0(VALU_DEP_1)
	v_fmac_f64_e32 v[160:161], v[136:137], v[142:143]
	scratch_load_b128 v[134:137], off, off offset:384
	s_wait_loadcnt 0x5
	v_fmac_f64_e32 v[160:161], v[156:157], v[144:145]
	ds_load_2addr_b64 v[138:141], v2 offset0:99 offset1:100
	ds_load_2addr_b64 v[142:145], v2 offset0:101 offset1:102
	s_wait_dscnt 0x1
	v_fmac_f64_e32 v[160:161], v[158:159], v[138:139]
	s_wait_loadcnt 0x4
	s_delay_alu instid0(VALU_DEP_1)
	v_fmac_f64_e32 v[160:161], v[126:127], v[140:141]
	scratch_load_b128 v[138:141], off, off offset:400
	s_wait_dscnt 0x0
	v_fmac_f64_e32 v[160:161], v[128:129], v[142:143]
	scratch_load_b128 v[126:129], off, off offset:416
	s_wait_loadcnt 0x5
	v_fmac_f64_e32 v[160:161], v[150:151], v[144:145]
	ds_load_2addr_b64 v[142:145], v2 offset0:103 offset1:104
	ds_load_2addr_b64 v[154:157], v2 offset0:105 offset1:106
	s_wait_dscnt 0x1
	v_fmac_f64_e32 v[160:161], v[152:153], v[142:143]
	s_wait_loadcnt 0x4
	s_delay_alu instid0(VALU_DEP_1)
	v_fmac_f64_e32 v[160:161], v[130:131], v[144:145]
	scratch_load_b128 v[142:145], off, off offset:432
	s_wait_dscnt 0x0
	v_fmac_f64_e32 v[160:161], v[132:133], v[154:155]
	scratch_load_b128 v[130:133], off, off offset:448
	s_wait_loadcnt 0x5
	v_fmac_f64_e32 v[160:161], v[146:147], v[156:157]
	ds_load_2addr_b64 v[150:153], v2 offset0:107 offset1:108
	ds_load_2addr_b64 v[154:157], v2 offset0:109 offset1:110
	s_wait_dscnt 0x1
	v_fmac_f64_e32 v[160:161], v[148:149], v[150:151]
	scratch_load_b128 v[146:149], off, off offset:464
	s_wait_loadcnt 0x5
	v_fmac_f64_e32 v[160:161], v[134:135], v[152:153]
	s_wait_dscnt 0x0
	s_delay_alu instid0(VALU_DEP_1)
	v_fmac_f64_e32 v[160:161], v[136:137], v[154:155]
	ds_load_2addr_b64 v[134:137], v2 offset0:111 offset1:112
	ds_load_2addr_b64 v[150:153], v2 offset0:113 offset1:114
	s_wait_loadcnt 0x4
	v_fmac_f64_e32 v[160:161], v[138:139], v[156:157]
	s_wait_dscnt 0x1
	s_delay_alu instid0(VALU_DEP_1) | instskip(SKIP_1) | instid1(VALU_DEP_1)
	v_fmac_f64_e32 v[160:161], v[140:141], v[134:135]
	s_wait_loadcnt 0x3
	v_fmac_f64_e32 v[160:161], v[126:127], v[136:137]
	s_wait_dscnt 0x0
	s_delay_alu instid0(VALU_DEP_1)
	v_fmac_f64_e32 v[160:161], v[128:129], v[150:151]
	ds_load_2addr_b64 v[126:129], v2 offset0:115 offset1:116
	ds_load_2addr_b64 v[134:137], v2 offset0:117 offset1:118
	s_wait_loadcnt 0x2
	v_fmac_f64_e32 v[160:161], v[142:143], v[152:153]
	s_wait_dscnt 0x1
	s_delay_alu instid0(VALU_DEP_1) | instskip(SKIP_4) | instid1(VALU_DEP_1)
	v_fmac_f64_e32 v[160:161], v[144:145], v[126:127]
	ds_load_b64 v[126:127], v2 offset:952
	s_wait_loadcnt 0x1
	v_fmac_f64_e32 v[160:161], v[130:131], v[128:129]
	s_wait_dscnt 0x1
	v_fmac_f64_e32 v[160:161], v[132:133], v[134:135]
	s_wait_loadcnt 0x0
	s_delay_alu instid0(VALU_DEP_1) | instskip(SKIP_1) | instid1(VALU_DEP_1)
	v_fmac_f64_e32 v[160:161], v[146:147], v[136:137]
	s_wait_dscnt 0x0
	v_fmac_f64_e32 v[160:161], v[148:149], v[126:127]
	s_delay_alu instid0(VALU_DEP_1)
	v_add_f64_e64 v[124:125], v[124:125], -v[160:161]
	scratch_store_b64 off, v[124:125], off offset:16
	s_wait_xcnt 0x0
	v_cmpx_lt_u32_e32 1, v0
	s_cbranch_execz .LBB123_367
; %bb.366:
	scratch_load_b64 v[124:125], off, off offset:8
	v_mov_b64_e32 v[126:127], 0
	scratch_store_b64 off, v[126:127], off offset:8
	s_wait_loadcnt 0x0
	ds_store_b64 v1, v[124:125]
.LBB123_367:
	s_wait_xcnt 0x0
	s_or_b32 exec_lo, exec_lo, s0
	s_wait_storecnt_dscnt 0x0
	s_barrier_signal -1
	s_barrier_wait -1
	s_clause 0x5
	scratch_load_b128 v[124:127], off, off offset:8
	scratch_load_b128 v[128:131], off, off offset:24
	;; [unrolled: 1-line block ×6, first 2 shown]
	ds_load_b128 v[148:151], v2 offset:496
	ds_load_b128 v[152:155], v2 offset:512
	scratch_load_b128 v[156:159], off, off offset:104
	v_dual_ashrrev_i32 v9, 31, v8 :: v_dual_ashrrev_i32 v11, 31, v10
	v_dual_ashrrev_i32 v13, 31, v12 :: v_dual_ashrrev_i32 v15, 31, v14
	;; [unrolled: 1-line block ×28, first 2 shown]
	v_ashrrev_i32_e32 v121, 31, v120
	s_mov_b32 s0, exec_lo
	v_ashrrev_i32_e32 v75, 31, v74
	s_wait_loadcnt_dscnt 0x601
	v_fma_f64 v[160:161], v[126:127], v[148:149], 0
	s_wait_loadcnt 0x5
	s_delay_alu instid0(VALU_DEP_1) | instskip(SKIP_4) | instid1(VALU_DEP_1)
	v_fmac_f64_e32 v[160:161], v[128:129], v[150:151]
	scratch_load_b128 v[126:129], off, off offset:120
	s_wait_dscnt 0x0
	v_fmac_f64_e32 v[160:161], v[130:131], v[152:153]
	s_wait_loadcnt 0x5
	v_fmac_f64_e32 v[160:161], v[132:133], v[154:155]
	ds_load_b128 v[130:133], v2 offset:528
	ds_load_b128 v[148:151], v2 offset:544
	scratch_load_b128 v[152:155], off, off offset:136
	s_wait_dscnt 0x1
	v_fmac_f64_e32 v[160:161], v[134:135], v[130:131]
	s_wait_loadcnt 0x5
	s_delay_alu instid0(VALU_DEP_1) | instskip(SKIP_4) | instid1(VALU_DEP_1)
	v_fmac_f64_e32 v[160:161], v[136:137], v[132:133]
	scratch_load_b128 v[130:133], off, off offset:152
	s_wait_dscnt 0x0
	v_fmac_f64_e32 v[160:161], v[138:139], v[148:149]
	s_wait_loadcnt 0x5
	v_fmac_f64_e32 v[160:161], v[140:141], v[150:151]
	ds_load_b128 v[134:137], v2 offset:560
	ds_load_b128 v[138:141], v2 offset:576
	scratch_load_b128 v[148:151], off, off offset:168
	s_wait_dscnt 0x1
	v_fmac_f64_e32 v[160:161], v[142:143], v[134:135]
	s_wait_loadcnt 0x5
	s_delay_alu instid0(VALU_DEP_1) | instskip(SKIP_4) | instid1(VALU_DEP_1)
	v_fmac_f64_e32 v[160:161], v[144:145], v[136:137]
	scratch_load_b128 v[134:137], off, off offset:184
	s_wait_dscnt 0x0
	v_fmac_f64_e32 v[160:161], v[146:147], v[138:139]
	s_wait_loadcnt 0x5
	v_fmac_f64_e32 v[160:161], v[156:157], v[140:141]
	ds_load_b128 v[138:141], v2 offset:592
	ds_load_b128 v[142:145], v2 offset:608
	s_wait_dscnt 0x1
	v_fmac_f64_e32 v[160:161], v[158:159], v[138:139]
	scratch_load_b128 v[156:159], off, off offset:200
	s_wait_loadcnt 0x5
	v_fmac_f64_e32 v[160:161], v[126:127], v[140:141]
	s_wait_dscnt 0x0
	s_delay_alu instid0(VALU_DEP_1)
	v_fmac_f64_e32 v[160:161], v[128:129], v[142:143]
	scratch_load_b128 v[126:129], off, off offset:216
	s_wait_loadcnt 0x5
	v_fmac_f64_e32 v[160:161], v[152:153], v[144:145]
	ds_load_b128 v[138:141], v2 offset:624
	ds_load_b128 v[142:145], v2 offset:640
	s_wait_dscnt 0x1
	v_fmac_f64_e32 v[160:161], v[154:155], v[138:139]
	scratch_load_b128 v[152:155], off, off offset:232
	s_wait_loadcnt 0x5
	v_fmac_f64_e32 v[160:161], v[130:131], v[140:141]
	s_wait_dscnt 0x0
	s_delay_alu instid0(VALU_DEP_1)
	v_fmac_f64_e32 v[160:161], v[132:133], v[142:143]
	scratch_load_b128 v[130:133], off, off offset:248
	s_wait_loadcnt 0x5
	v_fmac_f64_e32 v[160:161], v[148:149], v[144:145]
	ds_load_b128 v[138:141], v2 offset:656
	ds_load_b128 v[142:145], v2 offset:672
	scratch_load_b128 v[146:149], off, off offset:264
	s_wait_dscnt 0x1
	v_fmac_f64_e32 v[160:161], v[150:151], v[138:139]
	s_wait_loadcnt 0x5
	s_delay_alu instid0(VALU_DEP_1) | instskip(SKIP_1) | instid1(VALU_DEP_1)
	v_fmac_f64_e32 v[160:161], v[134:135], v[140:141]
	s_wait_dscnt 0x0
	v_fmac_f64_e32 v[160:161], v[136:137], v[142:143]
	scratch_load_b128 v[134:137], off, off offset:280
	s_wait_loadcnt 0x5
	v_fmac_f64_e32 v[160:161], v[156:157], v[144:145]
	ds_load_b128 v[138:141], v2 offset:688
	ds_load_b128 v[142:145], v2 offset:704
	s_wait_dscnt 0x1
	v_fmac_f64_e32 v[160:161], v[158:159], v[138:139]
	scratch_load_b128 v[156:159], off, off offset:296
	s_wait_loadcnt 0x5
	v_fmac_f64_e32 v[160:161], v[126:127], v[140:141]
	s_wait_dscnt 0x0
	s_delay_alu instid0(VALU_DEP_1)
	v_fmac_f64_e32 v[160:161], v[128:129], v[142:143]
	scratch_load_b128 v[126:129], off, off offset:312
	s_wait_loadcnt 0x5
	v_fmac_f64_e32 v[160:161], v[152:153], v[144:145]
	ds_load_b128 v[138:141], v2 offset:720
	ds_load_b128 v[142:145], v2 offset:736
	scratch_load_b128 v[150:153], off, off offset:328
	s_wait_dscnt 0x1
	v_fmac_f64_e32 v[160:161], v[154:155], v[138:139]
	s_wait_loadcnt 0x5
	s_delay_alu instid0(VALU_DEP_1) | instskip(SKIP_1) | instid1(VALU_DEP_1)
	v_fmac_f64_e32 v[160:161], v[130:131], v[140:141]
	s_wait_dscnt 0x0
	v_fmac_f64_e32 v[160:161], v[132:133], v[142:143]
	scratch_load_b128 v[130:133], off, off offset:344
	s_wait_loadcnt 0x5
	v_fmac_f64_e32 v[160:161], v[146:147], v[144:145]
	ds_load_b128 v[138:141], v2 offset:752
	ds_load_b128 v[142:145], v2 offset:768
	s_wait_dscnt 0x1
	v_fmac_f64_e32 v[160:161], v[148:149], v[138:139]
	scratch_load_b128 v[146:149], off, off offset:360
	s_wait_loadcnt 0x5
	v_fmac_f64_e32 v[160:161], v[134:135], v[140:141]
	s_wait_dscnt 0x0
	s_delay_alu instid0(VALU_DEP_1)
	v_fmac_f64_e32 v[160:161], v[136:137], v[142:143]
	scratch_load_b128 v[134:137], off, off offset:376
	s_wait_loadcnt 0x5
	v_fmac_f64_e32 v[160:161], v[156:157], v[144:145]
	ds_load_b128 v[138:141], v2 offset:784
	ds_load_b128 v[142:145], v2 offset:800
	s_wait_dscnt 0x1
	v_fmac_f64_e32 v[160:161], v[158:159], v[138:139]
	s_wait_loadcnt 0x4
	s_delay_alu instid0(VALU_DEP_1)
	v_fmac_f64_e32 v[160:161], v[126:127], v[140:141]
	scratch_load_b128 v[138:141], off, off offset:392
	s_wait_dscnt 0x0
	v_fmac_f64_e32 v[160:161], v[128:129], v[142:143]
	scratch_load_b128 v[126:129], off, off offset:408
	s_wait_loadcnt 0x5
	v_fmac_f64_e32 v[160:161], v[150:151], v[144:145]
	ds_load_b128 v[142:145], v2 offset:816
	ds_load_b128 v[154:157], v2 offset:832
	s_wait_dscnt 0x1
	v_fmac_f64_e32 v[160:161], v[152:153], v[142:143]
	s_wait_loadcnt 0x4
	s_delay_alu instid0(VALU_DEP_1)
	v_fmac_f64_e32 v[160:161], v[130:131], v[144:145]
	scratch_load_b128 v[142:145], off, off offset:424
	s_wait_dscnt 0x0
	v_fmac_f64_e32 v[160:161], v[132:133], v[154:155]
	scratch_load_b128 v[130:133], off, off offset:440
	s_wait_loadcnt 0x5
	v_fmac_f64_e32 v[160:161], v[146:147], v[156:157]
	ds_load_b128 v[150:153], v2 offset:848
	ds_load_b128 v[154:157], v2 offset:864
	s_wait_dscnt 0x1
	v_fmac_f64_e32 v[160:161], v[148:149], v[150:151]
	scratch_load_b128 v[146:149], off, off offset:456
	s_wait_loadcnt 0x5
	v_fmac_f64_e32 v[160:161], v[134:135], v[152:153]
	s_wait_dscnt 0x0
	s_delay_alu instid0(VALU_DEP_1)
	v_fmac_f64_e32 v[160:161], v[136:137], v[154:155]
	scratch_load_b64 v[154:155], off, off offset:472
	ds_load_b128 v[134:137], v2 offset:880
	ds_load_b128 v[150:153], v2 offset:896
	s_wait_loadcnt 0x5
	v_fmac_f64_e32 v[160:161], v[138:139], v[156:157]
	s_wait_dscnt 0x1
	s_delay_alu instid0(VALU_DEP_1) | instskip(SKIP_1) | instid1(VALU_DEP_1)
	v_fmac_f64_e32 v[160:161], v[140:141], v[134:135]
	s_wait_loadcnt 0x4
	v_fmac_f64_e32 v[160:161], v[126:127], v[136:137]
	s_wait_dscnt 0x0
	s_delay_alu instid0(VALU_DEP_1)
	v_fmac_f64_e32 v[160:161], v[128:129], v[150:151]
	ds_load_b128 v[126:129], v2 offset:912
	ds_load_b128 v[134:137], v2 offset:928
	s_wait_loadcnt 0x3
	v_fmac_f64_e32 v[160:161], v[142:143], v[152:153]
	s_wait_dscnt 0x1
	s_delay_alu instid0(VALU_DEP_1) | instskip(SKIP_1) | instid1(VALU_DEP_1)
	v_fmac_f64_e32 v[160:161], v[144:145], v[126:127]
	s_wait_loadcnt 0x2
	v_fmac_f64_e32 v[160:161], v[130:131], v[128:129]
	ds_load_b128 v[126:129], v2 offset:944
	s_wait_dscnt 0x1
	v_fmac_f64_e32 v[160:161], v[132:133], v[134:135]
	s_wait_loadcnt 0x1
	s_delay_alu instid0(VALU_DEP_1) | instskip(SKIP_1) | instid1(VALU_DEP_1)
	v_fmac_f64_e32 v[160:161], v[146:147], v[136:137]
	s_wait_dscnt 0x0
	v_fmac_f64_e32 v[160:161], v[148:149], v[126:127]
	s_wait_loadcnt 0x0
	s_delay_alu instid0(VALU_DEP_1) | instskip(NEXT) | instid1(VALU_DEP_1)
	v_fmac_f64_e32 v[160:161], v[154:155], v[128:129]
	v_add_f64_e64 v[2:3], v[124:125], -v[160:161]
	scratch_store_b64 off, v[2:3], off offset:8
	s_wait_xcnt 0x0
	v_cmpx_ne_u32_e32 0, v0
	s_cbranch_execz .LBB123_369
; %bb.368:
	scratch_load_b64 v[2:3], off, off
	v_mov_b64_e32 v[124:125], 0
	scratch_store_b64 off, v[124:125], off
	s_wait_loadcnt 0x0
	ds_store_b64 v1, v[2:3]
.LBB123_369:
	s_wait_xcnt 0x0
	s_or_b32 exec_lo, exec_lo, s0
	s_wait_storecnt_dscnt 0x0
	s_barrier_signal -1
	s_barrier_wait -1
	s_clause 0x5
	scratch_load_b128 v[126:129], off, off
	scratch_load_b128 v[0:3], off, off offset:16
	scratch_load_b128 v[130:133], off, off offset:32
	;; [unrolled: 1-line block ×5, first 2 shown]
	v_mov_b32_e32 v124, 0
	scratch_load_b128 v[150:153], off, off offset:96
	s_and_b32 vcc_lo, exec_lo, s12
	ds_load_2addr_b64 v[146:149], v124 offset0:61 offset1:62
	s_wait_loadcnt_dscnt 0x600
	v_fma_f64 v[156:157], v[128:129], v[146:147], 0
	s_wait_loadcnt 0x5
	s_delay_alu instid0(VALU_DEP_1)
	v_fmac_f64_e32 v[156:157], v[0:1], v[148:149]
	ds_load_2addr_b64 v[146:149], v124 offset0:63 offset1:64
	s_wait_dscnt 0x0
	v_fmac_f64_e32 v[156:157], v[2:3], v[146:147]
	scratch_load_b128 v[0:3], off, off offset:112
	s_wait_loadcnt 0x5
	v_fmac_f64_e32 v[156:157], v[130:131], v[148:149]
	ds_load_2addr_b64 v[128:131], v124 offset0:65 offset1:66
	scratch_load_b128 v[146:149], off, off offset:128
	s_wait_dscnt 0x0
	v_fmac_f64_e32 v[156:157], v[132:133], v[128:129]
	s_wait_loadcnt 0x5
	s_delay_alu instid0(VALU_DEP_1)
	v_fmac_f64_e32 v[156:157], v[134:135], v[130:131]
	ds_load_2addr_b64 v[128:131], v124 offset0:67 offset1:68
	scratch_load_b128 v[132:135], off, off offset:144
	s_wait_dscnt 0x0
	v_fmac_f64_e32 v[156:157], v[136:137], v[128:129]
	s_wait_loadcnt 0x5
	s_delay_alu instid0(VALU_DEP_1)
	;; [unrolled: 7-line block ×4, first 2 shown]
	v_fmac_f64_e32 v[156:157], v[150:151], v[130:131]
	ds_load_2addr_b64 v[128:131], v124 offset0:73 offset1:74
	s_wait_dscnt 0x0
	v_fmac_f64_e32 v[156:157], v[152:153], v[128:129]
	scratch_load_b128 v[150:153], off, off offset:192
	s_wait_loadcnt 0x5
	v_fmac_f64_e32 v[156:157], v[0:1], v[130:131]
	ds_load_2addr_b64 v[128:131], v124 offset0:75 offset1:76
	s_wait_dscnt 0x0
	v_fmac_f64_e32 v[156:157], v[2:3], v[128:129]
	scratch_load_b128 v[0:3], off, off offset:208
	s_wait_loadcnt 0x5
	v_fmac_f64_e32 v[156:157], v[146:147], v[130:131]
	ds_load_2addr_b64 v[128:131], v124 offset0:77 offset1:78
	scratch_load_b128 v[144:147], off, off offset:224
	s_wait_dscnt 0x0
	v_fmac_f64_e32 v[156:157], v[148:149], v[128:129]
	s_wait_loadcnt 0x5
	s_delay_alu instid0(VALU_DEP_1)
	v_fmac_f64_e32 v[156:157], v[132:133], v[130:131]
	ds_load_2addr_b64 v[128:131], v124 offset0:79 offset1:80
	s_wait_dscnt 0x0
	v_fmac_f64_e32 v[156:157], v[134:135], v[128:129]
	scratch_load_b128 v[132:135], off, off offset:240
	s_wait_loadcnt 0x5
	v_fmac_f64_e32 v[156:157], v[136:137], v[130:131]
	ds_load_2addr_b64 v[128:131], v124 offset0:81 offset1:82
	s_wait_dscnt 0x0
	v_fmac_f64_e32 v[156:157], v[138:139], v[128:129]
	scratch_load_b128 v[136:139], off, off offset:256
	s_wait_loadcnt 0x5
	;; [unrolled: 6-line block ×3, first 2 shown]
	v_fmac_f64_e32 v[156:157], v[150:151], v[130:131]
	ds_load_2addr_b64 v[128:131], v124 offset0:85 offset1:86
	scratch_load_b128 v[148:151], off, off offset:288
	s_wait_dscnt 0x0
	v_fmac_f64_e32 v[156:157], v[152:153], v[128:129]
	scratch_load_b128 v[152:155], off, off offset:400
	s_wait_loadcnt 0x6
	v_fmac_f64_e32 v[156:157], v[0:1], v[130:131]
	ds_load_2addr_b64 v[128:131], v124 offset0:87 offset1:88
	s_wait_dscnt 0x0
	v_fmac_f64_e32 v[156:157], v[2:3], v[128:129]
	scratch_load_b128 v[0:3], off, off offset:304
	s_wait_loadcnt 0x6
	v_fmac_f64_e32 v[156:157], v[144:145], v[130:131]
	ds_load_2addr_b64 v[128:131], v124 offset0:89 offset1:90
	;; [unrolled: 6-line block ×7, first 2 shown]
	s_wait_dscnt 0x0
	v_fmac_f64_e32 v[156:157], v[2:3], v[128:129]
	ds_load_2addr_b64 v[0:3], v124 offset0:101 offset1:102
	s_wait_loadcnt 0x4
	v_fmac_f64_e32 v[156:157], v[144:145], v[130:131]
	scratch_load_b128 v[128:131], off, off offset:416
	s_wait_dscnt 0x0
	v_fmac_f64_e32 v[156:157], v[146:147], v[0:1]
	ds_load_2addr_b64 v[144:147], v124 offset0:107 offset1:108
	s_wait_loadcnt 0x4
	v_fmac_f64_e32 v[156:157], v[132:133], v[2:3]
	ds_load_2addr_b64 v[0:3], v124 offset0:103 offset1:104
	s_wait_dscnt 0x0
	v_fmac_f64_e32 v[156:157], v[134:135], v[0:1]
	scratch_load_b128 v[132:135], off, off offset:432
	s_wait_loadcnt 0x4
	v_fmac_f64_e32 v[156:157], v[136:137], v[2:3]
	ds_load_2addr_b64 v[0:3], v124 offset0:105 offset1:106
	s_wait_dscnt 0x0
	v_fmac_f64_e32 v[156:157], v[138:139], v[0:1]
	scratch_load_b128 v[136:139], off, off offset:448
	s_wait_loadcnt 0x4
	v_fmac_f64_e32 v[156:157], v[140:141], v[2:3]
	scratch_load_b128 v[0:3], off, off offset:464
	v_fmac_f64_e32 v[156:157], v[142:143], v[144:145]
	ds_load_2addr_b64 v[140:143], v124 offset0:109 offset1:110
	s_wait_loadcnt 0x4
	v_fmac_f64_e32 v[156:157], v[148:149], v[146:147]
	s_wait_dscnt 0x0
	s_delay_alu instid0(VALU_DEP_1) | instskip(NEXT) | instid1(VALU_DEP_1)
	v_fmac_f64_e32 v[156:157], v[150:151], v[140:141]
	v_fmac_f64_e32 v[156:157], v[152:153], v[142:143]
	ds_load_2addr_b64 v[140:143], v124 offset0:111 offset1:112
	s_wait_dscnt 0x0
	v_fmac_f64_e32 v[156:157], v[154:155], v[140:141]
	s_wait_loadcnt 0x3
	s_delay_alu instid0(VALU_DEP_1)
	v_fmac_f64_e32 v[156:157], v[128:129], v[142:143]
	ds_load_2addr_b64 v[140:143], v124 offset0:113 offset1:114
	s_wait_dscnt 0x0
	v_fmac_f64_e32 v[156:157], v[130:131], v[140:141]
	ds_load_2addr_b64 v[128:131], v124 offset0:115 offset1:116
	s_wait_loadcnt 0x2
	v_fmac_f64_e32 v[156:157], v[132:133], v[142:143]
	s_wait_dscnt 0x0
	s_delay_alu instid0(VALU_DEP_1) | instskip(SKIP_1) | instid1(VALU_DEP_1)
	v_fmac_f64_e32 v[156:157], v[134:135], v[128:129]
	s_wait_loadcnt 0x1
	v_fmac_f64_e32 v[156:157], v[136:137], v[130:131]
	ds_load_2addr_b64 v[128:131], v124 offset0:117 offset1:118
	s_wait_dscnt 0x0
	v_fmac_f64_e32 v[156:157], v[138:139], v[128:129]
	ds_load_b64 v[128:129], v124 offset:952
	s_wait_loadcnt 0x0
	v_fmac_f64_e32 v[156:157], v[0:1], v[130:131]
	s_wait_dscnt 0x0
	s_delay_alu instid0(VALU_DEP_1) | instskip(NEXT) | instid1(VALU_DEP_1)
	v_fmac_f64_e32 v[156:157], v[2:3], v[128:129]
	v_add_f64_e64 v[132:133], v[126:127], -v[156:157]
	scratch_store_b64 off, v[132:133], off
	s_cbranch_vccz .LBB123_488
; %bb.370:
	global_load_b32 v2, v124, s[8:9] offset:232
	s_wait_loadcnt 0x0
	v_cmp_ne_u32_e32 vcc_lo, 59, v2
	s_cbranch_vccz .LBB123_372
; %bb.371:
	v_lshlrev_b32_e32 v2, 3, v2
	s_wait_xcnt 0x0
	s_delay_alu instid0(VALU_DEP_1)
	v_mov_b32_e32 v124, v2
	scratch_load_b64 v[2:3], v124, off offset:-8
	s_wait_loadcnt 0x0
	scratch_store_b64 off, v[2:3], off offset:464
	scratch_store_b64 v124, v[0:1], off offset:-8
.LBB123_372:
	s_wait_xcnt 0x0
	v_mov_b32_e32 v0, 0
	global_load_b32 v1, v0, s[8:9] offset:228
	s_wait_loadcnt 0x0
	v_cmp_eq_u32_e32 vcc_lo, 58, v1
	s_cbranch_vccnz .LBB123_374
; %bb.373:
	v_lshlrev_b32_e32 v1, 3, v1
	scratch_load_b64 v[2:3], v1, off offset:-8
	scratch_load_b64 v[124:125], off, off offset:456
	s_wait_loadcnt 0x1
	scratch_store_b64 off, v[2:3], off offset:456
	s_wait_loadcnt 0x0
	scratch_store_b64 v1, v[124:125], off offset:-8
.LBB123_374:
	global_load_b32 v0, v0, s[8:9] offset:224
	s_wait_loadcnt 0x0
	v_cmp_eq_u32_e32 vcc_lo, 57, v0
	s_cbranch_vccnz .LBB123_376
; %bb.375:
	s_wait_xcnt 0x0
	v_lshlrev_b32_e32 v0, 3, v0
	s_delay_alu instid0(VALU_DEP_1)
	v_mov_b32_e32 v124, v0
	scratch_load_b64 v[0:1], v124, off offset:-8
	scratch_load_b64 v[2:3], off, off offset:448
	s_wait_loadcnt 0x1
	scratch_store_b64 off, v[0:1], off offset:448
	s_wait_loadcnt 0x0
	scratch_store_b64 v124, v[2:3], off offset:-8
.LBB123_376:
	s_wait_xcnt 0x0
	v_mov_b32_e32 v0, 0
	global_load_b32 v1, v0, s[8:9] offset:220
	s_wait_loadcnt 0x0
	v_cmp_eq_u32_e32 vcc_lo, 56, v1
	s_cbranch_vccnz .LBB123_378
; %bb.377:
	v_lshlrev_b32_e32 v1, 3, v1
	scratch_load_b64 v[2:3], v1, off offset:-8
	scratch_load_b64 v[124:125], off, off offset:440
	s_wait_loadcnt 0x1
	scratch_store_b64 off, v[2:3], off offset:440
	s_wait_loadcnt 0x0
	scratch_store_b64 v1, v[124:125], off offset:-8
.LBB123_378:
	global_load_b32 v0, v0, s[8:9] offset:216
	s_wait_loadcnt 0x0
	v_cmp_eq_u32_e32 vcc_lo, 55, v0
	s_cbranch_vccnz .LBB123_380
; %bb.379:
	s_wait_xcnt 0x0
	v_lshlrev_b32_e32 v0, 3, v0
	s_delay_alu instid0(VALU_DEP_1)
	v_mov_b32_e32 v124, v0
	scratch_load_b64 v[0:1], v124, off offset:-8
	scratch_load_b64 v[2:3], off, off offset:432
	s_wait_loadcnt 0x1
	scratch_store_b64 off, v[0:1], off offset:432
	s_wait_loadcnt 0x0
	scratch_store_b64 v124, v[2:3], off offset:-8
.LBB123_380:
	;; [unrolled: 31-line block ×28, first 2 shown]
	s_wait_xcnt 0x0
	v_mov_b32_e32 v0, 0
	global_load_b32 v1, v0, s[8:9] offset:4
	s_wait_loadcnt 0x0
	v_cmp_eq_u32_e32 vcc_lo, 2, v1
	s_cbranch_vccnz .LBB123_486
; %bb.485:
	v_lshlrev_b32_e32 v1, 3, v1
	scratch_load_b64 v[2:3], v1, off offset:-8
	scratch_load_b64 v[124:125], off, off offset:8
	s_wait_loadcnt 0x1
	scratch_store_b64 off, v[2:3], off offset:8
	s_wait_loadcnt 0x0
	scratch_store_b64 v1, v[124:125], off offset:-8
.LBB123_486:
	global_load_b32 v0, v0, s[8:9]
	scratch_load_b64 v[132:133], off, off
	s_wait_loadcnt 0x1
	v_cmp_eq_u32_e32 vcc_lo, 1, v0
	s_cbranch_vccnz .LBB123_488
; %bb.487:
	s_wait_xcnt 0x1
	v_lshlrev_b32_e32 v0, 3, v0
	s_delay_alu instid0(VALU_DEP_1)
	v_mov_b32_e32 v2, v0
	scratch_load_b64 v[0:1], v2, off offset:-8
	s_wait_loadcnt 0x0
	scratch_store_b64 off, v[0:1], off
	scratch_store_b64 v2, v[132:133], off offset:-8
	scratch_load_b64 v[132:133], off, off
.LBB123_488:
	s_wait_loadcnt 0x0
	flat_store_b64 v[4:5], v[132:133]
	scratch_load_b64 v[4:5], off, off offset:8
	v_lshl_add_u64 v[180:181], v[8:9], 3, s[2:3]
	v_lshl_add_u64 v[178:179], v[10:11], 3, s[2:3]
	;; [unrolled: 1-line block ×58, first 2 shown]
	s_wait_loadcnt 0x0
	flat_store_b64 v[6:7], v[4:5]
	scratch_load_b64 v[4:5], off, off offset:16
	s_wait_loadcnt 0x0
	flat_store_b64 v[180:181], v[4:5]
	scratch_load_b64 v[4:5], off, off offset:24
	;; [unrolled: 3-line block ×58, first 2 shown]
	s_wait_loadcnt 0x0
	flat_store_b64 v[0:1], v[2:3]
	s_sendmsg sendmsg(MSG_DEALLOC_VGPRS)
	s_endpgm
	.section	.rodata,"a",@progbits
	.p2align	6, 0x0
	.amdhsa_kernel _ZN9rocsolver6v33100L18getri_kernel_smallILi60EdPKPdEEvT1_iilPiilS6_bb
		.amdhsa_group_segment_fixed_size 968
		.amdhsa_private_segment_fixed_size 496
		.amdhsa_kernarg_size 60
		.amdhsa_user_sgpr_count 2
		.amdhsa_user_sgpr_dispatch_ptr 0
		.amdhsa_user_sgpr_queue_ptr 0
		.amdhsa_user_sgpr_kernarg_segment_ptr 1
		.amdhsa_user_sgpr_dispatch_id 0
		.amdhsa_user_sgpr_kernarg_preload_length 0
		.amdhsa_user_sgpr_kernarg_preload_offset 0
		.amdhsa_user_sgpr_private_segment_size 0
		.amdhsa_wavefront_size32 1
		.amdhsa_uses_dynamic_stack 0
		.amdhsa_enable_private_segment 1
		.amdhsa_system_sgpr_workgroup_id_x 1
		.amdhsa_system_sgpr_workgroup_id_y 0
		.amdhsa_system_sgpr_workgroup_id_z 0
		.amdhsa_system_sgpr_workgroup_info 0
		.amdhsa_system_vgpr_workitem_id 0
		.amdhsa_next_free_vgpr 182
		.amdhsa_next_free_sgpr 19
		.amdhsa_named_barrier_count 0
		.amdhsa_reserve_vcc 1
		.amdhsa_float_round_mode_32 0
		.amdhsa_float_round_mode_16_64 0
		.amdhsa_float_denorm_mode_32 3
		.amdhsa_float_denorm_mode_16_64 3
		.amdhsa_fp16_overflow 0
		.amdhsa_memory_ordered 1
		.amdhsa_forward_progress 1
		.amdhsa_inst_pref_size 255
		.amdhsa_round_robin_scheduling 0
		.amdhsa_exception_fp_ieee_invalid_op 0
		.amdhsa_exception_fp_denorm_src 0
		.amdhsa_exception_fp_ieee_div_zero 0
		.amdhsa_exception_fp_ieee_overflow 0
		.amdhsa_exception_fp_ieee_underflow 0
		.amdhsa_exception_fp_ieee_inexact 0
		.amdhsa_exception_int_div_zero 0
	.end_amdhsa_kernel
	.section	.text._ZN9rocsolver6v33100L18getri_kernel_smallILi60EdPKPdEEvT1_iilPiilS6_bb,"axG",@progbits,_ZN9rocsolver6v33100L18getri_kernel_smallILi60EdPKPdEEvT1_iilPiilS6_bb,comdat
.Lfunc_end123:
	.size	_ZN9rocsolver6v33100L18getri_kernel_smallILi60EdPKPdEEvT1_iilPiilS6_bb, .Lfunc_end123-_ZN9rocsolver6v33100L18getri_kernel_smallILi60EdPKPdEEvT1_iilPiilS6_bb
                                        ; -- End function
	.set _ZN9rocsolver6v33100L18getri_kernel_smallILi60EdPKPdEEvT1_iilPiilS6_bb.num_vgpr, 182
	.set _ZN9rocsolver6v33100L18getri_kernel_smallILi60EdPKPdEEvT1_iilPiilS6_bb.num_agpr, 0
	.set _ZN9rocsolver6v33100L18getri_kernel_smallILi60EdPKPdEEvT1_iilPiilS6_bb.numbered_sgpr, 19
	.set _ZN9rocsolver6v33100L18getri_kernel_smallILi60EdPKPdEEvT1_iilPiilS6_bb.num_named_barrier, 0
	.set _ZN9rocsolver6v33100L18getri_kernel_smallILi60EdPKPdEEvT1_iilPiilS6_bb.private_seg_size, 496
	.set _ZN9rocsolver6v33100L18getri_kernel_smallILi60EdPKPdEEvT1_iilPiilS6_bb.uses_vcc, 1
	.set _ZN9rocsolver6v33100L18getri_kernel_smallILi60EdPKPdEEvT1_iilPiilS6_bb.uses_flat_scratch, 1
	.set _ZN9rocsolver6v33100L18getri_kernel_smallILi60EdPKPdEEvT1_iilPiilS6_bb.has_dyn_sized_stack, 0
	.set _ZN9rocsolver6v33100L18getri_kernel_smallILi60EdPKPdEEvT1_iilPiilS6_bb.has_recursion, 0
	.set _ZN9rocsolver6v33100L18getri_kernel_smallILi60EdPKPdEEvT1_iilPiilS6_bb.has_indirect_call, 0
	.section	.AMDGPU.csdata,"",@progbits
; Kernel info:
; codeLenInByte = 63664
; TotalNumSgprs: 21
; NumVgprs: 182
; ScratchSize: 496
; MemoryBound: 0
; FloatMode: 240
; IeeeMode: 1
; LDSByteSize: 968 bytes/workgroup (compile time only)
; SGPRBlocks: 0
; VGPRBlocks: 11
; NumSGPRsForWavesPerEU: 21
; NumVGPRsForWavesPerEU: 182
; NamedBarCnt: 0
; Occupancy: 5
; WaveLimiterHint : 1
; COMPUTE_PGM_RSRC2:SCRATCH_EN: 1
; COMPUTE_PGM_RSRC2:USER_SGPR: 2
; COMPUTE_PGM_RSRC2:TRAP_HANDLER: 0
; COMPUTE_PGM_RSRC2:TGID_X_EN: 1
; COMPUTE_PGM_RSRC2:TGID_Y_EN: 0
; COMPUTE_PGM_RSRC2:TGID_Z_EN: 0
; COMPUTE_PGM_RSRC2:TIDIG_COMP_CNT: 0
	.section	.text._ZN9rocsolver6v33100L18getri_kernel_smallILi61EdPKPdEEvT1_iilPiilS6_bb,"axG",@progbits,_ZN9rocsolver6v33100L18getri_kernel_smallILi61EdPKPdEEvT1_iilPiilS6_bb,comdat
	.globl	_ZN9rocsolver6v33100L18getri_kernel_smallILi61EdPKPdEEvT1_iilPiilS6_bb ; -- Begin function _ZN9rocsolver6v33100L18getri_kernel_smallILi61EdPKPdEEvT1_iilPiilS6_bb
	.p2align	8
	.type	_ZN9rocsolver6v33100L18getri_kernel_smallILi61EdPKPdEEvT1_iilPiilS6_bb,@function
_ZN9rocsolver6v33100L18getri_kernel_smallILi61EdPKPdEEvT1_iilPiilS6_bb: ; @_ZN9rocsolver6v33100L18getri_kernel_smallILi61EdPKPdEEvT1_iilPiilS6_bb
; %bb.0:
	s_mov_b32 s2, exec_lo
	v_cmpx_gt_u32_e32 61, v0
	s_cbranch_execz .LBB124_254
; %bb.1:
	s_clause 0x1
	s_load_b32 s13, s[0:1], 0x38
	s_load_b64 s[2:3], s[0:1], 0x0
	s_getreg_b32 s6, hwreg(HW_REG_IB_STS2, 6, 4)
	s_wait_kmcnt 0x0
	s_bitcmp1_b32 s13, 8
	s_cselect_b32 s12, -1, 0
	s_bfe_u32 s4, ttmp6, 0x4000c
	s_and_b32 s5, ttmp6, 15
	s_add_co_i32 s4, s4, 1
	s_delay_alu instid0(SALU_CYCLE_1) | instskip(NEXT) | instid1(SALU_CYCLE_1)
	s_mul_i32 s4, ttmp9, s4
	s_add_co_i32 s5, s5, s4
	s_cmp_eq_u32 s6, 0
	s_cselect_b32 s10, ttmp9, s5
	s_load_b128 s[4:7], s[0:1], 0x28
	s_ashr_i32 s11, s10, 31
	s_delay_alu instid0(SALU_CYCLE_1) | instskip(NEXT) | instid1(SALU_CYCLE_1)
	s_lshl_b64 s[8:9], s[10:11], 3
	s_add_nc_u64 s[2:3], s[2:3], s[8:9]
	s_bfe_u32 s8, s13, 0x10008
	s_load_b64 s[2:3], s[2:3], 0x0
	s_cmp_eq_u32 s8, 0
                                        ; implicit-def: $sgpr8_sgpr9
	s_cbranch_scc1 .LBB124_3
; %bb.2:
	s_load_b96 s[16:18], s[0:1], 0x18
	s_wait_kmcnt 0x0
	s_mul_u64 s[4:5], s[4:5], s[10:11]
	s_delay_alu instid0(SALU_CYCLE_1) | instskip(SKIP_4) | instid1(SALU_CYCLE_1)
	s_lshl_b64 s[4:5], s[4:5], 2
	s_ashr_i32 s9, s18, 31
	s_mov_b32 s8, s18
	s_add_nc_u64 s[4:5], s[16:17], s[4:5]
	s_lshl_b64 s[8:9], s[8:9], 2
	s_add_nc_u64 s[8:9], s[4:5], s[8:9]
.LBB124_3:
	s_wait_kmcnt 0x0
	s_clause 0x1
	s_load_b64 s[4:5], s[0:1], 0x8
	s_load_b32 s13, s[0:1], 0x38
	v_dual_mov_b32 v3, 0 :: v_dual_lshlrev_b32 v2, 3, v0
	s_wait_kmcnt 0x0
	s_ashr_i32 s1, s4, 31
	s_mov_b32 s0, s4
	s_delay_alu instid0(SALU_CYCLE_1) | instskip(NEXT) | instid1(SALU_CYCLE_1)
	s_lshl_b64 s[0:1], s[0:1], 3
	s_add_nc_u64 s[2:3], s[2:3], s[0:1]
	s_ashr_i32 s1, s5, 31
	flat_load_b64 v[8:9], v0, s[2:3] scale_offset
	v_add_nc_u64_e32 v[4:5], s[2:3], v[2:3]
	s_mov_b32 s0, s5
	s_bitcmp0_b32 s13, 0
	s_delay_alu instid0(VALU_DEP_1)
	v_lshl_add_u64 v[6:7], s[0:1], 3, v[4:5]
	s_mov_b32 s1, -1
	s_wait_loadcnt_dscnt 0x0
	scratch_store_b64 off, v[8:9], off
	flat_load_b64 v[10:11], v[6:7]
	s_wait_xcnt 0x1
	v_add3_u32 v8, s5, s5, v0
	s_wait_loadcnt_dscnt 0x0
	scratch_store_b64 off, v[10:11], off offset:8
	flat_load_b64 v[12:13], v8, s[2:3] scale_offset
	s_wait_xcnt 0x1
	v_add_nc_u32_e32 v10, s5, v8
	s_wait_loadcnt_dscnt 0x0
	scratch_store_b64 off, v[12:13], off offset:16
	flat_load_b64 v[14:15], v10, s[2:3] scale_offset
	s_wait_xcnt 0x1
	v_add_nc_u32_e32 v12, s5, v10
	;; [unrolled: 5-line block ×58, first 2 shown]
	s_wait_loadcnt_dscnt 0x0
	scratch_store_b64 off, v[126:127], off offset:472
	flat_load_b64 v[126:127], v124, s[2:3] scale_offset
	s_wait_loadcnt_dscnt 0x0
	scratch_store_b64 off, v[126:127], off offset:480
	s_cbranch_scc1 .LBB124_252
; %bb.4:
	v_cmp_eq_u32_e64 s0, 0, v0
	s_wait_xcnt 0x0
	s_and_saveexec_b32 s1, s0
; %bb.5:
	v_mov_b32_e32 v1, 0
	ds_store_b32 v1, v1 offset:488
; %bb.6:
	s_or_b32 exec_lo, exec_lo, s1
	s_wait_storecnt_dscnt 0x0
	s_barrier_signal -1
	s_barrier_wait -1
	scratch_load_b64 v[126:127], v0, off scale_offset
	s_mov_b32 s4, exec_lo
	s_wait_loadcnt 0x0
	v_cmpx_eq_f64_e32 0, v[126:127]
	s_cbranch_execz .LBB124_10
; %bb.7:
	v_mov_b32_e32 v1, 0
	s_mov_b32 s5, 0
	ds_load_b32 v3, v1 offset:488
	s_wait_dscnt 0x0
	v_readfirstlane_b32 s1, v3
	v_add_nc_u32_e32 v3, 1, v0
	s_cmp_eq_u32 s1, 0
	s_delay_alu instid0(VALU_DEP_1) | instskip(SKIP_1) | instid1(SALU_CYCLE_1)
	v_cmp_gt_i32_e32 vcc_lo, s1, v3
	s_cselect_b32 s13, -1, 0
	s_or_b32 s13, s13, vcc_lo
	s_delay_alu instid0(SALU_CYCLE_1)
	s_and_b32 exec_lo, exec_lo, s13
	s_cbranch_execz .LBB124_10
; %bb.8:
	v_mov_b32_e32 v9, s1
.LBB124_9:                              ; =>This Inner Loop Header: Depth=1
	ds_cmpstore_rtn_b32 v9, v1, v3, v9 offset:488
	s_wait_dscnt 0x0
	v_cmp_ne_u32_e32 vcc_lo, 0, v9
	v_cmp_le_i32_e64 s1, v9, v3
	s_and_b32 s1, vcc_lo, s1
	s_delay_alu instid0(SALU_CYCLE_1) | instskip(NEXT) | instid1(SALU_CYCLE_1)
	s_and_b32 s1, exec_lo, s1
	s_or_b32 s5, s1, s5
	s_delay_alu instid0(SALU_CYCLE_1)
	s_and_not1_b32 exec_lo, exec_lo, s5
	s_cbranch_execnz .LBB124_9
.LBB124_10:
	s_or_b32 exec_lo, exec_lo, s4
	v_mov_b32_e32 v1, 0
	s_barrier_signal -1
	s_barrier_wait -1
	ds_load_b32 v3, v1 offset:488
	s_and_saveexec_b32 s1, s0
	s_cbranch_execz .LBB124_12
; %bb.11:
	s_lshl_b64 s[4:5], s[10:11], 2
	s_delay_alu instid0(SALU_CYCLE_1)
	s_add_nc_u64 s[4:5], s[6:7], s[4:5]
	s_wait_dscnt 0x0
	global_store_b32 v1, v3, s[4:5]
.LBB124_12:
	s_wait_xcnt 0x0
	s_or_b32 exec_lo, exec_lo, s1
	s_wait_dscnt 0x0
	v_cmp_ne_u32_e32 vcc_lo, 0, v3
	s_mov_b32 s1, 0
	s_cbranch_vccnz .LBB124_252
; %bb.13:
	v_lshl_add_u32 v3, v0, 3, 0
	v_add_nc_u32_e32 v1, 0x1f0, v2
	scratch_load_b64 v[126:127], v3, off
	s_wait_loadcnt 0x0
	v_div_scale_f64 v[128:129], null, v[126:127], v[126:127], 1.0
	v_div_scale_f64 v[134:135], vcc_lo, 1.0, v[126:127], 1.0
	s_delay_alu instid0(VALU_DEP_2) | instskip(SKIP_1) | instid1(TRANS32_DEP_1)
	v_rcp_f64_e32 v[130:131], v[128:129]
	v_nop
	v_fma_f64 v[132:133], -v[128:129], v[130:131], 1.0
	s_delay_alu instid0(VALU_DEP_1) | instskip(NEXT) | instid1(VALU_DEP_1)
	v_fmac_f64_e32 v[130:131], v[130:131], v[132:133]
	v_fma_f64 v[132:133], -v[128:129], v[130:131], 1.0
	s_delay_alu instid0(VALU_DEP_1) | instskip(NEXT) | instid1(VALU_DEP_1)
	v_fmac_f64_e32 v[130:131], v[130:131], v[132:133]
	v_mul_f64_e32 v[132:133], v[134:135], v[130:131]
	s_delay_alu instid0(VALU_DEP_1) | instskip(NEXT) | instid1(VALU_DEP_1)
	v_fma_f64 v[128:129], -v[128:129], v[132:133], v[134:135]
	v_div_fmas_f64 v[128:129], v[128:129], v[130:131], v[132:133]
	s_delay_alu instid0(VALU_DEP_1)
	v_div_fixup_f64 v[126:127], v[128:129], v[126:127], 1.0
	scratch_store_b64 v3, v[126:127], off
	scratch_load_b64 v[128:129], off, off offset:8
	s_wait_xcnt 0x1
	v_xor_b32_e32 v127, 0x80000000, v127
	s_wait_loadcnt 0x0
	ds_store_2addr_b64 v2, v[126:127], v[128:129] offset1:62
	s_wait_storecnt_dscnt 0x0
	s_barrier_signal -1
	s_barrier_wait -1
	s_wait_xcnt 0x0
	s_and_saveexec_b32 s1, s0
	s_cbranch_execz .LBB124_15
; %bb.14:
	scratch_load_b64 v[126:127], v3, off
	ds_load_b64 v[128:129], v1
	s_wait_loadcnt_dscnt 0x0
	v_fma_f64 v[126:127], v[126:127], v[128:129], 0
	v_mov_b32_e32 v9, 0
	ds_load_b64 v[130:131], v9 offset:8
	s_wait_dscnt 0x0
	v_mul_f64_e32 v[126:127], v[126:127], v[130:131]
	scratch_store_b64 off, v[126:127], off offset:8
.LBB124_15:
	s_wait_xcnt 0x0
	s_or_b32 exec_lo, exec_lo, s1
	s_wait_storecnt 0x0
	s_barrier_signal -1
	s_barrier_wait -1
	scratch_load_b64 v[126:127], off, off offset:16
	s_mov_b32 s1, exec_lo
	s_wait_loadcnt 0x0
	ds_store_b64 v1, v[126:127]
	s_wait_dscnt 0x0
	s_barrier_signal -1
	s_barrier_wait -1
	v_cmpx_gt_u32_e32 2, v0
	s_cbranch_execz .LBB124_19
; %bb.16:
	scratch_load_b64 v[126:127], v3, off
	ds_load_b64 v[128:129], v1
	s_wait_loadcnt_dscnt 0x0
	v_fma_f64 v[126:127], v[126:127], v[128:129], 0
	s_and_saveexec_b32 s4, s0
	s_cbranch_execz .LBB124_18
; %bb.17:
	scratch_load_b64 v[128:129], off, off offset:8
	v_mov_b32_e32 v3, 0
	ds_load_b64 v[130:131], v3 offset:504
	s_wait_loadcnt_dscnt 0x0
	v_fmac_f64_e32 v[126:127], v[128:129], v[130:131]
.LBB124_18:
	s_or_b32 exec_lo, exec_lo, s4
	v_mov_b32_e32 v3, 0
	ds_load_b64 v[128:129], v3 offset:16
	s_wait_dscnt 0x0
	v_mul_f64_e32 v[126:127], v[126:127], v[128:129]
	scratch_store_b64 off, v[126:127], off offset:16
.LBB124_19:
	s_wait_xcnt 0x0
	s_or_b32 exec_lo, exec_lo, s1
	s_wait_storecnt 0x0
	s_barrier_signal -1
	s_barrier_wait -1
	scratch_load_b64 v[126:127], off, off offset:24
	v_add_nc_u32_e32 v3, -1, v0
	s_mov_b32 s0, exec_lo
	s_wait_loadcnt 0x0
	ds_store_b64 v1, v[126:127]
	s_wait_dscnt 0x0
	s_barrier_signal -1
	s_barrier_wait -1
	v_cmpx_gt_u32_e32 3, v0
	s_cbranch_execz .LBB124_23
; %bb.20:
	v_mov_b64_e32 v[126:127], 0
	v_dual_add_nc_u32 v9, -1, v0 :: v_dual_mov_b32 v13, v2
	v_add_nc_u32_e32 v11, 0x1f0, v2
	s_mov_b32 s1, 0
.LBB124_21:                             ; =>This Inner Loop Header: Depth=1
	scratch_load_b64 v[128:129], v13, off
	ds_load_b64 v[130:131], v11
	v_dual_add_nc_u32 v9, 1, v9 :: v_dual_add_nc_u32 v11, 8, v11
	s_wait_xcnt 0x0
	v_add_nc_u32_e32 v13, 8, v13
	s_delay_alu instid0(VALU_DEP_2)
	v_cmp_lt_u32_e32 vcc_lo, 1, v9
	s_or_b32 s1, vcc_lo, s1
	s_wait_loadcnt_dscnt 0x0
	v_fmac_f64_e32 v[126:127], v[128:129], v[130:131]
	s_and_not1_b32 exec_lo, exec_lo, s1
	s_cbranch_execnz .LBB124_21
; %bb.22:
	s_or_b32 exec_lo, exec_lo, s1
	v_mov_b32_e32 v9, 0
	ds_load_b64 v[128:129], v9 offset:24
	s_wait_dscnt 0x0
	v_mul_f64_e32 v[126:127], v[126:127], v[128:129]
	scratch_store_b64 off, v[126:127], off offset:24
.LBB124_23:
	s_wait_xcnt 0x0
	s_or_b32 exec_lo, exec_lo, s0
	s_wait_storecnt 0x0
	s_barrier_signal -1
	s_barrier_wait -1
	scratch_load_b64 v[126:127], off, off offset:32
	s_mov_b32 s0, exec_lo
	s_wait_loadcnt 0x0
	ds_store_b64 v1, v[126:127]
	s_wait_dscnt 0x0
	s_barrier_signal -1
	s_barrier_wait -1
	v_cmpx_gt_u32_e32 4, v0
	s_cbranch_execz .LBB124_27
; %bb.24:
	v_mov_b64_e32 v[126:127], 0
	v_dual_add_nc_u32 v9, -1, v0 :: v_dual_mov_b32 v13, v2
	v_add_nc_u32_e32 v11, 0x1f0, v2
	s_mov_b32 s1, 0
.LBB124_25:                             ; =>This Inner Loop Header: Depth=1
	scratch_load_b64 v[128:129], v13, off
	ds_load_b64 v[130:131], v11
	v_dual_add_nc_u32 v9, 1, v9 :: v_dual_add_nc_u32 v11, 8, v11
	s_wait_xcnt 0x0
	v_add_nc_u32_e32 v13, 8, v13
	s_delay_alu instid0(VALU_DEP_2)
	v_cmp_lt_u32_e32 vcc_lo, 2, v9
	s_or_b32 s1, vcc_lo, s1
	s_wait_loadcnt_dscnt 0x0
	v_fmac_f64_e32 v[126:127], v[128:129], v[130:131]
	s_and_not1_b32 exec_lo, exec_lo, s1
	s_cbranch_execnz .LBB124_25
; %bb.26:
	s_or_b32 exec_lo, exec_lo, s1
	v_mov_b32_e32 v9, 0
	ds_load_b64 v[128:129], v9 offset:32
	s_wait_dscnt 0x0
	v_mul_f64_e32 v[126:127], v[126:127], v[128:129]
	scratch_store_b64 off, v[126:127], off offset:32
.LBB124_27:
	s_wait_xcnt 0x0
	s_or_b32 exec_lo, exec_lo, s0
	s_wait_storecnt 0x0
	s_barrier_signal -1
	s_barrier_wait -1
	scratch_load_b64 v[126:127], off, off offset:40
	;; [unrolled: 40-line block ×20, first 2 shown]
	s_mov_b32 s0, exec_lo
	s_wait_loadcnt 0x0
	ds_store_b64 v1, v[126:127]
	s_wait_dscnt 0x0
	s_barrier_signal -1
	s_barrier_wait -1
	v_cmpx_gt_u32_e32 23, v0
	s_cbranch_execz .LBB124_103
; %bb.100:
	v_mov_b64_e32 v[126:127], 0
	v_dual_add_nc_u32 v9, -1, v0 :: v_dual_mov_b32 v13, v2
	v_add_nc_u32_e32 v11, 0x1f0, v2
	s_mov_b32 s1, 0
.LBB124_101:                            ; =>This Inner Loop Header: Depth=1
	scratch_load_b64 v[128:129], v13, off
	ds_load_b64 v[130:131], v11
	v_dual_add_nc_u32 v9, 1, v9 :: v_dual_add_nc_u32 v11, 8, v11
	s_wait_xcnt 0x0
	v_add_nc_u32_e32 v13, 8, v13
	s_delay_alu instid0(VALU_DEP_2)
	v_cmp_lt_u32_e32 vcc_lo, 21, v9
	s_or_b32 s1, vcc_lo, s1
	s_wait_loadcnt_dscnt 0x0
	v_fmac_f64_e32 v[126:127], v[128:129], v[130:131]
	s_and_not1_b32 exec_lo, exec_lo, s1
	s_cbranch_execnz .LBB124_101
; %bb.102:
	s_or_b32 exec_lo, exec_lo, s1
	v_mov_b32_e32 v9, 0
	ds_load_b64 v[128:129], v9 offset:184
	s_wait_dscnt 0x0
	v_mul_f64_e32 v[126:127], v[126:127], v[128:129]
	scratch_store_b64 off, v[126:127], off offset:184
.LBB124_103:
	s_wait_xcnt 0x0
	s_or_b32 exec_lo, exec_lo, s0
	s_wait_storecnt 0x0
	s_barrier_signal -1
	s_barrier_wait -1
	scratch_load_b64 v[126:127], off, off offset:192
	s_mov_b32 s0, exec_lo
	s_wait_loadcnt 0x0
	ds_store_b64 v1, v[126:127]
	s_wait_dscnt 0x0
	s_barrier_signal -1
	s_barrier_wait -1
	v_cmpx_gt_u32_e32 24, v0
	s_cbranch_execz .LBB124_107
; %bb.104:
	v_mov_b64_e32 v[126:127], 0
	v_dual_add_nc_u32 v9, -1, v0 :: v_dual_mov_b32 v13, v2
	v_add_nc_u32_e32 v11, 0x1f0, v2
	s_mov_b32 s1, 0
.LBB124_105:                            ; =>This Inner Loop Header: Depth=1
	scratch_load_b64 v[128:129], v13, off
	ds_load_b64 v[130:131], v11
	v_dual_add_nc_u32 v9, 1, v9 :: v_dual_add_nc_u32 v11, 8, v11
	s_wait_xcnt 0x0
	v_add_nc_u32_e32 v13, 8, v13
	s_delay_alu instid0(VALU_DEP_2)
	v_cmp_lt_u32_e32 vcc_lo, 22, v9
	s_or_b32 s1, vcc_lo, s1
	s_wait_loadcnt_dscnt 0x0
	v_fmac_f64_e32 v[126:127], v[128:129], v[130:131]
	s_and_not1_b32 exec_lo, exec_lo, s1
	s_cbranch_execnz .LBB124_105
; %bb.106:
	s_or_b32 exec_lo, exec_lo, s1
	v_mov_b32_e32 v9, 0
	ds_load_b64 v[128:129], v9 offset:192
	s_wait_dscnt 0x0
	v_mul_f64_e32 v[126:127], v[126:127], v[128:129]
	scratch_store_b64 off, v[126:127], off offset:192
.LBB124_107:
	s_wait_xcnt 0x0
	s_or_b32 exec_lo, exec_lo, s0
	s_wait_storecnt 0x0
	s_barrier_signal -1
	s_barrier_wait -1
	scratch_load_b64 v[126:127], off, off offset:200
	;; [unrolled: 40-line block ×37, first 2 shown]
	s_mov_b32 s0, exec_lo
	s_wait_loadcnt 0x0
	ds_store_b64 v1, v[126:127]
	s_wait_dscnt 0x0
	s_barrier_signal -1
	s_barrier_wait -1
	v_cmpx_ne_u32_e32 60, v0
	s_cbranch_execz .LBB124_251
; %bb.248:
	v_mov_b64_e32 v[126:127], 0
	s_mov_b32 s1, 0
.LBB124_249:                            ; =>This Inner Loop Header: Depth=1
	scratch_load_b64 v[128:129], v2, off
	ds_load_b64 v[130:131], v1
	v_dual_add_nc_u32 v3, 1, v3 :: v_dual_add_nc_u32 v1, 8, v1
	s_wait_xcnt 0x0
	v_add_nc_u32_e32 v2, 8, v2
	s_delay_alu instid0(VALU_DEP_2)
	v_cmp_lt_u32_e32 vcc_lo, 58, v3
	s_or_b32 s1, vcc_lo, s1
	s_wait_loadcnt_dscnt 0x0
	v_fmac_f64_e32 v[126:127], v[128:129], v[130:131]
	s_and_not1_b32 exec_lo, exec_lo, s1
	s_cbranch_execnz .LBB124_249
; %bb.250:
	s_or_b32 exec_lo, exec_lo, s1
	v_mov_b32_e32 v1, 0
	ds_load_b64 v[2:3], v1 offset:480
	s_wait_dscnt 0x0
	v_mul_f64_e32 v[2:3], v[126:127], v[2:3]
	scratch_store_b64 off, v[2:3], off offset:480
.LBB124_251:
	s_wait_xcnt 0x0
	s_or_b32 exec_lo, exec_lo, s0
	s_mov_b32 s1, -1
	s_wait_storecnt 0x0
	s_barrier_signal -1
	s_barrier_wait -1
.LBB124_252:
	s_and_b32 vcc_lo, exec_lo, s1
	s_cbranch_vccz .LBB124_254
; %bb.253:
	v_mov_b32_e32 v1, 0
	s_lshl_b64 s[0:1], s[10:11], 2
	s_delay_alu instid0(SALU_CYCLE_1)
	s_add_nc_u64 s[0:1], s[6:7], s[0:1]
	global_load_b32 v1, v1, s[0:1]
	s_wait_loadcnt 0x0
	v_cmp_ne_u32_e32 vcc_lo, 0, v1
	s_cbranch_vccz .LBB124_255
.LBB124_254:
	s_sendmsg sendmsg(MSG_DEALLOC_VGPRS)
	s_endpgm
.LBB124_255:
	s_wait_xcnt 0x0
	v_lshl_add_u32 v1, v0, 3, 0x1f0
	s_mov_b32 s0, exec_lo
	v_cmpx_eq_u32_e32 60, v0
	s_cbranch_execz .LBB124_257
; %bb.256:
	scratch_load_b64 v[2:3], off, off offset:472
	v_mov_b64_e32 v[126:127], 0
	scratch_store_b64 off, v[126:127], off offset:472
	s_wait_loadcnt 0x0
	ds_store_b64 v1, v[2:3]
.LBB124_257:
	s_wait_xcnt 0x0
	s_or_b32 exec_lo, exec_lo, s0
	s_wait_storecnt_dscnt 0x0
	s_barrier_signal -1
	s_barrier_wait -1
	scratch_load_b128 v[126:129], off, off offset:472
	v_mov_b32_e32 v2, 0
	s_mov_b32 s0, exec_lo
	ds_load_b64 v[130:131], v2 offset:976
	s_wait_loadcnt_dscnt 0x0
	v_fma_f64 v[128:129], v[128:129], v[130:131], 0
	s_delay_alu instid0(VALU_DEP_1)
	v_add_f64_e64 v[126:127], v[126:127], -v[128:129]
	scratch_store_b64 off, v[126:127], off offset:472
	s_wait_xcnt 0x0
	v_cmpx_lt_u32_e32 58, v0
	s_cbranch_execz .LBB124_259
; %bb.258:
	scratch_load_b64 v[126:127], off, off offset:464
	v_mov_b64_e32 v[128:129], 0
	scratch_store_b64 off, v[128:129], off offset:464
	s_wait_loadcnt 0x0
	ds_store_b64 v1, v[126:127]
.LBB124_259:
	s_wait_xcnt 0x0
	s_or_b32 exec_lo, exec_lo, s0
	s_wait_storecnt_dscnt 0x0
	s_barrier_signal -1
	s_barrier_wait -1
	s_clause 0x1
	scratch_load_b128 v[126:129], off, off offset:464
	scratch_load_b64 v[134:135], off, off offset:480
	ds_load_2addr_b64 v[130:133], v2 offset0:121 offset1:122
	s_mov_b32 s0, exec_lo
	s_wait_loadcnt_dscnt 0x100
	v_fma_f64 v[2:3], v[128:129], v[130:131], 0
	s_wait_loadcnt 0x0
	s_delay_alu instid0(VALU_DEP_1) | instskip(NEXT) | instid1(VALU_DEP_1)
	v_fmac_f64_e32 v[2:3], v[134:135], v[132:133]
	v_add_f64_e64 v[2:3], v[126:127], -v[2:3]
	scratch_store_b64 off, v[2:3], off offset:464
	s_wait_xcnt 0x0
	v_cmpx_lt_u32_e32 57, v0
	s_cbranch_execz .LBB124_261
; %bb.260:
	scratch_load_b64 v[2:3], off, off offset:456
	v_mov_b64_e32 v[126:127], 0
	scratch_store_b64 off, v[126:127], off offset:456
	s_wait_loadcnt 0x0
	ds_store_b64 v1, v[2:3]
.LBB124_261:
	s_wait_xcnt 0x0
	s_or_b32 exec_lo, exec_lo, s0
	s_wait_storecnt_dscnt 0x0
	s_barrier_signal -1
	s_barrier_wait -1
	s_clause 0x1
	scratch_load_b128 v[126:129], off, off offset:456
	scratch_load_b128 v[130:133], off, off offset:472
	v_mov_b32_e32 v2, 0
	ds_load_b128 v[134:137], v2 offset:960
	ds_load_b64 v[138:139], v2 offset:976
	s_mov_b32 s0, exec_lo
	s_wait_loadcnt_dscnt 0x101
	v_fma_f64 v[128:129], v[128:129], v[134:135], 0
	s_wait_loadcnt 0x0
	s_delay_alu instid0(VALU_DEP_1) | instskip(SKIP_1) | instid1(VALU_DEP_1)
	v_fmac_f64_e32 v[128:129], v[130:131], v[136:137]
	s_wait_dscnt 0x0
	v_fmac_f64_e32 v[128:129], v[132:133], v[138:139]
	s_delay_alu instid0(VALU_DEP_1)
	v_add_f64_e64 v[126:127], v[126:127], -v[128:129]
	scratch_store_b64 off, v[126:127], off offset:456
	s_wait_xcnt 0x0
	v_cmpx_lt_u32_e32 56, v0
	s_cbranch_execz .LBB124_263
; %bb.262:
	scratch_load_b64 v[126:127], off, off offset:448
	v_mov_b64_e32 v[128:129], 0
	scratch_store_b64 off, v[128:129], off offset:448
	s_wait_loadcnt 0x0
	ds_store_b64 v1, v[126:127]
.LBB124_263:
	s_wait_xcnt 0x0
	s_or_b32 exec_lo, exec_lo, s0
	s_wait_storecnt_dscnt 0x0
	s_barrier_signal -1
	s_barrier_wait -1
	s_clause 0x2
	scratch_load_b128 v[126:129], off, off offset:448
	scratch_load_b128 v[130:133], off, off offset:464
	scratch_load_b64 v[142:143], off, off offset:480
	ds_load_2addr_b64 v[134:137], v2 offset0:119 offset1:120
	ds_load_2addr_b64 v[138:141], v2 offset0:121 offset1:122
	s_mov_b32 s0, exec_lo
	s_wait_loadcnt_dscnt 0x201
	v_fma_f64 v[2:3], v[128:129], v[134:135], 0
	s_wait_loadcnt 0x1
	s_delay_alu instid0(VALU_DEP_1) | instskip(SKIP_1) | instid1(VALU_DEP_1)
	v_fmac_f64_e32 v[2:3], v[130:131], v[136:137]
	s_wait_dscnt 0x0
	v_fmac_f64_e32 v[2:3], v[132:133], v[138:139]
	s_wait_loadcnt 0x0
	s_delay_alu instid0(VALU_DEP_1) | instskip(NEXT) | instid1(VALU_DEP_1)
	v_fmac_f64_e32 v[2:3], v[142:143], v[140:141]
	v_add_f64_e64 v[2:3], v[126:127], -v[2:3]
	scratch_store_b64 off, v[2:3], off offset:448
	s_wait_xcnt 0x0
	v_cmpx_lt_u32_e32 55, v0
	s_cbranch_execz .LBB124_265
; %bb.264:
	scratch_load_b64 v[2:3], off, off offset:440
	v_mov_b64_e32 v[126:127], 0
	scratch_store_b64 off, v[126:127], off offset:440
	s_wait_loadcnt 0x0
	ds_store_b64 v1, v[2:3]
.LBB124_265:
	s_wait_xcnt 0x0
	s_or_b32 exec_lo, exec_lo, s0
	s_wait_storecnt_dscnt 0x0
	s_barrier_signal -1
	s_barrier_wait -1
	s_clause 0x2
	scratch_load_b128 v[126:129], off, off offset:440
	scratch_load_b128 v[130:133], off, off offset:456
	scratch_load_b128 v[134:137], off, off offset:472
	v_mov_b32_e32 v2, 0
	ds_load_b128 v[138:141], v2 offset:944
	ds_load_b128 v[142:145], v2 offset:960
	s_mov_b32 s0, exec_lo
	s_wait_loadcnt_dscnt 0x201
	v_fma_f64 v[128:129], v[128:129], v[138:139], 0
	s_wait_loadcnt 0x1
	s_delay_alu instid0(VALU_DEP_1) | instskip(SKIP_4) | instid1(VALU_DEP_1)
	v_fmac_f64_e32 v[128:129], v[130:131], v[140:141]
	ds_load_b64 v[130:131], v2 offset:976
	s_wait_dscnt 0x1
	v_fmac_f64_e32 v[128:129], v[132:133], v[142:143]
	s_wait_loadcnt 0x0
	v_fmac_f64_e32 v[128:129], v[134:135], v[144:145]
	s_wait_dscnt 0x0
	s_delay_alu instid0(VALU_DEP_1) | instskip(NEXT) | instid1(VALU_DEP_1)
	v_fmac_f64_e32 v[128:129], v[136:137], v[130:131]
	v_add_f64_e64 v[126:127], v[126:127], -v[128:129]
	scratch_store_b64 off, v[126:127], off offset:440
	s_wait_xcnt 0x0
	v_cmpx_lt_u32_e32 54, v0
	s_cbranch_execz .LBB124_267
; %bb.266:
	scratch_load_b64 v[126:127], off, off offset:432
	v_mov_b64_e32 v[128:129], 0
	scratch_store_b64 off, v[128:129], off offset:432
	s_wait_loadcnt 0x0
	ds_store_b64 v1, v[126:127]
.LBB124_267:
	s_wait_xcnt 0x0
	s_or_b32 exec_lo, exec_lo, s0
	s_wait_storecnt_dscnt 0x0
	s_barrier_signal -1
	s_barrier_wait -1
	s_clause 0x3
	scratch_load_b128 v[126:129], off, off offset:432
	scratch_load_b128 v[130:133], off, off offset:448
	;; [unrolled: 1-line block ×3, first 2 shown]
	scratch_load_b64 v[146:147], off, off offset:480
	ds_load_2addr_b64 v[138:141], v2 offset0:117 offset1:118
	ds_load_2addr_b64 v[142:145], v2 offset0:119 offset1:120
	s_mov_b32 s0, exec_lo
	s_wait_loadcnt_dscnt 0x301
	v_fma_f64 v[138:139], v[128:129], v[138:139], 0
	s_wait_loadcnt 0x2
	s_delay_alu instid0(VALU_DEP_1) | instskip(SKIP_4) | instid1(VALU_DEP_1)
	v_fmac_f64_e32 v[138:139], v[130:131], v[140:141]
	ds_load_2addr_b64 v[128:131], v2 offset0:121 offset1:122
	s_wait_dscnt 0x1
	v_fmac_f64_e32 v[138:139], v[132:133], v[142:143]
	s_wait_loadcnt 0x1
	v_fmac_f64_e32 v[138:139], v[134:135], v[144:145]
	s_wait_dscnt 0x0
	s_delay_alu instid0(VALU_DEP_1) | instskip(SKIP_1) | instid1(VALU_DEP_1)
	v_fmac_f64_e32 v[138:139], v[136:137], v[128:129]
	s_wait_loadcnt 0x0
	v_fmac_f64_e32 v[138:139], v[146:147], v[130:131]
	s_delay_alu instid0(VALU_DEP_1)
	v_add_f64_e64 v[2:3], v[126:127], -v[138:139]
	scratch_store_b64 off, v[2:3], off offset:432
	s_wait_xcnt 0x0
	v_cmpx_lt_u32_e32 53, v0
	s_cbranch_execz .LBB124_269
; %bb.268:
	scratch_load_b64 v[2:3], off, off offset:424
	v_mov_b64_e32 v[126:127], 0
	scratch_store_b64 off, v[126:127], off offset:424
	s_wait_loadcnt 0x0
	ds_store_b64 v1, v[2:3]
.LBB124_269:
	s_wait_xcnt 0x0
	s_or_b32 exec_lo, exec_lo, s0
	s_wait_storecnt_dscnt 0x0
	s_barrier_signal -1
	s_barrier_wait -1
	s_clause 0x3
	scratch_load_b128 v[126:129], off, off offset:424
	scratch_load_b128 v[130:133], off, off offset:440
	;; [unrolled: 1-line block ×4, first 2 shown]
	v_mov_b32_e32 v2, 0
	ds_load_b128 v[142:145], v2 offset:928
	ds_load_b128 v[146:149], v2 offset:944
	s_mov_b32 s0, exec_lo
	s_wait_loadcnt_dscnt 0x301
	v_fma_f64 v[142:143], v[128:129], v[142:143], 0
	s_wait_loadcnt 0x2
	s_delay_alu instid0(VALU_DEP_1) | instskip(SKIP_1) | instid1(VALU_DEP_1)
	v_fmac_f64_e32 v[142:143], v[130:131], v[144:145]
	s_wait_dscnt 0x0
	v_fmac_f64_e32 v[142:143], v[132:133], v[146:147]
	ds_load_b128 v[128:131], v2 offset:960
	ds_load_b64 v[132:133], v2 offset:976
	s_wait_loadcnt 0x1
	v_fmac_f64_e32 v[142:143], v[134:135], v[148:149]
	s_wait_dscnt 0x1
	s_delay_alu instid0(VALU_DEP_1) | instskip(SKIP_1) | instid1(VALU_DEP_1)
	v_fmac_f64_e32 v[142:143], v[136:137], v[128:129]
	s_wait_loadcnt 0x0
	v_fmac_f64_e32 v[142:143], v[138:139], v[130:131]
	s_wait_dscnt 0x0
	s_delay_alu instid0(VALU_DEP_1) | instskip(NEXT) | instid1(VALU_DEP_1)
	v_fmac_f64_e32 v[142:143], v[140:141], v[132:133]
	v_add_f64_e64 v[126:127], v[126:127], -v[142:143]
	scratch_store_b64 off, v[126:127], off offset:424
	s_wait_xcnt 0x0
	v_cmpx_lt_u32_e32 52, v0
	s_cbranch_execz .LBB124_271
; %bb.270:
	scratch_load_b64 v[126:127], off, off offset:416
	v_mov_b64_e32 v[128:129], 0
	scratch_store_b64 off, v[128:129], off offset:416
	s_wait_loadcnt 0x0
	ds_store_b64 v1, v[126:127]
.LBB124_271:
	s_wait_xcnt 0x0
	s_or_b32 exec_lo, exec_lo, s0
	s_wait_storecnt_dscnt 0x0
	s_barrier_signal -1
	s_barrier_wait -1
	s_clause 0x4
	scratch_load_b128 v[126:129], off, off offset:416
	scratch_load_b128 v[130:133], off, off offset:432
	scratch_load_b128 v[134:137], off, off offset:448
	scratch_load_b128 v[138:141], off, off offset:464
	scratch_load_b64 v[150:151], off, off offset:480
	ds_load_2addr_b64 v[142:145], v2 offset0:115 offset1:116
	ds_load_2addr_b64 v[146:149], v2 offset0:117 offset1:118
	s_mov_b32 s0, exec_lo
	s_wait_loadcnt_dscnt 0x401
	v_fma_f64 v[142:143], v[128:129], v[142:143], 0
	s_wait_loadcnt 0x3
	s_delay_alu instid0(VALU_DEP_1) | instskip(SKIP_1) | instid1(VALU_DEP_1)
	v_fmac_f64_e32 v[142:143], v[130:131], v[144:145]
	s_wait_dscnt 0x0
	v_fmac_f64_e32 v[142:143], v[132:133], v[146:147]
	s_wait_loadcnt 0x2
	s_delay_alu instid0(VALU_DEP_1)
	v_fmac_f64_e32 v[142:143], v[134:135], v[148:149]
	ds_load_2addr_b64 v[128:131], v2 offset0:119 offset1:120
	ds_load_2addr_b64 v[132:135], v2 offset0:121 offset1:122
	s_wait_dscnt 0x1
	v_fmac_f64_e32 v[142:143], v[136:137], v[128:129]
	s_wait_loadcnt 0x1
	s_delay_alu instid0(VALU_DEP_1) | instskip(SKIP_1) | instid1(VALU_DEP_1)
	v_fmac_f64_e32 v[142:143], v[138:139], v[130:131]
	s_wait_dscnt 0x0
	v_fmac_f64_e32 v[142:143], v[140:141], v[132:133]
	s_wait_loadcnt 0x0
	s_delay_alu instid0(VALU_DEP_1) | instskip(NEXT) | instid1(VALU_DEP_1)
	v_fmac_f64_e32 v[142:143], v[150:151], v[134:135]
	v_add_f64_e64 v[2:3], v[126:127], -v[142:143]
	scratch_store_b64 off, v[2:3], off offset:416
	s_wait_xcnt 0x0
	v_cmpx_lt_u32_e32 51, v0
	s_cbranch_execz .LBB124_273
; %bb.272:
	scratch_load_b64 v[2:3], off, off offset:408
	v_mov_b64_e32 v[126:127], 0
	scratch_store_b64 off, v[126:127], off offset:408
	s_wait_loadcnt 0x0
	ds_store_b64 v1, v[2:3]
.LBB124_273:
	s_wait_xcnt 0x0
	s_or_b32 exec_lo, exec_lo, s0
	s_wait_storecnt_dscnt 0x0
	s_barrier_signal -1
	s_barrier_wait -1
	s_clause 0x4
	scratch_load_b128 v[126:129], off, off offset:408
	scratch_load_b128 v[130:133], off, off offset:424
	;; [unrolled: 1-line block ×5, first 2 shown]
	v_mov_b32_e32 v2, 0
	ds_load_b128 v[146:149], v2 offset:912
	ds_load_b128 v[150:153], v2 offset:928
	s_mov_b32 s0, exec_lo
	s_wait_loadcnt_dscnt 0x401
	v_fma_f64 v[146:147], v[128:129], v[146:147], 0
	s_wait_loadcnt 0x3
	s_delay_alu instid0(VALU_DEP_1) | instskip(SKIP_1) | instid1(VALU_DEP_1)
	v_fmac_f64_e32 v[146:147], v[130:131], v[148:149]
	s_wait_dscnt 0x0
	v_fmac_f64_e32 v[146:147], v[132:133], v[150:151]
	s_wait_loadcnt 0x2
	s_delay_alu instid0(VALU_DEP_1)
	v_fmac_f64_e32 v[146:147], v[134:135], v[152:153]
	ds_load_b128 v[128:131], v2 offset:944
	ds_load_b128 v[132:135], v2 offset:960
	s_wait_dscnt 0x1
	v_fmac_f64_e32 v[146:147], v[136:137], v[128:129]
	ds_load_b64 v[128:129], v2 offset:976
	s_wait_loadcnt 0x1
	v_fmac_f64_e32 v[146:147], v[138:139], v[130:131]
	s_wait_dscnt 0x1
	s_delay_alu instid0(VALU_DEP_1) | instskip(SKIP_1) | instid1(VALU_DEP_1)
	v_fmac_f64_e32 v[146:147], v[140:141], v[132:133]
	s_wait_loadcnt 0x0
	v_fmac_f64_e32 v[146:147], v[142:143], v[134:135]
	s_wait_dscnt 0x0
	s_delay_alu instid0(VALU_DEP_1) | instskip(NEXT) | instid1(VALU_DEP_1)
	v_fmac_f64_e32 v[146:147], v[144:145], v[128:129]
	v_add_f64_e64 v[126:127], v[126:127], -v[146:147]
	scratch_store_b64 off, v[126:127], off offset:408
	s_wait_xcnt 0x0
	v_cmpx_lt_u32_e32 50, v0
	s_cbranch_execz .LBB124_275
; %bb.274:
	scratch_load_b64 v[126:127], off, off offset:400
	v_mov_b64_e32 v[128:129], 0
	scratch_store_b64 off, v[128:129], off offset:400
	s_wait_loadcnt 0x0
	ds_store_b64 v1, v[126:127]
.LBB124_275:
	s_wait_xcnt 0x0
	s_or_b32 exec_lo, exec_lo, s0
	s_wait_storecnt_dscnt 0x0
	s_barrier_signal -1
	s_barrier_wait -1
	s_clause 0x5
	scratch_load_b128 v[126:129], off, off offset:400
	scratch_load_b128 v[130:133], off, off offset:416
	;; [unrolled: 1-line block ×5, first 2 shown]
	scratch_load_b64 v[154:155], off, off offset:480
	ds_load_2addr_b64 v[146:149], v2 offset0:113 offset1:114
	ds_load_2addr_b64 v[150:153], v2 offset0:115 offset1:116
	s_mov_b32 s0, exec_lo
	s_wait_loadcnt_dscnt 0x501
	v_fma_f64 v[146:147], v[128:129], v[146:147], 0
	s_wait_loadcnt 0x4
	s_delay_alu instid0(VALU_DEP_1) | instskip(SKIP_1) | instid1(VALU_DEP_1)
	v_fmac_f64_e32 v[146:147], v[130:131], v[148:149]
	s_wait_dscnt 0x0
	v_fmac_f64_e32 v[146:147], v[132:133], v[150:151]
	s_wait_loadcnt 0x3
	s_delay_alu instid0(VALU_DEP_1)
	v_fmac_f64_e32 v[146:147], v[134:135], v[152:153]
	ds_load_2addr_b64 v[128:131], v2 offset0:117 offset1:118
	ds_load_2addr_b64 v[132:135], v2 offset0:119 offset1:120
	s_wait_dscnt 0x1
	v_fmac_f64_e32 v[146:147], v[136:137], v[128:129]
	s_wait_loadcnt 0x2
	s_delay_alu instid0(VALU_DEP_1) | instskip(SKIP_4) | instid1(VALU_DEP_1)
	v_fmac_f64_e32 v[146:147], v[138:139], v[130:131]
	ds_load_2addr_b64 v[128:131], v2 offset0:121 offset1:122
	s_wait_dscnt 0x1
	v_fmac_f64_e32 v[146:147], v[140:141], v[132:133]
	s_wait_loadcnt 0x1
	v_fmac_f64_e32 v[146:147], v[142:143], v[134:135]
	s_wait_dscnt 0x0
	s_delay_alu instid0(VALU_DEP_1) | instskip(SKIP_1) | instid1(VALU_DEP_1)
	v_fmac_f64_e32 v[146:147], v[144:145], v[128:129]
	s_wait_loadcnt 0x0
	v_fmac_f64_e32 v[146:147], v[154:155], v[130:131]
	s_delay_alu instid0(VALU_DEP_1)
	v_add_f64_e64 v[2:3], v[126:127], -v[146:147]
	scratch_store_b64 off, v[2:3], off offset:400
	s_wait_xcnt 0x0
	v_cmpx_lt_u32_e32 49, v0
	s_cbranch_execz .LBB124_277
; %bb.276:
	scratch_load_b64 v[2:3], off, off offset:392
	v_mov_b64_e32 v[126:127], 0
	scratch_store_b64 off, v[126:127], off offset:392
	s_wait_loadcnt 0x0
	ds_store_b64 v1, v[2:3]
.LBB124_277:
	s_wait_xcnt 0x0
	s_or_b32 exec_lo, exec_lo, s0
	s_wait_storecnt_dscnt 0x0
	s_barrier_signal -1
	s_barrier_wait -1
	s_clause 0x5
	scratch_load_b128 v[126:129], off, off offset:392
	scratch_load_b128 v[130:133], off, off offset:408
	;; [unrolled: 1-line block ×6, first 2 shown]
	v_mov_b32_e32 v2, 0
	ds_load_b128 v[150:153], v2 offset:896
	ds_load_b128 v[154:157], v2 offset:912
	s_mov_b32 s0, exec_lo
	s_wait_loadcnt_dscnt 0x501
	v_fma_f64 v[150:151], v[128:129], v[150:151], 0
	s_wait_loadcnt 0x4
	s_delay_alu instid0(VALU_DEP_1) | instskip(SKIP_1) | instid1(VALU_DEP_1)
	v_fmac_f64_e32 v[150:151], v[130:131], v[152:153]
	s_wait_dscnt 0x0
	v_fmac_f64_e32 v[150:151], v[132:133], v[154:155]
	s_wait_loadcnt 0x3
	s_delay_alu instid0(VALU_DEP_1)
	v_fmac_f64_e32 v[150:151], v[134:135], v[156:157]
	ds_load_b128 v[128:131], v2 offset:928
	ds_load_b128 v[132:135], v2 offset:944
	s_wait_dscnt 0x1
	v_fmac_f64_e32 v[150:151], v[136:137], v[128:129]
	s_wait_loadcnt 0x2
	s_delay_alu instid0(VALU_DEP_1) | instskip(SKIP_1) | instid1(VALU_DEP_1)
	v_fmac_f64_e32 v[150:151], v[138:139], v[130:131]
	s_wait_dscnt 0x0
	v_fmac_f64_e32 v[150:151], v[140:141], v[132:133]
	ds_load_b128 v[128:131], v2 offset:960
	ds_load_b64 v[132:133], v2 offset:976
	s_wait_loadcnt 0x1
	v_fmac_f64_e32 v[150:151], v[142:143], v[134:135]
	s_wait_dscnt 0x1
	s_delay_alu instid0(VALU_DEP_1) | instskip(SKIP_1) | instid1(VALU_DEP_1)
	v_fmac_f64_e32 v[150:151], v[144:145], v[128:129]
	s_wait_loadcnt 0x0
	v_fmac_f64_e32 v[150:151], v[146:147], v[130:131]
	s_wait_dscnt 0x0
	s_delay_alu instid0(VALU_DEP_1) | instskip(NEXT) | instid1(VALU_DEP_1)
	v_fmac_f64_e32 v[150:151], v[148:149], v[132:133]
	v_add_f64_e64 v[126:127], v[126:127], -v[150:151]
	scratch_store_b64 off, v[126:127], off offset:392
	s_wait_xcnt 0x0
	v_cmpx_lt_u32_e32 48, v0
	s_cbranch_execz .LBB124_279
; %bb.278:
	scratch_load_b64 v[126:127], off, off offset:384
	v_mov_b64_e32 v[128:129], 0
	scratch_store_b64 off, v[128:129], off offset:384
	s_wait_loadcnt 0x0
	ds_store_b64 v1, v[126:127]
.LBB124_279:
	s_wait_xcnt 0x0
	s_or_b32 exec_lo, exec_lo, s0
	s_wait_storecnt_dscnt 0x0
	s_barrier_signal -1
	s_barrier_wait -1
	s_clause 0x5
	scratch_load_b128 v[126:129], off, off offset:384
	scratch_load_b128 v[130:133], off, off offset:400
	;; [unrolled: 1-line block ×6, first 2 shown]
	ds_load_2addr_b64 v[150:153], v2 offset0:111 offset1:112
	ds_load_2addr_b64 v[154:157], v2 offset0:113 offset1:114
	s_mov_b32 s0, exec_lo
	s_wait_loadcnt_dscnt 0x501
	v_fma_f64 v[150:151], v[128:129], v[150:151], 0
	s_wait_loadcnt 0x4
	s_delay_alu instid0(VALU_DEP_1) | instskip(SKIP_4) | instid1(VALU_DEP_1)
	v_fmac_f64_e32 v[150:151], v[130:131], v[152:153]
	scratch_load_b64 v[152:153], off, off offset:480
	s_wait_dscnt 0x0
	v_fmac_f64_e32 v[150:151], v[132:133], v[154:155]
	s_wait_loadcnt 0x4
	v_fmac_f64_e32 v[150:151], v[134:135], v[156:157]
	ds_load_2addr_b64 v[128:131], v2 offset0:115 offset1:116
	ds_load_2addr_b64 v[132:135], v2 offset0:117 offset1:118
	s_wait_dscnt 0x1
	v_fmac_f64_e32 v[150:151], v[136:137], v[128:129]
	s_wait_loadcnt 0x3
	s_delay_alu instid0(VALU_DEP_1) | instskip(SKIP_1) | instid1(VALU_DEP_1)
	v_fmac_f64_e32 v[150:151], v[138:139], v[130:131]
	s_wait_dscnt 0x0
	v_fmac_f64_e32 v[150:151], v[140:141], v[132:133]
	s_wait_loadcnt 0x2
	s_delay_alu instid0(VALU_DEP_1)
	v_fmac_f64_e32 v[150:151], v[142:143], v[134:135]
	ds_load_2addr_b64 v[128:131], v2 offset0:119 offset1:120
	ds_load_2addr_b64 v[132:135], v2 offset0:121 offset1:122
	s_wait_dscnt 0x1
	v_fmac_f64_e32 v[150:151], v[144:145], v[128:129]
	s_wait_loadcnt 0x1
	s_delay_alu instid0(VALU_DEP_1) | instskip(SKIP_1) | instid1(VALU_DEP_1)
	v_fmac_f64_e32 v[150:151], v[146:147], v[130:131]
	s_wait_dscnt 0x0
	v_fmac_f64_e32 v[150:151], v[148:149], v[132:133]
	s_wait_loadcnt 0x0
	s_delay_alu instid0(VALU_DEP_1) | instskip(NEXT) | instid1(VALU_DEP_1)
	v_fmac_f64_e32 v[150:151], v[152:153], v[134:135]
	v_add_f64_e64 v[2:3], v[126:127], -v[150:151]
	scratch_store_b64 off, v[2:3], off offset:384
	s_wait_xcnt 0x0
	v_cmpx_lt_u32_e32 47, v0
	s_cbranch_execz .LBB124_281
; %bb.280:
	scratch_load_b64 v[2:3], off, off offset:376
	v_mov_b64_e32 v[126:127], 0
	scratch_store_b64 off, v[126:127], off offset:376
	s_wait_loadcnt 0x0
	ds_store_b64 v1, v[2:3]
.LBB124_281:
	s_wait_xcnt 0x0
	s_or_b32 exec_lo, exec_lo, s0
	s_wait_storecnt_dscnt 0x0
	s_barrier_signal -1
	s_barrier_wait -1
	s_clause 0x5
	scratch_load_b128 v[126:129], off, off offset:376
	scratch_load_b128 v[130:133], off, off offset:392
	;; [unrolled: 1-line block ×6, first 2 shown]
	v_mov_b32_e32 v2, 0
	ds_load_b128 v[150:153], v2 offset:880
	ds_load_b128 v[154:157], v2 offset:896
	s_mov_b32 s0, exec_lo
	s_wait_loadcnt_dscnt 0x501
	v_fma_f64 v[158:159], v[128:129], v[150:151], 0
	s_wait_loadcnt 0x4
	s_delay_alu instid0(VALU_DEP_1) | instskip(SKIP_4) | instid1(VALU_DEP_1)
	v_fmac_f64_e32 v[158:159], v[130:131], v[152:153]
	scratch_load_b128 v[128:131], off, off offset:472
	s_wait_dscnt 0x0
	v_fmac_f64_e32 v[158:159], v[132:133], v[154:155]
	s_wait_loadcnt 0x4
	v_fmac_f64_e32 v[158:159], v[134:135], v[156:157]
	ds_load_b128 v[132:135], v2 offset:912
	ds_load_b128 v[150:153], v2 offset:928
	s_wait_dscnt 0x1
	v_fmac_f64_e32 v[158:159], v[136:137], v[132:133]
	s_wait_loadcnt 0x3
	s_delay_alu instid0(VALU_DEP_1)
	v_fmac_f64_e32 v[158:159], v[138:139], v[134:135]
	ds_load_b128 v[132:135], v2 offset:944
	ds_load_b128 v[136:139], v2 offset:960
	s_wait_dscnt 0x2
	v_fmac_f64_e32 v[158:159], v[140:141], v[150:151]
	s_wait_loadcnt 0x2
	s_delay_alu instid0(VALU_DEP_1) | instskip(SKIP_1) | instid1(VALU_DEP_1)
	v_fmac_f64_e32 v[158:159], v[142:143], v[152:153]
	s_wait_dscnt 0x1
	v_fmac_f64_e32 v[158:159], v[144:145], v[132:133]
	s_wait_loadcnt 0x1
	s_delay_alu instid0(VALU_DEP_1) | instskip(SKIP_1) | instid1(VALU_DEP_1)
	v_fmac_f64_e32 v[158:159], v[146:147], v[134:135]
	s_wait_dscnt 0x0
	v_fmac_f64_e32 v[158:159], v[148:149], v[136:137]
	s_wait_loadcnt 0x0
	s_delay_alu instid0(VALU_DEP_1) | instskip(SKIP_3) | instid1(VALU_DEP_1)
	v_fmac_f64_e32 v[158:159], v[128:129], v[138:139]
	ds_load_b64 v[128:129], v2 offset:976
	s_wait_dscnt 0x0
	v_fmac_f64_e32 v[158:159], v[130:131], v[128:129]
	v_add_f64_e64 v[126:127], v[126:127], -v[158:159]
	scratch_store_b64 off, v[126:127], off offset:376
	s_wait_xcnt 0x0
	v_cmpx_lt_u32_e32 46, v0
	s_cbranch_execz .LBB124_283
; %bb.282:
	scratch_load_b64 v[126:127], off, off offset:368
	v_mov_b64_e32 v[128:129], 0
	scratch_store_b64 off, v[128:129], off offset:368
	s_wait_loadcnt 0x0
	ds_store_b64 v1, v[126:127]
.LBB124_283:
	s_wait_xcnt 0x0
	s_or_b32 exec_lo, exec_lo, s0
	s_wait_storecnt_dscnt 0x0
	s_barrier_signal -1
	s_barrier_wait -1
	s_clause 0x5
	scratch_load_b128 v[126:129], off, off offset:368
	scratch_load_b128 v[130:133], off, off offset:384
	;; [unrolled: 1-line block ×6, first 2 shown]
	ds_load_2addr_b64 v[150:153], v2 offset0:109 offset1:110
	ds_load_2addr_b64 v[154:157], v2 offset0:111 offset1:112
	s_mov_b32 s0, exec_lo
	s_wait_loadcnt_dscnt 0x501
	v_fma_f64 v[158:159], v[128:129], v[150:151], 0
	s_wait_loadcnt 0x4
	s_delay_alu instid0(VALU_DEP_1)
	v_fmac_f64_e32 v[158:159], v[130:131], v[152:153]
	scratch_load_b128 v[128:131], off, off offset:464
	s_wait_dscnt 0x0
	v_fmac_f64_e32 v[158:159], v[132:133], v[154:155]
	scratch_load_b64 v[154:155], off, off offset:480
	s_wait_loadcnt 0x5
	v_fmac_f64_e32 v[158:159], v[134:135], v[156:157]
	ds_load_2addr_b64 v[132:135], v2 offset0:113 offset1:114
	ds_load_2addr_b64 v[150:153], v2 offset0:115 offset1:116
	s_wait_dscnt 0x1
	v_fmac_f64_e32 v[158:159], v[136:137], v[132:133]
	s_wait_loadcnt 0x4
	s_delay_alu instid0(VALU_DEP_1)
	v_fmac_f64_e32 v[158:159], v[138:139], v[134:135]
	ds_load_2addr_b64 v[132:135], v2 offset0:117 offset1:118
	ds_load_2addr_b64 v[136:139], v2 offset0:119 offset1:120
	s_wait_dscnt 0x2
	v_fmac_f64_e32 v[158:159], v[140:141], v[150:151]
	s_wait_loadcnt 0x3
	s_delay_alu instid0(VALU_DEP_1) | instskip(SKIP_1) | instid1(VALU_DEP_1)
	v_fmac_f64_e32 v[158:159], v[142:143], v[152:153]
	s_wait_dscnt 0x1
	v_fmac_f64_e32 v[158:159], v[144:145], v[132:133]
	s_wait_loadcnt 0x2
	s_delay_alu instid0(VALU_DEP_1) | instskip(SKIP_4) | instid1(VALU_DEP_1)
	v_fmac_f64_e32 v[158:159], v[146:147], v[134:135]
	ds_load_2addr_b64 v[132:135], v2 offset0:121 offset1:122
	s_wait_dscnt 0x1
	v_fmac_f64_e32 v[158:159], v[148:149], v[136:137]
	s_wait_loadcnt 0x1
	v_fmac_f64_e32 v[158:159], v[128:129], v[138:139]
	s_wait_dscnt 0x0
	s_delay_alu instid0(VALU_DEP_1) | instskip(SKIP_1) | instid1(VALU_DEP_1)
	v_fmac_f64_e32 v[158:159], v[130:131], v[132:133]
	s_wait_loadcnt 0x0
	v_fmac_f64_e32 v[158:159], v[154:155], v[134:135]
	s_delay_alu instid0(VALU_DEP_1)
	v_add_f64_e64 v[2:3], v[126:127], -v[158:159]
	scratch_store_b64 off, v[2:3], off offset:368
	s_wait_xcnt 0x0
	v_cmpx_lt_u32_e32 45, v0
	s_cbranch_execz .LBB124_285
; %bb.284:
	scratch_load_b64 v[2:3], off, off offset:360
	v_mov_b64_e32 v[126:127], 0
	scratch_store_b64 off, v[126:127], off offset:360
	s_wait_loadcnt 0x0
	ds_store_b64 v1, v[2:3]
.LBB124_285:
	s_wait_xcnt 0x0
	s_or_b32 exec_lo, exec_lo, s0
	s_wait_storecnt_dscnt 0x0
	s_barrier_signal -1
	s_barrier_wait -1
	s_clause 0x5
	scratch_load_b128 v[126:129], off, off offset:360
	scratch_load_b128 v[130:133], off, off offset:376
	;; [unrolled: 1-line block ×6, first 2 shown]
	v_mov_b32_e32 v2, 0
	ds_load_b128 v[150:153], v2 offset:864
	ds_load_b128 v[154:157], v2 offset:880
	s_mov_b32 s0, exec_lo
	s_wait_loadcnt_dscnt 0x501
	v_fma_f64 v[158:159], v[128:129], v[150:151], 0
	s_wait_loadcnt 0x4
	s_delay_alu instid0(VALU_DEP_1) | instskip(SKIP_4) | instid1(VALU_DEP_1)
	v_fmac_f64_e32 v[158:159], v[130:131], v[152:153]
	scratch_load_b128 v[128:131], off, off offset:456
	s_wait_dscnt 0x0
	v_fmac_f64_e32 v[158:159], v[132:133], v[154:155]
	s_wait_loadcnt 0x4
	v_fmac_f64_e32 v[158:159], v[134:135], v[156:157]
	scratch_load_b128 v[132:135], off, off offset:472
	ds_load_b128 v[150:153], v2 offset:896
	ds_load_b128 v[154:157], v2 offset:912
	s_wait_dscnt 0x1
	v_fmac_f64_e32 v[158:159], v[136:137], v[150:151]
	s_wait_loadcnt 0x4
	s_delay_alu instid0(VALU_DEP_1) | instskip(SKIP_1) | instid1(VALU_DEP_1)
	v_fmac_f64_e32 v[158:159], v[138:139], v[152:153]
	s_wait_dscnt 0x0
	v_fmac_f64_e32 v[158:159], v[140:141], v[154:155]
	s_wait_loadcnt 0x3
	s_delay_alu instid0(VALU_DEP_1)
	v_fmac_f64_e32 v[158:159], v[142:143], v[156:157]
	ds_load_b128 v[136:139], v2 offset:928
	ds_load_b128 v[140:143], v2 offset:944
	s_wait_dscnt 0x1
	v_fmac_f64_e32 v[158:159], v[144:145], v[136:137]
	s_wait_loadcnt 0x2
	s_delay_alu instid0(VALU_DEP_1) | instskip(SKIP_1) | instid1(VALU_DEP_1)
	v_fmac_f64_e32 v[158:159], v[146:147], v[138:139]
	s_wait_dscnt 0x0
	v_fmac_f64_e32 v[158:159], v[148:149], v[140:141]
	s_wait_loadcnt 0x1
	s_delay_alu instid0(VALU_DEP_1)
	v_fmac_f64_e32 v[158:159], v[128:129], v[142:143]
	ds_load_b128 v[136:139], v2 offset:960
	ds_load_b64 v[128:129], v2 offset:976
	s_wait_dscnt 0x1
	v_fmac_f64_e32 v[158:159], v[130:131], v[136:137]
	s_wait_loadcnt 0x0
	s_delay_alu instid0(VALU_DEP_1) | instskip(SKIP_1) | instid1(VALU_DEP_1)
	v_fmac_f64_e32 v[158:159], v[132:133], v[138:139]
	s_wait_dscnt 0x0
	v_fmac_f64_e32 v[158:159], v[134:135], v[128:129]
	s_delay_alu instid0(VALU_DEP_1)
	v_add_f64_e64 v[126:127], v[126:127], -v[158:159]
	scratch_store_b64 off, v[126:127], off offset:360
	s_wait_xcnt 0x0
	v_cmpx_lt_u32_e32 44, v0
	s_cbranch_execz .LBB124_287
; %bb.286:
	scratch_load_b64 v[126:127], off, off offset:352
	v_mov_b64_e32 v[128:129], 0
	scratch_store_b64 off, v[128:129], off offset:352
	s_wait_loadcnt 0x0
	ds_store_b64 v1, v[126:127]
.LBB124_287:
	s_wait_xcnt 0x0
	s_or_b32 exec_lo, exec_lo, s0
	s_wait_storecnt_dscnt 0x0
	s_barrier_signal -1
	s_barrier_wait -1
	s_clause 0x5
	scratch_load_b128 v[126:129], off, off offset:352
	scratch_load_b128 v[130:133], off, off offset:368
	;; [unrolled: 1-line block ×6, first 2 shown]
	ds_load_2addr_b64 v[150:153], v2 offset0:107 offset1:108
	ds_load_2addr_b64 v[154:157], v2 offset0:109 offset1:110
	s_mov_b32 s0, exec_lo
	s_wait_loadcnt_dscnt 0x501
	v_fma_f64 v[158:159], v[128:129], v[150:151], 0
	s_wait_loadcnt 0x4
	s_delay_alu instid0(VALU_DEP_1) | instskip(SKIP_4) | instid1(VALU_DEP_1)
	v_fmac_f64_e32 v[158:159], v[130:131], v[152:153]
	scratch_load_b128 v[128:131], off, off offset:448
	s_wait_dscnt 0x0
	v_fmac_f64_e32 v[158:159], v[132:133], v[154:155]
	s_wait_loadcnt 0x4
	v_fmac_f64_e32 v[158:159], v[134:135], v[156:157]
	scratch_load_b128 v[132:135], off, off offset:464
	ds_load_2addr_b64 v[150:153], v2 offset0:111 offset1:112
	ds_load_2addr_b64 v[154:157], v2 offset0:113 offset1:114
	s_wait_dscnt 0x1
	v_fmac_f64_e32 v[158:159], v[136:137], v[150:151]
	scratch_load_b64 v[150:151], off, off offset:480
	s_wait_loadcnt 0x5
	v_fmac_f64_e32 v[158:159], v[138:139], v[152:153]
	s_wait_dscnt 0x0
	s_delay_alu instid0(VALU_DEP_1) | instskip(SKIP_1) | instid1(VALU_DEP_1)
	v_fmac_f64_e32 v[158:159], v[140:141], v[154:155]
	s_wait_loadcnt 0x4
	v_fmac_f64_e32 v[158:159], v[142:143], v[156:157]
	ds_load_2addr_b64 v[136:139], v2 offset0:115 offset1:116
	ds_load_2addr_b64 v[140:143], v2 offset0:117 offset1:118
	s_wait_dscnt 0x1
	v_fmac_f64_e32 v[158:159], v[144:145], v[136:137]
	s_wait_loadcnt 0x3
	s_delay_alu instid0(VALU_DEP_1) | instskip(SKIP_1) | instid1(VALU_DEP_1)
	v_fmac_f64_e32 v[158:159], v[146:147], v[138:139]
	s_wait_dscnt 0x0
	v_fmac_f64_e32 v[158:159], v[148:149], v[140:141]
	s_wait_loadcnt 0x2
	s_delay_alu instid0(VALU_DEP_1)
	v_fmac_f64_e32 v[158:159], v[128:129], v[142:143]
	ds_load_2addr_b64 v[136:139], v2 offset0:119 offset1:120
	ds_load_2addr_b64 v[140:143], v2 offset0:121 offset1:122
	s_wait_dscnt 0x1
	v_fmac_f64_e32 v[158:159], v[130:131], v[136:137]
	s_wait_loadcnt 0x1
	s_delay_alu instid0(VALU_DEP_1) | instskip(SKIP_1) | instid1(VALU_DEP_1)
	v_fmac_f64_e32 v[158:159], v[132:133], v[138:139]
	s_wait_dscnt 0x0
	v_fmac_f64_e32 v[158:159], v[134:135], v[140:141]
	s_wait_loadcnt 0x0
	s_delay_alu instid0(VALU_DEP_1) | instskip(NEXT) | instid1(VALU_DEP_1)
	v_fmac_f64_e32 v[158:159], v[150:151], v[142:143]
	v_add_f64_e64 v[2:3], v[126:127], -v[158:159]
	scratch_store_b64 off, v[2:3], off offset:352
	s_wait_xcnt 0x0
	v_cmpx_lt_u32_e32 43, v0
	s_cbranch_execz .LBB124_289
; %bb.288:
	scratch_load_b64 v[2:3], off, off offset:344
	v_mov_b64_e32 v[126:127], 0
	scratch_store_b64 off, v[126:127], off offset:344
	s_wait_loadcnt 0x0
	ds_store_b64 v1, v[2:3]
.LBB124_289:
	s_wait_xcnt 0x0
	s_or_b32 exec_lo, exec_lo, s0
	s_wait_storecnt_dscnt 0x0
	s_barrier_signal -1
	s_barrier_wait -1
	s_clause 0x5
	scratch_load_b128 v[126:129], off, off offset:344
	scratch_load_b128 v[130:133], off, off offset:360
	;; [unrolled: 1-line block ×6, first 2 shown]
	v_mov_b32_e32 v2, 0
	ds_load_b128 v[150:153], v2 offset:848
	ds_load_b128 v[154:157], v2 offset:864
	s_mov_b32 s0, exec_lo
	s_wait_loadcnt_dscnt 0x501
	v_fma_f64 v[158:159], v[128:129], v[150:151], 0
	s_wait_loadcnt 0x4
	s_delay_alu instid0(VALU_DEP_1) | instskip(SKIP_4) | instid1(VALU_DEP_1)
	v_fmac_f64_e32 v[158:159], v[130:131], v[152:153]
	scratch_load_b128 v[128:131], off, off offset:440
	s_wait_dscnt 0x0
	v_fmac_f64_e32 v[158:159], v[132:133], v[154:155]
	s_wait_loadcnt 0x4
	v_fmac_f64_e32 v[158:159], v[134:135], v[156:157]
	scratch_load_b128 v[132:135], off, off offset:456
	ds_load_b128 v[150:153], v2 offset:880
	ds_load_b128 v[154:157], v2 offset:896
	s_wait_dscnt 0x1
	v_fmac_f64_e32 v[158:159], v[136:137], v[150:151]
	s_wait_loadcnt 0x4
	s_delay_alu instid0(VALU_DEP_1) | instskip(SKIP_4) | instid1(VALU_DEP_1)
	v_fmac_f64_e32 v[158:159], v[138:139], v[152:153]
	scratch_load_b128 v[136:139], off, off offset:472
	s_wait_dscnt 0x0
	v_fmac_f64_e32 v[158:159], v[140:141], v[154:155]
	s_wait_loadcnt 0x4
	v_fmac_f64_e32 v[158:159], v[142:143], v[156:157]
	ds_load_b128 v[140:143], v2 offset:912
	ds_load_b128 v[150:153], v2 offset:928
	s_wait_dscnt 0x1
	v_fmac_f64_e32 v[158:159], v[144:145], v[140:141]
	s_wait_loadcnt 0x3
	s_delay_alu instid0(VALU_DEP_1)
	v_fmac_f64_e32 v[158:159], v[146:147], v[142:143]
	ds_load_b128 v[140:143], v2 offset:944
	ds_load_b128 v[144:147], v2 offset:960
	s_wait_dscnt 0x2
	v_fmac_f64_e32 v[158:159], v[148:149], v[150:151]
	s_wait_loadcnt 0x2
	s_delay_alu instid0(VALU_DEP_1) | instskip(SKIP_4) | instid1(VALU_DEP_1)
	v_fmac_f64_e32 v[158:159], v[128:129], v[152:153]
	ds_load_b64 v[128:129], v2 offset:976
	s_wait_dscnt 0x2
	v_fmac_f64_e32 v[158:159], v[130:131], v[140:141]
	s_wait_loadcnt 0x1
	v_fmac_f64_e32 v[158:159], v[132:133], v[142:143]
	s_wait_dscnt 0x1
	s_delay_alu instid0(VALU_DEP_1) | instskip(SKIP_1) | instid1(VALU_DEP_1)
	v_fmac_f64_e32 v[158:159], v[134:135], v[144:145]
	s_wait_loadcnt 0x0
	v_fmac_f64_e32 v[158:159], v[136:137], v[146:147]
	s_wait_dscnt 0x0
	s_delay_alu instid0(VALU_DEP_1) | instskip(NEXT) | instid1(VALU_DEP_1)
	v_fmac_f64_e32 v[158:159], v[138:139], v[128:129]
	v_add_f64_e64 v[126:127], v[126:127], -v[158:159]
	scratch_store_b64 off, v[126:127], off offset:344
	s_wait_xcnt 0x0
	v_cmpx_lt_u32_e32 42, v0
	s_cbranch_execz .LBB124_291
; %bb.290:
	scratch_load_b64 v[126:127], off, off offset:336
	v_mov_b64_e32 v[128:129], 0
	scratch_store_b64 off, v[128:129], off offset:336
	s_wait_loadcnt 0x0
	ds_store_b64 v1, v[126:127]
.LBB124_291:
	s_wait_xcnt 0x0
	s_or_b32 exec_lo, exec_lo, s0
	s_wait_storecnt_dscnt 0x0
	s_barrier_signal -1
	s_barrier_wait -1
	s_clause 0x5
	scratch_load_b128 v[126:129], off, off offset:336
	scratch_load_b128 v[130:133], off, off offset:352
	;; [unrolled: 1-line block ×6, first 2 shown]
	ds_load_2addr_b64 v[150:153], v2 offset0:105 offset1:106
	ds_load_2addr_b64 v[154:157], v2 offset0:107 offset1:108
	s_mov_b32 s0, exec_lo
	s_wait_loadcnt_dscnt 0x501
	v_fma_f64 v[158:159], v[128:129], v[150:151], 0
	s_wait_loadcnt 0x4
	s_delay_alu instid0(VALU_DEP_1) | instskip(SKIP_4) | instid1(VALU_DEP_1)
	v_fmac_f64_e32 v[158:159], v[130:131], v[152:153]
	scratch_load_b128 v[128:131], off, off offset:432
	s_wait_dscnt 0x0
	v_fmac_f64_e32 v[158:159], v[132:133], v[154:155]
	s_wait_loadcnt 0x4
	v_fmac_f64_e32 v[158:159], v[134:135], v[156:157]
	scratch_load_b128 v[132:135], off, off offset:448
	ds_load_2addr_b64 v[150:153], v2 offset0:109 offset1:110
	ds_load_2addr_b64 v[154:157], v2 offset0:111 offset1:112
	s_wait_dscnt 0x1
	v_fmac_f64_e32 v[158:159], v[136:137], v[150:151]
	s_wait_loadcnt 0x4
	s_delay_alu instid0(VALU_DEP_1)
	v_fmac_f64_e32 v[158:159], v[138:139], v[152:153]
	scratch_load_b128 v[136:139], off, off offset:464
	s_wait_dscnt 0x0
	v_fmac_f64_e32 v[158:159], v[140:141], v[154:155]
	scratch_load_b64 v[154:155], off, off offset:480
	s_wait_loadcnt 0x5
	v_fmac_f64_e32 v[158:159], v[142:143], v[156:157]
	ds_load_2addr_b64 v[140:143], v2 offset0:113 offset1:114
	ds_load_2addr_b64 v[150:153], v2 offset0:115 offset1:116
	s_wait_dscnt 0x1
	v_fmac_f64_e32 v[158:159], v[144:145], v[140:141]
	s_wait_loadcnt 0x4
	s_delay_alu instid0(VALU_DEP_1)
	v_fmac_f64_e32 v[158:159], v[146:147], v[142:143]
	ds_load_2addr_b64 v[140:143], v2 offset0:117 offset1:118
	ds_load_2addr_b64 v[144:147], v2 offset0:119 offset1:120
	s_wait_dscnt 0x2
	v_fmac_f64_e32 v[158:159], v[148:149], v[150:151]
	s_wait_loadcnt 0x3
	s_delay_alu instid0(VALU_DEP_1) | instskip(SKIP_1) | instid1(VALU_DEP_1)
	v_fmac_f64_e32 v[158:159], v[128:129], v[152:153]
	s_wait_dscnt 0x1
	v_fmac_f64_e32 v[158:159], v[130:131], v[140:141]
	ds_load_2addr_b64 v[128:131], v2 offset0:121 offset1:122
	s_wait_loadcnt 0x2
	v_fmac_f64_e32 v[158:159], v[132:133], v[142:143]
	s_wait_dscnt 0x1
	s_delay_alu instid0(VALU_DEP_1) | instskip(SKIP_1) | instid1(VALU_DEP_1)
	v_fmac_f64_e32 v[158:159], v[134:135], v[144:145]
	s_wait_loadcnt 0x1
	v_fmac_f64_e32 v[158:159], v[136:137], v[146:147]
	s_wait_dscnt 0x0
	s_delay_alu instid0(VALU_DEP_1) | instskip(SKIP_1) | instid1(VALU_DEP_1)
	v_fmac_f64_e32 v[158:159], v[138:139], v[128:129]
	s_wait_loadcnt 0x0
	v_fmac_f64_e32 v[158:159], v[154:155], v[130:131]
	s_delay_alu instid0(VALU_DEP_1)
	v_add_f64_e64 v[2:3], v[126:127], -v[158:159]
	scratch_store_b64 off, v[2:3], off offset:336
	s_wait_xcnt 0x0
	v_cmpx_lt_u32_e32 41, v0
	s_cbranch_execz .LBB124_293
; %bb.292:
	scratch_load_b64 v[2:3], off, off offset:328
	v_mov_b64_e32 v[126:127], 0
	scratch_store_b64 off, v[126:127], off offset:328
	s_wait_loadcnt 0x0
	ds_store_b64 v1, v[2:3]
.LBB124_293:
	s_wait_xcnt 0x0
	s_or_b32 exec_lo, exec_lo, s0
	s_wait_storecnt_dscnt 0x0
	s_barrier_signal -1
	s_barrier_wait -1
	s_clause 0x5
	scratch_load_b128 v[126:129], off, off offset:328
	scratch_load_b128 v[130:133], off, off offset:344
	scratch_load_b128 v[134:137], off, off offset:360
	scratch_load_b128 v[138:141], off, off offset:376
	scratch_load_b128 v[142:145], off, off offset:392
	scratch_load_b128 v[146:149], off, off offset:408
	v_mov_b32_e32 v2, 0
	ds_load_b128 v[150:153], v2 offset:832
	ds_load_b128 v[154:157], v2 offset:848
	s_mov_b32 s0, exec_lo
	s_wait_loadcnt_dscnt 0x501
	v_fma_f64 v[158:159], v[128:129], v[150:151], 0
	s_wait_loadcnt 0x4
	s_delay_alu instid0(VALU_DEP_1) | instskip(SKIP_4) | instid1(VALU_DEP_1)
	v_fmac_f64_e32 v[158:159], v[130:131], v[152:153]
	scratch_load_b128 v[128:131], off, off offset:424
	s_wait_dscnt 0x0
	v_fmac_f64_e32 v[158:159], v[132:133], v[154:155]
	s_wait_loadcnt 0x4
	v_fmac_f64_e32 v[158:159], v[134:135], v[156:157]
	scratch_load_b128 v[132:135], off, off offset:440
	ds_load_b128 v[150:153], v2 offset:864
	ds_load_b128 v[154:157], v2 offset:880
	s_wait_dscnt 0x1
	v_fmac_f64_e32 v[158:159], v[136:137], v[150:151]
	s_wait_loadcnt 0x4
	s_delay_alu instid0(VALU_DEP_1) | instskip(SKIP_4) | instid1(VALU_DEP_1)
	v_fmac_f64_e32 v[158:159], v[138:139], v[152:153]
	scratch_load_b128 v[136:139], off, off offset:456
	s_wait_dscnt 0x0
	v_fmac_f64_e32 v[158:159], v[140:141], v[154:155]
	s_wait_loadcnt 0x4
	v_fmac_f64_e32 v[158:159], v[142:143], v[156:157]
	scratch_load_b128 v[140:143], off, off offset:472
	ds_load_b128 v[150:153], v2 offset:896
	ds_load_b128 v[154:157], v2 offset:912
	s_wait_dscnt 0x1
	v_fmac_f64_e32 v[158:159], v[144:145], v[150:151]
	s_wait_loadcnt 0x4
	s_delay_alu instid0(VALU_DEP_1) | instskip(SKIP_1) | instid1(VALU_DEP_1)
	v_fmac_f64_e32 v[158:159], v[146:147], v[152:153]
	s_wait_dscnt 0x0
	v_fmac_f64_e32 v[158:159], v[148:149], v[154:155]
	ds_load_b128 v[144:147], v2 offset:928
	ds_load_b128 v[148:151], v2 offset:944
	s_wait_loadcnt 0x3
	v_fmac_f64_e32 v[158:159], v[128:129], v[156:157]
	s_wait_dscnt 0x1
	s_delay_alu instid0(VALU_DEP_1) | instskip(SKIP_1) | instid1(VALU_DEP_1)
	v_fmac_f64_e32 v[158:159], v[130:131], v[144:145]
	s_wait_loadcnt 0x2
	v_fmac_f64_e32 v[158:159], v[132:133], v[146:147]
	ds_load_b128 v[128:131], v2 offset:960
	ds_load_b64 v[132:133], v2 offset:976
	s_wait_dscnt 0x2
	v_fmac_f64_e32 v[158:159], v[134:135], v[148:149]
	s_wait_loadcnt 0x1
	s_delay_alu instid0(VALU_DEP_1) | instskip(SKIP_1) | instid1(VALU_DEP_1)
	v_fmac_f64_e32 v[158:159], v[136:137], v[150:151]
	s_wait_dscnt 0x1
	v_fmac_f64_e32 v[158:159], v[138:139], v[128:129]
	s_wait_loadcnt 0x0
	s_delay_alu instid0(VALU_DEP_1) | instskip(SKIP_1) | instid1(VALU_DEP_1)
	v_fmac_f64_e32 v[158:159], v[140:141], v[130:131]
	s_wait_dscnt 0x0
	v_fmac_f64_e32 v[158:159], v[142:143], v[132:133]
	s_delay_alu instid0(VALU_DEP_1)
	v_add_f64_e64 v[126:127], v[126:127], -v[158:159]
	scratch_store_b64 off, v[126:127], off offset:328
	s_wait_xcnt 0x0
	v_cmpx_lt_u32_e32 40, v0
	s_cbranch_execz .LBB124_295
; %bb.294:
	scratch_load_b64 v[126:127], off, off offset:320
	v_mov_b64_e32 v[128:129], 0
	scratch_store_b64 off, v[128:129], off offset:320
	s_wait_loadcnt 0x0
	ds_store_b64 v1, v[126:127]
.LBB124_295:
	s_wait_xcnt 0x0
	s_or_b32 exec_lo, exec_lo, s0
	s_wait_storecnt_dscnt 0x0
	s_barrier_signal -1
	s_barrier_wait -1
	s_clause 0x5
	scratch_load_b128 v[126:129], off, off offset:320
	scratch_load_b128 v[130:133], off, off offset:336
	;; [unrolled: 1-line block ×6, first 2 shown]
	ds_load_2addr_b64 v[150:153], v2 offset0:103 offset1:104
	ds_load_2addr_b64 v[154:157], v2 offset0:105 offset1:106
	s_mov_b32 s0, exec_lo
	s_wait_loadcnt_dscnt 0x501
	v_fma_f64 v[158:159], v[128:129], v[150:151], 0
	s_wait_loadcnt 0x4
	s_delay_alu instid0(VALU_DEP_1) | instskip(SKIP_4) | instid1(VALU_DEP_1)
	v_fmac_f64_e32 v[158:159], v[130:131], v[152:153]
	scratch_load_b128 v[128:131], off, off offset:416
	s_wait_dscnt 0x0
	v_fmac_f64_e32 v[158:159], v[132:133], v[154:155]
	s_wait_loadcnt 0x4
	v_fmac_f64_e32 v[158:159], v[134:135], v[156:157]
	scratch_load_b128 v[132:135], off, off offset:432
	ds_load_2addr_b64 v[150:153], v2 offset0:107 offset1:108
	ds_load_2addr_b64 v[154:157], v2 offset0:109 offset1:110
	s_wait_dscnt 0x1
	v_fmac_f64_e32 v[158:159], v[136:137], v[150:151]
	s_wait_loadcnt 0x4
	s_delay_alu instid0(VALU_DEP_1) | instskip(SKIP_4) | instid1(VALU_DEP_1)
	v_fmac_f64_e32 v[158:159], v[138:139], v[152:153]
	scratch_load_b128 v[136:139], off, off offset:448
	s_wait_dscnt 0x0
	v_fmac_f64_e32 v[158:159], v[140:141], v[154:155]
	s_wait_loadcnt 0x4
	v_fmac_f64_e32 v[158:159], v[142:143], v[156:157]
	scratch_load_b128 v[140:143], off, off offset:464
	ds_load_2addr_b64 v[150:153], v2 offset0:111 offset1:112
	ds_load_2addr_b64 v[154:157], v2 offset0:113 offset1:114
	s_wait_dscnt 0x1
	v_fmac_f64_e32 v[158:159], v[144:145], v[150:151]
	s_wait_loadcnt 0x4
	s_delay_alu instid0(VALU_DEP_1)
	v_fmac_f64_e32 v[158:159], v[146:147], v[152:153]
	scratch_load_b64 v[152:153], off, off offset:480
	s_wait_dscnt 0x0
	v_fmac_f64_e32 v[158:159], v[148:149], v[154:155]
	ds_load_2addr_b64 v[144:147], v2 offset0:115 offset1:116
	ds_load_2addr_b64 v[148:151], v2 offset0:117 offset1:118
	s_wait_loadcnt 0x4
	v_fmac_f64_e32 v[158:159], v[128:129], v[156:157]
	s_wait_dscnt 0x1
	s_delay_alu instid0(VALU_DEP_1) | instskip(SKIP_1) | instid1(VALU_DEP_1)
	v_fmac_f64_e32 v[158:159], v[130:131], v[144:145]
	s_wait_loadcnt 0x3
	v_fmac_f64_e32 v[158:159], v[132:133], v[146:147]
	s_wait_dscnt 0x0
	s_delay_alu instid0(VALU_DEP_1)
	v_fmac_f64_e32 v[158:159], v[134:135], v[148:149]
	ds_load_2addr_b64 v[128:131], v2 offset0:119 offset1:120
	ds_load_2addr_b64 v[132:135], v2 offset0:121 offset1:122
	s_wait_loadcnt 0x2
	v_fmac_f64_e32 v[158:159], v[136:137], v[150:151]
	s_wait_dscnt 0x1
	s_delay_alu instid0(VALU_DEP_1) | instskip(SKIP_1) | instid1(VALU_DEP_1)
	v_fmac_f64_e32 v[158:159], v[138:139], v[128:129]
	s_wait_loadcnt 0x1
	v_fmac_f64_e32 v[158:159], v[140:141], v[130:131]
	s_wait_dscnt 0x0
	s_delay_alu instid0(VALU_DEP_1) | instskip(SKIP_1) | instid1(VALU_DEP_1)
	v_fmac_f64_e32 v[158:159], v[142:143], v[132:133]
	s_wait_loadcnt 0x0
	v_fmac_f64_e32 v[158:159], v[152:153], v[134:135]
	s_delay_alu instid0(VALU_DEP_1)
	v_add_f64_e64 v[2:3], v[126:127], -v[158:159]
	scratch_store_b64 off, v[2:3], off offset:320
	s_wait_xcnt 0x0
	v_cmpx_lt_u32_e32 39, v0
	s_cbranch_execz .LBB124_297
; %bb.296:
	scratch_load_b64 v[2:3], off, off offset:312
	v_mov_b64_e32 v[126:127], 0
	scratch_store_b64 off, v[126:127], off offset:312
	s_wait_loadcnt 0x0
	ds_store_b64 v1, v[2:3]
.LBB124_297:
	s_wait_xcnt 0x0
	s_or_b32 exec_lo, exec_lo, s0
	s_wait_storecnt_dscnt 0x0
	s_barrier_signal -1
	s_barrier_wait -1
	s_clause 0x5
	scratch_load_b128 v[126:129], off, off offset:312
	scratch_load_b128 v[130:133], off, off offset:328
	;; [unrolled: 1-line block ×6, first 2 shown]
	v_mov_b32_e32 v2, 0
	ds_load_b128 v[150:153], v2 offset:816
	ds_load_b128 v[154:157], v2 offset:832
	s_mov_b32 s0, exec_lo
	s_wait_loadcnt_dscnt 0x501
	v_fma_f64 v[158:159], v[128:129], v[150:151], 0
	s_wait_loadcnt 0x4
	s_delay_alu instid0(VALU_DEP_1) | instskip(SKIP_4) | instid1(VALU_DEP_1)
	v_fmac_f64_e32 v[158:159], v[130:131], v[152:153]
	scratch_load_b128 v[128:131], off, off offset:408
	s_wait_dscnt 0x0
	v_fmac_f64_e32 v[158:159], v[132:133], v[154:155]
	s_wait_loadcnt 0x4
	v_fmac_f64_e32 v[158:159], v[134:135], v[156:157]
	scratch_load_b128 v[132:135], off, off offset:424
	ds_load_b128 v[150:153], v2 offset:848
	ds_load_b128 v[154:157], v2 offset:864
	s_wait_dscnt 0x1
	v_fmac_f64_e32 v[158:159], v[136:137], v[150:151]
	s_wait_loadcnt 0x4
	s_delay_alu instid0(VALU_DEP_1) | instskip(SKIP_4) | instid1(VALU_DEP_1)
	v_fmac_f64_e32 v[158:159], v[138:139], v[152:153]
	scratch_load_b128 v[136:139], off, off offset:440
	s_wait_dscnt 0x0
	v_fmac_f64_e32 v[158:159], v[140:141], v[154:155]
	s_wait_loadcnt 0x4
	v_fmac_f64_e32 v[158:159], v[142:143], v[156:157]
	scratch_load_b128 v[140:143], off, off offset:456
	ds_load_b128 v[150:153], v2 offset:880
	ds_load_b128 v[154:157], v2 offset:896
	s_wait_dscnt 0x1
	v_fmac_f64_e32 v[158:159], v[144:145], v[150:151]
	s_wait_loadcnt 0x4
	s_delay_alu instid0(VALU_DEP_1)
	v_fmac_f64_e32 v[158:159], v[146:147], v[152:153]
	scratch_load_b128 v[144:147], off, off offset:472
	s_wait_dscnt 0x0
	v_fmac_f64_e32 v[158:159], v[148:149], v[154:155]
	ds_load_b128 v[148:151], v2 offset:912
	ds_load_b128 v[152:155], v2 offset:928
	s_wait_loadcnt 0x4
	v_fmac_f64_e32 v[158:159], v[128:129], v[156:157]
	s_wait_dscnt 0x1
	s_delay_alu instid0(VALU_DEP_1) | instskip(SKIP_1) | instid1(VALU_DEP_1)
	v_fmac_f64_e32 v[158:159], v[130:131], v[148:149]
	s_wait_loadcnt 0x3
	v_fmac_f64_e32 v[158:159], v[132:133], v[150:151]
	s_wait_dscnt 0x0
	s_delay_alu instid0(VALU_DEP_1)
	v_fmac_f64_e32 v[158:159], v[134:135], v[152:153]
	ds_load_b128 v[128:131], v2 offset:944
	ds_load_b128 v[132:135], v2 offset:960
	s_wait_loadcnt 0x2
	v_fmac_f64_e32 v[158:159], v[136:137], v[154:155]
	s_wait_dscnt 0x1
	s_delay_alu instid0(VALU_DEP_1) | instskip(SKIP_4) | instid1(VALU_DEP_1)
	v_fmac_f64_e32 v[158:159], v[138:139], v[128:129]
	ds_load_b64 v[128:129], v2 offset:976
	s_wait_loadcnt 0x1
	v_fmac_f64_e32 v[158:159], v[140:141], v[130:131]
	s_wait_dscnt 0x1
	v_fmac_f64_e32 v[158:159], v[142:143], v[132:133]
	s_wait_loadcnt 0x0
	s_delay_alu instid0(VALU_DEP_1) | instskip(SKIP_1) | instid1(VALU_DEP_1)
	v_fmac_f64_e32 v[158:159], v[144:145], v[134:135]
	s_wait_dscnt 0x0
	v_fmac_f64_e32 v[158:159], v[146:147], v[128:129]
	s_delay_alu instid0(VALU_DEP_1)
	v_add_f64_e64 v[126:127], v[126:127], -v[158:159]
	scratch_store_b64 off, v[126:127], off offset:312
	s_wait_xcnt 0x0
	v_cmpx_lt_u32_e32 38, v0
	s_cbranch_execz .LBB124_299
; %bb.298:
	scratch_load_b64 v[126:127], off, off offset:304
	v_mov_b64_e32 v[128:129], 0
	scratch_store_b64 off, v[128:129], off offset:304
	s_wait_loadcnt 0x0
	ds_store_b64 v1, v[126:127]
.LBB124_299:
	s_wait_xcnt 0x0
	s_or_b32 exec_lo, exec_lo, s0
	s_wait_storecnt_dscnt 0x0
	s_barrier_signal -1
	s_barrier_wait -1
	s_clause 0x5
	scratch_load_b128 v[126:129], off, off offset:304
	scratch_load_b128 v[130:133], off, off offset:320
	;; [unrolled: 1-line block ×6, first 2 shown]
	ds_load_2addr_b64 v[150:153], v2 offset0:101 offset1:102
	ds_load_2addr_b64 v[154:157], v2 offset0:103 offset1:104
	scratch_load_b128 v[158:161], off, off offset:400
	s_mov_b32 s0, exec_lo
	s_wait_loadcnt_dscnt 0x601
	v_fma_f64 v[162:163], v[128:129], v[150:151], 0
	s_wait_loadcnt 0x5
	s_delay_alu instid0(VALU_DEP_1) | instskip(SKIP_4) | instid1(VALU_DEP_1)
	v_fmac_f64_e32 v[162:163], v[130:131], v[152:153]
	scratch_load_b128 v[128:131], off, off offset:416
	s_wait_dscnt 0x0
	v_fmac_f64_e32 v[162:163], v[132:133], v[154:155]
	s_wait_loadcnt 0x5
	v_fmac_f64_e32 v[162:163], v[134:135], v[156:157]
	ds_load_2addr_b64 v[132:135], v2 offset0:105 offset1:106
	ds_load_2addr_b64 v[150:153], v2 offset0:107 offset1:108
	s_wait_dscnt 0x1
	v_fmac_f64_e32 v[162:163], v[136:137], v[132:133]
	s_wait_loadcnt 0x4
	s_delay_alu instid0(VALU_DEP_1)
	v_fmac_f64_e32 v[162:163], v[138:139], v[134:135]
	s_clause 0x1
	scratch_load_b128 v[132:135], off, off offset:432
	scratch_load_b128 v[136:139], off, off offset:448
	s_wait_dscnt 0x0
	v_fmac_f64_e32 v[162:163], v[140:141], v[150:151]
	s_wait_loadcnt 0x5
	s_delay_alu instid0(VALU_DEP_1)
	v_fmac_f64_e32 v[162:163], v[142:143], v[152:153]
	ds_load_2addr_b64 v[140:143], v2 offset0:109 offset1:110
	ds_load_2addr_b64 v[150:153], v2 offset0:111 offset1:112
	s_wait_dscnt 0x1
	v_fmac_f64_e32 v[162:163], v[144:145], v[140:141]
	s_wait_loadcnt 0x4
	s_delay_alu instid0(VALU_DEP_1) | instskip(SKIP_4) | instid1(VALU_DEP_1)
	v_fmac_f64_e32 v[162:163], v[146:147], v[142:143]
	scratch_load_b128 v[140:143], off, off offset:464
	s_wait_dscnt 0x0
	v_fmac_f64_e32 v[162:163], v[148:149], v[150:151]
	s_wait_loadcnt 0x4
	v_fmac_f64_e32 v[162:163], v[158:159], v[152:153]
	scratch_load_b64 v[152:153], off, off offset:480
	ds_load_2addr_b64 v[144:147], v2 offset0:113 offset1:114
	ds_load_2addr_b64 v[148:151], v2 offset0:115 offset1:116
	s_wait_dscnt 0x1
	v_fmac_f64_e32 v[162:163], v[160:161], v[144:145]
	s_wait_loadcnt 0x4
	s_delay_alu instid0(VALU_DEP_1) | instskip(SKIP_1) | instid1(VALU_DEP_1)
	v_fmac_f64_e32 v[162:163], v[128:129], v[146:147]
	s_wait_dscnt 0x0
	v_fmac_f64_e32 v[162:163], v[130:131], v[148:149]
	ds_load_2addr_b64 v[128:131], v2 offset0:117 offset1:118
	ds_load_2addr_b64 v[144:147], v2 offset0:119 offset1:120
	s_wait_loadcnt 0x3
	v_fmac_f64_e32 v[162:163], v[132:133], v[150:151]
	s_wait_dscnt 0x1
	s_delay_alu instid0(VALU_DEP_1) | instskip(SKIP_1) | instid1(VALU_DEP_1)
	v_fmac_f64_e32 v[162:163], v[134:135], v[128:129]
	s_wait_loadcnt 0x2
	v_fmac_f64_e32 v[162:163], v[136:137], v[130:131]
	ds_load_2addr_b64 v[128:131], v2 offset0:121 offset1:122
	s_wait_dscnt 0x1
	v_fmac_f64_e32 v[162:163], v[138:139], v[144:145]
	s_wait_loadcnt 0x1
	s_delay_alu instid0(VALU_DEP_1) | instskip(SKIP_1) | instid1(VALU_DEP_1)
	v_fmac_f64_e32 v[162:163], v[140:141], v[146:147]
	s_wait_dscnt 0x0
	v_fmac_f64_e32 v[162:163], v[142:143], v[128:129]
	s_wait_loadcnt 0x0
	s_delay_alu instid0(VALU_DEP_1) | instskip(NEXT) | instid1(VALU_DEP_1)
	v_fmac_f64_e32 v[162:163], v[152:153], v[130:131]
	v_add_f64_e64 v[2:3], v[126:127], -v[162:163]
	scratch_store_b64 off, v[2:3], off offset:304
	s_wait_xcnt 0x0
	v_cmpx_lt_u32_e32 37, v0
	s_cbranch_execz .LBB124_301
; %bb.300:
	scratch_load_b64 v[2:3], off, off offset:296
	v_mov_b64_e32 v[126:127], 0
	scratch_store_b64 off, v[126:127], off offset:296
	s_wait_loadcnt 0x0
	ds_store_b64 v1, v[2:3]
.LBB124_301:
	s_wait_xcnt 0x0
	s_or_b32 exec_lo, exec_lo, s0
	s_wait_storecnt_dscnt 0x0
	s_barrier_signal -1
	s_barrier_wait -1
	s_clause 0x5
	scratch_load_b128 v[126:129], off, off offset:296
	scratch_load_b128 v[130:133], off, off offset:312
	;; [unrolled: 1-line block ×6, first 2 shown]
	v_mov_b32_e32 v2, 0
	ds_load_b128 v[150:153], v2 offset:800
	ds_load_b128 v[154:157], v2 offset:816
	scratch_load_b128 v[158:161], off, off offset:392
	s_mov_b32 s0, exec_lo
	s_wait_loadcnt_dscnt 0x601
	v_fma_f64 v[162:163], v[128:129], v[150:151], 0
	s_wait_loadcnt 0x5
	s_delay_alu instid0(VALU_DEP_1) | instskip(SKIP_4) | instid1(VALU_DEP_1)
	v_fmac_f64_e32 v[162:163], v[130:131], v[152:153]
	scratch_load_b128 v[128:131], off, off offset:408
	s_wait_dscnt 0x0
	v_fmac_f64_e32 v[162:163], v[132:133], v[154:155]
	s_wait_loadcnt 0x5
	v_fmac_f64_e32 v[162:163], v[134:135], v[156:157]
	ds_load_b128 v[132:135], v2 offset:832
	ds_load_b128 v[150:153], v2 offset:848
	s_wait_dscnt 0x1
	v_fmac_f64_e32 v[162:163], v[136:137], v[132:133]
	s_wait_loadcnt 0x4
	s_delay_alu instid0(VALU_DEP_1)
	v_fmac_f64_e32 v[162:163], v[138:139], v[134:135]
	s_clause 0x1
	scratch_load_b128 v[132:135], off, off offset:424
	scratch_load_b128 v[136:139], off, off offset:440
	s_wait_dscnt 0x0
	v_fmac_f64_e32 v[162:163], v[140:141], v[150:151]
	s_wait_loadcnt 0x5
	s_delay_alu instid0(VALU_DEP_1)
	v_fmac_f64_e32 v[162:163], v[142:143], v[152:153]
	ds_load_b128 v[140:143], v2 offset:864
	ds_load_b128 v[150:153], v2 offset:880
	s_wait_dscnt 0x1
	v_fmac_f64_e32 v[162:163], v[144:145], v[140:141]
	s_wait_loadcnt 0x4
	s_delay_alu instid0(VALU_DEP_1)
	v_fmac_f64_e32 v[162:163], v[146:147], v[142:143]
	s_clause 0x1
	scratch_load_b128 v[140:143], off, off offset:456
	scratch_load_b128 v[144:147], off, off offset:472
	s_wait_dscnt 0x0
	v_fmac_f64_e32 v[162:163], v[148:149], v[150:151]
	s_wait_loadcnt 0x5
	s_delay_alu instid0(VALU_DEP_1)
	v_fmac_f64_e32 v[162:163], v[158:159], v[152:153]
	ds_load_b128 v[148:151], v2 offset:896
	ds_load_b128 v[152:155], v2 offset:912
	s_wait_dscnt 0x1
	v_fmac_f64_e32 v[162:163], v[160:161], v[148:149]
	s_wait_loadcnt 0x4
	s_delay_alu instid0(VALU_DEP_1) | instskip(SKIP_1) | instid1(VALU_DEP_1)
	v_fmac_f64_e32 v[162:163], v[128:129], v[150:151]
	s_wait_dscnt 0x0
	v_fmac_f64_e32 v[162:163], v[130:131], v[152:153]
	ds_load_b128 v[128:131], v2 offset:928
	ds_load_b128 v[148:151], v2 offset:944
	s_wait_loadcnt 0x3
	v_fmac_f64_e32 v[162:163], v[132:133], v[154:155]
	s_wait_dscnt 0x1
	s_delay_alu instid0(VALU_DEP_1) | instskip(SKIP_1) | instid1(VALU_DEP_1)
	v_fmac_f64_e32 v[162:163], v[134:135], v[128:129]
	s_wait_loadcnt 0x2
	v_fmac_f64_e32 v[162:163], v[136:137], v[130:131]
	ds_load_b128 v[128:131], v2 offset:960
	ds_load_b64 v[132:133], v2 offset:976
	s_wait_dscnt 0x2
	v_fmac_f64_e32 v[162:163], v[138:139], v[148:149]
	s_wait_loadcnt 0x1
	s_delay_alu instid0(VALU_DEP_1) | instskip(SKIP_1) | instid1(VALU_DEP_1)
	v_fmac_f64_e32 v[162:163], v[140:141], v[150:151]
	s_wait_dscnt 0x1
	v_fmac_f64_e32 v[162:163], v[142:143], v[128:129]
	s_wait_loadcnt 0x0
	s_delay_alu instid0(VALU_DEP_1) | instskip(SKIP_1) | instid1(VALU_DEP_1)
	v_fmac_f64_e32 v[162:163], v[144:145], v[130:131]
	s_wait_dscnt 0x0
	v_fmac_f64_e32 v[162:163], v[146:147], v[132:133]
	s_delay_alu instid0(VALU_DEP_1)
	v_add_f64_e64 v[126:127], v[126:127], -v[162:163]
	scratch_store_b64 off, v[126:127], off offset:296
	s_wait_xcnt 0x0
	v_cmpx_lt_u32_e32 36, v0
	s_cbranch_execz .LBB124_303
; %bb.302:
	scratch_load_b64 v[126:127], off, off offset:288
	v_mov_b64_e32 v[128:129], 0
	scratch_store_b64 off, v[128:129], off offset:288
	s_wait_loadcnt 0x0
	ds_store_b64 v1, v[126:127]
.LBB124_303:
	s_wait_xcnt 0x0
	s_or_b32 exec_lo, exec_lo, s0
	s_wait_storecnt_dscnt 0x0
	s_barrier_signal -1
	s_barrier_wait -1
	s_clause 0x5
	scratch_load_b128 v[126:129], off, off offset:288
	scratch_load_b128 v[130:133], off, off offset:304
	;; [unrolled: 1-line block ×6, first 2 shown]
	ds_load_2addr_b64 v[150:153], v2 offset0:99 offset1:100
	ds_load_2addr_b64 v[154:157], v2 offset0:101 offset1:102
	scratch_load_b128 v[158:161], off, off offset:384
	s_mov_b32 s0, exec_lo
	s_wait_loadcnt_dscnt 0x601
	v_fma_f64 v[162:163], v[128:129], v[150:151], 0
	s_wait_loadcnt 0x5
	s_delay_alu instid0(VALU_DEP_1) | instskip(SKIP_4) | instid1(VALU_DEP_1)
	v_fmac_f64_e32 v[162:163], v[130:131], v[152:153]
	scratch_load_b128 v[128:131], off, off offset:400
	s_wait_dscnt 0x0
	v_fmac_f64_e32 v[162:163], v[132:133], v[154:155]
	s_wait_loadcnt 0x5
	v_fmac_f64_e32 v[162:163], v[134:135], v[156:157]
	ds_load_2addr_b64 v[132:135], v2 offset0:103 offset1:104
	ds_load_2addr_b64 v[150:153], v2 offset0:105 offset1:106
	s_wait_dscnt 0x1
	v_fmac_f64_e32 v[162:163], v[136:137], v[132:133]
	s_wait_loadcnt 0x4
	s_delay_alu instid0(VALU_DEP_1)
	v_fmac_f64_e32 v[162:163], v[138:139], v[134:135]
	s_clause 0x1
	scratch_load_b128 v[132:135], off, off offset:416
	scratch_load_b128 v[136:139], off, off offset:432
	s_wait_dscnt 0x0
	v_fmac_f64_e32 v[162:163], v[140:141], v[150:151]
	s_wait_loadcnt 0x5
	s_delay_alu instid0(VALU_DEP_1)
	v_fmac_f64_e32 v[162:163], v[142:143], v[152:153]
	ds_load_2addr_b64 v[140:143], v2 offset0:107 offset1:108
	ds_load_2addr_b64 v[150:153], v2 offset0:109 offset1:110
	s_wait_dscnt 0x1
	v_fmac_f64_e32 v[162:163], v[144:145], v[140:141]
	s_wait_loadcnt 0x4
	s_delay_alu instid0(VALU_DEP_1)
	v_fmac_f64_e32 v[162:163], v[146:147], v[142:143]
	s_clause 0x1
	scratch_load_b128 v[140:143], off, off offset:448
	scratch_load_b128 v[144:147], off, off offset:464
	s_wait_dscnt 0x0
	v_fmac_f64_e32 v[162:163], v[148:149], v[150:151]
	s_wait_loadcnt 0x5
	s_delay_alu instid0(VALU_DEP_1)
	v_fmac_f64_e32 v[162:163], v[158:159], v[152:153]
	ds_load_2addr_b64 v[148:151], v2 offset0:111 offset1:112
	ds_load_2addr_b64 v[152:155], v2 offset0:113 offset1:114
	scratch_load_b64 v[156:157], off, off offset:480
	s_wait_dscnt 0x1
	v_fmac_f64_e32 v[162:163], v[160:161], v[148:149]
	s_wait_loadcnt 0x5
	s_delay_alu instid0(VALU_DEP_1) | instskip(SKIP_1) | instid1(VALU_DEP_1)
	v_fmac_f64_e32 v[162:163], v[128:129], v[150:151]
	s_wait_dscnt 0x0
	v_fmac_f64_e32 v[162:163], v[130:131], v[152:153]
	ds_load_2addr_b64 v[128:131], v2 offset0:115 offset1:116
	ds_load_2addr_b64 v[148:151], v2 offset0:117 offset1:118
	s_wait_loadcnt 0x4
	v_fmac_f64_e32 v[162:163], v[132:133], v[154:155]
	s_wait_dscnt 0x1
	s_delay_alu instid0(VALU_DEP_1) | instskip(SKIP_1) | instid1(VALU_DEP_1)
	v_fmac_f64_e32 v[162:163], v[134:135], v[128:129]
	s_wait_loadcnt 0x3
	v_fmac_f64_e32 v[162:163], v[136:137], v[130:131]
	ds_load_2addr_b64 v[128:131], v2 offset0:119 offset1:120
	ds_load_2addr_b64 v[132:135], v2 offset0:121 offset1:122
	s_wait_dscnt 0x2
	v_fmac_f64_e32 v[162:163], v[138:139], v[148:149]
	s_wait_loadcnt 0x2
	s_delay_alu instid0(VALU_DEP_1) | instskip(SKIP_1) | instid1(VALU_DEP_1)
	v_fmac_f64_e32 v[162:163], v[140:141], v[150:151]
	s_wait_dscnt 0x1
	v_fmac_f64_e32 v[162:163], v[142:143], v[128:129]
	s_wait_loadcnt 0x1
	s_delay_alu instid0(VALU_DEP_1) | instskip(SKIP_1) | instid1(VALU_DEP_1)
	v_fmac_f64_e32 v[162:163], v[144:145], v[130:131]
	s_wait_dscnt 0x0
	v_fmac_f64_e32 v[162:163], v[146:147], v[132:133]
	s_wait_loadcnt 0x0
	s_delay_alu instid0(VALU_DEP_1) | instskip(NEXT) | instid1(VALU_DEP_1)
	v_fmac_f64_e32 v[162:163], v[156:157], v[134:135]
	v_add_f64_e64 v[2:3], v[126:127], -v[162:163]
	scratch_store_b64 off, v[2:3], off offset:288
	s_wait_xcnt 0x0
	v_cmpx_lt_u32_e32 35, v0
	s_cbranch_execz .LBB124_305
; %bb.304:
	scratch_load_b64 v[2:3], off, off offset:280
	v_mov_b64_e32 v[126:127], 0
	scratch_store_b64 off, v[126:127], off offset:280
	s_wait_loadcnt 0x0
	ds_store_b64 v1, v[2:3]
.LBB124_305:
	s_wait_xcnt 0x0
	s_or_b32 exec_lo, exec_lo, s0
	s_wait_storecnt_dscnt 0x0
	s_barrier_signal -1
	s_barrier_wait -1
	s_clause 0x5
	scratch_load_b128 v[126:129], off, off offset:280
	scratch_load_b128 v[130:133], off, off offset:296
	scratch_load_b128 v[134:137], off, off offset:312
	scratch_load_b128 v[138:141], off, off offset:328
	scratch_load_b128 v[142:145], off, off offset:344
	scratch_load_b128 v[146:149], off, off offset:360
	v_mov_b32_e32 v2, 0
	ds_load_b128 v[150:153], v2 offset:784
	ds_load_b128 v[154:157], v2 offset:800
	scratch_load_b128 v[158:161], off, off offset:376
	s_mov_b32 s0, exec_lo
	s_wait_loadcnt_dscnt 0x601
	v_fma_f64 v[162:163], v[128:129], v[150:151], 0
	s_wait_loadcnt 0x5
	s_delay_alu instid0(VALU_DEP_1) | instskip(SKIP_4) | instid1(VALU_DEP_1)
	v_fmac_f64_e32 v[162:163], v[130:131], v[152:153]
	scratch_load_b128 v[128:131], off, off offset:392
	s_wait_dscnt 0x0
	v_fmac_f64_e32 v[162:163], v[132:133], v[154:155]
	s_wait_loadcnt 0x5
	v_fmac_f64_e32 v[162:163], v[134:135], v[156:157]
	ds_load_b128 v[132:135], v2 offset:816
	ds_load_b128 v[150:153], v2 offset:832
	s_wait_dscnt 0x1
	v_fmac_f64_e32 v[162:163], v[136:137], v[132:133]
	s_wait_loadcnt 0x4
	s_delay_alu instid0(VALU_DEP_1)
	v_fmac_f64_e32 v[162:163], v[138:139], v[134:135]
	s_clause 0x1
	scratch_load_b128 v[132:135], off, off offset:408
	scratch_load_b128 v[136:139], off, off offset:424
	s_wait_dscnt 0x0
	v_fmac_f64_e32 v[162:163], v[140:141], v[150:151]
	s_wait_loadcnt 0x5
	s_delay_alu instid0(VALU_DEP_1)
	v_fmac_f64_e32 v[162:163], v[142:143], v[152:153]
	ds_load_b128 v[140:143], v2 offset:848
	ds_load_b128 v[150:153], v2 offset:864
	s_wait_dscnt 0x1
	v_fmac_f64_e32 v[162:163], v[144:145], v[140:141]
	s_wait_loadcnt 0x4
	s_delay_alu instid0(VALU_DEP_1)
	v_fmac_f64_e32 v[162:163], v[146:147], v[142:143]
	s_clause 0x1
	scratch_load_b128 v[140:143], off, off offset:440
	scratch_load_b128 v[144:147], off, off offset:456
	s_wait_dscnt 0x0
	v_fmac_f64_e32 v[162:163], v[148:149], v[150:151]
	s_wait_loadcnt 0x5
	s_delay_alu instid0(VALU_DEP_1)
	v_fmac_f64_e32 v[162:163], v[158:159], v[152:153]
	ds_load_b128 v[148:151], v2 offset:880
	ds_load_b128 v[152:155], v2 offset:896
	s_wait_dscnt 0x1
	v_fmac_f64_e32 v[162:163], v[160:161], v[148:149]
	s_wait_loadcnt 0x4
	s_delay_alu instid0(VALU_DEP_1) | instskip(SKIP_4) | instid1(VALU_DEP_1)
	v_fmac_f64_e32 v[162:163], v[128:129], v[150:151]
	scratch_load_b128 v[148:151], off, off offset:472
	s_wait_dscnt 0x0
	v_fmac_f64_e32 v[162:163], v[130:131], v[152:153]
	s_wait_loadcnt 0x4
	v_fmac_f64_e32 v[162:163], v[132:133], v[154:155]
	ds_load_b128 v[128:131], v2 offset:912
	ds_load_b128 v[152:155], v2 offset:928
	s_wait_dscnt 0x1
	v_fmac_f64_e32 v[162:163], v[134:135], v[128:129]
	s_wait_loadcnt 0x3
	s_delay_alu instid0(VALU_DEP_1)
	v_fmac_f64_e32 v[162:163], v[136:137], v[130:131]
	ds_load_b128 v[128:131], v2 offset:944
	ds_load_b128 v[132:135], v2 offset:960
	s_wait_dscnt 0x2
	v_fmac_f64_e32 v[162:163], v[138:139], v[152:153]
	s_wait_loadcnt 0x2
	s_delay_alu instid0(VALU_DEP_1) | instskip(SKIP_1) | instid1(VALU_DEP_1)
	v_fmac_f64_e32 v[162:163], v[140:141], v[154:155]
	s_wait_dscnt 0x1
	v_fmac_f64_e32 v[162:163], v[142:143], v[128:129]
	ds_load_b64 v[128:129], v2 offset:976
	s_wait_loadcnt 0x1
	v_fmac_f64_e32 v[162:163], v[144:145], v[130:131]
	s_wait_dscnt 0x1
	s_delay_alu instid0(VALU_DEP_1) | instskip(SKIP_1) | instid1(VALU_DEP_1)
	v_fmac_f64_e32 v[162:163], v[146:147], v[132:133]
	s_wait_loadcnt 0x0
	v_fmac_f64_e32 v[162:163], v[148:149], v[134:135]
	s_wait_dscnt 0x0
	s_delay_alu instid0(VALU_DEP_1) | instskip(NEXT) | instid1(VALU_DEP_1)
	v_fmac_f64_e32 v[162:163], v[150:151], v[128:129]
	v_add_f64_e64 v[126:127], v[126:127], -v[162:163]
	scratch_store_b64 off, v[126:127], off offset:280
	s_wait_xcnt 0x0
	v_cmpx_lt_u32_e32 34, v0
	s_cbranch_execz .LBB124_307
; %bb.306:
	scratch_load_b64 v[126:127], off, off offset:272
	v_mov_b64_e32 v[128:129], 0
	scratch_store_b64 off, v[128:129], off offset:272
	s_wait_loadcnt 0x0
	ds_store_b64 v1, v[126:127]
.LBB124_307:
	s_wait_xcnt 0x0
	s_or_b32 exec_lo, exec_lo, s0
	s_wait_storecnt_dscnt 0x0
	s_barrier_signal -1
	s_barrier_wait -1
	s_clause 0x5
	scratch_load_b128 v[126:129], off, off offset:272
	scratch_load_b128 v[130:133], off, off offset:288
	;; [unrolled: 1-line block ×6, first 2 shown]
	ds_load_2addr_b64 v[150:153], v2 offset0:97 offset1:98
	ds_load_2addr_b64 v[154:157], v2 offset0:99 offset1:100
	scratch_load_b128 v[158:161], off, off offset:368
	s_mov_b32 s0, exec_lo
	s_wait_loadcnt_dscnt 0x601
	v_fma_f64 v[162:163], v[128:129], v[150:151], 0
	s_wait_loadcnt 0x5
	s_delay_alu instid0(VALU_DEP_1) | instskip(SKIP_4) | instid1(VALU_DEP_1)
	v_fmac_f64_e32 v[162:163], v[130:131], v[152:153]
	scratch_load_b128 v[128:131], off, off offset:384
	s_wait_dscnt 0x0
	v_fmac_f64_e32 v[162:163], v[132:133], v[154:155]
	s_wait_loadcnt 0x5
	v_fmac_f64_e32 v[162:163], v[134:135], v[156:157]
	ds_load_2addr_b64 v[132:135], v2 offset0:101 offset1:102
	ds_load_2addr_b64 v[150:153], v2 offset0:103 offset1:104
	scratch_load_b128 v[154:157], off, off offset:400
	s_wait_dscnt 0x1
	v_fmac_f64_e32 v[162:163], v[136:137], v[132:133]
	s_wait_loadcnt 0x5
	s_delay_alu instid0(VALU_DEP_1) | instskip(SKIP_4) | instid1(VALU_DEP_1)
	v_fmac_f64_e32 v[162:163], v[138:139], v[134:135]
	scratch_load_b128 v[132:135], off, off offset:416
	s_wait_dscnt 0x0
	v_fmac_f64_e32 v[162:163], v[140:141], v[150:151]
	s_wait_loadcnt 0x5
	v_fmac_f64_e32 v[162:163], v[142:143], v[152:153]
	ds_load_2addr_b64 v[136:139], v2 offset0:105 offset1:106
	ds_load_2addr_b64 v[140:143], v2 offset0:107 offset1:108
	s_wait_dscnt 0x1
	v_fmac_f64_e32 v[162:163], v[144:145], v[136:137]
	s_wait_loadcnt 0x4
	s_delay_alu instid0(VALU_DEP_1) | instskip(SKIP_4) | instid1(VALU_DEP_1)
	v_fmac_f64_e32 v[162:163], v[146:147], v[138:139]
	scratch_load_b128 v[136:139], off, off offset:432
	s_wait_dscnt 0x0
	v_fmac_f64_e32 v[162:163], v[148:149], v[140:141]
	s_wait_loadcnt 0x4
	v_fmac_f64_e32 v[162:163], v[158:159], v[142:143]
	scratch_load_b128 v[140:143], off, off offset:448
	ds_load_2addr_b64 v[144:147], v2 offset0:109 offset1:110
	ds_load_2addr_b64 v[148:151], v2 offset0:111 offset1:112
	scratch_load_b64 v[152:153], off, off offset:480
	s_wait_dscnt 0x1
	v_fmac_f64_e32 v[162:163], v[160:161], v[144:145]
	s_wait_loadcnt 0x5
	s_delay_alu instid0(VALU_DEP_1) | instskip(SKIP_4) | instid1(VALU_DEP_1)
	v_fmac_f64_e32 v[162:163], v[128:129], v[146:147]
	scratch_load_b128 v[144:147], off, off offset:464
	s_wait_dscnt 0x0
	v_fmac_f64_e32 v[162:163], v[130:131], v[148:149]
	s_wait_loadcnt 0x5
	v_fmac_f64_e32 v[162:163], v[154:155], v[150:151]
	ds_load_2addr_b64 v[128:131], v2 offset0:113 offset1:114
	ds_load_2addr_b64 v[148:151], v2 offset0:115 offset1:116
	s_wait_dscnt 0x1
	v_fmac_f64_e32 v[162:163], v[156:157], v[128:129]
	s_wait_loadcnt 0x4
	s_delay_alu instid0(VALU_DEP_1) | instskip(SKIP_1) | instid1(VALU_DEP_1)
	v_fmac_f64_e32 v[162:163], v[132:133], v[130:131]
	s_wait_dscnt 0x0
	v_fmac_f64_e32 v[162:163], v[134:135], v[148:149]
	ds_load_2addr_b64 v[128:131], v2 offset0:117 offset1:118
	ds_load_2addr_b64 v[132:135], v2 offset0:119 offset1:120
	s_wait_loadcnt 0x3
	v_fmac_f64_e32 v[162:163], v[136:137], v[150:151]
	s_wait_dscnt 0x1
	s_delay_alu instid0(VALU_DEP_1) | instskip(SKIP_1) | instid1(VALU_DEP_1)
	v_fmac_f64_e32 v[162:163], v[138:139], v[128:129]
	s_wait_loadcnt 0x2
	v_fmac_f64_e32 v[162:163], v[140:141], v[130:131]
	ds_load_2addr_b64 v[128:131], v2 offset0:121 offset1:122
	s_wait_dscnt 0x1
	v_fmac_f64_e32 v[162:163], v[142:143], v[132:133]
	s_wait_loadcnt 0x0
	s_delay_alu instid0(VALU_DEP_1) | instskip(SKIP_1) | instid1(VALU_DEP_1)
	v_fmac_f64_e32 v[162:163], v[144:145], v[134:135]
	s_wait_dscnt 0x0
	v_fmac_f64_e32 v[162:163], v[146:147], v[128:129]
	s_delay_alu instid0(VALU_DEP_1) | instskip(NEXT) | instid1(VALU_DEP_1)
	v_fmac_f64_e32 v[162:163], v[152:153], v[130:131]
	v_add_f64_e64 v[2:3], v[126:127], -v[162:163]
	scratch_store_b64 off, v[2:3], off offset:272
	s_wait_xcnt 0x0
	v_cmpx_lt_u32_e32 33, v0
	s_cbranch_execz .LBB124_309
; %bb.308:
	scratch_load_b64 v[2:3], off, off offset:264
	v_mov_b64_e32 v[126:127], 0
	scratch_store_b64 off, v[126:127], off offset:264
	s_wait_loadcnt 0x0
	ds_store_b64 v1, v[2:3]
.LBB124_309:
	s_wait_xcnt 0x0
	s_or_b32 exec_lo, exec_lo, s0
	s_wait_storecnt_dscnt 0x0
	s_barrier_signal -1
	s_barrier_wait -1
	s_clause 0x5
	scratch_load_b128 v[126:129], off, off offset:264
	scratch_load_b128 v[130:133], off, off offset:280
	;; [unrolled: 1-line block ×6, first 2 shown]
	v_mov_b32_e32 v2, 0
	ds_load_b128 v[150:153], v2 offset:768
	ds_load_b128 v[154:157], v2 offset:784
	scratch_load_b128 v[158:161], off, off offset:360
	s_mov_b32 s0, exec_lo
	s_wait_loadcnt_dscnt 0x601
	v_fma_f64 v[162:163], v[128:129], v[150:151], 0
	s_wait_loadcnt 0x5
	s_delay_alu instid0(VALU_DEP_1) | instskip(SKIP_4) | instid1(VALU_DEP_1)
	v_fmac_f64_e32 v[162:163], v[130:131], v[152:153]
	scratch_load_b128 v[128:131], off, off offset:376
	s_wait_dscnt 0x0
	v_fmac_f64_e32 v[162:163], v[132:133], v[154:155]
	s_wait_loadcnt 0x5
	v_fmac_f64_e32 v[162:163], v[134:135], v[156:157]
	ds_load_b128 v[132:135], v2 offset:800
	ds_load_b128 v[150:153], v2 offset:816
	scratch_load_b128 v[154:157], off, off offset:392
	s_wait_dscnt 0x1
	v_fmac_f64_e32 v[162:163], v[136:137], v[132:133]
	s_wait_loadcnt 0x5
	s_delay_alu instid0(VALU_DEP_1) | instskip(SKIP_4) | instid1(VALU_DEP_1)
	v_fmac_f64_e32 v[162:163], v[138:139], v[134:135]
	scratch_load_b128 v[132:135], off, off offset:408
	s_wait_dscnt 0x0
	v_fmac_f64_e32 v[162:163], v[140:141], v[150:151]
	s_wait_loadcnt 0x5
	v_fmac_f64_e32 v[162:163], v[142:143], v[152:153]
	ds_load_b128 v[136:139], v2 offset:832
	ds_load_b128 v[140:143], v2 offset:848
	s_wait_dscnt 0x1
	v_fmac_f64_e32 v[162:163], v[144:145], v[136:137]
	s_wait_loadcnt 0x4
	s_delay_alu instid0(VALU_DEP_1) | instskip(SKIP_4) | instid1(VALU_DEP_1)
	v_fmac_f64_e32 v[162:163], v[146:147], v[138:139]
	scratch_load_b128 v[136:139], off, off offset:424
	s_wait_dscnt 0x0
	v_fmac_f64_e32 v[162:163], v[148:149], v[140:141]
	s_wait_loadcnt 0x4
	v_fmac_f64_e32 v[162:163], v[158:159], v[142:143]
	scratch_load_b128 v[140:143], off, off offset:440
	ds_load_b128 v[144:147], v2 offset:864
	ds_load_b128 v[148:151], v2 offset:880
	s_wait_dscnt 0x1
	v_fmac_f64_e32 v[162:163], v[160:161], v[144:145]
	s_wait_loadcnt 0x4
	s_delay_alu instid0(VALU_DEP_1)
	v_fmac_f64_e32 v[162:163], v[128:129], v[146:147]
	scratch_load_b128 v[144:147], off, off offset:456
	s_wait_dscnt 0x0
	v_fmac_f64_e32 v[162:163], v[130:131], v[148:149]
	scratch_load_b128 v[128:131], off, off offset:472
	s_wait_loadcnt 0x5
	v_fmac_f64_e32 v[162:163], v[154:155], v[150:151]
	ds_load_b128 v[148:151], v2 offset:896
	ds_load_b128 v[152:155], v2 offset:912
	s_wait_dscnt 0x1
	v_fmac_f64_e32 v[162:163], v[156:157], v[148:149]
	s_wait_loadcnt 0x4
	s_delay_alu instid0(VALU_DEP_1) | instskip(SKIP_1) | instid1(VALU_DEP_1)
	v_fmac_f64_e32 v[162:163], v[132:133], v[150:151]
	s_wait_dscnt 0x0
	v_fmac_f64_e32 v[162:163], v[134:135], v[152:153]
	ds_load_b128 v[132:135], v2 offset:928
	ds_load_b128 v[148:151], v2 offset:944
	s_wait_loadcnt 0x3
	v_fmac_f64_e32 v[162:163], v[136:137], v[154:155]
	s_wait_dscnt 0x1
	s_delay_alu instid0(VALU_DEP_1) | instskip(SKIP_1) | instid1(VALU_DEP_1)
	v_fmac_f64_e32 v[162:163], v[138:139], v[132:133]
	s_wait_loadcnt 0x2
	v_fmac_f64_e32 v[162:163], v[140:141], v[134:135]
	ds_load_b128 v[132:135], v2 offset:960
	ds_load_b64 v[136:137], v2 offset:976
	s_wait_dscnt 0x2
	v_fmac_f64_e32 v[162:163], v[142:143], v[148:149]
	s_wait_loadcnt 0x1
	s_delay_alu instid0(VALU_DEP_1) | instskip(SKIP_1) | instid1(VALU_DEP_1)
	v_fmac_f64_e32 v[162:163], v[144:145], v[150:151]
	s_wait_dscnt 0x1
	v_fmac_f64_e32 v[162:163], v[146:147], v[132:133]
	s_wait_loadcnt 0x0
	s_delay_alu instid0(VALU_DEP_1) | instskip(SKIP_1) | instid1(VALU_DEP_1)
	v_fmac_f64_e32 v[162:163], v[128:129], v[134:135]
	s_wait_dscnt 0x0
	v_fmac_f64_e32 v[162:163], v[130:131], v[136:137]
	s_delay_alu instid0(VALU_DEP_1)
	v_add_f64_e64 v[126:127], v[126:127], -v[162:163]
	scratch_store_b64 off, v[126:127], off offset:264
	s_wait_xcnt 0x0
	v_cmpx_lt_u32_e32 32, v0
	s_cbranch_execz .LBB124_311
; %bb.310:
	scratch_load_b64 v[126:127], off, off offset:256
	v_mov_b64_e32 v[128:129], 0
	scratch_store_b64 off, v[128:129], off offset:256
	s_wait_loadcnt 0x0
	ds_store_b64 v1, v[126:127]
.LBB124_311:
	s_wait_xcnt 0x0
	s_or_b32 exec_lo, exec_lo, s0
	s_wait_storecnt_dscnt 0x0
	s_barrier_signal -1
	s_barrier_wait -1
	s_clause 0x5
	scratch_load_b128 v[126:129], off, off offset:256
	scratch_load_b128 v[130:133], off, off offset:272
	;; [unrolled: 1-line block ×6, first 2 shown]
	ds_load_2addr_b64 v[150:153], v2 offset0:95 offset1:96
	ds_load_2addr_b64 v[154:157], v2 offset0:97 offset1:98
	scratch_load_b128 v[158:161], off, off offset:352
	s_mov_b32 s0, exec_lo
	s_wait_loadcnt_dscnt 0x601
	v_fma_f64 v[162:163], v[128:129], v[150:151], 0
	s_wait_loadcnt 0x5
	s_delay_alu instid0(VALU_DEP_1) | instskip(SKIP_4) | instid1(VALU_DEP_1)
	v_fmac_f64_e32 v[162:163], v[130:131], v[152:153]
	scratch_load_b128 v[128:131], off, off offset:368
	s_wait_dscnt 0x0
	v_fmac_f64_e32 v[162:163], v[132:133], v[154:155]
	s_wait_loadcnt 0x5
	v_fmac_f64_e32 v[162:163], v[134:135], v[156:157]
	ds_load_2addr_b64 v[132:135], v2 offset0:99 offset1:100
	ds_load_2addr_b64 v[150:153], v2 offset0:101 offset1:102
	scratch_load_b128 v[154:157], off, off offset:384
	s_wait_dscnt 0x1
	v_fmac_f64_e32 v[162:163], v[136:137], v[132:133]
	s_wait_loadcnt 0x5
	s_delay_alu instid0(VALU_DEP_1) | instskip(SKIP_4) | instid1(VALU_DEP_1)
	v_fmac_f64_e32 v[162:163], v[138:139], v[134:135]
	scratch_load_b128 v[132:135], off, off offset:400
	s_wait_dscnt 0x0
	v_fmac_f64_e32 v[162:163], v[140:141], v[150:151]
	s_wait_loadcnt 0x5
	v_fmac_f64_e32 v[162:163], v[142:143], v[152:153]
	ds_load_2addr_b64 v[136:139], v2 offset0:103 offset1:104
	ds_load_2addr_b64 v[140:143], v2 offset0:105 offset1:106
	s_wait_dscnt 0x1
	v_fmac_f64_e32 v[162:163], v[144:145], v[136:137]
	s_wait_loadcnt 0x4
	s_delay_alu instid0(VALU_DEP_1) | instskip(SKIP_4) | instid1(VALU_DEP_1)
	v_fmac_f64_e32 v[162:163], v[146:147], v[138:139]
	scratch_load_b128 v[136:139], off, off offset:416
	s_wait_dscnt 0x0
	v_fmac_f64_e32 v[162:163], v[148:149], v[140:141]
	s_wait_loadcnt 0x4
	v_fmac_f64_e32 v[162:163], v[158:159], v[142:143]
	scratch_load_b128 v[140:143], off, off offset:432
	ds_load_2addr_b64 v[144:147], v2 offset0:107 offset1:108
	ds_load_2addr_b64 v[148:151], v2 offset0:109 offset1:110
	s_wait_dscnt 0x1
	v_fmac_f64_e32 v[162:163], v[160:161], v[144:145]
	s_wait_loadcnt 0x4
	s_delay_alu instid0(VALU_DEP_1)
	v_fmac_f64_e32 v[162:163], v[128:129], v[146:147]
	scratch_load_b128 v[144:147], off, off offset:448
	s_wait_dscnt 0x0
	v_fmac_f64_e32 v[162:163], v[130:131], v[148:149]
	scratch_load_b128 v[128:131], off, off offset:464
	s_wait_loadcnt 0x5
	v_fmac_f64_e32 v[162:163], v[154:155], v[150:151]
	ds_load_2addr_b64 v[148:151], v2 offset0:111 offset1:112
	ds_load_2addr_b64 v[152:155], v2 offset0:113 offset1:114
	s_wait_dscnt 0x1
	v_fmac_f64_e32 v[162:163], v[156:157], v[148:149]
	scratch_load_b64 v[156:157], off, off offset:480
	s_wait_loadcnt 0x5
	v_fmac_f64_e32 v[162:163], v[132:133], v[150:151]
	s_wait_dscnt 0x0
	s_delay_alu instid0(VALU_DEP_1)
	v_fmac_f64_e32 v[162:163], v[134:135], v[152:153]
	ds_load_2addr_b64 v[132:135], v2 offset0:115 offset1:116
	ds_load_2addr_b64 v[148:151], v2 offset0:117 offset1:118
	s_wait_loadcnt 0x4
	v_fmac_f64_e32 v[162:163], v[136:137], v[154:155]
	s_wait_dscnt 0x1
	s_delay_alu instid0(VALU_DEP_1) | instskip(SKIP_1) | instid1(VALU_DEP_1)
	v_fmac_f64_e32 v[162:163], v[138:139], v[132:133]
	s_wait_loadcnt 0x3
	v_fmac_f64_e32 v[162:163], v[140:141], v[134:135]
	ds_load_2addr_b64 v[132:135], v2 offset0:119 offset1:120
	ds_load_2addr_b64 v[136:139], v2 offset0:121 offset1:122
	s_wait_dscnt 0x2
	v_fmac_f64_e32 v[162:163], v[142:143], v[148:149]
	s_wait_loadcnt 0x2
	s_delay_alu instid0(VALU_DEP_1) | instskip(SKIP_1) | instid1(VALU_DEP_1)
	v_fmac_f64_e32 v[162:163], v[144:145], v[150:151]
	s_wait_dscnt 0x1
	v_fmac_f64_e32 v[162:163], v[146:147], v[132:133]
	s_wait_loadcnt 0x1
	s_delay_alu instid0(VALU_DEP_1) | instskip(SKIP_1) | instid1(VALU_DEP_1)
	v_fmac_f64_e32 v[162:163], v[128:129], v[134:135]
	s_wait_dscnt 0x0
	v_fmac_f64_e32 v[162:163], v[130:131], v[136:137]
	s_wait_loadcnt 0x0
	s_delay_alu instid0(VALU_DEP_1) | instskip(NEXT) | instid1(VALU_DEP_1)
	v_fmac_f64_e32 v[162:163], v[156:157], v[138:139]
	v_add_f64_e64 v[2:3], v[126:127], -v[162:163]
	scratch_store_b64 off, v[2:3], off offset:256
	s_wait_xcnt 0x0
	v_cmpx_lt_u32_e32 31, v0
	s_cbranch_execz .LBB124_313
; %bb.312:
	scratch_load_b64 v[2:3], off, off offset:248
	v_mov_b64_e32 v[126:127], 0
	scratch_store_b64 off, v[126:127], off offset:248
	s_wait_loadcnt 0x0
	ds_store_b64 v1, v[2:3]
.LBB124_313:
	s_wait_xcnt 0x0
	s_or_b32 exec_lo, exec_lo, s0
	s_wait_storecnt_dscnt 0x0
	s_barrier_signal -1
	s_barrier_wait -1
	s_clause 0x5
	scratch_load_b128 v[126:129], off, off offset:248
	scratch_load_b128 v[130:133], off, off offset:264
	;; [unrolled: 1-line block ×6, first 2 shown]
	v_mov_b32_e32 v2, 0
	ds_load_b128 v[150:153], v2 offset:752
	ds_load_b128 v[154:157], v2 offset:768
	scratch_load_b128 v[158:161], off, off offset:344
	s_mov_b32 s0, exec_lo
	s_wait_loadcnt_dscnt 0x601
	v_fma_f64 v[162:163], v[128:129], v[150:151], 0
	s_wait_loadcnt 0x5
	s_delay_alu instid0(VALU_DEP_1) | instskip(SKIP_4) | instid1(VALU_DEP_1)
	v_fmac_f64_e32 v[162:163], v[130:131], v[152:153]
	scratch_load_b128 v[128:131], off, off offset:360
	s_wait_dscnt 0x0
	v_fmac_f64_e32 v[162:163], v[132:133], v[154:155]
	s_wait_loadcnt 0x5
	v_fmac_f64_e32 v[162:163], v[134:135], v[156:157]
	ds_load_b128 v[132:135], v2 offset:784
	ds_load_b128 v[150:153], v2 offset:800
	scratch_load_b128 v[154:157], off, off offset:376
	s_wait_dscnt 0x1
	v_fmac_f64_e32 v[162:163], v[136:137], v[132:133]
	s_wait_loadcnt 0x5
	s_delay_alu instid0(VALU_DEP_1) | instskip(SKIP_4) | instid1(VALU_DEP_1)
	v_fmac_f64_e32 v[162:163], v[138:139], v[134:135]
	scratch_load_b128 v[132:135], off, off offset:392
	s_wait_dscnt 0x0
	v_fmac_f64_e32 v[162:163], v[140:141], v[150:151]
	s_wait_loadcnt 0x5
	v_fmac_f64_e32 v[162:163], v[142:143], v[152:153]
	ds_load_b128 v[136:139], v2 offset:816
	ds_load_b128 v[140:143], v2 offset:832
	s_wait_dscnt 0x1
	v_fmac_f64_e32 v[162:163], v[144:145], v[136:137]
	s_wait_loadcnt 0x4
	s_delay_alu instid0(VALU_DEP_1) | instskip(SKIP_4) | instid1(VALU_DEP_1)
	v_fmac_f64_e32 v[162:163], v[146:147], v[138:139]
	scratch_load_b128 v[136:139], off, off offset:408
	s_wait_dscnt 0x0
	v_fmac_f64_e32 v[162:163], v[148:149], v[140:141]
	s_wait_loadcnt 0x4
	v_fmac_f64_e32 v[162:163], v[158:159], v[142:143]
	scratch_load_b128 v[140:143], off, off offset:424
	ds_load_b128 v[144:147], v2 offset:848
	ds_load_b128 v[148:151], v2 offset:864
	s_wait_dscnt 0x1
	v_fmac_f64_e32 v[162:163], v[160:161], v[144:145]
	s_wait_loadcnt 0x4
	s_delay_alu instid0(VALU_DEP_1)
	v_fmac_f64_e32 v[162:163], v[128:129], v[146:147]
	scratch_load_b128 v[144:147], off, off offset:440
	s_wait_dscnt 0x0
	v_fmac_f64_e32 v[162:163], v[130:131], v[148:149]
	scratch_load_b128 v[128:131], off, off offset:456
	s_wait_loadcnt 0x5
	v_fmac_f64_e32 v[162:163], v[154:155], v[150:151]
	ds_load_b128 v[148:151], v2 offset:880
	ds_load_b128 v[152:155], v2 offset:896
	s_wait_dscnt 0x1
	v_fmac_f64_e32 v[162:163], v[156:157], v[148:149]
	s_wait_loadcnt 0x4
	s_delay_alu instid0(VALU_DEP_1) | instskip(SKIP_4) | instid1(VALU_DEP_1)
	v_fmac_f64_e32 v[162:163], v[132:133], v[150:151]
	scratch_load_b128 v[148:151], off, off offset:472
	s_wait_dscnt 0x0
	v_fmac_f64_e32 v[162:163], v[134:135], v[152:153]
	s_wait_loadcnt 0x4
	v_fmac_f64_e32 v[162:163], v[136:137], v[154:155]
	ds_load_b128 v[132:135], v2 offset:912
	ds_load_b128 v[152:155], v2 offset:928
	s_wait_dscnt 0x1
	v_fmac_f64_e32 v[162:163], v[138:139], v[132:133]
	s_wait_loadcnt 0x3
	s_delay_alu instid0(VALU_DEP_1)
	v_fmac_f64_e32 v[162:163], v[140:141], v[134:135]
	ds_load_b128 v[132:135], v2 offset:944
	ds_load_b128 v[136:139], v2 offset:960
	s_wait_dscnt 0x2
	v_fmac_f64_e32 v[162:163], v[142:143], v[152:153]
	s_wait_loadcnt 0x2
	s_delay_alu instid0(VALU_DEP_1) | instskip(SKIP_1) | instid1(VALU_DEP_1)
	v_fmac_f64_e32 v[162:163], v[144:145], v[154:155]
	s_wait_dscnt 0x1
	v_fmac_f64_e32 v[162:163], v[146:147], v[132:133]
	s_wait_loadcnt 0x1
	s_delay_alu instid0(VALU_DEP_1) | instskip(SKIP_4) | instid1(VALU_DEP_1)
	v_fmac_f64_e32 v[162:163], v[128:129], v[134:135]
	ds_load_b64 v[128:129], v2 offset:976
	s_wait_dscnt 0x1
	v_fmac_f64_e32 v[162:163], v[130:131], v[136:137]
	s_wait_loadcnt 0x0
	v_fmac_f64_e32 v[162:163], v[148:149], v[138:139]
	s_wait_dscnt 0x0
	s_delay_alu instid0(VALU_DEP_1) | instskip(NEXT) | instid1(VALU_DEP_1)
	v_fmac_f64_e32 v[162:163], v[150:151], v[128:129]
	v_add_f64_e64 v[126:127], v[126:127], -v[162:163]
	scratch_store_b64 off, v[126:127], off offset:248
	s_wait_xcnt 0x0
	v_cmpx_lt_u32_e32 30, v0
	s_cbranch_execz .LBB124_315
; %bb.314:
	scratch_load_b64 v[126:127], off, off offset:240
	v_mov_b64_e32 v[128:129], 0
	scratch_store_b64 off, v[128:129], off offset:240
	s_wait_loadcnt 0x0
	ds_store_b64 v1, v[126:127]
.LBB124_315:
	s_wait_xcnt 0x0
	s_or_b32 exec_lo, exec_lo, s0
	s_wait_storecnt_dscnt 0x0
	s_barrier_signal -1
	s_barrier_wait -1
	s_clause 0x5
	scratch_load_b128 v[126:129], off, off offset:240
	scratch_load_b128 v[130:133], off, off offset:256
	;; [unrolled: 1-line block ×6, first 2 shown]
	ds_load_2addr_b64 v[150:153], v2 offset0:93 offset1:94
	ds_load_2addr_b64 v[154:157], v2 offset0:95 offset1:96
	scratch_load_b128 v[158:161], off, off offset:336
	s_mov_b32 s0, exec_lo
	s_wait_loadcnt_dscnt 0x601
	v_fma_f64 v[162:163], v[128:129], v[150:151], 0
	s_wait_loadcnt 0x5
	s_delay_alu instid0(VALU_DEP_1) | instskip(SKIP_4) | instid1(VALU_DEP_1)
	v_fmac_f64_e32 v[162:163], v[130:131], v[152:153]
	scratch_load_b128 v[128:131], off, off offset:352
	s_wait_dscnt 0x0
	v_fmac_f64_e32 v[162:163], v[132:133], v[154:155]
	s_wait_loadcnt 0x5
	v_fmac_f64_e32 v[162:163], v[134:135], v[156:157]
	ds_load_2addr_b64 v[132:135], v2 offset0:97 offset1:98
	ds_load_2addr_b64 v[150:153], v2 offset0:99 offset1:100
	scratch_load_b128 v[154:157], off, off offset:368
	s_wait_dscnt 0x1
	v_fmac_f64_e32 v[162:163], v[136:137], v[132:133]
	s_wait_loadcnt 0x5
	s_delay_alu instid0(VALU_DEP_1) | instskip(SKIP_4) | instid1(VALU_DEP_1)
	v_fmac_f64_e32 v[162:163], v[138:139], v[134:135]
	scratch_load_b128 v[132:135], off, off offset:384
	s_wait_dscnt 0x0
	v_fmac_f64_e32 v[162:163], v[140:141], v[150:151]
	s_wait_loadcnt 0x5
	v_fmac_f64_e32 v[162:163], v[142:143], v[152:153]
	ds_load_2addr_b64 v[136:139], v2 offset0:101 offset1:102
	ds_load_2addr_b64 v[140:143], v2 offset0:103 offset1:104
	scratch_load_b128 v[150:153], off, off offset:400
	s_wait_dscnt 0x1
	v_fmac_f64_e32 v[162:163], v[144:145], v[136:137]
	s_wait_loadcnt 0x5
	s_delay_alu instid0(VALU_DEP_1) | instskip(SKIP_4) | instid1(VALU_DEP_1)
	v_fmac_f64_e32 v[162:163], v[146:147], v[138:139]
	scratch_load_b128 v[136:139], off, off offset:416
	s_wait_dscnt 0x0
	v_fmac_f64_e32 v[162:163], v[148:149], v[140:141]
	s_wait_loadcnt 0x5
	v_fmac_f64_e32 v[162:163], v[158:159], v[142:143]
	ds_load_2addr_b64 v[140:143], v2 offset0:105 offset1:106
	ds_load_2addr_b64 v[144:147], v2 offset0:107 offset1:108
	s_wait_dscnt 0x1
	v_fmac_f64_e32 v[162:163], v[160:161], v[140:141]
	s_wait_loadcnt 0x4
	s_delay_alu instid0(VALU_DEP_1)
	v_fmac_f64_e32 v[162:163], v[128:129], v[142:143]
	scratch_load_b128 v[140:143], off, off offset:432
	s_wait_dscnt 0x0
	v_fmac_f64_e32 v[162:163], v[130:131], v[144:145]
	scratch_load_b128 v[128:131], off, off offset:448
	s_wait_loadcnt 0x5
	v_fmac_f64_e32 v[162:163], v[154:155], v[146:147]
	ds_load_2addr_b64 v[144:147], v2 offset0:109 offset1:110
	ds_load_2addr_b64 v[158:161], v2 offset0:111 offset1:112
	scratch_load_b64 v[154:155], off, off offset:480
	s_wait_dscnt 0x1
	v_fmac_f64_e32 v[162:163], v[156:157], v[144:145]
	s_wait_loadcnt 0x5
	s_delay_alu instid0(VALU_DEP_1) | instskip(SKIP_4) | instid1(VALU_DEP_1)
	v_fmac_f64_e32 v[162:163], v[132:133], v[146:147]
	scratch_load_b128 v[144:147], off, off offset:464
	s_wait_dscnt 0x0
	v_fmac_f64_e32 v[162:163], v[134:135], v[158:159]
	s_wait_loadcnt 0x5
	v_fmac_f64_e32 v[162:163], v[150:151], v[160:161]
	ds_load_2addr_b64 v[132:135], v2 offset0:113 offset1:114
	ds_load_2addr_b64 v[148:151], v2 offset0:115 offset1:116
	s_wait_dscnt 0x1
	v_fmac_f64_e32 v[162:163], v[152:153], v[132:133]
	s_wait_loadcnt 0x4
	s_delay_alu instid0(VALU_DEP_1) | instskip(SKIP_1) | instid1(VALU_DEP_1)
	v_fmac_f64_e32 v[162:163], v[136:137], v[134:135]
	s_wait_dscnt 0x0
	v_fmac_f64_e32 v[162:163], v[138:139], v[148:149]
	ds_load_2addr_b64 v[132:135], v2 offset0:117 offset1:118
	ds_load_2addr_b64 v[136:139], v2 offset0:119 offset1:120
	s_wait_loadcnt 0x3
	v_fmac_f64_e32 v[162:163], v[140:141], v[150:151]
	s_wait_dscnt 0x1
	s_delay_alu instid0(VALU_DEP_1) | instskip(SKIP_1) | instid1(VALU_DEP_1)
	v_fmac_f64_e32 v[162:163], v[142:143], v[132:133]
	s_wait_loadcnt 0x2
	v_fmac_f64_e32 v[162:163], v[128:129], v[134:135]
	s_wait_dscnt 0x0
	s_delay_alu instid0(VALU_DEP_1) | instskip(SKIP_4) | instid1(VALU_DEP_1)
	v_fmac_f64_e32 v[162:163], v[130:131], v[136:137]
	ds_load_2addr_b64 v[128:131], v2 offset0:121 offset1:122
	s_wait_loadcnt 0x0
	v_fmac_f64_e32 v[162:163], v[144:145], v[138:139]
	s_wait_dscnt 0x0
	v_fmac_f64_e32 v[162:163], v[146:147], v[128:129]
	s_delay_alu instid0(VALU_DEP_1) | instskip(NEXT) | instid1(VALU_DEP_1)
	v_fmac_f64_e32 v[162:163], v[154:155], v[130:131]
	v_add_f64_e64 v[2:3], v[126:127], -v[162:163]
	scratch_store_b64 off, v[2:3], off offset:240
	s_wait_xcnt 0x0
	v_cmpx_lt_u32_e32 29, v0
	s_cbranch_execz .LBB124_317
; %bb.316:
	scratch_load_b64 v[2:3], off, off offset:232
	v_mov_b64_e32 v[126:127], 0
	scratch_store_b64 off, v[126:127], off offset:232
	s_wait_loadcnt 0x0
	ds_store_b64 v1, v[2:3]
.LBB124_317:
	s_wait_xcnt 0x0
	s_or_b32 exec_lo, exec_lo, s0
	s_wait_storecnt_dscnt 0x0
	s_barrier_signal -1
	s_barrier_wait -1
	s_clause 0x5
	scratch_load_b128 v[126:129], off, off offset:232
	scratch_load_b128 v[130:133], off, off offset:248
	;; [unrolled: 1-line block ×6, first 2 shown]
	v_mov_b32_e32 v2, 0
	ds_load_b128 v[150:153], v2 offset:736
	ds_load_b128 v[154:157], v2 offset:752
	scratch_load_b128 v[158:161], off, off offset:328
	s_mov_b32 s0, exec_lo
	s_wait_loadcnt_dscnt 0x601
	v_fma_f64 v[162:163], v[128:129], v[150:151], 0
	s_wait_loadcnt 0x5
	s_delay_alu instid0(VALU_DEP_1) | instskip(SKIP_4) | instid1(VALU_DEP_1)
	v_fmac_f64_e32 v[162:163], v[130:131], v[152:153]
	scratch_load_b128 v[128:131], off, off offset:344
	s_wait_dscnt 0x0
	v_fmac_f64_e32 v[162:163], v[132:133], v[154:155]
	s_wait_loadcnt 0x5
	v_fmac_f64_e32 v[162:163], v[134:135], v[156:157]
	ds_load_b128 v[132:135], v2 offset:768
	ds_load_b128 v[150:153], v2 offset:784
	scratch_load_b128 v[154:157], off, off offset:360
	s_wait_dscnt 0x1
	v_fmac_f64_e32 v[162:163], v[136:137], v[132:133]
	s_wait_loadcnt 0x5
	s_delay_alu instid0(VALU_DEP_1) | instskip(SKIP_4) | instid1(VALU_DEP_1)
	v_fmac_f64_e32 v[162:163], v[138:139], v[134:135]
	scratch_load_b128 v[132:135], off, off offset:376
	s_wait_dscnt 0x0
	v_fmac_f64_e32 v[162:163], v[140:141], v[150:151]
	s_wait_loadcnt 0x5
	v_fmac_f64_e32 v[162:163], v[142:143], v[152:153]
	ds_load_b128 v[136:139], v2 offset:800
	ds_load_b128 v[140:143], v2 offset:816
	scratch_load_b128 v[150:153], off, off offset:392
	s_wait_dscnt 0x1
	v_fmac_f64_e32 v[162:163], v[144:145], v[136:137]
	s_wait_loadcnt 0x5
	s_delay_alu instid0(VALU_DEP_1) | instskip(SKIP_4) | instid1(VALU_DEP_1)
	v_fmac_f64_e32 v[162:163], v[146:147], v[138:139]
	scratch_load_b128 v[136:139], off, off offset:408
	s_wait_dscnt 0x0
	v_fmac_f64_e32 v[162:163], v[148:149], v[140:141]
	s_wait_loadcnt 0x5
	v_fmac_f64_e32 v[162:163], v[158:159], v[142:143]
	ds_load_b128 v[140:143], v2 offset:832
	ds_load_b128 v[144:147], v2 offset:848
	s_wait_dscnt 0x1
	v_fmac_f64_e32 v[162:163], v[160:161], v[140:141]
	s_wait_loadcnt 0x4
	s_delay_alu instid0(VALU_DEP_1)
	v_fmac_f64_e32 v[162:163], v[128:129], v[142:143]
	scratch_load_b128 v[140:143], off, off offset:424
	s_wait_dscnt 0x0
	v_fmac_f64_e32 v[162:163], v[130:131], v[144:145]
	scratch_load_b128 v[128:131], off, off offset:440
	s_wait_loadcnt 0x5
	v_fmac_f64_e32 v[162:163], v[154:155], v[146:147]
	ds_load_b128 v[144:147], v2 offset:864
	ds_load_b128 v[158:161], v2 offset:880
	s_wait_dscnt 0x1
	v_fmac_f64_e32 v[162:163], v[156:157], v[144:145]
	s_wait_loadcnt 0x4
	s_delay_alu instid0(VALU_DEP_1)
	v_fmac_f64_e32 v[162:163], v[132:133], v[146:147]
	scratch_load_b128 v[144:147], off, off offset:456
	s_wait_dscnt 0x0
	v_fmac_f64_e32 v[162:163], v[134:135], v[158:159]
	scratch_load_b128 v[132:135], off, off offset:472
	s_wait_loadcnt 0x5
	v_fmac_f64_e32 v[162:163], v[150:151], v[160:161]
	ds_load_b128 v[148:151], v2 offset:896
	ds_load_b128 v[154:157], v2 offset:912
	s_wait_dscnt 0x1
	v_fmac_f64_e32 v[162:163], v[152:153], v[148:149]
	s_wait_loadcnt 0x4
	s_delay_alu instid0(VALU_DEP_1) | instskip(SKIP_1) | instid1(VALU_DEP_1)
	v_fmac_f64_e32 v[162:163], v[136:137], v[150:151]
	s_wait_dscnt 0x0
	v_fmac_f64_e32 v[162:163], v[138:139], v[154:155]
	ds_load_b128 v[136:139], v2 offset:928
	ds_load_b128 v[148:151], v2 offset:944
	s_wait_loadcnt 0x3
	v_fmac_f64_e32 v[162:163], v[140:141], v[156:157]
	s_wait_dscnt 0x1
	s_delay_alu instid0(VALU_DEP_1) | instskip(SKIP_1) | instid1(VALU_DEP_1)
	v_fmac_f64_e32 v[162:163], v[142:143], v[136:137]
	s_wait_loadcnt 0x2
	v_fmac_f64_e32 v[162:163], v[128:129], v[138:139]
	s_wait_dscnt 0x0
	s_delay_alu instid0(VALU_DEP_1)
	v_fmac_f64_e32 v[162:163], v[130:131], v[148:149]
	ds_load_b128 v[128:131], v2 offset:960
	ds_load_b64 v[136:137], v2 offset:976
	s_wait_loadcnt 0x1
	v_fmac_f64_e32 v[162:163], v[144:145], v[150:151]
	s_wait_dscnt 0x1
	s_delay_alu instid0(VALU_DEP_1) | instskip(SKIP_1) | instid1(VALU_DEP_1)
	v_fmac_f64_e32 v[162:163], v[146:147], v[128:129]
	s_wait_loadcnt 0x0
	v_fmac_f64_e32 v[162:163], v[132:133], v[130:131]
	s_wait_dscnt 0x0
	s_delay_alu instid0(VALU_DEP_1) | instskip(NEXT) | instid1(VALU_DEP_1)
	v_fmac_f64_e32 v[162:163], v[134:135], v[136:137]
	v_add_f64_e64 v[126:127], v[126:127], -v[162:163]
	scratch_store_b64 off, v[126:127], off offset:232
	s_wait_xcnt 0x0
	v_cmpx_lt_u32_e32 28, v0
	s_cbranch_execz .LBB124_319
; %bb.318:
	scratch_load_b64 v[126:127], off, off offset:224
	v_mov_b64_e32 v[128:129], 0
	scratch_store_b64 off, v[128:129], off offset:224
	s_wait_loadcnt 0x0
	ds_store_b64 v1, v[126:127]
.LBB124_319:
	s_wait_xcnt 0x0
	s_or_b32 exec_lo, exec_lo, s0
	s_wait_storecnt_dscnt 0x0
	s_barrier_signal -1
	s_barrier_wait -1
	s_clause 0x5
	scratch_load_b128 v[126:129], off, off offset:224
	scratch_load_b128 v[130:133], off, off offset:240
	;; [unrolled: 1-line block ×6, first 2 shown]
	ds_load_2addr_b64 v[150:153], v2 offset0:91 offset1:92
	ds_load_2addr_b64 v[154:157], v2 offset0:93 offset1:94
	scratch_load_b128 v[158:161], off, off offset:320
	s_mov_b32 s0, exec_lo
	s_wait_loadcnt_dscnt 0x601
	v_fma_f64 v[162:163], v[128:129], v[150:151], 0
	s_wait_loadcnt 0x5
	s_delay_alu instid0(VALU_DEP_1) | instskip(SKIP_4) | instid1(VALU_DEP_1)
	v_fmac_f64_e32 v[162:163], v[130:131], v[152:153]
	scratch_load_b128 v[128:131], off, off offset:336
	s_wait_dscnt 0x0
	v_fmac_f64_e32 v[162:163], v[132:133], v[154:155]
	s_wait_loadcnt 0x5
	v_fmac_f64_e32 v[162:163], v[134:135], v[156:157]
	ds_load_2addr_b64 v[132:135], v2 offset0:95 offset1:96
	ds_load_2addr_b64 v[150:153], v2 offset0:97 offset1:98
	scratch_load_b128 v[154:157], off, off offset:352
	s_wait_dscnt 0x1
	v_fmac_f64_e32 v[162:163], v[136:137], v[132:133]
	s_wait_loadcnt 0x5
	s_delay_alu instid0(VALU_DEP_1) | instskip(SKIP_4) | instid1(VALU_DEP_1)
	v_fmac_f64_e32 v[162:163], v[138:139], v[134:135]
	scratch_load_b128 v[132:135], off, off offset:368
	s_wait_dscnt 0x0
	v_fmac_f64_e32 v[162:163], v[140:141], v[150:151]
	s_wait_loadcnt 0x5
	v_fmac_f64_e32 v[162:163], v[142:143], v[152:153]
	ds_load_2addr_b64 v[136:139], v2 offset0:99 offset1:100
	ds_load_2addr_b64 v[140:143], v2 offset0:101 offset1:102
	scratch_load_b128 v[150:153], off, off offset:384
	s_wait_dscnt 0x1
	v_fmac_f64_e32 v[162:163], v[144:145], v[136:137]
	s_wait_loadcnt 0x5
	s_delay_alu instid0(VALU_DEP_1) | instskip(SKIP_4) | instid1(VALU_DEP_1)
	v_fmac_f64_e32 v[162:163], v[146:147], v[138:139]
	scratch_load_b128 v[136:139], off, off offset:400
	s_wait_dscnt 0x0
	v_fmac_f64_e32 v[162:163], v[148:149], v[140:141]
	s_wait_loadcnt 0x5
	v_fmac_f64_e32 v[162:163], v[158:159], v[142:143]
	ds_load_2addr_b64 v[140:143], v2 offset0:103 offset1:104
	ds_load_2addr_b64 v[144:147], v2 offset0:105 offset1:106
	s_wait_dscnt 0x1
	v_fmac_f64_e32 v[162:163], v[160:161], v[140:141]
	s_wait_loadcnt 0x4
	s_delay_alu instid0(VALU_DEP_1)
	v_fmac_f64_e32 v[162:163], v[128:129], v[142:143]
	scratch_load_b128 v[140:143], off, off offset:416
	s_wait_dscnt 0x0
	v_fmac_f64_e32 v[162:163], v[130:131], v[144:145]
	scratch_load_b128 v[128:131], off, off offset:432
	s_wait_loadcnt 0x5
	v_fmac_f64_e32 v[162:163], v[154:155], v[146:147]
	ds_load_2addr_b64 v[144:147], v2 offset0:107 offset1:108
	ds_load_2addr_b64 v[158:161], v2 offset0:109 offset1:110
	s_wait_dscnt 0x1
	v_fmac_f64_e32 v[162:163], v[156:157], v[144:145]
	s_wait_loadcnt 0x4
	s_delay_alu instid0(VALU_DEP_1)
	v_fmac_f64_e32 v[162:163], v[132:133], v[146:147]
	scratch_load_b128 v[144:147], off, off offset:448
	s_wait_dscnt 0x0
	v_fmac_f64_e32 v[162:163], v[134:135], v[158:159]
	scratch_load_b128 v[132:135], off, off offset:464
	s_wait_loadcnt 0x5
	v_fmac_f64_e32 v[162:163], v[150:151], v[160:161]
	ds_load_2addr_b64 v[148:151], v2 offset0:111 offset1:112
	ds_load_2addr_b64 v[154:157], v2 offset0:113 offset1:114
	s_wait_dscnt 0x1
	v_fmac_f64_e32 v[162:163], v[152:153], v[148:149]
	scratch_load_b64 v[152:153], off, off offset:480
	s_wait_loadcnt 0x5
	v_fmac_f64_e32 v[162:163], v[136:137], v[150:151]
	s_wait_dscnt 0x0
	s_delay_alu instid0(VALU_DEP_1)
	v_fmac_f64_e32 v[162:163], v[138:139], v[154:155]
	ds_load_2addr_b64 v[136:139], v2 offset0:115 offset1:116
	ds_load_2addr_b64 v[148:151], v2 offset0:117 offset1:118
	s_wait_loadcnt 0x4
	v_fmac_f64_e32 v[162:163], v[140:141], v[156:157]
	s_wait_dscnt 0x1
	s_delay_alu instid0(VALU_DEP_1) | instskip(SKIP_1) | instid1(VALU_DEP_1)
	v_fmac_f64_e32 v[162:163], v[142:143], v[136:137]
	s_wait_loadcnt 0x3
	v_fmac_f64_e32 v[162:163], v[128:129], v[138:139]
	s_wait_dscnt 0x0
	s_delay_alu instid0(VALU_DEP_1)
	v_fmac_f64_e32 v[162:163], v[130:131], v[148:149]
	ds_load_2addr_b64 v[128:131], v2 offset0:119 offset1:120
	ds_load_2addr_b64 v[136:139], v2 offset0:121 offset1:122
	s_wait_loadcnt 0x2
	v_fmac_f64_e32 v[162:163], v[144:145], v[150:151]
	s_wait_dscnt 0x1
	s_delay_alu instid0(VALU_DEP_1) | instskip(SKIP_1) | instid1(VALU_DEP_1)
	v_fmac_f64_e32 v[162:163], v[146:147], v[128:129]
	s_wait_loadcnt 0x1
	v_fmac_f64_e32 v[162:163], v[132:133], v[130:131]
	s_wait_dscnt 0x0
	s_delay_alu instid0(VALU_DEP_1) | instskip(SKIP_1) | instid1(VALU_DEP_1)
	v_fmac_f64_e32 v[162:163], v[134:135], v[136:137]
	s_wait_loadcnt 0x0
	v_fmac_f64_e32 v[162:163], v[152:153], v[138:139]
	s_delay_alu instid0(VALU_DEP_1)
	v_add_f64_e64 v[2:3], v[126:127], -v[162:163]
	scratch_store_b64 off, v[2:3], off offset:224
	s_wait_xcnt 0x0
	v_cmpx_lt_u32_e32 27, v0
	s_cbranch_execz .LBB124_321
; %bb.320:
	scratch_load_b64 v[2:3], off, off offset:216
	v_mov_b64_e32 v[126:127], 0
	scratch_store_b64 off, v[126:127], off offset:216
	s_wait_loadcnt 0x0
	ds_store_b64 v1, v[2:3]
.LBB124_321:
	s_wait_xcnt 0x0
	s_or_b32 exec_lo, exec_lo, s0
	s_wait_storecnt_dscnt 0x0
	s_barrier_signal -1
	s_barrier_wait -1
	s_clause 0x5
	scratch_load_b128 v[126:129], off, off offset:216
	scratch_load_b128 v[130:133], off, off offset:232
	;; [unrolled: 1-line block ×6, first 2 shown]
	v_mov_b32_e32 v2, 0
	ds_load_b128 v[150:153], v2 offset:720
	ds_load_b128 v[154:157], v2 offset:736
	scratch_load_b128 v[158:161], off, off offset:312
	s_mov_b32 s0, exec_lo
	s_wait_loadcnt_dscnt 0x601
	v_fma_f64 v[162:163], v[128:129], v[150:151], 0
	s_wait_loadcnt 0x5
	s_delay_alu instid0(VALU_DEP_1) | instskip(SKIP_4) | instid1(VALU_DEP_1)
	v_fmac_f64_e32 v[162:163], v[130:131], v[152:153]
	scratch_load_b128 v[128:131], off, off offset:328
	s_wait_dscnt 0x0
	v_fmac_f64_e32 v[162:163], v[132:133], v[154:155]
	s_wait_loadcnt 0x5
	v_fmac_f64_e32 v[162:163], v[134:135], v[156:157]
	ds_load_b128 v[132:135], v2 offset:752
	ds_load_b128 v[150:153], v2 offset:768
	scratch_load_b128 v[154:157], off, off offset:344
	s_wait_dscnt 0x1
	v_fmac_f64_e32 v[162:163], v[136:137], v[132:133]
	s_wait_loadcnt 0x5
	s_delay_alu instid0(VALU_DEP_1) | instskip(SKIP_4) | instid1(VALU_DEP_1)
	v_fmac_f64_e32 v[162:163], v[138:139], v[134:135]
	scratch_load_b128 v[132:135], off, off offset:360
	s_wait_dscnt 0x0
	v_fmac_f64_e32 v[162:163], v[140:141], v[150:151]
	s_wait_loadcnt 0x5
	v_fmac_f64_e32 v[162:163], v[142:143], v[152:153]
	ds_load_b128 v[136:139], v2 offset:784
	ds_load_b128 v[140:143], v2 offset:800
	scratch_load_b128 v[150:153], off, off offset:376
	s_wait_dscnt 0x1
	v_fmac_f64_e32 v[162:163], v[144:145], v[136:137]
	s_wait_loadcnt 0x5
	s_delay_alu instid0(VALU_DEP_1) | instskip(SKIP_4) | instid1(VALU_DEP_1)
	v_fmac_f64_e32 v[162:163], v[146:147], v[138:139]
	scratch_load_b128 v[136:139], off, off offset:392
	s_wait_dscnt 0x0
	v_fmac_f64_e32 v[162:163], v[148:149], v[140:141]
	s_wait_loadcnt 0x5
	v_fmac_f64_e32 v[162:163], v[158:159], v[142:143]
	ds_load_b128 v[140:143], v2 offset:816
	ds_load_b128 v[144:147], v2 offset:832
	s_wait_dscnt 0x1
	v_fmac_f64_e32 v[162:163], v[160:161], v[140:141]
	s_wait_loadcnt 0x4
	s_delay_alu instid0(VALU_DEP_1)
	v_fmac_f64_e32 v[162:163], v[128:129], v[142:143]
	scratch_load_b128 v[140:143], off, off offset:408
	s_wait_dscnt 0x0
	v_fmac_f64_e32 v[162:163], v[130:131], v[144:145]
	scratch_load_b128 v[128:131], off, off offset:424
	s_wait_loadcnt 0x5
	v_fmac_f64_e32 v[162:163], v[154:155], v[146:147]
	ds_load_b128 v[144:147], v2 offset:848
	ds_load_b128 v[158:161], v2 offset:864
	s_wait_dscnt 0x1
	v_fmac_f64_e32 v[162:163], v[156:157], v[144:145]
	s_wait_loadcnt 0x4
	s_delay_alu instid0(VALU_DEP_1)
	v_fmac_f64_e32 v[162:163], v[132:133], v[146:147]
	scratch_load_b128 v[144:147], off, off offset:440
	s_wait_dscnt 0x0
	v_fmac_f64_e32 v[162:163], v[134:135], v[158:159]
	scratch_load_b128 v[132:135], off, off offset:456
	s_wait_loadcnt 0x5
	v_fmac_f64_e32 v[162:163], v[150:151], v[160:161]
	ds_load_b128 v[148:151], v2 offset:880
	ds_load_b128 v[154:157], v2 offset:896
	s_wait_dscnt 0x1
	v_fmac_f64_e32 v[162:163], v[152:153], v[148:149]
	s_wait_loadcnt 0x4
	s_delay_alu instid0(VALU_DEP_1)
	v_fmac_f64_e32 v[162:163], v[136:137], v[150:151]
	scratch_load_b128 v[148:151], off, off offset:472
	s_wait_dscnt 0x0
	v_fmac_f64_e32 v[162:163], v[138:139], v[154:155]
	ds_load_b128 v[136:139], v2 offset:912
	ds_load_b128 v[152:155], v2 offset:928
	s_wait_loadcnt 0x4
	v_fmac_f64_e32 v[162:163], v[140:141], v[156:157]
	s_wait_dscnt 0x1
	s_delay_alu instid0(VALU_DEP_1) | instskip(SKIP_1) | instid1(VALU_DEP_1)
	v_fmac_f64_e32 v[162:163], v[142:143], v[136:137]
	s_wait_loadcnt 0x3
	v_fmac_f64_e32 v[162:163], v[128:129], v[138:139]
	s_wait_dscnt 0x0
	s_delay_alu instid0(VALU_DEP_1)
	v_fmac_f64_e32 v[162:163], v[130:131], v[152:153]
	ds_load_b128 v[128:131], v2 offset:944
	ds_load_b128 v[136:139], v2 offset:960
	s_wait_loadcnt 0x2
	v_fmac_f64_e32 v[162:163], v[144:145], v[154:155]
	s_wait_dscnt 0x1
	s_delay_alu instid0(VALU_DEP_1) | instskip(SKIP_4) | instid1(VALU_DEP_1)
	v_fmac_f64_e32 v[162:163], v[146:147], v[128:129]
	ds_load_b64 v[128:129], v2 offset:976
	s_wait_loadcnt 0x1
	v_fmac_f64_e32 v[162:163], v[132:133], v[130:131]
	s_wait_dscnt 0x1
	v_fmac_f64_e32 v[162:163], v[134:135], v[136:137]
	s_wait_loadcnt 0x0
	s_delay_alu instid0(VALU_DEP_1) | instskip(SKIP_1) | instid1(VALU_DEP_1)
	v_fmac_f64_e32 v[162:163], v[148:149], v[138:139]
	s_wait_dscnt 0x0
	v_fmac_f64_e32 v[162:163], v[150:151], v[128:129]
	s_delay_alu instid0(VALU_DEP_1)
	v_add_f64_e64 v[126:127], v[126:127], -v[162:163]
	scratch_store_b64 off, v[126:127], off offset:216
	s_wait_xcnt 0x0
	v_cmpx_lt_u32_e32 26, v0
	s_cbranch_execz .LBB124_323
; %bb.322:
	scratch_load_b64 v[126:127], off, off offset:208
	v_mov_b64_e32 v[128:129], 0
	scratch_store_b64 off, v[128:129], off offset:208
	s_wait_loadcnt 0x0
	ds_store_b64 v1, v[126:127]
.LBB124_323:
	s_wait_xcnt 0x0
	s_or_b32 exec_lo, exec_lo, s0
	s_wait_storecnt_dscnt 0x0
	s_barrier_signal -1
	s_barrier_wait -1
	s_clause 0x5
	scratch_load_b128 v[126:129], off, off offset:208
	scratch_load_b128 v[130:133], off, off offset:224
	;; [unrolled: 1-line block ×6, first 2 shown]
	ds_load_2addr_b64 v[150:153], v2 offset0:89 offset1:90
	ds_load_2addr_b64 v[154:157], v2 offset0:91 offset1:92
	scratch_load_b128 v[158:161], off, off offset:304
	s_mov_b32 s0, exec_lo
	s_wait_loadcnt_dscnt 0x601
	v_fma_f64 v[162:163], v[128:129], v[150:151], 0
	s_wait_loadcnt 0x5
	s_delay_alu instid0(VALU_DEP_1) | instskip(SKIP_4) | instid1(VALU_DEP_1)
	v_fmac_f64_e32 v[162:163], v[130:131], v[152:153]
	scratch_load_b128 v[128:131], off, off offset:320
	s_wait_dscnt 0x0
	v_fmac_f64_e32 v[162:163], v[132:133], v[154:155]
	s_wait_loadcnt 0x5
	v_fmac_f64_e32 v[162:163], v[134:135], v[156:157]
	ds_load_2addr_b64 v[132:135], v2 offset0:93 offset1:94
	ds_load_2addr_b64 v[150:153], v2 offset0:95 offset1:96
	scratch_load_b128 v[154:157], off, off offset:336
	s_wait_dscnt 0x1
	v_fmac_f64_e32 v[162:163], v[136:137], v[132:133]
	s_wait_loadcnt 0x5
	s_delay_alu instid0(VALU_DEP_1) | instskip(SKIP_4) | instid1(VALU_DEP_1)
	v_fmac_f64_e32 v[162:163], v[138:139], v[134:135]
	scratch_load_b128 v[132:135], off, off offset:352
	s_wait_dscnt 0x0
	v_fmac_f64_e32 v[162:163], v[140:141], v[150:151]
	s_wait_loadcnt 0x5
	v_fmac_f64_e32 v[162:163], v[142:143], v[152:153]
	ds_load_2addr_b64 v[136:139], v2 offset0:97 offset1:98
	ds_load_2addr_b64 v[140:143], v2 offset0:99 offset1:100
	scratch_load_b128 v[150:153], off, off offset:368
	s_wait_dscnt 0x1
	v_fmac_f64_e32 v[162:163], v[144:145], v[136:137]
	s_wait_loadcnt 0x5
	s_delay_alu instid0(VALU_DEP_1) | instskip(SKIP_4) | instid1(VALU_DEP_1)
	v_fmac_f64_e32 v[162:163], v[146:147], v[138:139]
	scratch_load_b128 v[136:139], off, off offset:384
	s_wait_dscnt 0x0
	v_fmac_f64_e32 v[162:163], v[148:149], v[140:141]
	s_wait_loadcnt 0x5
	v_fmac_f64_e32 v[162:163], v[158:159], v[142:143]
	ds_load_2addr_b64 v[140:143], v2 offset0:101 offset1:102
	ds_load_2addr_b64 v[144:147], v2 offset0:103 offset1:104
	s_wait_dscnt 0x1
	v_fmac_f64_e32 v[162:163], v[160:161], v[140:141]
	scratch_load_b128 v[158:161], off, off offset:400
	s_wait_loadcnt 0x5
	v_fmac_f64_e32 v[162:163], v[128:129], v[142:143]
	s_wait_dscnt 0x0
	s_delay_alu instid0(VALU_DEP_1)
	v_fmac_f64_e32 v[162:163], v[130:131], v[144:145]
	scratch_load_b128 v[128:131], off, off offset:416
	s_wait_loadcnt 0x5
	v_fmac_f64_e32 v[162:163], v[154:155], v[146:147]
	ds_load_2addr_b64 v[140:143], v2 offset0:105 offset1:106
	ds_load_2addr_b64 v[144:147], v2 offset0:107 offset1:108
	s_wait_dscnt 0x1
	v_fmac_f64_e32 v[162:163], v[156:157], v[140:141]
	s_wait_loadcnt 0x4
	s_delay_alu instid0(VALU_DEP_1)
	v_fmac_f64_e32 v[162:163], v[132:133], v[142:143]
	scratch_load_b128 v[140:143], off, off offset:432
	s_wait_dscnt 0x0
	v_fmac_f64_e32 v[162:163], v[134:135], v[144:145]
	scratch_load_b128 v[132:135], off, off offset:448
	s_wait_loadcnt 0x5
	v_fmac_f64_e32 v[162:163], v[150:151], v[146:147]
	ds_load_2addr_b64 v[144:147], v2 offset0:109 offset1:110
	ds_load_2addr_b64 v[148:151], v2 offset0:111 offset1:112
	s_wait_dscnt 0x1
	v_fmac_f64_e32 v[162:163], v[152:153], v[144:145]
	scratch_load_b64 v[152:153], off, off offset:480
	s_wait_loadcnt 0x5
	v_fmac_f64_e32 v[162:163], v[136:137], v[146:147]
	scratch_load_b128 v[144:147], off, off offset:464
	s_wait_dscnt 0x0
	v_fmac_f64_e32 v[162:163], v[138:139], v[148:149]
	s_wait_loadcnt 0x5
	s_delay_alu instid0(VALU_DEP_1)
	v_fmac_f64_e32 v[162:163], v[158:159], v[150:151]
	ds_load_2addr_b64 v[136:139], v2 offset0:113 offset1:114
	ds_load_2addr_b64 v[148:151], v2 offset0:115 offset1:116
	s_wait_dscnt 0x1
	v_fmac_f64_e32 v[162:163], v[160:161], v[136:137]
	s_wait_loadcnt 0x4
	s_delay_alu instid0(VALU_DEP_1) | instskip(SKIP_1) | instid1(VALU_DEP_1)
	v_fmac_f64_e32 v[162:163], v[128:129], v[138:139]
	s_wait_dscnt 0x0
	v_fmac_f64_e32 v[162:163], v[130:131], v[148:149]
	ds_load_2addr_b64 v[128:131], v2 offset0:117 offset1:118
	ds_load_2addr_b64 v[136:139], v2 offset0:119 offset1:120
	s_wait_loadcnt 0x3
	v_fmac_f64_e32 v[162:163], v[140:141], v[150:151]
	s_wait_dscnt 0x1
	s_delay_alu instid0(VALU_DEP_1) | instskip(SKIP_1) | instid1(VALU_DEP_1)
	v_fmac_f64_e32 v[162:163], v[142:143], v[128:129]
	s_wait_loadcnt 0x2
	v_fmac_f64_e32 v[162:163], v[132:133], v[130:131]
	ds_load_2addr_b64 v[128:131], v2 offset0:121 offset1:122
	s_wait_dscnt 0x1
	v_fmac_f64_e32 v[162:163], v[134:135], v[136:137]
	s_wait_loadcnt 0x0
	s_delay_alu instid0(VALU_DEP_1) | instskip(SKIP_1) | instid1(VALU_DEP_1)
	v_fmac_f64_e32 v[162:163], v[144:145], v[138:139]
	s_wait_dscnt 0x0
	v_fmac_f64_e32 v[162:163], v[146:147], v[128:129]
	s_delay_alu instid0(VALU_DEP_1) | instskip(NEXT) | instid1(VALU_DEP_1)
	v_fmac_f64_e32 v[162:163], v[152:153], v[130:131]
	v_add_f64_e64 v[2:3], v[126:127], -v[162:163]
	scratch_store_b64 off, v[2:3], off offset:208
	s_wait_xcnt 0x0
	v_cmpx_lt_u32_e32 25, v0
	s_cbranch_execz .LBB124_325
; %bb.324:
	scratch_load_b64 v[2:3], off, off offset:200
	v_mov_b64_e32 v[126:127], 0
	scratch_store_b64 off, v[126:127], off offset:200
	s_wait_loadcnt 0x0
	ds_store_b64 v1, v[2:3]
.LBB124_325:
	s_wait_xcnt 0x0
	s_or_b32 exec_lo, exec_lo, s0
	s_wait_storecnt_dscnt 0x0
	s_barrier_signal -1
	s_barrier_wait -1
	s_clause 0x5
	scratch_load_b128 v[126:129], off, off offset:200
	scratch_load_b128 v[130:133], off, off offset:216
	;; [unrolled: 1-line block ×6, first 2 shown]
	v_mov_b32_e32 v2, 0
	ds_load_b128 v[150:153], v2 offset:704
	ds_load_b128 v[154:157], v2 offset:720
	scratch_load_b128 v[158:161], off, off offset:296
	s_mov_b32 s0, exec_lo
	s_wait_loadcnt_dscnt 0x601
	v_fma_f64 v[162:163], v[128:129], v[150:151], 0
	s_wait_loadcnt 0x5
	s_delay_alu instid0(VALU_DEP_1) | instskip(SKIP_4) | instid1(VALU_DEP_1)
	v_fmac_f64_e32 v[162:163], v[130:131], v[152:153]
	scratch_load_b128 v[128:131], off, off offset:312
	s_wait_dscnt 0x0
	v_fmac_f64_e32 v[162:163], v[132:133], v[154:155]
	s_wait_loadcnt 0x5
	v_fmac_f64_e32 v[162:163], v[134:135], v[156:157]
	ds_load_b128 v[132:135], v2 offset:736
	ds_load_b128 v[150:153], v2 offset:752
	scratch_load_b128 v[154:157], off, off offset:328
	s_wait_dscnt 0x1
	v_fmac_f64_e32 v[162:163], v[136:137], v[132:133]
	s_wait_loadcnt 0x5
	s_delay_alu instid0(VALU_DEP_1) | instskip(SKIP_4) | instid1(VALU_DEP_1)
	v_fmac_f64_e32 v[162:163], v[138:139], v[134:135]
	scratch_load_b128 v[132:135], off, off offset:344
	s_wait_dscnt 0x0
	v_fmac_f64_e32 v[162:163], v[140:141], v[150:151]
	s_wait_loadcnt 0x5
	v_fmac_f64_e32 v[162:163], v[142:143], v[152:153]
	ds_load_b128 v[136:139], v2 offset:768
	ds_load_b128 v[140:143], v2 offset:784
	scratch_load_b128 v[150:153], off, off offset:360
	s_wait_dscnt 0x1
	v_fmac_f64_e32 v[162:163], v[144:145], v[136:137]
	s_wait_loadcnt 0x5
	s_delay_alu instid0(VALU_DEP_1) | instskip(SKIP_4) | instid1(VALU_DEP_1)
	v_fmac_f64_e32 v[162:163], v[146:147], v[138:139]
	scratch_load_b128 v[136:139], off, off offset:376
	s_wait_dscnt 0x0
	v_fmac_f64_e32 v[162:163], v[148:149], v[140:141]
	s_wait_loadcnt 0x5
	v_fmac_f64_e32 v[162:163], v[158:159], v[142:143]
	ds_load_b128 v[140:143], v2 offset:800
	ds_load_b128 v[144:147], v2 offset:816
	s_wait_dscnt 0x1
	v_fmac_f64_e32 v[162:163], v[160:161], v[140:141]
	scratch_load_b128 v[158:161], off, off offset:392
	s_wait_loadcnt 0x5
	v_fmac_f64_e32 v[162:163], v[128:129], v[142:143]
	s_wait_dscnt 0x0
	s_delay_alu instid0(VALU_DEP_1)
	v_fmac_f64_e32 v[162:163], v[130:131], v[144:145]
	scratch_load_b128 v[128:131], off, off offset:408
	s_wait_loadcnt 0x5
	v_fmac_f64_e32 v[162:163], v[154:155], v[146:147]
	ds_load_b128 v[140:143], v2 offset:832
	ds_load_b128 v[144:147], v2 offset:848
	s_wait_dscnt 0x1
	v_fmac_f64_e32 v[162:163], v[156:157], v[140:141]
	s_wait_loadcnt 0x4
	s_delay_alu instid0(VALU_DEP_1)
	v_fmac_f64_e32 v[162:163], v[132:133], v[142:143]
	scratch_load_b128 v[140:143], off, off offset:424
	s_wait_dscnt 0x0
	v_fmac_f64_e32 v[162:163], v[134:135], v[144:145]
	scratch_load_b128 v[132:135], off, off offset:440
	s_wait_loadcnt 0x5
	v_fmac_f64_e32 v[162:163], v[150:151], v[146:147]
	ds_load_b128 v[144:147], v2 offset:864
	ds_load_b128 v[148:151], v2 offset:880
	s_wait_dscnt 0x1
	v_fmac_f64_e32 v[162:163], v[152:153], v[144:145]
	s_wait_loadcnt 0x4
	s_delay_alu instid0(VALU_DEP_1)
	v_fmac_f64_e32 v[162:163], v[136:137], v[146:147]
	scratch_load_b128 v[144:147], off, off offset:456
	s_wait_dscnt 0x0
	v_fmac_f64_e32 v[162:163], v[138:139], v[148:149]
	scratch_load_b128 v[136:139], off, off offset:472
	s_wait_loadcnt 0x5
	v_fmac_f64_e32 v[162:163], v[158:159], v[150:151]
	ds_load_b128 v[148:151], v2 offset:896
	ds_load_b128 v[152:155], v2 offset:912
	s_wait_dscnt 0x1
	v_fmac_f64_e32 v[162:163], v[160:161], v[148:149]
	s_wait_loadcnt 0x4
	s_delay_alu instid0(VALU_DEP_1) | instskip(SKIP_1) | instid1(VALU_DEP_1)
	v_fmac_f64_e32 v[162:163], v[128:129], v[150:151]
	s_wait_dscnt 0x0
	v_fmac_f64_e32 v[162:163], v[130:131], v[152:153]
	ds_load_b128 v[128:131], v2 offset:928
	ds_load_b128 v[148:151], v2 offset:944
	s_wait_loadcnt 0x3
	v_fmac_f64_e32 v[162:163], v[140:141], v[154:155]
	s_wait_dscnt 0x1
	s_delay_alu instid0(VALU_DEP_1) | instskip(SKIP_1) | instid1(VALU_DEP_1)
	v_fmac_f64_e32 v[162:163], v[142:143], v[128:129]
	s_wait_loadcnt 0x2
	v_fmac_f64_e32 v[162:163], v[132:133], v[130:131]
	ds_load_b128 v[128:131], v2 offset:960
	ds_load_b64 v[132:133], v2 offset:976
	s_wait_dscnt 0x2
	v_fmac_f64_e32 v[162:163], v[134:135], v[148:149]
	s_wait_loadcnt 0x1
	s_delay_alu instid0(VALU_DEP_1) | instskip(SKIP_1) | instid1(VALU_DEP_1)
	v_fmac_f64_e32 v[162:163], v[144:145], v[150:151]
	s_wait_dscnt 0x1
	v_fmac_f64_e32 v[162:163], v[146:147], v[128:129]
	s_wait_loadcnt 0x0
	s_delay_alu instid0(VALU_DEP_1) | instskip(SKIP_1) | instid1(VALU_DEP_1)
	v_fmac_f64_e32 v[162:163], v[136:137], v[130:131]
	s_wait_dscnt 0x0
	v_fmac_f64_e32 v[162:163], v[138:139], v[132:133]
	s_delay_alu instid0(VALU_DEP_1)
	v_add_f64_e64 v[126:127], v[126:127], -v[162:163]
	scratch_store_b64 off, v[126:127], off offset:200
	s_wait_xcnt 0x0
	v_cmpx_lt_u32_e32 24, v0
	s_cbranch_execz .LBB124_327
; %bb.326:
	scratch_load_b64 v[126:127], off, off offset:192
	v_mov_b64_e32 v[128:129], 0
	scratch_store_b64 off, v[128:129], off offset:192
	s_wait_loadcnt 0x0
	ds_store_b64 v1, v[126:127]
.LBB124_327:
	s_wait_xcnt 0x0
	s_or_b32 exec_lo, exec_lo, s0
	s_wait_storecnt_dscnt 0x0
	s_barrier_signal -1
	s_barrier_wait -1
	s_clause 0x5
	scratch_load_b128 v[126:129], off, off offset:192
	scratch_load_b128 v[130:133], off, off offset:208
	;; [unrolled: 1-line block ×6, first 2 shown]
	ds_load_2addr_b64 v[150:153], v2 offset0:87 offset1:88
	ds_load_2addr_b64 v[154:157], v2 offset0:89 offset1:90
	scratch_load_b128 v[158:161], off, off offset:288
	s_mov_b32 s0, exec_lo
	s_wait_loadcnt_dscnt 0x601
	v_fma_f64 v[162:163], v[128:129], v[150:151], 0
	s_wait_loadcnt 0x5
	s_delay_alu instid0(VALU_DEP_1) | instskip(SKIP_4) | instid1(VALU_DEP_1)
	v_fmac_f64_e32 v[162:163], v[130:131], v[152:153]
	scratch_load_b128 v[128:131], off, off offset:304
	s_wait_dscnt 0x0
	v_fmac_f64_e32 v[162:163], v[132:133], v[154:155]
	s_wait_loadcnt 0x5
	v_fmac_f64_e32 v[162:163], v[134:135], v[156:157]
	ds_load_2addr_b64 v[132:135], v2 offset0:91 offset1:92
	ds_load_2addr_b64 v[150:153], v2 offset0:93 offset1:94
	scratch_load_b128 v[154:157], off, off offset:320
	s_wait_dscnt 0x1
	v_fmac_f64_e32 v[162:163], v[136:137], v[132:133]
	s_wait_loadcnt 0x5
	s_delay_alu instid0(VALU_DEP_1) | instskip(SKIP_4) | instid1(VALU_DEP_1)
	v_fmac_f64_e32 v[162:163], v[138:139], v[134:135]
	scratch_load_b128 v[132:135], off, off offset:336
	s_wait_dscnt 0x0
	v_fmac_f64_e32 v[162:163], v[140:141], v[150:151]
	s_wait_loadcnt 0x5
	v_fmac_f64_e32 v[162:163], v[142:143], v[152:153]
	ds_load_2addr_b64 v[136:139], v2 offset0:95 offset1:96
	ds_load_2addr_b64 v[140:143], v2 offset0:97 offset1:98
	scratch_load_b128 v[150:153], off, off offset:352
	s_wait_dscnt 0x1
	v_fmac_f64_e32 v[162:163], v[144:145], v[136:137]
	s_wait_loadcnt 0x5
	s_delay_alu instid0(VALU_DEP_1) | instskip(SKIP_4) | instid1(VALU_DEP_1)
	v_fmac_f64_e32 v[162:163], v[146:147], v[138:139]
	scratch_load_b128 v[136:139], off, off offset:368
	s_wait_dscnt 0x0
	v_fmac_f64_e32 v[162:163], v[148:149], v[140:141]
	s_wait_loadcnt 0x5
	v_fmac_f64_e32 v[162:163], v[158:159], v[142:143]
	ds_load_2addr_b64 v[140:143], v2 offset0:99 offset1:100
	ds_load_2addr_b64 v[144:147], v2 offset0:101 offset1:102
	s_wait_dscnt 0x1
	v_fmac_f64_e32 v[162:163], v[160:161], v[140:141]
	scratch_load_b128 v[158:161], off, off offset:384
	s_wait_loadcnt 0x5
	v_fmac_f64_e32 v[162:163], v[128:129], v[142:143]
	s_wait_dscnt 0x0
	s_delay_alu instid0(VALU_DEP_1)
	v_fmac_f64_e32 v[162:163], v[130:131], v[144:145]
	scratch_load_b128 v[128:131], off, off offset:400
	s_wait_loadcnt 0x5
	v_fmac_f64_e32 v[162:163], v[154:155], v[146:147]
	ds_load_2addr_b64 v[140:143], v2 offset0:103 offset1:104
	ds_load_2addr_b64 v[144:147], v2 offset0:105 offset1:106
	s_wait_dscnt 0x1
	v_fmac_f64_e32 v[162:163], v[156:157], v[140:141]
	s_wait_loadcnt 0x4
	s_delay_alu instid0(VALU_DEP_1)
	v_fmac_f64_e32 v[162:163], v[132:133], v[142:143]
	scratch_load_b128 v[140:143], off, off offset:416
	s_wait_dscnt 0x0
	v_fmac_f64_e32 v[162:163], v[134:135], v[144:145]
	scratch_load_b128 v[132:135], off, off offset:432
	s_wait_loadcnt 0x5
	v_fmac_f64_e32 v[162:163], v[150:151], v[146:147]
	ds_load_2addr_b64 v[144:147], v2 offset0:107 offset1:108
	ds_load_2addr_b64 v[148:151], v2 offset0:109 offset1:110
	s_wait_dscnt 0x1
	v_fmac_f64_e32 v[162:163], v[152:153], v[144:145]
	s_wait_loadcnt 0x4
	s_delay_alu instid0(VALU_DEP_1)
	v_fmac_f64_e32 v[162:163], v[136:137], v[146:147]
	scratch_load_b128 v[144:147], off, off offset:448
	s_wait_dscnt 0x0
	v_fmac_f64_e32 v[162:163], v[138:139], v[148:149]
	scratch_load_b128 v[136:139], off, off offset:464
	s_wait_loadcnt 0x5
	v_fmac_f64_e32 v[162:163], v[158:159], v[150:151]
	ds_load_2addr_b64 v[148:151], v2 offset0:111 offset1:112
	ds_load_2addr_b64 v[152:155], v2 offset0:113 offset1:114
	scratch_load_b64 v[156:157], off, off offset:480
	s_wait_dscnt 0x1
	v_fmac_f64_e32 v[162:163], v[160:161], v[148:149]
	s_wait_loadcnt 0x5
	s_delay_alu instid0(VALU_DEP_1) | instskip(SKIP_1) | instid1(VALU_DEP_1)
	v_fmac_f64_e32 v[162:163], v[128:129], v[150:151]
	s_wait_dscnt 0x0
	v_fmac_f64_e32 v[162:163], v[130:131], v[152:153]
	ds_load_2addr_b64 v[128:131], v2 offset0:115 offset1:116
	ds_load_2addr_b64 v[148:151], v2 offset0:117 offset1:118
	s_wait_loadcnt 0x4
	v_fmac_f64_e32 v[162:163], v[140:141], v[154:155]
	s_wait_dscnt 0x1
	s_delay_alu instid0(VALU_DEP_1) | instskip(SKIP_1) | instid1(VALU_DEP_1)
	v_fmac_f64_e32 v[162:163], v[142:143], v[128:129]
	s_wait_loadcnt 0x3
	v_fmac_f64_e32 v[162:163], v[132:133], v[130:131]
	s_wait_dscnt 0x0
	s_delay_alu instid0(VALU_DEP_1)
	v_fmac_f64_e32 v[162:163], v[134:135], v[148:149]
	ds_load_2addr_b64 v[128:131], v2 offset0:119 offset1:120
	ds_load_2addr_b64 v[132:135], v2 offset0:121 offset1:122
	s_wait_loadcnt 0x2
	v_fmac_f64_e32 v[162:163], v[144:145], v[150:151]
	s_wait_dscnt 0x1
	s_delay_alu instid0(VALU_DEP_1) | instskip(SKIP_1) | instid1(VALU_DEP_1)
	v_fmac_f64_e32 v[162:163], v[146:147], v[128:129]
	s_wait_loadcnt 0x1
	v_fmac_f64_e32 v[162:163], v[136:137], v[130:131]
	s_wait_dscnt 0x0
	s_delay_alu instid0(VALU_DEP_1) | instskip(SKIP_1) | instid1(VALU_DEP_1)
	v_fmac_f64_e32 v[162:163], v[138:139], v[132:133]
	s_wait_loadcnt 0x0
	v_fmac_f64_e32 v[162:163], v[156:157], v[134:135]
	s_delay_alu instid0(VALU_DEP_1)
	v_add_f64_e64 v[2:3], v[126:127], -v[162:163]
	scratch_store_b64 off, v[2:3], off offset:192
	s_wait_xcnt 0x0
	v_cmpx_lt_u32_e32 23, v0
	s_cbranch_execz .LBB124_329
; %bb.328:
	scratch_load_b64 v[2:3], off, off offset:184
	v_mov_b64_e32 v[126:127], 0
	scratch_store_b64 off, v[126:127], off offset:184
	s_wait_loadcnt 0x0
	ds_store_b64 v1, v[2:3]
.LBB124_329:
	s_wait_xcnt 0x0
	s_or_b32 exec_lo, exec_lo, s0
	s_wait_storecnt_dscnt 0x0
	s_barrier_signal -1
	s_barrier_wait -1
	s_clause 0x5
	scratch_load_b128 v[126:129], off, off offset:184
	scratch_load_b128 v[130:133], off, off offset:200
	;; [unrolled: 1-line block ×6, first 2 shown]
	v_mov_b32_e32 v2, 0
	ds_load_b128 v[150:153], v2 offset:688
	ds_load_b128 v[154:157], v2 offset:704
	scratch_load_b128 v[158:161], off, off offset:280
	s_mov_b32 s0, exec_lo
	s_wait_loadcnt_dscnt 0x601
	v_fma_f64 v[162:163], v[128:129], v[150:151], 0
	s_wait_loadcnt 0x5
	s_delay_alu instid0(VALU_DEP_1) | instskip(SKIP_4) | instid1(VALU_DEP_1)
	v_fmac_f64_e32 v[162:163], v[130:131], v[152:153]
	scratch_load_b128 v[128:131], off, off offset:296
	s_wait_dscnt 0x0
	v_fmac_f64_e32 v[162:163], v[132:133], v[154:155]
	s_wait_loadcnt 0x5
	v_fmac_f64_e32 v[162:163], v[134:135], v[156:157]
	ds_load_b128 v[132:135], v2 offset:720
	ds_load_b128 v[150:153], v2 offset:736
	scratch_load_b128 v[154:157], off, off offset:312
	s_wait_dscnt 0x1
	v_fmac_f64_e32 v[162:163], v[136:137], v[132:133]
	s_wait_loadcnt 0x5
	s_delay_alu instid0(VALU_DEP_1) | instskip(SKIP_4) | instid1(VALU_DEP_1)
	v_fmac_f64_e32 v[162:163], v[138:139], v[134:135]
	scratch_load_b128 v[132:135], off, off offset:328
	s_wait_dscnt 0x0
	v_fmac_f64_e32 v[162:163], v[140:141], v[150:151]
	s_wait_loadcnt 0x5
	v_fmac_f64_e32 v[162:163], v[142:143], v[152:153]
	ds_load_b128 v[136:139], v2 offset:752
	ds_load_b128 v[140:143], v2 offset:768
	scratch_load_b128 v[150:153], off, off offset:344
	s_wait_dscnt 0x1
	v_fmac_f64_e32 v[162:163], v[144:145], v[136:137]
	s_wait_loadcnt 0x5
	s_delay_alu instid0(VALU_DEP_1) | instskip(SKIP_4) | instid1(VALU_DEP_1)
	v_fmac_f64_e32 v[162:163], v[146:147], v[138:139]
	scratch_load_b128 v[136:139], off, off offset:360
	s_wait_dscnt 0x0
	v_fmac_f64_e32 v[162:163], v[148:149], v[140:141]
	s_wait_loadcnt 0x5
	v_fmac_f64_e32 v[162:163], v[158:159], v[142:143]
	ds_load_b128 v[140:143], v2 offset:784
	ds_load_b128 v[144:147], v2 offset:800
	s_wait_dscnt 0x1
	v_fmac_f64_e32 v[162:163], v[160:161], v[140:141]
	scratch_load_b128 v[158:161], off, off offset:376
	s_wait_loadcnt 0x5
	v_fmac_f64_e32 v[162:163], v[128:129], v[142:143]
	s_wait_dscnt 0x0
	s_delay_alu instid0(VALU_DEP_1)
	v_fmac_f64_e32 v[162:163], v[130:131], v[144:145]
	scratch_load_b128 v[128:131], off, off offset:392
	s_wait_loadcnt 0x5
	v_fmac_f64_e32 v[162:163], v[154:155], v[146:147]
	ds_load_b128 v[140:143], v2 offset:816
	ds_load_b128 v[144:147], v2 offset:832
	s_wait_dscnt 0x1
	v_fmac_f64_e32 v[162:163], v[156:157], v[140:141]
	s_wait_loadcnt 0x4
	s_delay_alu instid0(VALU_DEP_1)
	v_fmac_f64_e32 v[162:163], v[132:133], v[142:143]
	scratch_load_b128 v[140:143], off, off offset:408
	s_wait_dscnt 0x0
	v_fmac_f64_e32 v[162:163], v[134:135], v[144:145]
	scratch_load_b128 v[132:135], off, off offset:424
	s_wait_loadcnt 0x5
	v_fmac_f64_e32 v[162:163], v[150:151], v[146:147]
	ds_load_b128 v[144:147], v2 offset:848
	ds_load_b128 v[148:151], v2 offset:864
	s_wait_dscnt 0x1
	v_fmac_f64_e32 v[162:163], v[152:153], v[144:145]
	s_wait_loadcnt 0x4
	s_delay_alu instid0(VALU_DEP_1)
	v_fmac_f64_e32 v[162:163], v[136:137], v[146:147]
	scratch_load_b128 v[144:147], off, off offset:440
	s_wait_dscnt 0x0
	v_fmac_f64_e32 v[162:163], v[138:139], v[148:149]
	scratch_load_b128 v[136:139], off, off offset:456
	s_wait_loadcnt 0x5
	v_fmac_f64_e32 v[162:163], v[158:159], v[150:151]
	ds_load_b128 v[148:151], v2 offset:880
	ds_load_b128 v[152:155], v2 offset:896
	s_wait_dscnt 0x1
	v_fmac_f64_e32 v[162:163], v[160:161], v[148:149]
	s_wait_loadcnt 0x4
	s_delay_alu instid0(VALU_DEP_1) | instskip(SKIP_4) | instid1(VALU_DEP_1)
	v_fmac_f64_e32 v[162:163], v[128:129], v[150:151]
	scratch_load_b128 v[148:151], off, off offset:472
	s_wait_dscnt 0x0
	v_fmac_f64_e32 v[162:163], v[130:131], v[152:153]
	s_wait_loadcnt 0x4
	v_fmac_f64_e32 v[162:163], v[140:141], v[154:155]
	ds_load_b128 v[128:131], v2 offset:912
	ds_load_b128 v[152:155], v2 offset:928
	s_wait_dscnt 0x1
	v_fmac_f64_e32 v[162:163], v[142:143], v[128:129]
	s_wait_loadcnt 0x3
	s_delay_alu instid0(VALU_DEP_1) | instskip(SKIP_1) | instid1(VALU_DEP_1)
	v_fmac_f64_e32 v[162:163], v[132:133], v[130:131]
	s_wait_dscnt 0x0
	v_fmac_f64_e32 v[162:163], v[134:135], v[152:153]
	ds_load_b128 v[128:131], v2 offset:944
	ds_load_b128 v[132:135], v2 offset:960
	s_wait_loadcnt 0x2
	v_fmac_f64_e32 v[162:163], v[144:145], v[154:155]
	s_wait_dscnt 0x1
	s_delay_alu instid0(VALU_DEP_1) | instskip(SKIP_4) | instid1(VALU_DEP_1)
	v_fmac_f64_e32 v[162:163], v[146:147], v[128:129]
	ds_load_b64 v[128:129], v2 offset:976
	s_wait_loadcnt 0x1
	v_fmac_f64_e32 v[162:163], v[136:137], v[130:131]
	s_wait_dscnt 0x1
	v_fmac_f64_e32 v[162:163], v[138:139], v[132:133]
	s_wait_loadcnt 0x0
	s_delay_alu instid0(VALU_DEP_1) | instskip(SKIP_1) | instid1(VALU_DEP_1)
	v_fmac_f64_e32 v[162:163], v[148:149], v[134:135]
	s_wait_dscnt 0x0
	v_fmac_f64_e32 v[162:163], v[150:151], v[128:129]
	s_delay_alu instid0(VALU_DEP_1)
	v_add_f64_e64 v[126:127], v[126:127], -v[162:163]
	scratch_store_b64 off, v[126:127], off offset:184
	s_wait_xcnt 0x0
	v_cmpx_lt_u32_e32 22, v0
	s_cbranch_execz .LBB124_331
; %bb.330:
	scratch_load_b64 v[126:127], off, off offset:176
	v_mov_b64_e32 v[128:129], 0
	scratch_store_b64 off, v[128:129], off offset:176
	s_wait_loadcnt 0x0
	ds_store_b64 v1, v[126:127]
.LBB124_331:
	s_wait_xcnt 0x0
	s_or_b32 exec_lo, exec_lo, s0
	s_wait_storecnt_dscnt 0x0
	s_barrier_signal -1
	s_barrier_wait -1
	s_clause 0x5
	scratch_load_b128 v[126:129], off, off offset:176
	scratch_load_b128 v[130:133], off, off offset:192
	;; [unrolled: 1-line block ×6, first 2 shown]
	ds_load_2addr_b64 v[150:153], v2 offset0:85 offset1:86
	ds_load_2addr_b64 v[154:157], v2 offset0:87 offset1:88
	scratch_load_b128 v[158:161], off, off offset:272
	s_mov_b32 s0, exec_lo
	s_wait_loadcnt_dscnt 0x601
	v_fma_f64 v[162:163], v[128:129], v[150:151], 0
	s_wait_loadcnt 0x5
	s_delay_alu instid0(VALU_DEP_1) | instskip(SKIP_4) | instid1(VALU_DEP_1)
	v_fmac_f64_e32 v[162:163], v[130:131], v[152:153]
	scratch_load_b128 v[128:131], off, off offset:288
	s_wait_dscnt 0x0
	v_fmac_f64_e32 v[162:163], v[132:133], v[154:155]
	s_wait_loadcnt 0x5
	v_fmac_f64_e32 v[162:163], v[134:135], v[156:157]
	ds_load_2addr_b64 v[132:135], v2 offset0:89 offset1:90
	ds_load_2addr_b64 v[150:153], v2 offset0:91 offset1:92
	scratch_load_b128 v[154:157], off, off offset:304
	s_wait_dscnt 0x1
	v_fmac_f64_e32 v[162:163], v[136:137], v[132:133]
	s_wait_loadcnt 0x5
	s_delay_alu instid0(VALU_DEP_1) | instskip(SKIP_4) | instid1(VALU_DEP_1)
	v_fmac_f64_e32 v[162:163], v[138:139], v[134:135]
	scratch_load_b128 v[132:135], off, off offset:320
	s_wait_dscnt 0x0
	v_fmac_f64_e32 v[162:163], v[140:141], v[150:151]
	s_wait_loadcnt 0x5
	v_fmac_f64_e32 v[162:163], v[142:143], v[152:153]
	ds_load_2addr_b64 v[136:139], v2 offset0:93 offset1:94
	ds_load_2addr_b64 v[140:143], v2 offset0:95 offset1:96
	scratch_load_b128 v[150:153], off, off offset:336
	s_wait_dscnt 0x1
	v_fmac_f64_e32 v[162:163], v[144:145], v[136:137]
	s_wait_loadcnt 0x5
	s_delay_alu instid0(VALU_DEP_1) | instskip(SKIP_4) | instid1(VALU_DEP_1)
	v_fmac_f64_e32 v[162:163], v[146:147], v[138:139]
	scratch_load_b128 v[136:139], off, off offset:352
	s_wait_dscnt 0x0
	v_fmac_f64_e32 v[162:163], v[148:149], v[140:141]
	s_wait_loadcnt 0x5
	v_fmac_f64_e32 v[162:163], v[158:159], v[142:143]
	ds_load_2addr_b64 v[140:143], v2 offset0:97 offset1:98
	ds_load_2addr_b64 v[144:147], v2 offset0:99 offset1:100
	s_wait_dscnt 0x1
	v_fmac_f64_e32 v[162:163], v[160:161], v[140:141]
	scratch_load_b128 v[158:161], off, off offset:368
	s_wait_loadcnt 0x5
	v_fmac_f64_e32 v[162:163], v[128:129], v[142:143]
	s_wait_dscnt 0x0
	s_delay_alu instid0(VALU_DEP_1)
	v_fmac_f64_e32 v[162:163], v[130:131], v[144:145]
	scratch_load_b128 v[128:131], off, off offset:384
	s_wait_loadcnt 0x5
	v_fmac_f64_e32 v[162:163], v[154:155], v[146:147]
	ds_load_2addr_b64 v[140:143], v2 offset0:101 offset1:102
	ds_load_2addr_b64 v[144:147], v2 offset0:103 offset1:104
	s_wait_dscnt 0x1
	v_fmac_f64_e32 v[162:163], v[156:157], v[140:141]
	scratch_load_b128 v[154:157], off, off offset:400
	s_wait_loadcnt 0x5
	v_fmac_f64_e32 v[162:163], v[132:133], v[142:143]
	s_wait_dscnt 0x0
	s_delay_alu instid0(VALU_DEP_1)
	v_fmac_f64_e32 v[162:163], v[134:135], v[144:145]
	scratch_load_b128 v[132:135], off, off offset:416
	s_wait_loadcnt 0x5
	v_fmac_f64_e32 v[162:163], v[150:151], v[146:147]
	ds_load_2addr_b64 v[140:143], v2 offset0:105 offset1:106
	ds_load_2addr_b64 v[144:147], v2 offset0:107 offset1:108
	s_wait_dscnt 0x1
	v_fmac_f64_e32 v[162:163], v[152:153], v[140:141]
	s_wait_loadcnt 0x4
	s_delay_alu instid0(VALU_DEP_1)
	v_fmac_f64_e32 v[162:163], v[136:137], v[142:143]
	scratch_load_b128 v[140:143], off, off offset:432
	s_wait_dscnt 0x0
	v_fmac_f64_e32 v[162:163], v[138:139], v[144:145]
	scratch_load_b128 v[136:139], off, off offset:448
	s_wait_loadcnt 0x5
	v_fmac_f64_e32 v[162:163], v[158:159], v[146:147]
	ds_load_2addr_b64 v[144:147], v2 offset0:109 offset1:110
	ds_load_2addr_b64 v[148:151], v2 offset0:111 offset1:112
	scratch_load_b64 v[152:153], off, off offset:480
	s_wait_dscnt 0x1
	v_fmac_f64_e32 v[162:163], v[160:161], v[144:145]
	s_wait_loadcnt 0x5
	s_delay_alu instid0(VALU_DEP_1) | instskip(SKIP_4) | instid1(VALU_DEP_1)
	v_fmac_f64_e32 v[162:163], v[128:129], v[146:147]
	scratch_load_b128 v[144:147], off, off offset:464
	s_wait_dscnt 0x0
	v_fmac_f64_e32 v[162:163], v[130:131], v[148:149]
	s_wait_loadcnt 0x5
	v_fmac_f64_e32 v[162:163], v[154:155], v[150:151]
	ds_load_2addr_b64 v[128:131], v2 offset0:113 offset1:114
	ds_load_2addr_b64 v[148:151], v2 offset0:115 offset1:116
	s_wait_dscnt 0x1
	v_fmac_f64_e32 v[162:163], v[156:157], v[128:129]
	s_wait_loadcnt 0x4
	s_delay_alu instid0(VALU_DEP_1) | instskip(SKIP_1) | instid1(VALU_DEP_1)
	v_fmac_f64_e32 v[162:163], v[132:133], v[130:131]
	s_wait_dscnt 0x0
	v_fmac_f64_e32 v[162:163], v[134:135], v[148:149]
	ds_load_2addr_b64 v[128:131], v2 offset0:117 offset1:118
	ds_load_2addr_b64 v[132:135], v2 offset0:119 offset1:120
	s_wait_loadcnt 0x3
	v_fmac_f64_e32 v[162:163], v[140:141], v[150:151]
	s_wait_dscnt 0x1
	s_delay_alu instid0(VALU_DEP_1) | instskip(SKIP_1) | instid1(VALU_DEP_1)
	v_fmac_f64_e32 v[162:163], v[142:143], v[128:129]
	s_wait_loadcnt 0x2
	v_fmac_f64_e32 v[162:163], v[136:137], v[130:131]
	ds_load_2addr_b64 v[128:131], v2 offset0:121 offset1:122
	s_wait_dscnt 0x1
	v_fmac_f64_e32 v[162:163], v[138:139], v[132:133]
	s_wait_loadcnt 0x0
	s_delay_alu instid0(VALU_DEP_1) | instskip(SKIP_1) | instid1(VALU_DEP_1)
	v_fmac_f64_e32 v[162:163], v[144:145], v[134:135]
	s_wait_dscnt 0x0
	v_fmac_f64_e32 v[162:163], v[146:147], v[128:129]
	s_delay_alu instid0(VALU_DEP_1) | instskip(NEXT) | instid1(VALU_DEP_1)
	v_fmac_f64_e32 v[162:163], v[152:153], v[130:131]
	v_add_f64_e64 v[2:3], v[126:127], -v[162:163]
	scratch_store_b64 off, v[2:3], off offset:176
	s_wait_xcnt 0x0
	v_cmpx_lt_u32_e32 21, v0
	s_cbranch_execz .LBB124_333
; %bb.332:
	scratch_load_b64 v[2:3], off, off offset:168
	v_mov_b64_e32 v[126:127], 0
	scratch_store_b64 off, v[126:127], off offset:168
	s_wait_loadcnt 0x0
	ds_store_b64 v1, v[2:3]
.LBB124_333:
	s_wait_xcnt 0x0
	s_or_b32 exec_lo, exec_lo, s0
	s_wait_storecnt_dscnt 0x0
	s_barrier_signal -1
	s_barrier_wait -1
	s_clause 0x5
	scratch_load_b128 v[126:129], off, off offset:168
	scratch_load_b128 v[130:133], off, off offset:184
	;; [unrolled: 1-line block ×6, first 2 shown]
	v_mov_b32_e32 v2, 0
	ds_load_b128 v[150:153], v2 offset:672
	ds_load_b128 v[154:157], v2 offset:688
	scratch_load_b128 v[158:161], off, off offset:264
	s_mov_b32 s0, exec_lo
	s_wait_loadcnt_dscnt 0x601
	v_fma_f64 v[162:163], v[128:129], v[150:151], 0
	s_wait_loadcnt 0x5
	s_delay_alu instid0(VALU_DEP_1) | instskip(SKIP_4) | instid1(VALU_DEP_1)
	v_fmac_f64_e32 v[162:163], v[130:131], v[152:153]
	scratch_load_b128 v[128:131], off, off offset:280
	s_wait_dscnt 0x0
	v_fmac_f64_e32 v[162:163], v[132:133], v[154:155]
	s_wait_loadcnt 0x5
	v_fmac_f64_e32 v[162:163], v[134:135], v[156:157]
	ds_load_b128 v[132:135], v2 offset:704
	ds_load_b128 v[150:153], v2 offset:720
	scratch_load_b128 v[154:157], off, off offset:296
	s_wait_dscnt 0x1
	v_fmac_f64_e32 v[162:163], v[136:137], v[132:133]
	s_wait_loadcnt 0x5
	s_delay_alu instid0(VALU_DEP_1) | instskip(SKIP_4) | instid1(VALU_DEP_1)
	v_fmac_f64_e32 v[162:163], v[138:139], v[134:135]
	scratch_load_b128 v[132:135], off, off offset:312
	s_wait_dscnt 0x0
	v_fmac_f64_e32 v[162:163], v[140:141], v[150:151]
	s_wait_loadcnt 0x5
	v_fmac_f64_e32 v[162:163], v[142:143], v[152:153]
	ds_load_b128 v[136:139], v2 offset:736
	ds_load_b128 v[140:143], v2 offset:752
	scratch_load_b128 v[150:153], off, off offset:328
	s_wait_dscnt 0x1
	v_fmac_f64_e32 v[162:163], v[144:145], v[136:137]
	s_wait_loadcnt 0x5
	s_delay_alu instid0(VALU_DEP_1) | instskip(SKIP_4) | instid1(VALU_DEP_1)
	v_fmac_f64_e32 v[162:163], v[146:147], v[138:139]
	scratch_load_b128 v[136:139], off, off offset:344
	s_wait_dscnt 0x0
	v_fmac_f64_e32 v[162:163], v[148:149], v[140:141]
	s_wait_loadcnt 0x5
	v_fmac_f64_e32 v[162:163], v[158:159], v[142:143]
	ds_load_b128 v[140:143], v2 offset:768
	ds_load_b128 v[144:147], v2 offset:784
	s_wait_dscnt 0x1
	v_fmac_f64_e32 v[162:163], v[160:161], v[140:141]
	scratch_load_b128 v[158:161], off, off offset:360
	s_wait_loadcnt 0x5
	v_fmac_f64_e32 v[162:163], v[128:129], v[142:143]
	s_wait_dscnt 0x0
	s_delay_alu instid0(VALU_DEP_1)
	v_fmac_f64_e32 v[162:163], v[130:131], v[144:145]
	scratch_load_b128 v[128:131], off, off offset:376
	s_wait_loadcnt 0x5
	v_fmac_f64_e32 v[162:163], v[154:155], v[146:147]
	ds_load_b128 v[140:143], v2 offset:800
	ds_load_b128 v[144:147], v2 offset:816
	s_wait_dscnt 0x1
	v_fmac_f64_e32 v[162:163], v[156:157], v[140:141]
	scratch_load_b128 v[154:157], off, off offset:392
	s_wait_loadcnt 0x5
	v_fmac_f64_e32 v[162:163], v[132:133], v[142:143]
	s_wait_dscnt 0x0
	s_delay_alu instid0(VALU_DEP_1)
	v_fmac_f64_e32 v[162:163], v[134:135], v[144:145]
	scratch_load_b128 v[132:135], off, off offset:408
	s_wait_loadcnt 0x5
	v_fmac_f64_e32 v[162:163], v[150:151], v[146:147]
	ds_load_b128 v[140:143], v2 offset:832
	ds_load_b128 v[144:147], v2 offset:848
	s_wait_dscnt 0x1
	v_fmac_f64_e32 v[162:163], v[152:153], v[140:141]
	s_wait_loadcnt 0x4
	s_delay_alu instid0(VALU_DEP_1)
	v_fmac_f64_e32 v[162:163], v[136:137], v[142:143]
	scratch_load_b128 v[140:143], off, off offset:424
	s_wait_dscnt 0x0
	v_fmac_f64_e32 v[162:163], v[138:139], v[144:145]
	scratch_load_b128 v[136:139], off, off offset:440
	s_wait_loadcnt 0x5
	v_fmac_f64_e32 v[162:163], v[158:159], v[146:147]
	ds_load_b128 v[144:147], v2 offset:864
	ds_load_b128 v[148:151], v2 offset:880
	s_wait_dscnt 0x1
	v_fmac_f64_e32 v[162:163], v[160:161], v[144:145]
	s_wait_loadcnt 0x4
	s_delay_alu instid0(VALU_DEP_1)
	v_fmac_f64_e32 v[162:163], v[128:129], v[146:147]
	scratch_load_b128 v[144:147], off, off offset:456
	s_wait_dscnt 0x0
	v_fmac_f64_e32 v[162:163], v[130:131], v[148:149]
	scratch_load_b128 v[128:131], off, off offset:472
	s_wait_loadcnt 0x5
	v_fmac_f64_e32 v[162:163], v[154:155], v[150:151]
	ds_load_b128 v[148:151], v2 offset:896
	ds_load_b128 v[152:155], v2 offset:912
	s_wait_dscnt 0x1
	v_fmac_f64_e32 v[162:163], v[156:157], v[148:149]
	s_wait_loadcnt 0x4
	s_delay_alu instid0(VALU_DEP_1) | instskip(SKIP_1) | instid1(VALU_DEP_1)
	v_fmac_f64_e32 v[162:163], v[132:133], v[150:151]
	s_wait_dscnt 0x0
	v_fmac_f64_e32 v[162:163], v[134:135], v[152:153]
	ds_load_b128 v[132:135], v2 offset:928
	ds_load_b128 v[148:151], v2 offset:944
	s_wait_loadcnt 0x3
	v_fmac_f64_e32 v[162:163], v[140:141], v[154:155]
	s_wait_dscnt 0x1
	s_delay_alu instid0(VALU_DEP_1) | instskip(SKIP_1) | instid1(VALU_DEP_1)
	v_fmac_f64_e32 v[162:163], v[142:143], v[132:133]
	s_wait_loadcnt 0x2
	v_fmac_f64_e32 v[162:163], v[136:137], v[134:135]
	ds_load_b128 v[132:135], v2 offset:960
	ds_load_b64 v[136:137], v2 offset:976
	s_wait_dscnt 0x2
	v_fmac_f64_e32 v[162:163], v[138:139], v[148:149]
	s_wait_loadcnt 0x1
	s_delay_alu instid0(VALU_DEP_1) | instskip(SKIP_1) | instid1(VALU_DEP_1)
	v_fmac_f64_e32 v[162:163], v[144:145], v[150:151]
	s_wait_dscnt 0x1
	v_fmac_f64_e32 v[162:163], v[146:147], v[132:133]
	s_wait_loadcnt 0x0
	s_delay_alu instid0(VALU_DEP_1) | instskip(SKIP_1) | instid1(VALU_DEP_1)
	v_fmac_f64_e32 v[162:163], v[128:129], v[134:135]
	s_wait_dscnt 0x0
	v_fmac_f64_e32 v[162:163], v[130:131], v[136:137]
	s_delay_alu instid0(VALU_DEP_1)
	v_add_f64_e64 v[126:127], v[126:127], -v[162:163]
	scratch_store_b64 off, v[126:127], off offset:168
	s_wait_xcnt 0x0
	v_cmpx_lt_u32_e32 20, v0
	s_cbranch_execz .LBB124_335
; %bb.334:
	scratch_load_b64 v[126:127], off, off offset:160
	v_mov_b64_e32 v[128:129], 0
	scratch_store_b64 off, v[128:129], off offset:160
	s_wait_loadcnt 0x0
	ds_store_b64 v1, v[126:127]
.LBB124_335:
	s_wait_xcnt 0x0
	s_or_b32 exec_lo, exec_lo, s0
	s_wait_storecnt_dscnt 0x0
	s_barrier_signal -1
	s_barrier_wait -1
	s_clause 0x5
	scratch_load_b128 v[126:129], off, off offset:160
	scratch_load_b128 v[130:133], off, off offset:176
	;; [unrolled: 1-line block ×6, first 2 shown]
	ds_load_2addr_b64 v[150:153], v2 offset0:83 offset1:84
	ds_load_2addr_b64 v[154:157], v2 offset0:85 offset1:86
	scratch_load_b128 v[158:161], off, off offset:256
	s_mov_b32 s0, exec_lo
	s_wait_loadcnt_dscnt 0x601
	v_fma_f64 v[162:163], v[128:129], v[150:151], 0
	s_wait_loadcnt 0x5
	s_delay_alu instid0(VALU_DEP_1) | instskip(SKIP_4) | instid1(VALU_DEP_1)
	v_fmac_f64_e32 v[162:163], v[130:131], v[152:153]
	scratch_load_b128 v[128:131], off, off offset:272
	s_wait_dscnt 0x0
	v_fmac_f64_e32 v[162:163], v[132:133], v[154:155]
	s_wait_loadcnt 0x5
	v_fmac_f64_e32 v[162:163], v[134:135], v[156:157]
	ds_load_2addr_b64 v[132:135], v2 offset0:87 offset1:88
	ds_load_2addr_b64 v[150:153], v2 offset0:89 offset1:90
	scratch_load_b128 v[154:157], off, off offset:288
	s_wait_dscnt 0x1
	v_fmac_f64_e32 v[162:163], v[136:137], v[132:133]
	s_wait_loadcnt 0x5
	s_delay_alu instid0(VALU_DEP_1) | instskip(SKIP_4) | instid1(VALU_DEP_1)
	v_fmac_f64_e32 v[162:163], v[138:139], v[134:135]
	scratch_load_b128 v[132:135], off, off offset:304
	s_wait_dscnt 0x0
	v_fmac_f64_e32 v[162:163], v[140:141], v[150:151]
	s_wait_loadcnt 0x5
	v_fmac_f64_e32 v[162:163], v[142:143], v[152:153]
	ds_load_2addr_b64 v[136:139], v2 offset0:91 offset1:92
	ds_load_2addr_b64 v[140:143], v2 offset0:93 offset1:94
	scratch_load_b128 v[150:153], off, off offset:320
	s_wait_dscnt 0x1
	v_fmac_f64_e32 v[162:163], v[144:145], v[136:137]
	s_wait_loadcnt 0x5
	s_delay_alu instid0(VALU_DEP_1) | instskip(SKIP_4) | instid1(VALU_DEP_1)
	v_fmac_f64_e32 v[162:163], v[146:147], v[138:139]
	scratch_load_b128 v[136:139], off, off offset:336
	s_wait_dscnt 0x0
	v_fmac_f64_e32 v[162:163], v[148:149], v[140:141]
	s_wait_loadcnt 0x5
	v_fmac_f64_e32 v[162:163], v[158:159], v[142:143]
	ds_load_2addr_b64 v[140:143], v2 offset0:95 offset1:96
	ds_load_2addr_b64 v[144:147], v2 offset0:97 offset1:98
	s_wait_dscnt 0x1
	v_fmac_f64_e32 v[162:163], v[160:161], v[140:141]
	scratch_load_b128 v[158:161], off, off offset:352
	s_wait_loadcnt 0x5
	v_fmac_f64_e32 v[162:163], v[128:129], v[142:143]
	s_wait_dscnt 0x0
	s_delay_alu instid0(VALU_DEP_1)
	v_fmac_f64_e32 v[162:163], v[130:131], v[144:145]
	scratch_load_b128 v[128:131], off, off offset:368
	s_wait_loadcnt 0x5
	v_fmac_f64_e32 v[162:163], v[154:155], v[146:147]
	ds_load_2addr_b64 v[140:143], v2 offset0:99 offset1:100
	ds_load_2addr_b64 v[144:147], v2 offset0:101 offset1:102
	s_wait_dscnt 0x1
	v_fmac_f64_e32 v[162:163], v[156:157], v[140:141]
	scratch_load_b128 v[154:157], off, off offset:384
	s_wait_loadcnt 0x5
	v_fmac_f64_e32 v[162:163], v[132:133], v[142:143]
	s_wait_dscnt 0x0
	s_delay_alu instid0(VALU_DEP_1)
	v_fmac_f64_e32 v[162:163], v[134:135], v[144:145]
	scratch_load_b128 v[132:135], off, off offset:400
	s_wait_loadcnt 0x5
	v_fmac_f64_e32 v[162:163], v[150:151], v[146:147]
	ds_load_2addr_b64 v[140:143], v2 offset0:103 offset1:104
	ds_load_2addr_b64 v[144:147], v2 offset0:105 offset1:106
	s_wait_dscnt 0x1
	v_fmac_f64_e32 v[162:163], v[152:153], v[140:141]
	s_wait_loadcnt 0x4
	s_delay_alu instid0(VALU_DEP_1)
	v_fmac_f64_e32 v[162:163], v[136:137], v[142:143]
	scratch_load_b128 v[140:143], off, off offset:416
	s_wait_dscnt 0x0
	v_fmac_f64_e32 v[162:163], v[138:139], v[144:145]
	scratch_load_b128 v[136:139], off, off offset:432
	s_wait_loadcnt 0x5
	v_fmac_f64_e32 v[162:163], v[158:159], v[146:147]
	ds_load_2addr_b64 v[144:147], v2 offset0:107 offset1:108
	ds_load_2addr_b64 v[148:151], v2 offset0:109 offset1:110
	s_wait_dscnt 0x1
	v_fmac_f64_e32 v[162:163], v[160:161], v[144:145]
	s_wait_loadcnt 0x4
	s_delay_alu instid0(VALU_DEP_1)
	v_fmac_f64_e32 v[162:163], v[128:129], v[146:147]
	scratch_load_b128 v[144:147], off, off offset:448
	s_wait_dscnt 0x0
	v_fmac_f64_e32 v[162:163], v[130:131], v[148:149]
	scratch_load_b128 v[128:131], off, off offset:464
	s_wait_loadcnt 0x5
	v_fmac_f64_e32 v[162:163], v[154:155], v[150:151]
	ds_load_2addr_b64 v[148:151], v2 offset0:111 offset1:112
	ds_load_2addr_b64 v[152:155], v2 offset0:113 offset1:114
	s_wait_dscnt 0x1
	v_fmac_f64_e32 v[162:163], v[156:157], v[148:149]
	scratch_load_b64 v[156:157], off, off offset:480
	s_wait_loadcnt 0x5
	v_fmac_f64_e32 v[162:163], v[132:133], v[150:151]
	s_wait_dscnt 0x0
	s_delay_alu instid0(VALU_DEP_1)
	v_fmac_f64_e32 v[162:163], v[134:135], v[152:153]
	ds_load_2addr_b64 v[132:135], v2 offset0:115 offset1:116
	ds_load_2addr_b64 v[148:151], v2 offset0:117 offset1:118
	s_wait_loadcnt 0x4
	v_fmac_f64_e32 v[162:163], v[140:141], v[154:155]
	s_wait_dscnt 0x1
	s_delay_alu instid0(VALU_DEP_1) | instskip(SKIP_1) | instid1(VALU_DEP_1)
	v_fmac_f64_e32 v[162:163], v[142:143], v[132:133]
	s_wait_loadcnt 0x3
	v_fmac_f64_e32 v[162:163], v[136:137], v[134:135]
	s_wait_dscnt 0x0
	s_delay_alu instid0(VALU_DEP_1)
	v_fmac_f64_e32 v[162:163], v[138:139], v[148:149]
	ds_load_2addr_b64 v[132:135], v2 offset0:119 offset1:120
	ds_load_2addr_b64 v[136:139], v2 offset0:121 offset1:122
	s_wait_loadcnt 0x2
	v_fmac_f64_e32 v[162:163], v[144:145], v[150:151]
	s_wait_dscnt 0x1
	s_delay_alu instid0(VALU_DEP_1) | instskip(SKIP_1) | instid1(VALU_DEP_1)
	v_fmac_f64_e32 v[162:163], v[146:147], v[132:133]
	s_wait_loadcnt 0x1
	v_fmac_f64_e32 v[162:163], v[128:129], v[134:135]
	s_wait_dscnt 0x0
	s_delay_alu instid0(VALU_DEP_1) | instskip(SKIP_1) | instid1(VALU_DEP_1)
	v_fmac_f64_e32 v[162:163], v[130:131], v[136:137]
	s_wait_loadcnt 0x0
	v_fmac_f64_e32 v[162:163], v[156:157], v[138:139]
	s_delay_alu instid0(VALU_DEP_1)
	v_add_f64_e64 v[2:3], v[126:127], -v[162:163]
	scratch_store_b64 off, v[2:3], off offset:160
	s_wait_xcnt 0x0
	v_cmpx_lt_u32_e32 19, v0
	s_cbranch_execz .LBB124_337
; %bb.336:
	scratch_load_b64 v[2:3], off, off offset:152
	v_mov_b64_e32 v[126:127], 0
	scratch_store_b64 off, v[126:127], off offset:152
	s_wait_loadcnt 0x0
	ds_store_b64 v1, v[2:3]
.LBB124_337:
	s_wait_xcnt 0x0
	s_or_b32 exec_lo, exec_lo, s0
	s_wait_storecnt_dscnt 0x0
	s_barrier_signal -1
	s_barrier_wait -1
	s_clause 0x5
	scratch_load_b128 v[126:129], off, off offset:152
	scratch_load_b128 v[130:133], off, off offset:168
	scratch_load_b128 v[134:137], off, off offset:184
	scratch_load_b128 v[138:141], off, off offset:200
	scratch_load_b128 v[142:145], off, off offset:216
	scratch_load_b128 v[146:149], off, off offset:232
	v_mov_b32_e32 v2, 0
	ds_load_b128 v[150:153], v2 offset:656
	ds_load_b128 v[154:157], v2 offset:672
	scratch_load_b128 v[158:161], off, off offset:248
	s_mov_b32 s0, exec_lo
	s_wait_loadcnt_dscnt 0x601
	v_fma_f64 v[162:163], v[128:129], v[150:151], 0
	s_wait_loadcnt 0x5
	s_delay_alu instid0(VALU_DEP_1) | instskip(SKIP_4) | instid1(VALU_DEP_1)
	v_fmac_f64_e32 v[162:163], v[130:131], v[152:153]
	scratch_load_b128 v[128:131], off, off offset:264
	s_wait_dscnt 0x0
	v_fmac_f64_e32 v[162:163], v[132:133], v[154:155]
	s_wait_loadcnt 0x5
	v_fmac_f64_e32 v[162:163], v[134:135], v[156:157]
	ds_load_b128 v[132:135], v2 offset:688
	ds_load_b128 v[150:153], v2 offset:704
	scratch_load_b128 v[154:157], off, off offset:280
	s_wait_dscnt 0x1
	v_fmac_f64_e32 v[162:163], v[136:137], v[132:133]
	s_wait_loadcnt 0x5
	s_delay_alu instid0(VALU_DEP_1) | instskip(SKIP_4) | instid1(VALU_DEP_1)
	v_fmac_f64_e32 v[162:163], v[138:139], v[134:135]
	scratch_load_b128 v[132:135], off, off offset:296
	s_wait_dscnt 0x0
	v_fmac_f64_e32 v[162:163], v[140:141], v[150:151]
	s_wait_loadcnt 0x5
	v_fmac_f64_e32 v[162:163], v[142:143], v[152:153]
	ds_load_b128 v[136:139], v2 offset:720
	ds_load_b128 v[140:143], v2 offset:736
	scratch_load_b128 v[150:153], off, off offset:312
	s_wait_dscnt 0x1
	v_fmac_f64_e32 v[162:163], v[144:145], v[136:137]
	s_wait_loadcnt 0x5
	s_delay_alu instid0(VALU_DEP_1) | instskip(SKIP_4) | instid1(VALU_DEP_1)
	v_fmac_f64_e32 v[162:163], v[146:147], v[138:139]
	scratch_load_b128 v[136:139], off, off offset:328
	s_wait_dscnt 0x0
	v_fmac_f64_e32 v[162:163], v[148:149], v[140:141]
	s_wait_loadcnt 0x5
	v_fmac_f64_e32 v[162:163], v[158:159], v[142:143]
	ds_load_b128 v[140:143], v2 offset:752
	ds_load_b128 v[144:147], v2 offset:768
	s_wait_dscnt 0x1
	v_fmac_f64_e32 v[162:163], v[160:161], v[140:141]
	scratch_load_b128 v[158:161], off, off offset:344
	s_wait_loadcnt 0x5
	v_fmac_f64_e32 v[162:163], v[128:129], v[142:143]
	s_wait_dscnt 0x0
	s_delay_alu instid0(VALU_DEP_1)
	v_fmac_f64_e32 v[162:163], v[130:131], v[144:145]
	scratch_load_b128 v[128:131], off, off offset:360
	s_wait_loadcnt 0x5
	v_fmac_f64_e32 v[162:163], v[154:155], v[146:147]
	ds_load_b128 v[140:143], v2 offset:784
	ds_load_b128 v[144:147], v2 offset:800
	s_wait_dscnt 0x1
	v_fmac_f64_e32 v[162:163], v[156:157], v[140:141]
	scratch_load_b128 v[154:157], off, off offset:376
	s_wait_loadcnt 0x5
	v_fmac_f64_e32 v[162:163], v[132:133], v[142:143]
	s_wait_dscnt 0x0
	s_delay_alu instid0(VALU_DEP_1)
	v_fmac_f64_e32 v[162:163], v[134:135], v[144:145]
	scratch_load_b128 v[132:135], off, off offset:392
	s_wait_loadcnt 0x5
	v_fmac_f64_e32 v[162:163], v[150:151], v[146:147]
	ds_load_b128 v[140:143], v2 offset:816
	ds_load_b128 v[144:147], v2 offset:832
	s_wait_dscnt 0x1
	v_fmac_f64_e32 v[162:163], v[152:153], v[140:141]
	s_wait_loadcnt 0x4
	s_delay_alu instid0(VALU_DEP_1)
	v_fmac_f64_e32 v[162:163], v[136:137], v[142:143]
	scratch_load_b128 v[140:143], off, off offset:408
	s_wait_dscnt 0x0
	v_fmac_f64_e32 v[162:163], v[138:139], v[144:145]
	scratch_load_b128 v[136:139], off, off offset:424
	s_wait_loadcnt 0x5
	v_fmac_f64_e32 v[162:163], v[158:159], v[146:147]
	ds_load_b128 v[144:147], v2 offset:848
	ds_load_b128 v[148:151], v2 offset:864
	s_wait_dscnt 0x1
	v_fmac_f64_e32 v[162:163], v[160:161], v[144:145]
	s_wait_loadcnt 0x4
	s_delay_alu instid0(VALU_DEP_1)
	v_fmac_f64_e32 v[162:163], v[128:129], v[146:147]
	scratch_load_b128 v[144:147], off, off offset:440
	s_wait_dscnt 0x0
	v_fmac_f64_e32 v[162:163], v[130:131], v[148:149]
	scratch_load_b128 v[128:131], off, off offset:456
	s_wait_loadcnt 0x5
	v_fmac_f64_e32 v[162:163], v[154:155], v[150:151]
	ds_load_b128 v[148:151], v2 offset:880
	ds_load_b128 v[152:155], v2 offset:896
	s_wait_dscnt 0x1
	v_fmac_f64_e32 v[162:163], v[156:157], v[148:149]
	s_wait_loadcnt 0x4
	s_delay_alu instid0(VALU_DEP_1) | instskip(SKIP_4) | instid1(VALU_DEP_1)
	v_fmac_f64_e32 v[162:163], v[132:133], v[150:151]
	scratch_load_b128 v[148:151], off, off offset:472
	s_wait_dscnt 0x0
	v_fmac_f64_e32 v[162:163], v[134:135], v[152:153]
	s_wait_loadcnt 0x4
	v_fmac_f64_e32 v[162:163], v[140:141], v[154:155]
	ds_load_b128 v[132:135], v2 offset:912
	ds_load_b128 v[152:155], v2 offset:928
	s_wait_dscnt 0x1
	v_fmac_f64_e32 v[162:163], v[142:143], v[132:133]
	s_wait_loadcnt 0x3
	s_delay_alu instid0(VALU_DEP_1) | instskip(SKIP_1) | instid1(VALU_DEP_1)
	v_fmac_f64_e32 v[162:163], v[136:137], v[134:135]
	s_wait_dscnt 0x0
	v_fmac_f64_e32 v[162:163], v[138:139], v[152:153]
	ds_load_b128 v[132:135], v2 offset:944
	ds_load_b128 v[136:139], v2 offset:960
	s_wait_loadcnt 0x2
	v_fmac_f64_e32 v[162:163], v[144:145], v[154:155]
	s_wait_dscnt 0x1
	s_delay_alu instid0(VALU_DEP_1) | instskip(SKIP_1) | instid1(VALU_DEP_1)
	v_fmac_f64_e32 v[162:163], v[146:147], v[132:133]
	s_wait_loadcnt 0x1
	v_fmac_f64_e32 v[162:163], v[128:129], v[134:135]
	ds_load_b64 v[128:129], v2 offset:976
	s_wait_dscnt 0x1
	v_fmac_f64_e32 v[162:163], v[130:131], v[136:137]
	s_wait_loadcnt 0x0
	s_delay_alu instid0(VALU_DEP_1) | instskip(SKIP_1) | instid1(VALU_DEP_1)
	v_fmac_f64_e32 v[162:163], v[148:149], v[138:139]
	s_wait_dscnt 0x0
	v_fmac_f64_e32 v[162:163], v[150:151], v[128:129]
	s_delay_alu instid0(VALU_DEP_1)
	v_add_f64_e64 v[126:127], v[126:127], -v[162:163]
	scratch_store_b64 off, v[126:127], off offset:152
	s_wait_xcnt 0x0
	v_cmpx_lt_u32_e32 18, v0
	s_cbranch_execz .LBB124_339
; %bb.338:
	scratch_load_b64 v[126:127], off, off offset:144
	v_mov_b64_e32 v[128:129], 0
	scratch_store_b64 off, v[128:129], off offset:144
	s_wait_loadcnt 0x0
	ds_store_b64 v1, v[126:127]
.LBB124_339:
	s_wait_xcnt 0x0
	s_or_b32 exec_lo, exec_lo, s0
	s_wait_storecnt_dscnt 0x0
	s_barrier_signal -1
	s_barrier_wait -1
	s_clause 0x5
	scratch_load_b128 v[126:129], off, off offset:144
	scratch_load_b128 v[130:133], off, off offset:160
	;; [unrolled: 1-line block ×6, first 2 shown]
	ds_load_2addr_b64 v[150:153], v2 offset0:81 offset1:82
	ds_load_2addr_b64 v[154:157], v2 offset0:83 offset1:84
	scratch_load_b128 v[158:161], off, off offset:240
	s_mov_b32 s0, exec_lo
	s_wait_loadcnt_dscnt 0x601
	v_fma_f64 v[162:163], v[128:129], v[150:151], 0
	s_wait_loadcnt 0x5
	s_delay_alu instid0(VALU_DEP_1) | instskip(SKIP_4) | instid1(VALU_DEP_1)
	v_fmac_f64_e32 v[162:163], v[130:131], v[152:153]
	scratch_load_b128 v[128:131], off, off offset:256
	s_wait_dscnt 0x0
	v_fmac_f64_e32 v[162:163], v[132:133], v[154:155]
	s_wait_loadcnt 0x5
	v_fmac_f64_e32 v[162:163], v[134:135], v[156:157]
	ds_load_2addr_b64 v[132:135], v2 offset0:85 offset1:86
	ds_load_2addr_b64 v[150:153], v2 offset0:87 offset1:88
	scratch_load_b128 v[154:157], off, off offset:272
	s_wait_dscnt 0x1
	v_fmac_f64_e32 v[162:163], v[136:137], v[132:133]
	s_wait_loadcnt 0x5
	s_delay_alu instid0(VALU_DEP_1) | instskip(SKIP_4) | instid1(VALU_DEP_1)
	v_fmac_f64_e32 v[162:163], v[138:139], v[134:135]
	scratch_load_b128 v[132:135], off, off offset:288
	s_wait_dscnt 0x0
	v_fmac_f64_e32 v[162:163], v[140:141], v[150:151]
	s_wait_loadcnt 0x5
	v_fmac_f64_e32 v[162:163], v[142:143], v[152:153]
	ds_load_2addr_b64 v[136:139], v2 offset0:89 offset1:90
	ds_load_2addr_b64 v[140:143], v2 offset0:91 offset1:92
	scratch_load_b128 v[150:153], off, off offset:304
	s_wait_dscnt 0x1
	v_fmac_f64_e32 v[162:163], v[144:145], v[136:137]
	s_wait_loadcnt 0x5
	s_delay_alu instid0(VALU_DEP_1) | instskip(SKIP_4) | instid1(VALU_DEP_1)
	v_fmac_f64_e32 v[162:163], v[146:147], v[138:139]
	scratch_load_b128 v[136:139], off, off offset:320
	s_wait_dscnt 0x0
	v_fmac_f64_e32 v[162:163], v[148:149], v[140:141]
	s_wait_loadcnt 0x5
	v_fmac_f64_e32 v[162:163], v[158:159], v[142:143]
	ds_load_2addr_b64 v[140:143], v2 offset0:93 offset1:94
	ds_load_2addr_b64 v[144:147], v2 offset0:95 offset1:96
	s_wait_dscnt 0x1
	v_fmac_f64_e32 v[162:163], v[160:161], v[140:141]
	scratch_load_b128 v[158:161], off, off offset:336
	s_wait_loadcnt 0x5
	v_fmac_f64_e32 v[162:163], v[128:129], v[142:143]
	s_wait_dscnt 0x0
	s_delay_alu instid0(VALU_DEP_1)
	v_fmac_f64_e32 v[162:163], v[130:131], v[144:145]
	scratch_load_b128 v[128:131], off, off offset:352
	s_wait_loadcnt 0x5
	v_fmac_f64_e32 v[162:163], v[154:155], v[146:147]
	ds_load_2addr_b64 v[140:143], v2 offset0:97 offset1:98
	ds_load_2addr_b64 v[144:147], v2 offset0:99 offset1:100
	s_wait_dscnt 0x1
	v_fmac_f64_e32 v[162:163], v[156:157], v[140:141]
	scratch_load_b128 v[154:157], off, off offset:368
	s_wait_loadcnt 0x5
	v_fmac_f64_e32 v[162:163], v[132:133], v[142:143]
	s_wait_dscnt 0x0
	s_delay_alu instid0(VALU_DEP_1)
	v_fmac_f64_e32 v[162:163], v[134:135], v[144:145]
	scratch_load_b128 v[132:135], off, off offset:384
	s_wait_loadcnt 0x5
	v_fmac_f64_e32 v[162:163], v[150:151], v[146:147]
	ds_load_2addr_b64 v[140:143], v2 offset0:101 offset1:102
	ds_load_2addr_b64 v[144:147], v2 offset0:103 offset1:104
	scratch_load_b128 v[148:151], off, off offset:400
	s_wait_dscnt 0x1
	v_fmac_f64_e32 v[162:163], v[152:153], v[140:141]
	s_wait_loadcnt 0x5
	s_delay_alu instid0(VALU_DEP_1) | instskip(SKIP_1) | instid1(VALU_DEP_1)
	v_fmac_f64_e32 v[162:163], v[136:137], v[142:143]
	s_wait_dscnt 0x0
	v_fmac_f64_e32 v[162:163], v[138:139], v[144:145]
	scratch_load_b128 v[136:139], off, off offset:416
	s_wait_loadcnt 0x5
	v_fmac_f64_e32 v[162:163], v[158:159], v[146:147]
	ds_load_2addr_b64 v[140:143], v2 offset0:105 offset1:106
	ds_load_2addr_b64 v[144:147], v2 offset0:107 offset1:108
	s_wait_dscnt 0x1
	v_fmac_f64_e32 v[162:163], v[160:161], v[140:141]
	s_wait_loadcnt 0x4
	s_delay_alu instid0(VALU_DEP_1)
	v_fmac_f64_e32 v[162:163], v[128:129], v[142:143]
	scratch_load_b128 v[140:143], off, off offset:432
	s_wait_dscnt 0x0
	v_fmac_f64_e32 v[162:163], v[130:131], v[144:145]
	scratch_load_b128 v[128:131], off, off offset:448
	s_wait_loadcnt 0x5
	v_fmac_f64_e32 v[162:163], v[154:155], v[146:147]
	ds_load_2addr_b64 v[144:147], v2 offset0:109 offset1:110
	ds_load_2addr_b64 v[152:155], v2 offset0:111 offset1:112
	s_wait_dscnt 0x1
	v_fmac_f64_e32 v[162:163], v[156:157], v[144:145]
	s_wait_loadcnt 0x4
	s_delay_alu instid0(VALU_DEP_1) | instskip(SKIP_4) | instid1(VALU_DEP_1)
	v_fmac_f64_e32 v[162:163], v[132:133], v[146:147]
	scratch_load_b128 v[144:147], off, off offset:464
	s_wait_dscnt 0x0
	v_fmac_f64_e32 v[162:163], v[134:135], v[152:153]
	s_wait_loadcnt 0x4
	v_fmac_f64_e32 v[162:163], v[148:149], v[154:155]
	scratch_load_b64 v[148:149], off, off offset:480
	ds_load_2addr_b64 v[132:135], v2 offset0:113 offset1:114
	ds_load_2addr_b64 v[152:155], v2 offset0:115 offset1:116
	s_wait_dscnt 0x1
	v_fmac_f64_e32 v[162:163], v[150:151], v[132:133]
	s_wait_loadcnt 0x4
	s_delay_alu instid0(VALU_DEP_1) | instskip(SKIP_1) | instid1(VALU_DEP_1)
	v_fmac_f64_e32 v[162:163], v[136:137], v[134:135]
	s_wait_dscnt 0x0
	v_fmac_f64_e32 v[162:163], v[138:139], v[152:153]
	ds_load_2addr_b64 v[132:135], v2 offset0:117 offset1:118
	ds_load_2addr_b64 v[136:139], v2 offset0:119 offset1:120
	s_wait_loadcnt 0x3
	v_fmac_f64_e32 v[162:163], v[140:141], v[154:155]
	s_wait_dscnt 0x1
	s_delay_alu instid0(VALU_DEP_1) | instskip(SKIP_1) | instid1(VALU_DEP_1)
	v_fmac_f64_e32 v[162:163], v[142:143], v[132:133]
	s_wait_loadcnt 0x2
	v_fmac_f64_e32 v[162:163], v[128:129], v[134:135]
	s_wait_dscnt 0x0
	s_delay_alu instid0(VALU_DEP_1) | instskip(SKIP_4) | instid1(VALU_DEP_1)
	v_fmac_f64_e32 v[162:163], v[130:131], v[136:137]
	ds_load_2addr_b64 v[128:131], v2 offset0:121 offset1:122
	s_wait_loadcnt 0x1
	v_fmac_f64_e32 v[162:163], v[144:145], v[138:139]
	s_wait_dscnt 0x0
	v_fmac_f64_e32 v[162:163], v[146:147], v[128:129]
	s_wait_loadcnt 0x0
	s_delay_alu instid0(VALU_DEP_1) | instskip(NEXT) | instid1(VALU_DEP_1)
	v_fmac_f64_e32 v[162:163], v[148:149], v[130:131]
	v_add_f64_e64 v[2:3], v[126:127], -v[162:163]
	scratch_store_b64 off, v[2:3], off offset:144
	s_wait_xcnt 0x0
	v_cmpx_lt_u32_e32 17, v0
	s_cbranch_execz .LBB124_341
; %bb.340:
	scratch_load_b64 v[2:3], off, off offset:136
	v_mov_b64_e32 v[126:127], 0
	scratch_store_b64 off, v[126:127], off offset:136
	s_wait_loadcnt 0x0
	ds_store_b64 v1, v[2:3]
.LBB124_341:
	s_wait_xcnt 0x0
	s_or_b32 exec_lo, exec_lo, s0
	s_wait_storecnt_dscnt 0x0
	s_barrier_signal -1
	s_barrier_wait -1
	s_clause 0x5
	scratch_load_b128 v[126:129], off, off offset:136
	scratch_load_b128 v[130:133], off, off offset:152
	scratch_load_b128 v[134:137], off, off offset:168
	scratch_load_b128 v[138:141], off, off offset:184
	scratch_load_b128 v[142:145], off, off offset:200
	scratch_load_b128 v[146:149], off, off offset:216
	v_mov_b32_e32 v2, 0
	ds_load_b128 v[150:153], v2 offset:640
	ds_load_b128 v[154:157], v2 offset:656
	scratch_load_b128 v[158:161], off, off offset:232
	s_mov_b32 s0, exec_lo
	s_wait_loadcnt_dscnt 0x601
	v_fma_f64 v[162:163], v[128:129], v[150:151], 0
	s_wait_loadcnt 0x5
	s_delay_alu instid0(VALU_DEP_1) | instskip(SKIP_4) | instid1(VALU_DEP_1)
	v_fmac_f64_e32 v[162:163], v[130:131], v[152:153]
	scratch_load_b128 v[128:131], off, off offset:248
	s_wait_dscnt 0x0
	v_fmac_f64_e32 v[162:163], v[132:133], v[154:155]
	s_wait_loadcnt 0x5
	v_fmac_f64_e32 v[162:163], v[134:135], v[156:157]
	ds_load_b128 v[132:135], v2 offset:672
	ds_load_b128 v[150:153], v2 offset:688
	scratch_load_b128 v[154:157], off, off offset:264
	s_wait_dscnt 0x1
	v_fmac_f64_e32 v[162:163], v[136:137], v[132:133]
	s_wait_loadcnt 0x5
	s_delay_alu instid0(VALU_DEP_1) | instskip(SKIP_4) | instid1(VALU_DEP_1)
	v_fmac_f64_e32 v[162:163], v[138:139], v[134:135]
	scratch_load_b128 v[132:135], off, off offset:280
	s_wait_dscnt 0x0
	v_fmac_f64_e32 v[162:163], v[140:141], v[150:151]
	s_wait_loadcnt 0x5
	v_fmac_f64_e32 v[162:163], v[142:143], v[152:153]
	ds_load_b128 v[136:139], v2 offset:704
	ds_load_b128 v[140:143], v2 offset:720
	scratch_load_b128 v[150:153], off, off offset:296
	s_wait_dscnt 0x1
	v_fmac_f64_e32 v[162:163], v[144:145], v[136:137]
	s_wait_loadcnt 0x5
	s_delay_alu instid0(VALU_DEP_1) | instskip(SKIP_4) | instid1(VALU_DEP_1)
	v_fmac_f64_e32 v[162:163], v[146:147], v[138:139]
	scratch_load_b128 v[136:139], off, off offset:312
	s_wait_dscnt 0x0
	v_fmac_f64_e32 v[162:163], v[148:149], v[140:141]
	s_wait_loadcnt 0x5
	v_fmac_f64_e32 v[162:163], v[158:159], v[142:143]
	ds_load_b128 v[140:143], v2 offset:736
	ds_load_b128 v[144:147], v2 offset:752
	s_wait_dscnt 0x1
	v_fmac_f64_e32 v[162:163], v[160:161], v[140:141]
	scratch_load_b128 v[158:161], off, off offset:328
	s_wait_loadcnt 0x5
	v_fmac_f64_e32 v[162:163], v[128:129], v[142:143]
	s_wait_dscnt 0x0
	s_delay_alu instid0(VALU_DEP_1)
	v_fmac_f64_e32 v[162:163], v[130:131], v[144:145]
	scratch_load_b128 v[128:131], off, off offset:344
	s_wait_loadcnt 0x5
	v_fmac_f64_e32 v[162:163], v[154:155], v[146:147]
	ds_load_b128 v[140:143], v2 offset:768
	ds_load_b128 v[144:147], v2 offset:784
	s_wait_dscnt 0x1
	v_fmac_f64_e32 v[162:163], v[156:157], v[140:141]
	scratch_load_b128 v[154:157], off, off offset:360
	s_wait_loadcnt 0x5
	v_fmac_f64_e32 v[162:163], v[132:133], v[142:143]
	s_wait_dscnt 0x0
	s_delay_alu instid0(VALU_DEP_1)
	v_fmac_f64_e32 v[162:163], v[134:135], v[144:145]
	scratch_load_b128 v[132:135], off, off offset:376
	s_wait_loadcnt 0x5
	v_fmac_f64_e32 v[162:163], v[150:151], v[146:147]
	ds_load_b128 v[140:143], v2 offset:800
	ds_load_b128 v[144:147], v2 offset:816
	scratch_load_b128 v[148:151], off, off offset:392
	s_wait_dscnt 0x1
	v_fmac_f64_e32 v[162:163], v[152:153], v[140:141]
	s_wait_loadcnt 0x5
	s_delay_alu instid0(VALU_DEP_1) | instskip(SKIP_1) | instid1(VALU_DEP_1)
	v_fmac_f64_e32 v[162:163], v[136:137], v[142:143]
	s_wait_dscnt 0x0
	v_fmac_f64_e32 v[162:163], v[138:139], v[144:145]
	scratch_load_b128 v[136:139], off, off offset:408
	s_wait_loadcnt 0x5
	v_fmac_f64_e32 v[162:163], v[158:159], v[146:147]
	ds_load_b128 v[140:143], v2 offset:832
	ds_load_b128 v[144:147], v2 offset:848
	s_wait_dscnt 0x1
	v_fmac_f64_e32 v[162:163], v[160:161], v[140:141]
	s_wait_loadcnt 0x4
	s_delay_alu instid0(VALU_DEP_1)
	v_fmac_f64_e32 v[162:163], v[128:129], v[142:143]
	scratch_load_b128 v[140:143], off, off offset:424
	s_wait_dscnt 0x0
	v_fmac_f64_e32 v[162:163], v[130:131], v[144:145]
	scratch_load_b128 v[128:131], off, off offset:440
	s_wait_loadcnt 0x5
	v_fmac_f64_e32 v[162:163], v[154:155], v[146:147]
	ds_load_b128 v[144:147], v2 offset:864
	ds_load_b128 v[152:155], v2 offset:880
	s_wait_dscnt 0x1
	v_fmac_f64_e32 v[162:163], v[156:157], v[144:145]
	s_wait_loadcnt 0x4
	s_delay_alu instid0(VALU_DEP_1)
	v_fmac_f64_e32 v[162:163], v[132:133], v[146:147]
	scratch_load_b128 v[144:147], off, off offset:456
	s_wait_dscnt 0x0
	v_fmac_f64_e32 v[162:163], v[134:135], v[152:153]
	scratch_load_b128 v[132:135], off, off offset:472
	s_wait_loadcnt 0x5
	v_fmac_f64_e32 v[162:163], v[148:149], v[154:155]
	ds_load_b128 v[152:155], v2 offset:896
	ds_load_b128 v[156:159], v2 offset:912
	s_wait_dscnt 0x1
	v_fmac_f64_e32 v[162:163], v[150:151], v[152:153]
	s_wait_loadcnt 0x4
	s_delay_alu instid0(VALU_DEP_1) | instskip(SKIP_1) | instid1(VALU_DEP_1)
	v_fmac_f64_e32 v[162:163], v[136:137], v[154:155]
	s_wait_dscnt 0x0
	v_fmac_f64_e32 v[162:163], v[138:139], v[156:157]
	ds_load_b128 v[136:139], v2 offset:928
	ds_load_b128 v[148:151], v2 offset:944
	s_wait_loadcnt 0x3
	v_fmac_f64_e32 v[162:163], v[140:141], v[158:159]
	s_wait_dscnt 0x1
	s_delay_alu instid0(VALU_DEP_1) | instskip(SKIP_1) | instid1(VALU_DEP_1)
	v_fmac_f64_e32 v[162:163], v[142:143], v[136:137]
	s_wait_loadcnt 0x2
	v_fmac_f64_e32 v[162:163], v[128:129], v[138:139]
	s_wait_dscnt 0x0
	s_delay_alu instid0(VALU_DEP_1)
	v_fmac_f64_e32 v[162:163], v[130:131], v[148:149]
	ds_load_b128 v[128:131], v2 offset:960
	ds_load_b64 v[136:137], v2 offset:976
	s_wait_loadcnt 0x1
	v_fmac_f64_e32 v[162:163], v[144:145], v[150:151]
	s_wait_dscnt 0x1
	s_delay_alu instid0(VALU_DEP_1) | instskip(SKIP_1) | instid1(VALU_DEP_1)
	v_fmac_f64_e32 v[162:163], v[146:147], v[128:129]
	s_wait_loadcnt 0x0
	v_fmac_f64_e32 v[162:163], v[132:133], v[130:131]
	s_wait_dscnt 0x0
	s_delay_alu instid0(VALU_DEP_1) | instskip(NEXT) | instid1(VALU_DEP_1)
	v_fmac_f64_e32 v[162:163], v[134:135], v[136:137]
	v_add_f64_e64 v[126:127], v[126:127], -v[162:163]
	scratch_store_b64 off, v[126:127], off offset:136
	s_wait_xcnt 0x0
	v_cmpx_lt_u32_e32 16, v0
	s_cbranch_execz .LBB124_343
; %bb.342:
	scratch_load_b64 v[126:127], off, off offset:128
	v_mov_b64_e32 v[128:129], 0
	scratch_store_b64 off, v[128:129], off offset:128
	s_wait_loadcnt 0x0
	ds_store_b64 v1, v[126:127]
.LBB124_343:
	s_wait_xcnt 0x0
	s_or_b32 exec_lo, exec_lo, s0
	s_wait_storecnt_dscnt 0x0
	s_barrier_signal -1
	s_barrier_wait -1
	s_clause 0x5
	scratch_load_b128 v[126:129], off, off offset:128
	scratch_load_b128 v[130:133], off, off offset:144
	;; [unrolled: 1-line block ×6, first 2 shown]
	ds_load_2addr_b64 v[150:153], v2 offset0:79 offset1:80
	ds_load_2addr_b64 v[154:157], v2 offset0:81 offset1:82
	scratch_load_b128 v[158:161], off, off offset:224
	s_mov_b32 s0, exec_lo
	s_wait_loadcnt_dscnt 0x601
	v_fma_f64 v[162:163], v[128:129], v[150:151], 0
	s_wait_loadcnt 0x5
	s_delay_alu instid0(VALU_DEP_1) | instskip(SKIP_4) | instid1(VALU_DEP_1)
	v_fmac_f64_e32 v[162:163], v[130:131], v[152:153]
	scratch_load_b128 v[128:131], off, off offset:240
	s_wait_dscnt 0x0
	v_fmac_f64_e32 v[162:163], v[132:133], v[154:155]
	s_wait_loadcnt 0x5
	v_fmac_f64_e32 v[162:163], v[134:135], v[156:157]
	ds_load_2addr_b64 v[132:135], v2 offset0:83 offset1:84
	ds_load_2addr_b64 v[150:153], v2 offset0:85 offset1:86
	scratch_load_b128 v[154:157], off, off offset:256
	s_wait_dscnt 0x1
	v_fmac_f64_e32 v[162:163], v[136:137], v[132:133]
	s_wait_loadcnt 0x5
	s_delay_alu instid0(VALU_DEP_1) | instskip(SKIP_4) | instid1(VALU_DEP_1)
	v_fmac_f64_e32 v[162:163], v[138:139], v[134:135]
	scratch_load_b128 v[132:135], off, off offset:272
	s_wait_dscnt 0x0
	v_fmac_f64_e32 v[162:163], v[140:141], v[150:151]
	s_wait_loadcnt 0x5
	v_fmac_f64_e32 v[162:163], v[142:143], v[152:153]
	ds_load_2addr_b64 v[136:139], v2 offset0:87 offset1:88
	ds_load_2addr_b64 v[140:143], v2 offset0:89 offset1:90
	scratch_load_b128 v[150:153], off, off offset:288
	s_wait_dscnt 0x1
	v_fmac_f64_e32 v[162:163], v[144:145], v[136:137]
	s_wait_loadcnt 0x5
	s_delay_alu instid0(VALU_DEP_1) | instskip(SKIP_4) | instid1(VALU_DEP_1)
	v_fmac_f64_e32 v[162:163], v[146:147], v[138:139]
	scratch_load_b128 v[136:139], off, off offset:304
	s_wait_dscnt 0x0
	v_fmac_f64_e32 v[162:163], v[148:149], v[140:141]
	s_wait_loadcnt 0x5
	v_fmac_f64_e32 v[162:163], v[158:159], v[142:143]
	ds_load_2addr_b64 v[140:143], v2 offset0:91 offset1:92
	ds_load_2addr_b64 v[144:147], v2 offset0:93 offset1:94
	s_wait_dscnt 0x1
	v_fmac_f64_e32 v[162:163], v[160:161], v[140:141]
	scratch_load_b128 v[158:161], off, off offset:320
	s_wait_loadcnt 0x5
	v_fmac_f64_e32 v[162:163], v[128:129], v[142:143]
	s_wait_dscnt 0x0
	s_delay_alu instid0(VALU_DEP_1)
	v_fmac_f64_e32 v[162:163], v[130:131], v[144:145]
	scratch_load_b128 v[128:131], off, off offset:336
	s_wait_loadcnt 0x5
	v_fmac_f64_e32 v[162:163], v[154:155], v[146:147]
	ds_load_2addr_b64 v[140:143], v2 offset0:95 offset1:96
	ds_load_2addr_b64 v[144:147], v2 offset0:97 offset1:98
	s_wait_dscnt 0x1
	v_fmac_f64_e32 v[162:163], v[156:157], v[140:141]
	scratch_load_b128 v[154:157], off, off offset:352
	s_wait_loadcnt 0x5
	v_fmac_f64_e32 v[162:163], v[132:133], v[142:143]
	s_wait_dscnt 0x0
	s_delay_alu instid0(VALU_DEP_1)
	v_fmac_f64_e32 v[162:163], v[134:135], v[144:145]
	scratch_load_b128 v[132:135], off, off offset:368
	s_wait_loadcnt 0x5
	v_fmac_f64_e32 v[162:163], v[150:151], v[146:147]
	ds_load_2addr_b64 v[140:143], v2 offset0:99 offset1:100
	ds_load_2addr_b64 v[144:147], v2 offset0:101 offset1:102
	scratch_load_b128 v[148:151], off, off offset:384
	s_wait_dscnt 0x1
	v_fmac_f64_e32 v[162:163], v[152:153], v[140:141]
	s_wait_loadcnt 0x5
	s_delay_alu instid0(VALU_DEP_1) | instskip(SKIP_1) | instid1(VALU_DEP_1)
	v_fmac_f64_e32 v[162:163], v[136:137], v[142:143]
	s_wait_dscnt 0x0
	v_fmac_f64_e32 v[162:163], v[138:139], v[144:145]
	scratch_load_b128 v[136:139], off, off offset:400
	s_wait_loadcnt 0x5
	v_fmac_f64_e32 v[162:163], v[158:159], v[146:147]
	ds_load_2addr_b64 v[140:143], v2 offset0:103 offset1:104
	ds_load_2addr_b64 v[144:147], v2 offset0:105 offset1:106
	s_wait_dscnt 0x1
	v_fmac_f64_e32 v[162:163], v[160:161], v[140:141]
	s_wait_loadcnt 0x4
	s_delay_alu instid0(VALU_DEP_1)
	v_fmac_f64_e32 v[162:163], v[128:129], v[142:143]
	scratch_load_b128 v[140:143], off, off offset:416
	s_wait_dscnt 0x0
	v_fmac_f64_e32 v[162:163], v[130:131], v[144:145]
	scratch_load_b128 v[128:131], off, off offset:432
	s_wait_loadcnt 0x5
	v_fmac_f64_e32 v[162:163], v[154:155], v[146:147]
	ds_load_2addr_b64 v[144:147], v2 offset0:107 offset1:108
	ds_load_2addr_b64 v[152:155], v2 offset0:109 offset1:110
	s_wait_dscnt 0x1
	v_fmac_f64_e32 v[162:163], v[156:157], v[144:145]
	s_wait_loadcnt 0x4
	s_delay_alu instid0(VALU_DEP_1)
	v_fmac_f64_e32 v[162:163], v[132:133], v[146:147]
	scratch_load_b128 v[144:147], off, off offset:448
	s_wait_dscnt 0x0
	v_fmac_f64_e32 v[162:163], v[134:135], v[152:153]
	scratch_load_b128 v[132:135], off, off offset:464
	s_wait_loadcnt 0x5
	v_fmac_f64_e32 v[162:163], v[148:149], v[154:155]
	ds_load_2addr_b64 v[152:155], v2 offset0:111 offset1:112
	ds_load_2addr_b64 v[156:159], v2 offset0:113 offset1:114
	s_wait_dscnt 0x1
	v_fmac_f64_e32 v[162:163], v[150:151], v[152:153]
	scratch_load_b64 v[152:153], off, off offset:480
	s_wait_loadcnt 0x5
	v_fmac_f64_e32 v[162:163], v[136:137], v[154:155]
	s_wait_dscnt 0x0
	s_delay_alu instid0(VALU_DEP_1)
	v_fmac_f64_e32 v[162:163], v[138:139], v[156:157]
	ds_load_2addr_b64 v[136:139], v2 offset0:115 offset1:116
	ds_load_2addr_b64 v[148:151], v2 offset0:117 offset1:118
	s_wait_loadcnt 0x4
	v_fmac_f64_e32 v[162:163], v[140:141], v[158:159]
	s_wait_dscnt 0x1
	s_delay_alu instid0(VALU_DEP_1) | instskip(SKIP_1) | instid1(VALU_DEP_1)
	v_fmac_f64_e32 v[162:163], v[142:143], v[136:137]
	s_wait_loadcnt 0x3
	v_fmac_f64_e32 v[162:163], v[128:129], v[138:139]
	s_wait_dscnt 0x0
	s_delay_alu instid0(VALU_DEP_1)
	v_fmac_f64_e32 v[162:163], v[130:131], v[148:149]
	ds_load_2addr_b64 v[128:131], v2 offset0:119 offset1:120
	ds_load_2addr_b64 v[136:139], v2 offset0:121 offset1:122
	s_wait_loadcnt 0x2
	v_fmac_f64_e32 v[162:163], v[144:145], v[150:151]
	s_wait_dscnt 0x1
	s_delay_alu instid0(VALU_DEP_1) | instskip(SKIP_1) | instid1(VALU_DEP_1)
	v_fmac_f64_e32 v[162:163], v[146:147], v[128:129]
	s_wait_loadcnt 0x1
	v_fmac_f64_e32 v[162:163], v[132:133], v[130:131]
	s_wait_dscnt 0x0
	s_delay_alu instid0(VALU_DEP_1) | instskip(SKIP_1) | instid1(VALU_DEP_1)
	v_fmac_f64_e32 v[162:163], v[134:135], v[136:137]
	s_wait_loadcnt 0x0
	v_fmac_f64_e32 v[162:163], v[152:153], v[138:139]
	s_delay_alu instid0(VALU_DEP_1)
	v_add_f64_e64 v[2:3], v[126:127], -v[162:163]
	scratch_store_b64 off, v[2:3], off offset:128
	s_wait_xcnt 0x0
	v_cmpx_lt_u32_e32 15, v0
	s_cbranch_execz .LBB124_345
; %bb.344:
	scratch_load_b64 v[2:3], off, off offset:120
	v_mov_b64_e32 v[126:127], 0
	scratch_store_b64 off, v[126:127], off offset:120
	s_wait_loadcnt 0x0
	ds_store_b64 v1, v[2:3]
.LBB124_345:
	s_wait_xcnt 0x0
	s_or_b32 exec_lo, exec_lo, s0
	s_wait_storecnt_dscnt 0x0
	s_barrier_signal -1
	s_barrier_wait -1
	s_clause 0x5
	scratch_load_b128 v[126:129], off, off offset:120
	scratch_load_b128 v[130:133], off, off offset:136
	;; [unrolled: 1-line block ×6, first 2 shown]
	v_mov_b32_e32 v2, 0
	ds_load_b128 v[150:153], v2 offset:624
	ds_load_b128 v[154:157], v2 offset:640
	scratch_load_b128 v[158:161], off, off offset:216
	s_mov_b32 s0, exec_lo
	s_wait_loadcnt_dscnt 0x601
	v_fma_f64 v[162:163], v[128:129], v[150:151], 0
	s_wait_loadcnt 0x5
	s_delay_alu instid0(VALU_DEP_1) | instskip(SKIP_4) | instid1(VALU_DEP_1)
	v_fmac_f64_e32 v[162:163], v[130:131], v[152:153]
	scratch_load_b128 v[128:131], off, off offset:232
	s_wait_dscnt 0x0
	v_fmac_f64_e32 v[162:163], v[132:133], v[154:155]
	s_wait_loadcnt 0x5
	v_fmac_f64_e32 v[162:163], v[134:135], v[156:157]
	ds_load_b128 v[132:135], v2 offset:656
	ds_load_b128 v[150:153], v2 offset:672
	scratch_load_b128 v[154:157], off, off offset:248
	s_wait_dscnt 0x1
	v_fmac_f64_e32 v[162:163], v[136:137], v[132:133]
	s_wait_loadcnt 0x5
	s_delay_alu instid0(VALU_DEP_1) | instskip(SKIP_4) | instid1(VALU_DEP_1)
	v_fmac_f64_e32 v[162:163], v[138:139], v[134:135]
	scratch_load_b128 v[132:135], off, off offset:264
	s_wait_dscnt 0x0
	v_fmac_f64_e32 v[162:163], v[140:141], v[150:151]
	s_wait_loadcnt 0x5
	v_fmac_f64_e32 v[162:163], v[142:143], v[152:153]
	ds_load_b128 v[136:139], v2 offset:688
	ds_load_b128 v[140:143], v2 offset:704
	scratch_load_b128 v[150:153], off, off offset:280
	s_wait_dscnt 0x1
	v_fmac_f64_e32 v[162:163], v[144:145], v[136:137]
	s_wait_loadcnt 0x5
	s_delay_alu instid0(VALU_DEP_1) | instskip(SKIP_4) | instid1(VALU_DEP_1)
	v_fmac_f64_e32 v[162:163], v[146:147], v[138:139]
	scratch_load_b128 v[136:139], off, off offset:296
	s_wait_dscnt 0x0
	v_fmac_f64_e32 v[162:163], v[148:149], v[140:141]
	s_wait_loadcnt 0x5
	v_fmac_f64_e32 v[162:163], v[158:159], v[142:143]
	ds_load_b128 v[140:143], v2 offset:720
	ds_load_b128 v[144:147], v2 offset:736
	s_wait_dscnt 0x1
	v_fmac_f64_e32 v[162:163], v[160:161], v[140:141]
	scratch_load_b128 v[158:161], off, off offset:312
	s_wait_loadcnt 0x5
	v_fmac_f64_e32 v[162:163], v[128:129], v[142:143]
	s_wait_dscnt 0x0
	s_delay_alu instid0(VALU_DEP_1)
	v_fmac_f64_e32 v[162:163], v[130:131], v[144:145]
	scratch_load_b128 v[128:131], off, off offset:328
	s_wait_loadcnt 0x5
	v_fmac_f64_e32 v[162:163], v[154:155], v[146:147]
	ds_load_b128 v[140:143], v2 offset:752
	ds_load_b128 v[144:147], v2 offset:768
	s_wait_dscnt 0x1
	v_fmac_f64_e32 v[162:163], v[156:157], v[140:141]
	scratch_load_b128 v[154:157], off, off offset:344
	s_wait_loadcnt 0x5
	v_fmac_f64_e32 v[162:163], v[132:133], v[142:143]
	s_wait_dscnt 0x0
	s_delay_alu instid0(VALU_DEP_1)
	v_fmac_f64_e32 v[162:163], v[134:135], v[144:145]
	scratch_load_b128 v[132:135], off, off offset:360
	s_wait_loadcnt 0x5
	v_fmac_f64_e32 v[162:163], v[150:151], v[146:147]
	ds_load_b128 v[140:143], v2 offset:784
	ds_load_b128 v[144:147], v2 offset:800
	scratch_load_b128 v[148:151], off, off offset:376
	s_wait_dscnt 0x1
	v_fmac_f64_e32 v[162:163], v[152:153], v[140:141]
	s_wait_loadcnt 0x5
	s_delay_alu instid0(VALU_DEP_1) | instskip(SKIP_1) | instid1(VALU_DEP_1)
	v_fmac_f64_e32 v[162:163], v[136:137], v[142:143]
	s_wait_dscnt 0x0
	v_fmac_f64_e32 v[162:163], v[138:139], v[144:145]
	scratch_load_b128 v[136:139], off, off offset:392
	s_wait_loadcnt 0x5
	v_fmac_f64_e32 v[162:163], v[158:159], v[146:147]
	ds_load_b128 v[140:143], v2 offset:816
	ds_load_b128 v[144:147], v2 offset:832
	s_wait_dscnt 0x1
	v_fmac_f64_e32 v[162:163], v[160:161], v[140:141]
	s_wait_loadcnt 0x4
	s_delay_alu instid0(VALU_DEP_1)
	v_fmac_f64_e32 v[162:163], v[128:129], v[142:143]
	scratch_load_b128 v[140:143], off, off offset:408
	s_wait_dscnt 0x0
	v_fmac_f64_e32 v[162:163], v[130:131], v[144:145]
	scratch_load_b128 v[128:131], off, off offset:424
	s_wait_loadcnt 0x5
	v_fmac_f64_e32 v[162:163], v[154:155], v[146:147]
	ds_load_b128 v[144:147], v2 offset:848
	ds_load_b128 v[152:155], v2 offset:864
	s_wait_dscnt 0x1
	v_fmac_f64_e32 v[162:163], v[156:157], v[144:145]
	s_wait_loadcnt 0x4
	s_delay_alu instid0(VALU_DEP_1)
	v_fmac_f64_e32 v[162:163], v[132:133], v[146:147]
	scratch_load_b128 v[144:147], off, off offset:440
	s_wait_dscnt 0x0
	v_fmac_f64_e32 v[162:163], v[134:135], v[152:153]
	scratch_load_b128 v[132:135], off, off offset:456
	s_wait_loadcnt 0x5
	v_fmac_f64_e32 v[162:163], v[148:149], v[154:155]
	ds_load_b128 v[152:155], v2 offset:880
	ds_load_b128 v[156:159], v2 offset:896
	s_wait_dscnt 0x1
	v_fmac_f64_e32 v[162:163], v[150:151], v[152:153]
	scratch_load_b128 v[148:151], off, off offset:472
	s_wait_loadcnt 0x5
	v_fmac_f64_e32 v[162:163], v[136:137], v[154:155]
	s_wait_dscnt 0x0
	s_delay_alu instid0(VALU_DEP_1)
	v_fmac_f64_e32 v[162:163], v[138:139], v[156:157]
	ds_load_b128 v[136:139], v2 offset:912
	ds_load_b128 v[152:155], v2 offset:928
	s_wait_loadcnt 0x4
	v_fmac_f64_e32 v[162:163], v[140:141], v[158:159]
	s_wait_dscnt 0x1
	s_delay_alu instid0(VALU_DEP_1) | instskip(SKIP_1) | instid1(VALU_DEP_1)
	v_fmac_f64_e32 v[162:163], v[142:143], v[136:137]
	s_wait_loadcnt 0x3
	v_fmac_f64_e32 v[162:163], v[128:129], v[138:139]
	s_wait_dscnt 0x0
	s_delay_alu instid0(VALU_DEP_1)
	v_fmac_f64_e32 v[162:163], v[130:131], v[152:153]
	ds_load_b128 v[128:131], v2 offset:944
	ds_load_b128 v[136:139], v2 offset:960
	s_wait_loadcnt 0x2
	v_fmac_f64_e32 v[162:163], v[144:145], v[154:155]
	s_wait_dscnt 0x1
	s_delay_alu instid0(VALU_DEP_1) | instskip(SKIP_4) | instid1(VALU_DEP_1)
	v_fmac_f64_e32 v[162:163], v[146:147], v[128:129]
	ds_load_b64 v[128:129], v2 offset:976
	s_wait_loadcnt 0x1
	v_fmac_f64_e32 v[162:163], v[132:133], v[130:131]
	s_wait_dscnt 0x1
	v_fmac_f64_e32 v[162:163], v[134:135], v[136:137]
	s_wait_loadcnt 0x0
	s_delay_alu instid0(VALU_DEP_1) | instskip(SKIP_1) | instid1(VALU_DEP_1)
	v_fmac_f64_e32 v[162:163], v[148:149], v[138:139]
	s_wait_dscnt 0x0
	v_fmac_f64_e32 v[162:163], v[150:151], v[128:129]
	s_delay_alu instid0(VALU_DEP_1)
	v_add_f64_e64 v[126:127], v[126:127], -v[162:163]
	scratch_store_b64 off, v[126:127], off offset:120
	s_wait_xcnt 0x0
	v_cmpx_lt_u32_e32 14, v0
	s_cbranch_execz .LBB124_347
; %bb.346:
	scratch_load_b64 v[126:127], off, off offset:112
	v_mov_b64_e32 v[128:129], 0
	scratch_store_b64 off, v[128:129], off offset:112
	s_wait_loadcnt 0x0
	ds_store_b64 v1, v[126:127]
.LBB124_347:
	s_wait_xcnt 0x0
	s_or_b32 exec_lo, exec_lo, s0
	s_wait_storecnt_dscnt 0x0
	s_barrier_signal -1
	s_barrier_wait -1
	s_clause 0x5
	scratch_load_b128 v[126:129], off, off offset:112
	scratch_load_b128 v[130:133], off, off offset:128
	;; [unrolled: 1-line block ×6, first 2 shown]
	ds_load_2addr_b64 v[150:153], v2 offset0:77 offset1:78
	ds_load_2addr_b64 v[154:157], v2 offset0:79 offset1:80
	scratch_load_b128 v[158:161], off, off offset:208
	s_mov_b32 s0, exec_lo
	s_wait_loadcnt_dscnt 0x601
	v_fma_f64 v[162:163], v[128:129], v[150:151], 0
	s_wait_loadcnt 0x5
	s_delay_alu instid0(VALU_DEP_1) | instskip(SKIP_4) | instid1(VALU_DEP_1)
	v_fmac_f64_e32 v[162:163], v[130:131], v[152:153]
	scratch_load_b128 v[128:131], off, off offset:224
	s_wait_dscnt 0x0
	v_fmac_f64_e32 v[162:163], v[132:133], v[154:155]
	s_wait_loadcnt 0x5
	v_fmac_f64_e32 v[162:163], v[134:135], v[156:157]
	ds_load_2addr_b64 v[132:135], v2 offset0:81 offset1:82
	ds_load_2addr_b64 v[150:153], v2 offset0:83 offset1:84
	scratch_load_b128 v[154:157], off, off offset:240
	s_wait_dscnt 0x1
	v_fmac_f64_e32 v[162:163], v[136:137], v[132:133]
	s_wait_loadcnt 0x5
	s_delay_alu instid0(VALU_DEP_1) | instskip(SKIP_4) | instid1(VALU_DEP_1)
	v_fmac_f64_e32 v[162:163], v[138:139], v[134:135]
	scratch_load_b128 v[132:135], off, off offset:256
	s_wait_dscnt 0x0
	v_fmac_f64_e32 v[162:163], v[140:141], v[150:151]
	s_wait_loadcnt 0x5
	v_fmac_f64_e32 v[162:163], v[142:143], v[152:153]
	ds_load_2addr_b64 v[136:139], v2 offset0:85 offset1:86
	ds_load_2addr_b64 v[140:143], v2 offset0:87 offset1:88
	scratch_load_b128 v[150:153], off, off offset:272
	s_wait_dscnt 0x1
	v_fmac_f64_e32 v[162:163], v[144:145], v[136:137]
	s_wait_loadcnt 0x5
	s_delay_alu instid0(VALU_DEP_1) | instskip(SKIP_4) | instid1(VALU_DEP_1)
	v_fmac_f64_e32 v[162:163], v[146:147], v[138:139]
	scratch_load_b128 v[136:139], off, off offset:288
	s_wait_dscnt 0x0
	v_fmac_f64_e32 v[162:163], v[148:149], v[140:141]
	s_wait_loadcnt 0x5
	v_fmac_f64_e32 v[162:163], v[158:159], v[142:143]
	ds_load_2addr_b64 v[140:143], v2 offset0:89 offset1:90
	ds_load_2addr_b64 v[144:147], v2 offset0:91 offset1:92
	s_wait_dscnt 0x1
	v_fmac_f64_e32 v[162:163], v[160:161], v[140:141]
	scratch_load_b128 v[158:161], off, off offset:304
	s_wait_loadcnt 0x5
	v_fmac_f64_e32 v[162:163], v[128:129], v[142:143]
	s_wait_dscnt 0x0
	s_delay_alu instid0(VALU_DEP_1)
	v_fmac_f64_e32 v[162:163], v[130:131], v[144:145]
	scratch_load_b128 v[128:131], off, off offset:320
	s_wait_loadcnt 0x5
	v_fmac_f64_e32 v[162:163], v[154:155], v[146:147]
	ds_load_2addr_b64 v[140:143], v2 offset0:93 offset1:94
	ds_load_2addr_b64 v[144:147], v2 offset0:95 offset1:96
	s_wait_dscnt 0x1
	v_fmac_f64_e32 v[162:163], v[156:157], v[140:141]
	scratch_load_b128 v[154:157], off, off offset:336
	s_wait_loadcnt 0x5
	v_fmac_f64_e32 v[162:163], v[132:133], v[142:143]
	s_wait_dscnt 0x0
	s_delay_alu instid0(VALU_DEP_1)
	v_fmac_f64_e32 v[162:163], v[134:135], v[144:145]
	scratch_load_b128 v[132:135], off, off offset:352
	s_wait_loadcnt 0x5
	v_fmac_f64_e32 v[162:163], v[150:151], v[146:147]
	ds_load_2addr_b64 v[140:143], v2 offset0:97 offset1:98
	ds_load_2addr_b64 v[144:147], v2 offset0:99 offset1:100
	scratch_load_b128 v[148:151], off, off offset:368
	s_wait_dscnt 0x1
	v_fmac_f64_e32 v[162:163], v[152:153], v[140:141]
	s_wait_loadcnt 0x5
	s_delay_alu instid0(VALU_DEP_1) | instskip(SKIP_1) | instid1(VALU_DEP_1)
	v_fmac_f64_e32 v[162:163], v[136:137], v[142:143]
	s_wait_dscnt 0x0
	v_fmac_f64_e32 v[162:163], v[138:139], v[144:145]
	scratch_load_b128 v[136:139], off, off offset:384
	s_wait_loadcnt 0x5
	v_fmac_f64_e32 v[162:163], v[158:159], v[146:147]
	ds_load_2addr_b64 v[140:143], v2 offset0:101 offset1:102
	ds_load_2addr_b64 v[144:147], v2 offset0:103 offset1:104
	s_wait_dscnt 0x1
	v_fmac_f64_e32 v[162:163], v[160:161], v[140:141]
	scratch_load_b128 v[158:161], off, off offset:400
	s_wait_loadcnt 0x5
	v_fmac_f64_e32 v[162:163], v[128:129], v[142:143]
	s_wait_dscnt 0x0
	s_delay_alu instid0(VALU_DEP_1)
	v_fmac_f64_e32 v[162:163], v[130:131], v[144:145]
	scratch_load_b128 v[128:131], off, off offset:416
	s_wait_loadcnt 0x5
	v_fmac_f64_e32 v[162:163], v[154:155], v[146:147]
	ds_load_2addr_b64 v[140:143], v2 offset0:105 offset1:106
	ds_load_2addr_b64 v[144:147], v2 offset0:107 offset1:108
	s_wait_dscnt 0x1
	v_fmac_f64_e32 v[162:163], v[156:157], v[140:141]
	s_wait_loadcnt 0x4
	s_delay_alu instid0(VALU_DEP_1)
	v_fmac_f64_e32 v[162:163], v[132:133], v[142:143]
	scratch_load_b128 v[140:143], off, off offset:432
	s_wait_dscnt 0x0
	v_fmac_f64_e32 v[162:163], v[134:135], v[144:145]
	scratch_load_b128 v[132:135], off, off offset:448
	s_wait_loadcnt 0x5
	v_fmac_f64_e32 v[162:163], v[148:149], v[146:147]
	ds_load_2addr_b64 v[144:147], v2 offset0:109 offset1:110
	ds_load_2addr_b64 v[152:155], v2 offset0:111 offset1:112
	s_wait_dscnt 0x1
	v_fmac_f64_e32 v[162:163], v[150:151], v[144:145]
	s_wait_loadcnt 0x4
	s_delay_alu instid0(VALU_DEP_1)
	v_fmac_f64_e32 v[162:163], v[136:137], v[146:147]
	scratch_load_b128 v[144:147], off, off offset:464
	s_wait_dscnt 0x0
	v_fmac_f64_e32 v[162:163], v[138:139], v[152:153]
	scratch_load_b64 v[152:153], off, off offset:480
	ds_load_2addr_b64 v[136:139], v2 offset0:113 offset1:114
	ds_load_2addr_b64 v[148:151], v2 offset0:115 offset1:116
	s_wait_loadcnt 0x5
	v_fmac_f64_e32 v[162:163], v[158:159], v[154:155]
	s_wait_dscnt 0x1
	s_delay_alu instid0(VALU_DEP_1) | instskip(SKIP_1) | instid1(VALU_DEP_1)
	v_fmac_f64_e32 v[162:163], v[160:161], v[136:137]
	s_wait_loadcnt 0x4
	v_fmac_f64_e32 v[162:163], v[128:129], v[138:139]
	s_wait_dscnt 0x0
	s_delay_alu instid0(VALU_DEP_1)
	v_fmac_f64_e32 v[162:163], v[130:131], v[148:149]
	ds_load_2addr_b64 v[128:131], v2 offset0:117 offset1:118
	ds_load_2addr_b64 v[136:139], v2 offset0:119 offset1:120
	s_wait_loadcnt 0x3
	v_fmac_f64_e32 v[162:163], v[140:141], v[150:151]
	s_wait_dscnt 0x1
	s_delay_alu instid0(VALU_DEP_1) | instskip(SKIP_1) | instid1(VALU_DEP_1)
	v_fmac_f64_e32 v[162:163], v[142:143], v[128:129]
	s_wait_loadcnt 0x2
	v_fmac_f64_e32 v[162:163], v[132:133], v[130:131]
	ds_load_2addr_b64 v[128:131], v2 offset0:121 offset1:122
	s_wait_dscnt 0x1
	v_fmac_f64_e32 v[162:163], v[134:135], v[136:137]
	s_wait_loadcnt 0x1
	s_delay_alu instid0(VALU_DEP_1) | instskip(SKIP_1) | instid1(VALU_DEP_1)
	v_fmac_f64_e32 v[162:163], v[144:145], v[138:139]
	s_wait_dscnt 0x0
	v_fmac_f64_e32 v[162:163], v[146:147], v[128:129]
	s_wait_loadcnt 0x0
	s_delay_alu instid0(VALU_DEP_1) | instskip(NEXT) | instid1(VALU_DEP_1)
	v_fmac_f64_e32 v[162:163], v[152:153], v[130:131]
	v_add_f64_e64 v[2:3], v[126:127], -v[162:163]
	scratch_store_b64 off, v[2:3], off offset:112
	s_wait_xcnt 0x0
	v_cmpx_lt_u32_e32 13, v0
	s_cbranch_execz .LBB124_349
; %bb.348:
	scratch_load_b64 v[2:3], off, off offset:104
	v_mov_b64_e32 v[126:127], 0
	scratch_store_b64 off, v[126:127], off offset:104
	s_wait_loadcnt 0x0
	ds_store_b64 v1, v[2:3]
.LBB124_349:
	s_wait_xcnt 0x0
	s_or_b32 exec_lo, exec_lo, s0
	s_wait_storecnt_dscnt 0x0
	s_barrier_signal -1
	s_barrier_wait -1
	s_clause 0x5
	scratch_load_b128 v[126:129], off, off offset:104
	scratch_load_b128 v[130:133], off, off offset:120
	;; [unrolled: 1-line block ×6, first 2 shown]
	v_mov_b32_e32 v2, 0
	ds_load_b128 v[150:153], v2 offset:608
	ds_load_b128 v[154:157], v2 offset:624
	scratch_load_b128 v[158:161], off, off offset:200
	s_mov_b32 s0, exec_lo
	s_wait_loadcnt_dscnt 0x601
	v_fma_f64 v[162:163], v[128:129], v[150:151], 0
	s_wait_loadcnt 0x5
	s_delay_alu instid0(VALU_DEP_1) | instskip(SKIP_4) | instid1(VALU_DEP_1)
	v_fmac_f64_e32 v[162:163], v[130:131], v[152:153]
	scratch_load_b128 v[128:131], off, off offset:216
	s_wait_dscnt 0x0
	v_fmac_f64_e32 v[162:163], v[132:133], v[154:155]
	s_wait_loadcnt 0x5
	v_fmac_f64_e32 v[162:163], v[134:135], v[156:157]
	ds_load_b128 v[132:135], v2 offset:640
	ds_load_b128 v[150:153], v2 offset:656
	scratch_load_b128 v[154:157], off, off offset:232
	s_wait_dscnt 0x1
	v_fmac_f64_e32 v[162:163], v[136:137], v[132:133]
	s_wait_loadcnt 0x5
	s_delay_alu instid0(VALU_DEP_1) | instskip(SKIP_4) | instid1(VALU_DEP_1)
	v_fmac_f64_e32 v[162:163], v[138:139], v[134:135]
	scratch_load_b128 v[132:135], off, off offset:248
	s_wait_dscnt 0x0
	v_fmac_f64_e32 v[162:163], v[140:141], v[150:151]
	s_wait_loadcnt 0x5
	v_fmac_f64_e32 v[162:163], v[142:143], v[152:153]
	ds_load_b128 v[136:139], v2 offset:672
	ds_load_b128 v[140:143], v2 offset:688
	scratch_load_b128 v[150:153], off, off offset:264
	s_wait_dscnt 0x1
	v_fmac_f64_e32 v[162:163], v[144:145], v[136:137]
	s_wait_loadcnt 0x5
	s_delay_alu instid0(VALU_DEP_1) | instskip(SKIP_4) | instid1(VALU_DEP_1)
	v_fmac_f64_e32 v[162:163], v[146:147], v[138:139]
	scratch_load_b128 v[136:139], off, off offset:280
	s_wait_dscnt 0x0
	v_fmac_f64_e32 v[162:163], v[148:149], v[140:141]
	s_wait_loadcnt 0x5
	v_fmac_f64_e32 v[162:163], v[158:159], v[142:143]
	ds_load_b128 v[140:143], v2 offset:704
	ds_load_b128 v[144:147], v2 offset:720
	s_wait_dscnt 0x1
	v_fmac_f64_e32 v[162:163], v[160:161], v[140:141]
	scratch_load_b128 v[158:161], off, off offset:296
	s_wait_loadcnt 0x5
	v_fmac_f64_e32 v[162:163], v[128:129], v[142:143]
	s_wait_dscnt 0x0
	s_delay_alu instid0(VALU_DEP_1)
	v_fmac_f64_e32 v[162:163], v[130:131], v[144:145]
	scratch_load_b128 v[128:131], off, off offset:312
	s_wait_loadcnt 0x5
	v_fmac_f64_e32 v[162:163], v[154:155], v[146:147]
	ds_load_b128 v[140:143], v2 offset:736
	ds_load_b128 v[144:147], v2 offset:752
	s_wait_dscnt 0x1
	v_fmac_f64_e32 v[162:163], v[156:157], v[140:141]
	scratch_load_b128 v[154:157], off, off offset:328
	s_wait_loadcnt 0x5
	v_fmac_f64_e32 v[162:163], v[132:133], v[142:143]
	s_wait_dscnt 0x0
	s_delay_alu instid0(VALU_DEP_1)
	v_fmac_f64_e32 v[162:163], v[134:135], v[144:145]
	scratch_load_b128 v[132:135], off, off offset:344
	s_wait_loadcnt 0x5
	v_fmac_f64_e32 v[162:163], v[150:151], v[146:147]
	ds_load_b128 v[140:143], v2 offset:768
	ds_load_b128 v[144:147], v2 offset:784
	scratch_load_b128 v[148:151], off, off offset:360
	s_wait_dscnt 0x1
	v_fmac_f64_e32 v[162:163], v[152:153], v[140:141]
	s_wait_loadcnt 0x5
	s_delay_alu instid0(VALU_DEP_1) | instskip(SKIP_1) | instid1(VALU_DEP_1)
	v_fmac_f64_e32 v[162:163], v[136:137], v[142:143]
	s_wait_dscnt 0x0
	v_fmac_f64_e32 v[162:163], v[138:139], v[144:145]
	scratch_load_b128 v[136:139], off, off offset:376
	s_wait_loadcnt 0x5
	v_fmac_f64_e32 v[162:163], v[158:159], v[146:147]
	ds_load_b128 v[140:143], v2 offset:800
	ds_load_b128 v[144:147], v2 offset:816
	s_wait_dscnt 0x1
	v_fmac_f64_e32 v[162:163], v[160:161], v[140:141]
	scratch_load_b128 v[158:161], off, off offset:392
	s_wait_loadcnt 0x5
	v_fmac_f64_e32 v[162:163], v[128:129], v[142:143]
	s_wait_dscnt 0x0
	s_delay_alu instid0(VALU_DEP_1)
	v_fmac_f64_e32 v[162:163], v[130:131], v[144:145]
	scratch_load_b128 v[128:131], off, off offset:408
	s_wait_loadcnt 0x5
	v_fmac_f64_e32 v[162:163], v[154:155], v[146:147]
	ds_load_b128 v[140:143], v2 offset:832
	ds_load_b128 v[144:147], v2 offset:848
	s_wait_dscnt 0x1
	v_fmac_f64_e32 v[162:163], v[156:157], v[140:141]
	s_wait_loadcnt 0x4
	s_delay_alu instid0(VALU_DEP_1)
	v_fmac_f64_e32 v[162:163], v[132:133], v[142:143]
	scratch_load_b128 v[140:143], off, off offset:424
	s_wait_dscnt 0x0
	v_fmac_f64_e32 v[162:163], v[134:135], v[144:145]
	scratch_load_b128 v[132:135], off, off offset:440
	s_wait_loadcnt 0x5
	v_fmac_f64_e32 v[162:163], v[148:149], v[146:147]
	ds_load_b128 v[144:147], v2 offset:864
	ds_load_b128 v[152:155], v2 offset:880
	s_wait_dscnt 0x1
	v_fmac_f64_e32 v[162:163], v[150:151], v[144:145]
	s_wait_loadcnt 0x4
	s_delay_alu instid0(VALU_DEP_1)
	v_fmac_f64_e32 v[162:163], v[136:137], v[146:147]
	scratch_load_b128 v[144:147], off, off offset:456
	s_wait_dscnt 0x0
	v_fmac_f64_e32 v[162:163], v[138:139], v[152:153]
	scratch_load_b128 v[136:139], off, off offset:472
	s_wait_loadcnt 0x5
	v_fmac_f64_e32 v[162:163], v[158:159], v[154:155]
	ds_load_b128 v[148:151], v2 offset:896
	ds_load_b128 v[152:155], v2 offset:912
	s_wait_dscnt 0x1
	v_fmac_f64_e32 v[162:163], v[160:161], v[148:149]
	s_wait_loadcnt 0x4
	s_delay_alu instid0(VALU_DEP_1) | instskip(SKIP_1) | instid1(VALU_DEP_1)
	v_fmac_f64_e32 v[162:163], v[128:129], v[150:151]
	s_wait_dscnt 0x0
	v_fmac_f64_e32 v[162:163], v[130:131], v[152:153]
	ds_load_b128 v[128:131], v2 offset:928
	ds_load_b128 v[148:151], v2 offset:944
	s_wait_loadcnt 0x3
	v_fmac_f64_e32 v[162:163], v[140:141], v[154:155]
	s_wait_dscnt 0x1
	s_delay_alu instid0(VALU_DEP_1) | instskip(SKIP_1) | instid1(VALU_DEP_1)
	v_fmac_f64_e32 v[162:163], v[142:143], v[128:129]
	s_wait_loadcnt 0x2
	v_fmac_f64_e32 v[162:163], v[132:133], v[130:131]
	ds_load_b128 v[128:131], v2 offset:960
	ds_load_b64 v[132:133], v2 offset:976
	s_wait_dscnt 0x2
	v_fmac_f64_e32 v[162:163], v[134:135], v[148:149]
	s_wait_loadcnt 0x1
	s_delay_alu instid0(VALU_DEP_1) | instskip(SKIP_1) | instid1(VALU_DEP_1)
	v_fmac_f64_e32 v[162:163], v[144:145], v[150:151]
	s_wait_dscnt 0x1
	v_fmac_f64_e32 v[162:163], v[146:147], v[128:129]
	s_wait_loadcnt 0x0
	s_delay_alu instid0(VALU_DEP_1) | instskip(SKIP_1) | instid1(VALU_DEP_1)
	v_fmac_f64_e32 v[162:163], v[136:137], v[130:131]
	s_wait_dscnt 0x0
	v_fmac_f64_e32 v[162:163], v[138:139], v[132:133]
	s_delay_alu instid0(VALU_DEP_1)
	v_add_f64_e64 v[126:127], v[126:127], -v[162:163]
	scratch_store_b64 off, v[126:127], off offset:104
	s_wait_xcnt 0x0
	v_cmpx_lt_u32_e32 12, v0
	s_cbranch_execz .LBB124_351
; %bb.350:
	scratch_load_b64 v[126:127], off, off offset:96
	v_mov_b64_e32 v[128:129], 0
	scratch_store_b64 off, v[128:129], off offset:96
	s_wait_loadcnt 0x0
	ds_store_b64 v1, v[126:127]
.LBB124_351:
	s_wait_xcnt 0x0
	s_or_b32 exec_lo, exec_lo, s0
	s_wait_storecnt_dscnt 0x0
	s_barrier_signal -1
	s_barrier_wait -1
	s_clause 0x5
	scratch_load_b128 v[126:129], off, off offset:96
	scratch_load_b128 v[130:133], off, off offset:112
	;; [unrolled: 1-line block ×6, first 2 shown]
	ds_load_2addr_b64 v[150:153], v2 offset0:75 offset1:76
	ds_load_2addr_b64 v[154:157], v2 offset0:77 offset1:78
	scratch_load_b128 v[158:161], off, off offset:192
	s_mov_b32 s0, exec_lo
	s_wait_loadcnt_dscnt 0x601
	v_fma_f64 v[162:163], v[128:129], v[150:151], 0
	s_wait_loadcnt 0x5
	s_delay_alu instid0(VALU_DEP_1) | instskip(SKIP_4) | instid1(VALU_DEP_1)
	v_fmac_f64_e32 v[162:163], v[130:131], v[152:153]
	scratch_load_b128 v[128:131], off, off offset:208
	s_wait_dscnt 0x0
	v_fmac_f64_e32 v[162:163], v[132:133], v[154:155]
	s_wait_loadcnt 0x5
	v_fmac_f64_e32 v[162:163], v[134:135], v[156:157]
	ds_load_2addr_b64 v[132:135], v2 offset0:79 offset1:80
	ds_load_2addr_b64 v[150:153], v2 offset0:81 offset1:82
	scratch_load_b128 v[154:157], off, off offset:224
	s_wait_dscnt 0x1
	v_fmac_f64_e32 v[162:163], v[136:137], v[132:133]
	s_wait_loadcnt 0x5
	s_delay_alu instid0(VALU_DEP_1) | instskip(SKIP_4) | instid1(VALU_DEP_1)
	v_fmac_f64_e32 v[162:163], v[138:139], v[134:135]
	scratch_load_b128 v[132:135], off, off offset:240
	s_wait_dscnt 0x0
	v_fmac_f64_e32 v[162:163], v[140:141], v[150:151]
	s_wait_loadcnt 0x5
	v_fmac_f64_e32 v[162:163], v[142:143], v[152:153]
	ds_load_2addr_b64 v[136:139], v2 offset0:83 offset1:84
	ds_load_2addr_b64 v[140:143], v2 offset0:85 offset1:86
	scratch_load_b128 v[150:153], off, off offset:256
	s_wait_dscnt 0x1
	v_fmac_f64_e32 v[162:163], v[144:145], v[136:137]
	s_wait_loadcnt 0x5
	s_delay_alu instid0(VALU_DEP_1) | instskip(SKIP_4) | instid1(VALU_DEP_1)
	v_fmac_f64_e32 v[162:163], v[146:147], v[138:139]
	scratch_load_b128 v[136:139], off, off offset:272
	s_wait_dscnt 0x0
	v_fmac_f64_e32 v[162:163], v[148:149], v[140:141]
	s_wait_loadcnt 0x5
	v_fmac_f64_e32 v[162:163], v[158:159], v[142:143]
	ds_load_2addr_b64 v[140:143], v2 offset0:87 offset1:88
	ds_load_2addr_b64 v[144:147], v2 offset0:89 offset1:90
	s_wait_dscnt 0x1
	v_fmac_f64_e32 v[162:163], v[160:161], v[140:141]
	scratch_load_b128 v[158:161], off, off offset:288
	s_wait_loadcnt 0x5
	v_fmac_f64_e32 v[162:163], v[128:129], v[142:143]
	s_wait_dscnt 0x0
	s_delay_alu instid0(VALU_DEP_1)
	v_fmac_f64_e32 v[162:163], v[130:131], v[144:145]
	scratch_load_b128 v[128:131], off, off offset:304
	s_wait_loadcnt 0x5
	v_fmac_f64_e32 v[162:163], v[154:155], v[146:147]
	ds_load_2addr_b64 v[140:143], v2 offset0:91 offset1:92
	ds_load_2addr_b64 v[144:147], v2 offset0:93 offset1:94
	s_wait_dscnt 0x1
	v_fmac_f64_e32 v[162:163], v[156:157], v[140:141]
	scratch_load_b128 v[154:157], off, off offset:320
	s_wait_loadcnt 0x5
	v_fmac_f64_e32 v[162:163], v[132:133], v[142:143]
	s_wait_dscnt 0x0
	s_delay_alu instid0(VALU_DEP_1)
	v_fmac_f64_e32 v[162:163], v[134:135], v[144:145]
	scratch_load_b128 v[132:135], off, off offset:336
	s_wait_loadcnt 0x5
	v_fmac_f64_e32 v[162:163], v[150:151], v[146:147]
	ds_load_2addr_b64 v[140:143], v2 offset0:95 offset1:96
	ds_load_2addr_b64 v[144:147], v2 offset0:97 offset1:98
	scratch_load_b128 v[148:151], off, off offset:352
	s_wait_dscnt 0x1
	v_fmac_f64_e32 v[162:163], v[152:153], v[140:141]
	s_wait_loadcnt 0x5
	s_delay_alu instid0(VALU_DEP_1) | instskip(SKIP_1) | instid1(VALU_DEP_1)
	v_fmac_f64_e32 v[162:163], v[136:137], v[142:143]
	s_wait_dscnt 0x0
	v_fmac_f64_e32 v[162:163], v[138:139], v[144:145]
	scratch_load_b128 v[136:139], off, off offset:368
	s_wait_loadcnt 0x5
	v_fmac_f64_e32 v[162:163], v[158:159], v[146:147]
	ds_load_2addr_b64 v[140:143], v2 offset0:99 offset1:100
	ds_load_2addr_b64 v[144:147], v2 offset0:101 offset1:102
	s_wait_dscnt 0x1
	v_fmac_f64_e32 v[162:163], v[160:161], v[140:141]
	scratch_load_b128 v[158:161], off, off offset:384
	s_wait_loadcnt 0x5
	v_fmac_f64_e32 v[162:163], v[128:129], v[142:143]
	s_wait_dscnt 0x0
	s_delay_alu instid0(VALU_DEP_1)
	v_fmac_f64_e32 v[162:163], v[130:131], v[144:145]
	scratch_load_b128 v[128:131], off, off offset:400
	s_wait_loadcnt 0x5
	v_fmac_f64_e32 v[162:163], v[154:155], v[146:147]
	ds_load_2addr_b64 v[140:143], v2 offset0:103 offset1:104
	ds_load_2addr_b64 v[144:147], v2 offset0:105 offset1:106
	s_wait_dscnt 0x1
	v_fmac_f64_e32 v[162:163], v[156:157], v[140:141]
	s_wait_loadcnt 0x4
	s_delay_alu instid0(VALU_DEP_1)
	v_fmac_f64_e32 v[162:163], v[132:133], v[142:143]
	scratch_load_b128 v[140:143], off, off offset:416
	s_wait_dscnt 0x0
	v_fmac_f64_e32 v[162:163], v[134:135], v[144:145]
	scratch_load_b128 v[132:135], off, off offset:432
	s_wait_loadcnt 0x5
	v_fmac_f64_e32 v[162:163], v[148:149], v[146:147]
	ds_load_2addr_b64 v[144:147], v2 offset0:107 offset1:108
	ds_load_2addr_b64 v[152:155], v2 offset0:109 offset1:110
	s_wait_dscnt 0x1
	v_fmac_f64_e32 v[162:163], v[150:151], v[144:145]
	s_wait_loadcnt 0x4
	s_delay_alu instid0(VALU_DEP_1)
	v_fmac_f64_e32 v[162:163], v[136:137], v[146:147]
	scratch_load_b128 v[144:147], off, off offset:448
	s_wait_dscnt 0x0
	v_fmac_f64_e32 v[162:163], v[138:139], v[152:153]
	scratch_load_b128 v[136:139], off, off offset:464
	s_wait_loadcnt 0x5
	v_fmac_f64_e32 v[162:163], v[158:159], v[154:155]
	ds_load_2addr_b64 v[148:151], v2 offset0:111 offset1:112
	ds_load_2addr_b64 v[152:155], v2 offset0:113 offset1:114
	scratch_load_b64 v[156:157], off, off offset:480
	s_wait_dscnt 0x1
	v_fmac_f64_e32 v[162:163], v[160:161], v[148:149]
	s_wait_loadcnt 0x5
	s_delay_alu instid0(VALU_DEP_1) | instskip(SKIP_1) | instid1(VALU_DEP_1)
	v_fmac_f64_e32 v[162:163], v[128:129], v[150:151]
	s_wait_dscnt 0x0
	v_fmac_f64_e32 v[162:163], v[130:131], v[152:153]
	ds_load_2addr_b64 v[128:131], v2 offset0:115 offset1:116
	ds_load_2addr_b64 v[148:151], v2 offset0:117 offset1:118
	s_wait_loadcnt 0x4
	v_fmac_f64_e32 v[162:163], v[140:141], v[154:155]
	s_wait_dscnt 0x1
	s_delay_alu instid0(VALU_DEP_1) | instskip(SKIP_1) | instid1(VALU_DEP_1)
	v_fmac_f64_e32 v[162:163], v[142:143], v[128:129]
	s_wait_loadcnt 0x3
	v_fmac_f64_e32 v[162:163], v[132:133], v[130:131]
	s_wait_dscnt 0x0
	s_delay_alu instid0(VALU_DEP_1)
	v_fmac_f64_e32 v[162:163], v[134:135], v[148:149]
	ds_load_2addr_b64 v[128:131], v2 offset0:119 offset1:120
	ds_load_2addr_b64 v[132:135], v2 offset0:121 offset1:122
	s_wait_loadcnt 0x2
	v_fmac_f64_e32 v[162:163], v[144:145], v[150:151]
	s_wait_dscnt 0x1
	s_delay_alu instid0(VALU_DEP_1) | instskip(SKIP_1) | instid1(VALU_DEP_1)
	v_fmac_f64_e32 v[162:163], v[146:147], v[128:129]
	s_wait_loadcnt 0x1
	v_fmac_f64_e32 v[162:163], v[136:137], v[130:131]
	s_wait_dscnt 0x0
	s_delay_alu instid0(VALU_DEP_1) | instskip(SKIP_1) | instid1(VALU_DEP_1)
	v_fmac_f64_e32 v[162:163], v[138:139], v[132:133]
	s_wait_loadcnt 0x0
	v_fmac_f64_e32 v[162:163], v[156:157], v[134:135]
	s_delay_alu instid0(VALU_DEP_1)
	v_add_f64_e64 v[2:3], v[126:127], -v[162:163]
	scratch_store_b64 off, v[2:3], off offset:96
	s_wait_xcnt 0x0
	v_cmpx_lt_u32_e32 11, v0
	s_cbranch_execz .LBB124_353
; %bb.352:
	scratch_load_b64 v[2:3], off, off offset:88
	v_mov_b64_e32 v[126:127], 0
	scratch_store_b64 off, v[126:127], off offset:88
	s_wait_loadcnt 0x0
	ds_store_b64 v1, v[2:3]
.LBB124_353:
	s_wait_xcnt 0x0
	s_or_b32 exec_lo, exec_lo, s0
	s_wait_storecnt_dscnt 0x0
	s_barrier_signal -1
	s_barrier_wait -1
	s_clause 0x5
	scratch_load_b128 v[126:129], off, off offset:88
	scratch_load_b128 v[130:133], off, off offset:104
	;; [unrolled: 1-line block ×6, first 2 shown]
	v_mov_b32_e32 v2, 0
	ds_load_b128 v[150:153], v2 offset:592
	ds_load_b128 v[154:157], v2 offset:608
	scratch_load_b128 v[158:161], off, off offset:184
	s_mov_b32 s0, exec_lo
	s_wait_loadcnt_dscnt 0x601
	v_fma_f64 v[162:163], v[128:129], v[150:151], 0
	s_wait_loadcnt 0x5
	s_delay_alu instid0(VALU_DEP_1) | instskip(SKIP_4) | instid1(VALU_DEP_1)
	v_fmac_f64_e32 v[162:163], v[130:131], v[152:153]
	scratch_load_b128 v[128:131], off, off offset:200
	s_wait_dscnt 0x0
	v_fmac_f64_e32 v[162:163], v[132:133], v[154:155]
	s_wait_loadcnt 0x5
	v_fmac_f64_e32 v[162:163], v[134:135], v[156:157]
	ds_load_b128 v[132:135], v2 offset:624
	ds_load_b128 v[150:153], v2 offset:640
	scratch_load_b128 v[154:157], off, off offset:216
	s_wait_dscnt 0x1
	v_fmac_f64_e32 v[162:163], v[136:137], v[132:133]
	s_wait_loadcnt 0x5
	s_delay_alu instid0(VALU_DEP_1) | instskip(SKIP_4) | instid1(VALU_DEP_1)
	v_fmac_f64_e32 v[162:163], v[138:139], v[134:135]
	scratch_load_b128 v[132:135], off, off offset:232
	s_wait_dscnt 0x0
	v_fmac_f64_e32 v[162:163], v[140:141], v[150:151]
	s_wait_loadcnt 0x5
	v_fmac_f64_e32 v[162:163], v[142:143], v[152:153]
	ds_load_b128 v[136:139], v2 offset:656
	ds_load_b128 v[140:143], v2 offset:672
	scratch_load_b128 v[150:153], off, off offset:248
	s_wait_dscnt 0x1
	v_fmac_f64_e32 v[162:163], v[144:145], v[136:137]
	s_wait_loadcnt 0x5
	s_delay_alu instid0(VALU_DEP_1) | instskip(SKIP_4) | instid1(VALU_DEP_1)
	v_fmac_f64_e32 v[162:163], v[146:147], v[138:139]
	scratch_load_b128 v[136:139], off, off offset:264
	s_wait_dscnt 0x0
	v_fmac_f64_e32 v[162:163], v[148:149], v[140:141]
	s_wait_loadcnt 0x5
	v_fmac_f64_e32 v[162:163], v[158:159], v[142:143]
	ds_load_b128 v[140:143], v2 offset:688
	ds_load_b128 v[144:147], v2 offset:704
	s_wait_dscnt 0x1
	v_fmac_f64_e32 v[162:163], v[160:161], v[140:141]
	scratch_load_b128 v[158:161], off, off offset:280
	s_wait_loadcnt 0x5
	v_fmac_f64_e32 v[162:163], v[128:129], v[142:143]
	s_wait_dscnt 0x0
	s_delay_alu instid0(VALU_DEP_1)
	v_fmac_f64_e32 v[162:163], v[130:131], v[144:145]
	scratch_load_b128 v[128:131], off, off offset:296
	s_wait_loadcnt 0x5
	v_fmac_f64_e32 v[162:163], v[154:155], v[146:147]
	ds_load_b128 v[140:143], v2 offset:720
	ds_load_b128 v[144:147], v2 offset:736
	s_wait_dscnt 0x1
	v_fmac_f64_e32 v[162:163], v[156:157], v[140:141]
	scratch_load_b128 v[154:157], off, off offset:312
	s_wait_loadcnt 0x5
	v_fmac_f64_e32 v[162:163], v[132:133], v[142:143]
	s_wait_dscnt 0x0
	s_delay_alu instid0(VALU_DEP_1)
	v_fmac_f64_e32 v[162:163], v[134:135], v[144:145]
	scratch_load_b128 v[132:135], off, off offset:328
	s_wait_loadcnt 0x5
	v_fmac_f64_e32 v[162:163], v[150:151], v[146:147]
	ds_load_b128 v[140:143], v2 offset:752
	ds_load_b128 v[144:147], v2 offset:768
	scratch_load_b128 v[148:151], off, off offset:344
	s_wait_dscnt 0x1
	v_fmac_f64_e32 v[162:163], v[152:153], v[140:141]
	s_wait_loadcnt 0x5
	s_delay_alu instid0(VALU_DEP_1) | instskip(SKIP_1) | instid1(VALU_DEP_1)
	v_fmac_f64_e32 v[162:163], v[136:137], v[142:143]
	s_wait_dscnt 0x0
	v_fmac_f64_e32 v[162:163], v[138:139], v[144:145]
	scratch_load_b128 v[136:139], off, off offset:360
	s_wait_loadcnt 0x5
	v_fmac_f64_e32 v[162:163], v[158:159], v[146:147]
	ds_load_b128 v[140:143], v2 offset:784
	ds_load_b128 v[144:147], v2 offset:800
	s_wait_dscnt 0x1
	v_fmac_f64_e32 v[162:163], v[160:161], v[140:141]
	scratch_load_b128 v[158:161], off, off offset:376
	s_wait_loadcnt 0x5
	v_fmac_f64_e32 v[162:163], v[128:129], v[142:143]
	s_wait_dscnt 0x0
	s_delay_alu instid0(VALU_DEP_1)
	v_fmac_f64_e32 v[162:163], v[130:131], v[144:145]
	scratch_load_b128 v[128:131], off, off offset:392
	s_wait_loadcnt 0x5
	v_fmac_f64_e32 v[162:163], v[154:155], v[146:147]
	ds_load_b128 v[140:143], v2 offset:816
	ds_load_b128 v[144:147], v2 offset:832
	s_wait_dscnt 0x1
	v_fmac_f64_e32 v[162:163], v[156:157], v[140:141]
	s_wait_loadcnt 0x4
	s_delay_alu instid0(VALU_DEP_1)
	v_fmac_f64_e32 v[162:163], v[132:133], v[142:143]
	scratch_load_b128 v[140:143], off, off offset:408
	s_wait_dscnt 0x0
	v_fmac_f64_e32 v[162:163], v[134:135], v[144:145]
	scratch_load_b128 v[132:135], off, off offset:424
	s_wait_loadcnt 0x5
	v_fmac_f64_e32 v[162:163], v[148:149], v[146:147]
	ds_load_b128 v[144:147], v2 offset:848
	ds_load_b128 v[152:155], v2 offset:864
	s_wait_dscnt 0x1
	v_fmac_f64_e32 v[162:163], v[150:151], v[144:145]
	s_wait_loadcnt 0x4
	s_delay_alu instid0(VALU_DEP_1)
	v_fmac_f64_e32 v[162:163], v[136:137], v[146:147]
	scratch_load_b128 v[144:147], off, off offset:440
	s_wait_dscnt 0x0
	v_fmac_f64_e32 v[162:163], v[138:139], v[152:153]
	scratch_load_b128 v[136:139], off, off offset:456
	s_wait_loadcnt 0x5
	v_fmac_f64_e32 v[162:163], v[158:159], v[154:155]
	ds_load_b128 v[148:151], v2 offset:880
	ds_load_b128 v[152:155], v2 offset:896
	s_wait_dscnt 0x1
	v_fmac_f64_e32 v[162:163], v[160:161], v[148:149]
	s_wait_loadcnt 0x4
	s_delay_alu instid0(VALU_DEP_1) | instskip(SKIP_4) | instid1(VALU_DEP_1)
	v_fmac_f64_e32 v[162:163], v[128:129], v[150:151]
	scratch_load_b128 v[148:151], off, off offset:472
	s_wait_dscnt 0x0
	v_fmac_f64_e32 v[162:163], v[130:131], v[152:153]
	s_wait_loadcnt 0x4
	v_fmac_f64_e32 v[162:163], v[140:141], v[154:155]
	ds_load_b128 v[128:131], v2 offset:912
	ds_load_b128 v[152:155], v2 offset:928
	s_wait_dscnt 0x1
	v_fmac_f64_e32 v[162:163], v[142:143], v[128:129]
	s_wait_loadcnt 0x3
	s_delay_alu instid0(VALU_DEP_1) | instskip(SKIP_1) | instid1(VALU_DEP_1)
	v_fmac_f64_e32 v[162:163], v[132:133], v[130:131]
	s_wait_dscnt 0x0
	v_fmac_f64_e32 v[162:163], v[134:135], v[152:153]
	ds_load_b128 v[128:131], v2 offset:944
	ds_load_b128 v[132:135], v2 offset:960
	s_wait_loadcnt 0x2
	v_fmac_f64_e32 v[162:163], v[144:145], v[154:155]
	s_wait_dscnt 0x1
	s_delay_alu instid0(VALU_DEP_1) | instskip(SKIP_4) | instid1(VALU_DEP_1)
	v_fmac_f64_e32 v[162:163], v[146:147], v[128:129]
	ds_load_b64 v[128:129], v2 offset:976
	s_wait_loadcnt 0x1
	v_fmac_f64_e32 v[162:163], v[136:137], v[130:131]
	s_wait_dscnt 0x1
	v_fmac_f64_e32 v[162:163], v[138:139], v[132:133]
	s_wait_loadcnt 0x0
	s_delay_alu instid0(VALU_DEP_1) | instskip(SKIP_1) | instid1(VALU_DEP_1)
	v_fmac_f64_e32 v[162:163], v[148:149], v[134:135]
	s_wait_dscnt 0x0
	v_fmac_f64_e32 v[162:163], v[150:151], v[128:129]
	s_delay_alu instid0(VALU_DEP_1)
	v_add_f64_e64 v[126:127], v[126:127], -v[162:163]
	scratch_store_b64 off, v[126:127], off offset:88
	s_wait_xcnt 0x0
	v_cmpx_lt_u32_e32 10, v0
	s_cbranch_execz .LBB124_355
; %bb.354:
	scratch_load_b64 v[126:127], off, off offset:80
	v_mov_b64_e32 v[128:129], 0
	scratch_store_b64 off, v[128:129], off offset:80
	s_wait_loadcnt 0x0
	ds_store_b64 v1, v[126:127]
.LBB124_355:
	s_wait_xcnt 0x0
	s_or_b32 exec_lo, exec_lo, s0
	s_wait_storecnt_dscnt 0x0
	s_barrier_signal -1
	s_barrier_wait -1
	s_clause 0x5
	scratch_load_b128 v[126:129], off, off offset:80
	scratch_load_b128 v[130:133], off, off offset:96
	;; [unrolled: 1-line block ×6, first 2 shown]
	ds_load_2addr_b64 v[150:153], v2 offset0:73 offset1:74
	ds_load_2addr_b64 v[154:157], v2 offset0:75 offset1:76
	scratch_load_b128 v[158:161], off, off offset:176
	s_mov_b32 s0, exec_lo
	s_wait_loadcnt_dscnt 0x601
	v_fma_f64 v[162:163], v[128:129], v[150:151], 0
	s_wait_loadcnt 0x5
	s_delay_alu instid0(VALU_DEP_1) | instskip(SKIP_4) | instid1(VALU_DEP_1)
	v_fmac_f64_e32 v[162:163], v[130:131], v[152:153]
	scratch_load_b128 v[128:131], off, off offset:192
	s_wait_dscnt 0x0
	v_fmac_f64_e32 v[162:163], v[132:133], v[154:155]
	s_wait_loadcnt 0x5
	v_fmac_f64_e32 v[162:163], v[134:135], v[156:157]
	ds_load_2addr_b64 v[132:135], v2 offset0:77 offset1:78
	ds_load_2addr_b64 v[150:153], v2 offset0:79 offset1:80
	scratch_load_b128 v[154:157], off, off offset:208
	s_wait_dscnt 0x1
	v_fmac_f64_e32 v[162:163], v[136:137], v[132:133]
	s_wait_loadcnt 0x5
	s_delay_alu instid0(VALU_DEP_1) | instskip(SKIP_4) | instid1(VALU_DEP_1)
	v_fmac_f64_e32 v[162:163], v[138:139], v[134:135]
	scratch_load_b128 v[132:135], off, off offset:224
	s_wait_dscnt 0x0
	v_fmac_f64_e32 v[162:163], v[140:141], v[150:151]
	s_wait_loadcnt 0x5
	v_fmac_f64_e32 v[162:163], v[142:143], v[152:153]
	ds_load_2addr_b64 v[136:139], v2 offset0:81 offset1:82
	ds_load_2addr_b64 v[140:143], v2 offset0:83 offset1:84
	scratch_load_b128 v[150:153], off, off offset:240
	s_wait_dscnt 0x1
	v_fmac_f64_e32 v[162:163], v[144:145], v[136:137]
	s_wait_loadcnt 0x5
	s_delay_alu instid0(VALU_DEP_1) | instskip(SKIP_4) | instid1(VALU_DEP_1)
	v_fmac_f64_e32 v[162:163], v[146:147], v[138:139]
	scratch_load_b128 v[136:139], off, off offset:256
	s_wait_dscnt 0x0
	v_fmac_f64_e32 v[162:163], v[148:149], v[140:141]
	s_wait_loadcnt 0x5
	v_fmac_f64_e32 v[162:163], v[158:159], v[142:143]
	ds_load_2addr_b64 v[140:143], v2 offset0:85 offset1:86
	ds_load_2addr_b64 v[144:147], v2 offset0:87 offset1:88
	s_wait_dscnt 0x1
	v_fmac_f64_e32 v[162:163], v[160:161], v[140:141]
	scratch_load_b128 v[158:161], off, off offset:272
	s_wait_loadcnt 0x5
	v_fmac_f64_e32 v[162:163], v[128:129], v[142:143]
	s_wait_dscnt 0x0
	s_delay_alu instid0(VALU_DEP_1)
	v_fmac_f64_e32 v[162:163], v[130:131], v[144:145]
	scratch_load_b128 v[128:131], off, off offset:288
	s_wait_loadcnt 0x5
	v_fmac_f64_e32 v[162:163], v[154:155], v[146:147]
	ds_load_2addr_b64 v[140:143], v2 offset0:89 offset1:90
	ds_load_2addr_b64 v[144:147], v2 offset0:91 offset1:92
	s_wait_dscnt 0x1
	v_fmac_f64_e32 v[162:163], v[156:157], v[140:141]
	scratch_load_b128 v[154:157], off, off offset:304
	s_wait_loadcnt 0x5
	v_fmac_f64_e32 v[162:163], v[132:133], v[142:143]
	s_wait_dscnt 0x0
	s_delay_alu instid0(VALU_DEP_1)
	v_fmac_f64_e32 v[162:163], v[134:135], v[144:145]
	scratch_load_b128 v[132:135], off, off offset:320
	s_wait_loadcnt 0x5
	v_fmac_f64_e32 v[162:163], v[150:151], v[146:147]
	ds_load_2addr_b64 v[140:143], v2 offset0:93 offset1:94
	ds_load_2addr_b64 v[144:147], v2 offset0:95 offset1:96
	scratch_load_b128 v[148:151], off, off offset:336
	s_wait_dscnt 0x1
	v_fmac_f64_e32 v[162:163], v[152:153], v[140:141]
	s_wait_loadcnt 0x5
	s_delay_alu instid0(VALU_DEP_1) | instskip(SKIP_1) | instid1(VALU_DEP_1)
	v_fmac_f64_e32 v[162:163], v[136:137], v[142:143]
	s_wait_dscnt 0x0
	v_fmac_f64_e32 v[162:163], v[138:139], v[144:145]
	scratch_load_b128 v[136:139], off, off offset:352
	s_wait_loadcnt 0x5
	v_fmac_f64_e32 v[162:163], v[158:159], v[146:147]
	ds_load_2addr_b64 v[140:143], v2 offset0:97 offset1:98
	ds_load_2addr_b64 v[144:147], v2 offset0:99 offset1:100
	s_wait_dscnt 0x1
	v_fmac_f64_e32 v[162:163], v[160:161], v[140:141]
	scratch_load_b128 v[158:161], off, off offset:368
	s_wait_loadcnt 0x5
	v_fmac_f64_e32 v[162:163], v[128:129], v[142:143]
	s_wait_dscnt 0x0
	s_delay_alu instid0(VALU_DEP_1)
	v_fmac_f64_e32 v[162:163], v[130:131], v[144:145]
	scratch_load_b128 v[128:131], off, off offset:384
	s_wait_loadcnt 0x5
	v_fmac_f64_e32 v[162:163], v[154:155], v[146:147]
	ds_load_2addr_b64 v[140:143], v2 offset0:101 offset1:102
	ds_load_2addr_b64 v[144:147], v2 offset0:103 offset1:104
	scratch_load_b128 v[152:155], off, off offset:400
	s_wait_dscnt 0x1
	v_fmac_f64_e32 v[162:163], v[156:157], v[140:141]
	s_wait_loadcnt 0x5
	s_delay_alu instid0(VALU_DEP_1) | instskip(SKIP_1) | instid1(VALU_DEP_1)
	v_fmac_f64_e32 v[162:163], v[132:133], v[142:143]
	s_wait_dscnt 0x0
	v_fmac_f64_e32 v[162:163], v[134:135], v[144:145]
	scratch_load_b128 v[132:135], off, off offset:416
	s_wait_loadcnt 0x5
	v_fmac_f64_e32 v[162:163], v[148:149], v[146:147]
	ds_load_2addr_b64 v[140:143], v2 offset0:105 offset1:106
	ds_load_2addr_b64 v[144:147], v2 offset0:107 offset1:108
	s_wait_dscnt 0x1
	v_fmac_f64_e32 v[162:163], v[150:151], v[140:141]
	s_wait_loadcnt 0x4
	s_delay_alu instid0(VALU_DEP_1)
	v_fmac_f64_e32 v[162:163], v[136:137], v[142:143]
	scratch_load_b128 v[140:143], off, off offset:432
	s_wait_dscnt 0x0
	v_fmac_f64_e32 v[162:163], v[138:139], v[144:145]
	scratch_load_b128 v[136:139], off, off offset:448
	s_wait_loadcnt 0x5
	v_fmac_f64_e32 v[162:163], v[158:159], v[146:147]
	ds_load_2addr_b64 v[144:147], v2 offset0:109 offset1:110
	ds_load_2addr_b64 v[148:151], v2 offset0:111 offset1:112
	s_wait_dscnt 0x1
	v_fmac_f64_e32 v[162:163], v[160:161], v[144:145]
	s_wait_loadcnt 0x4
	s_delay_alu instid0(VALU_DEP_1) | instskip(SKIP_4) | instid1(VALU_DEP_1)
	v_fmac_f64_e32 v[162:163], v[128:129], v[146:147]
	scratch_load_b128 v[144:147], off, off offset:464
	s_wait_dscnt 0x0
	v_fmac_f64_e32 v[162:163], v[130:131], v[148:149]
	s_wait_loadcnt 0x4
	v_fmac_f64_e32 v[162:163], v[152:153], v[150:151]
	scratch_load_b64 v[152:153], off, off offset:480
	ds_load_2addr_b64 v[128:131], v2 offset0:113 offset1:114
	ds_load_2addr_b64 v[148:151], v2 offset0:115 offset1:116
	s_wait_dscnt 0x1
	v_fmac_f64_e32 v[162:163], v[154:155], v[128:129]
	s_wait_loadcnt 0x4
	s_delay_alu instid0(VALU_DEP_1) | instskip(SKIP_1) | instid1(VALU_DEP_1)
	v_fmac_f64_e32 v[162:163], v[132:133], v[130:131]
	s_wait_dscnt 0x0
	v_fmac_f64_e32 v[162:163], v[134:135], v[148:149]
	ds_load_2addr_b64 v[128:131], v2 offset0:117 offset1:118
	ds_load_2addr_b64 v[132:135], v2 offset0:119 offset1:120
	s_wait_loadcnt 0x3
	v_fmac_f64_e32 v[162:163], v[140:141], v[150:151]
	s_wait_dscnt 0x1
	s_delay_alu instid0(VALU_DEP_1) | instskip(SKIP_1) | instid1(VALU_DEP_1)
	v_fmac_f64_e32 v[162:163], v[142:143], v[128:129]
	s_wait_loadcnt 0x2
	v_fmac_f64_e32 v[162:163], v[136:137], v[130:131]
	ds_load_2addr_b64 v[128:131], v2 offset0:121 offset1:122
	s_wait_dscnt 0x1
	v_fmac_f64_e32 v[162:163], v[138:139], v[132:133]
	s_wait_loadcnt 0x1
	s_delay_alu instid0(VALU_DEP_1) | instskip(SKIP_1) | instid1(VALU_DEP_1)
	v_fmac_f64_e32 v[162:163], v[144:145], v[134:135]
	s_wait_dscnt 0x0
	v_fmac_f64_e32 v[162:163], v[146:147], v[128:129]
	s_wait_loadcnt 0x0
	s_delay_alu instid0(VALU_DEP_1) | instskip(NEXT) | instid1(VALU_DEP_1)
	v_fmac_f64_e32 v[162:163], v[152:153], v[130:131]
	v_add_f64_e64 v[2:3], v[126:127], -v[162:163]
	scratch_store_b64 off, v[2:3], off offset:80
	s_wait_xcnt 0x0
	v_cmpx_lt_u32_e32 9, v0
	s_cbranch_execz .LBB124_357
; %bb.356:
	scratch_load_b64 v[2:3], off, off offset:72
	v_mov_b64_e32 v[126:127], 0
	scratch_store_b64 off, v[126:127], off offset:72
	s_wait_loadcnt 0x0
	ds_store_b64 v1, v[2:3]
.LBB124_357:
	s_wait_xcnt 0x0
	s_or_b32 exec_lo, exec_lo, s0
	s_wait_storecnt_dscnt 0x0
	s_barrier_signal -1
	s_barrier_wait -1
	s_clause 0x5
	scratch_load_b128 v[126:129], off, off offset:72
	scratch_load_b128 v[130:133], off, off offset:88
	;; [unrolled: 1-line block ×6, first 2 shown]
	v_mov_b32_e32 v2, 0
	ds_load_b128 v[150:153], v2 offset:576
	ds_load_b128 v[154:157], v2 offset:592
	scratch_load_b128 v[158:161], off, off offset:168
	s_mov_b32 s0, exec_lo
	s_wait_loadcnt_dscnt 0x601
	v_fma_f64 v[162:163], v[128:129], v[150:151], 0
	s_wait_loadcnt 0x5
	s_delay_alu instid0(VALU_DEP_1) | instskip(SKIP_4) | instid1(VALU_DEP_1)
	v_fmac_f64_e32 v[162:163], v[130:131], v[152:153]
	scratch_load_b128 v[128:131], off, off offset:184
	s_wait_dscnt 0x0
	v_fmac_f64_e32 v[162:163], v[132:133], v[154:155]
	s_wait_loadcnt 0x5
	v_fmac_f64_e32 v[162:163], v[134:135], v[156:157]
	ds_load_b128 v[132:135], v2 offset:608
	ds_load_b128 v[150:153], v2 offset:624
	scratch_load_b128 v[154:157], off, off offset:200
	s_wait_dscnt 0x1
	v_fmac_f64_e32 v[162:163], v[136:137], v[132:133]
	s_wait_loadcnt 0x5
	s_delay_alu instid0(VALU_DEP_1) | instskip(SKIP_4) | instid1(VALU_DEP_1)
	v_fmac_f64_e32 v[162:163], v[138:139], v[134:135]
	scratch_load_b128 v[132:135], off, off offset:216
	s_wait_dscnt 0x0
	v_fmac_f64_e32 v[162:163], v[140:141], v[150:151]
	s_wait_loadcnt 0x5
	v_fmac_f64_e32 v[162:163], v[142:143], v[152:153]
	ds_load_b128 v[136:139], v2 offset:640
	ds_load_b128 v[140:143], v2 offset:656
	scratch_load_b128 v[150:153], off, off offset:232
	s_wait_dscnt 0x1
	v_fmac_f64_e32 v[162:163], v[144:145], v[136:137]
	s_wait_loadcnt 0x5
	s_delay_alu instid0(VALU_DEP_1) | instskip(SKIP_4) | instid1(VALU_DEP_1)
	v_fmac_f64_e32 v[162:163], v[146:147], v[138:139]
	scratch_load_b128 v[136:139], off, off offset:248
	s_wait_dscnt 0x0
	v_fmac_f64_e32 v[162:163], v[148:149], v[140:141]
	s_wait_loadcnt 0x5
	v_fmac_f64_e32 v[162:163], v[158:159], v[142:143]
	ds_load_b128 v[140:143], v2 offset:672
	ds_load_b128 v[144:147], v2 offset:688
	s_wait_dscnt 0x1
	v_fmac_f64_e32 v[162:163], v[160:161], v[140:141]
	scratch_load_b128 v[158:161], off, off offset:264
	s_wait_loadcnt 0x5
	v_fmac_f64_e32 v[162:163], v[128:129], v[142:143]
	s_wait_dscnt 0x0
	s_delay_alu instid0(VALU_DEP_1)
	v_fmac_f64_e32 v[162:163], v[130:131], v[144:145]
	scratch_load_b128 v[128:131], off, off offset:280
	s_wait_loadcnt 0x5
	v_fmac_f64_e32 v[162:163], v[154:155], v[146:147]
	ds_load_b128 v[140:143], v2 offset:704
	ds_load_b128 v[144:147], v2 offset:720
	s_wait_dscnt 0x1
	v_fmac_f64_e32 v[162:163], v[156:157], v[140:141]
	scratch_load_b128 v[154:157], off, off offset:296
	s_wait_loadcnt 0x5
	v_fmac_f64_e32 v[162:163], v[132:133], v[142:143]
	s_wait_dscnt 0x0
	s_delay_alu instid0(VALU_DEP_1)
	v_fmac_f64_e32 v[162:163], v[134:135], v[144:145]
	scratch_load_b128 v[132:135], off, off offset:312
	s_wait_loadcnt 0x5
	v_fmac_f64_e32 v[162:163], v[150:151], v[146:147]
	ds_load_b128 v[140:143], v2 offset:736
	ds_load_b128 v[144:147], v2 offset:752
	scratch_load_b128 v[148:151], off, off offset:328
	s_wait_dscnt 0x1
	v_fmac_f64_e32 v[162:163], v[152:153], v[140:141]
	s_wait_loadcnt 0x5
	s_delay_alu instid0(VALU_DEP_1) | instskip(SKIP_1) | instid1(VALU_DEP_1)
	v_fmac_f64_e32 v[162:163], v[136:137], v[142:143]
	s_wait_dscnt 0x0
	v_fmac_f64_e32 v[162:163], v[138:139], v[144:145]
	scratch_load_b128 v[136:139], off, off offset:344
	s_wait_loadcnt 0x5
	v_fmac_f64_e32 v[162:163], v[158:159], v[146:147]
	ds_load_b128 v[140:143], v2 offset:768
	ds_load_b128 v[144:147], v2 offset:784
	s_wait_dscnt 0x1
	v_fmac_f64_e32 v[162:163], v[160:161], v[140:141]
	scratch_load_b128 v[158:161], off, off offset:360
	s_wait_loadcnt 0x5
	v_fmac_f64_e32 v[162:163], v[128:129], v[142:143]
	s_wait_dscnt 0x0
	s_delay_alu instid0(VALU_DEP_1)
	v_fmac_f64_e32 v[162:163], v[130:131], v[144:145]
	scratch_load_b128 v[128:131], off, off offset:376
	s_wait_loadcnt 0x5
	v_fmac_f64_e32 v[162:163], v[154:155], v[146:147]
	ds_load_b128 v[140:143], v2 offset:800
	ds_load_b128 v[144:147], v2 offset:816
	scratch_load_b128 v[152:155], off, off offset:392
	s_wait_dscnt 0x1
	v_fmac_f64_e32 v[162:163], v[156:157], v[140:141]
	s_wait_loadcnt 0x5
	s_delay_alu instid0(VALU_DEP_1) | instskip(SKIP_1) | instid1(VALU_DEP_1)
	v_fmac_f64_e32 v[162:163], v[132:133], v[142:143]
	s_wait_dscnt 0x0
	v_fmac_f64_e32 v[162:163], v[134:135], v[144:145]
	scratch_load_b128 v[132:135], off, off offset:408
	s_wait_loadcnt 0x5
	v_fmac_f64_e32 v[162:163], v[148:149], v[146:147]
	ds_load_b128 v[140:143], v2 offset:832
	ds_load_b128 v[144:147], v2 offset:848
	s_wait_dscnt 0x1
	v_fmac_f64_e32 v[162:163], v[150:151], v[140:141]
	s_wait_loadcnt 0x4
	s_delay_alu instid0(VALU_DEP_1)
	v_fmac_f64_e32 v[162:163], v[136:137], v[142:143]
	scratch_load_b128 v[140:143], off, off offset:424
	s_wait_dscnt 0x0
	v_fmac_f64_e32 v[162:163], v[138:139], v[144:145]
	scratch_load_b128 v[136:139], off, off offset:440
	s_wait_loadcnt 0x5
	v_fmac_f64_e32 v[162:163], v[158:159], v[146:147]
	ds_load_b128 v[144:147], v2 offset:864
	ds_load_b128 v[148:151], v2 offset:880
	s_wait_dscnt 0x1
	v_fmac_f64_e32 v[162:163], v[160:161], v[144:145]
	s_wait_loadcnt 0x4
	s_delay_alu instid0(VALU_DEP_1)
	v_fmac_f64_e32 v[162:163], v[128:129], v[146:147]
	scratch_load_b128 v[144:147], off, off offset:456
	s_wait_dscnt 0x0
	v_fmac_f64_e32 v[162:163], v[130:131], v[148:149]
	scratch_load_b128 v[128:131], off, off offset:472
	s_wait_loadcnt 0x5
	v_fmac_f64_e32 v[162:163], v[152:153], v[150:151]
	ds_load_b128 v[148:151], v2 offset:896
	ds_load_b128 v[156:159], v2 offset:912
	s_wait_dscnt 0x1
	v_fmac_f64_e32 v[162:163], v[154:155], v[148:149]
	s_wait_loadcnt 0x4
	s_delay_alu instid0(VALU_DEP_1) | instskip(SKIP_1) | instid1(VALU_DEP_1)
	v_fmac_f64_e32 v[162:163], v[132:133], v[150:151]
	s_wait_dscnt 0x0
	v_fmac_f64_e32 v[162:163], v[134:135], v[156:157]
	ds_load_b128 v[132:135], v2 offset:928
	ds_load_b128 v[148:151], v2 offset:944
	s_wait_loadcnt 0x3
	v_fmac_f64_e32 v[162:163], v[140:141], v[158:159]
	s_wait_dscnt 0x1
	s_delay_alu instid0(VALU_DEP_1) | instskip(SKIP_1) | instid1(VALU_DEP_1)
	v_fmac_f64_e32 v[162:163], v[142:143], v[132:133]
	s_wait_loadcnt 0x2
	v_fmac_f64_e32 v[162:163], v[136:137], v[134:135]
	ds_load_b128 v[132:135], v2 offset:960
	ds_load_b64 v[136:137], v2 offset:976
	s_wait_dscnt 0x2
	v_fmac_f64_e32 v[162:163], v[138:139], v[148:149]
	s_wait_loadcnt 0x1
	s_delay_alu instid0(VALU_DEP_1) | instskip(SKIP_1) | instid1(VALU_DEP_1)
	v_fmac_f64_e32 v[162:163], v[144:145], v[150:151]
	s_wait_dscnt 0x1
	v_fmac_f64_e32 v[162:163], v[146:147], v[132:133]
	s_wait_loadcnt 0x0
	s_delay_alu instid0(VALU_DEP_1) | instskip(SKIP_1) | instid1(VALU_DEP_1)
	v_fmac_f64_e32 v[162:163], v[128:129], v[134:135]
	s_wait_dscnt 0x0
	v_fmac_f64_e32 v[162:163], v[130:131], v[136:137]
	s_delay_alu instid0(VALU_DEP_1)
	v_add_f64_e64 v[126:127], v[126:127], -v[162:163]
	scratch_store_b64 off, v[126:127], off offset:72
	s_wait_xcnt 0x0
	v_cmpx_lt_u32_e32 8, v0
	s_cbranch_execz .LBB124_359
; %bb.358:
	scratch_load_b64 v[126:127], off, off offset:64
	v_mov_b64_e32 v[128:129], 0
	scratch_store_b64 off, v[128:129], off offset:64
	s_wait_loadcnt 0x0
	ds_store_b64 v1, v[126:127]
.LBB124_359:
	s_wait_xcnt 0x0
	s_or_b32 exec_lo, exec_lo, s0
	s_wait_storecnt_dscnt 0x0
	s_barrier_signal -1
	s_barrier_wait -1
	s_clause 0x5
	scratch_load_b128 v[126:129], off, off offset:64
	scratch_load_b128 v[130:133], off, off offset:80
	;; [unrolled: 1-line block ×6, first 2 shown]
	ds_load_2addr_b64 v[150:153], v2 offset0:71 offset1:72
	ds_load_2addr_b64 v[154:157], v2 offset0:73 offset1:74
	scratch_load_b128 v[158:161], off, off offset:160
	s_mov_b32 s0, exec_lo
	s_wait_loadcnt_dscnt 0x601
	v_fma_f64 v[162:163], v[128:129], v[150:151], 0
	s_wait_loadcnt 0x5
	s_delay_alu instid0(VALU_DEP_1) | instskip(SKIP_4) | instid1(VALU_DEP_1)
	v_fmac_f64_e32 v[162:163], v[130:131], v[152:153]
	scratch_load_b128 v[128:131], off, off offset:176
	s_wait_dscnt 0x0
	v_fmac_f64_e32 v[162:163], v[132:133], v[154:155]
	s_wait_loadcnt 0x5
	v_fmac_f64_e32 v[162:163], v[134:135], v[156:157]
	ds_load_2addr_b64 v[132:135], v2 offset0:75 offset1:76
	ds_load_2addr_b64 v[150:153], v2 offset0:77 offset1:78
	scratch_load_b128 v[154:157], off, off offset:192
	s_wait_dscnt 0x1
	v_fmac_f64_e32 v[162:163], v[136:137], v[132:133]
	s_wait_loadcnt 0x5
	s_delay_alu instid0(VALU_DEP_1) | instskip(SKIP_4) | instid1(VALU_DEP_1)
	v_fmac_f64_e32 v[162:163], v[138:139], v[134:135]
	scratch_load_b128 v[132:135], off, off offset:208
	s_wait_dscnt 0x0
	v_fmac_f64_e32 v[162:163], v[140:141], v[150:151]
	s_wait_loadcnt 0x5
	v_fmac_f64_e32 v[162:163], v[142:143], v[152:153]
	ds_load_2addr_b64 v[136:139], v2 offset0:79 offset1:80
	ds_load_2addr_b64 v[140:143], v2 offset0:81 offset1:82
	scratch_load_b128 v[150:153], off, off offset:224
	s_wait_dscnt 0x1
	v_fmac_f64_e32 v[162:163], v[144:145], v[136:137]
	s_wait_loadcnt 0x5
	s_delay_alu instid0(VALU_DEP_1) | instskip(SKIP_4) | instid1(VALU_DEP_1)
	v_fmac_f64_e32 v[162:163], v[146:147], v[138:139]
	scratch_load_b128 v[136:139], off, off offset:240
	s_wait_dscnt 0x0
	v_fmac_f64_e32 v[162:163], v[148:149], v[140:141]
	s_wait_loadcnt 0x5
	v_fmac_f64_e32 v[162:163], v[158:159], v[142:143]
	ds_load_2addr_b64 v[140:143], v2 offset0:83 offset1:84
	ds_load_2addr_b64 v[144:147], v2 offset0:85 offset1:86
	s_wait_dscnt 0x1
	v_fmac_f64_e32 v[162:163], v[160:161], v[140:141]
	scratch_load_b128 v[158:161], off, off offset:256
	s_wait_loadcnt 0x5
	v_fmac_f64_e32 v[162:163], v[128:129], v[142:143]
	s_wait_dscnt 0x0
	s_delay_alu instid0(VALU_DEP_1)
	v_fmac_f64_e32 v[162:163], v[130:131], v[144:145]
	scratch_load_b128 v[128:131], off, off offset:272
	s_wait_loadcnt 0x5
	v_fmac_f64_e32 v[162:163], v[154:155], v[146:147]
	ds_load_2addr_b64 v[140:143], v2 offset0:87 offset1:88
	ds_load_2addr_b64 v[144:147], v2 offset0:89 offset1:90
	s_wait_dscnt 0x1
	v_fmac_f64_e32 v[162:163], v[156:157], v[140:141]
	scratch_load_b128 v[154:157], off, off offset:288
	s_wait_loadcnt 0x5
	v_fmac_f64_e32 v[162:163], v[132:133], v[142:143]
	s_wait_dscnt 0x0
	s_delay_alu instid0(VALU_DEP_1)
	v_fmac_f64_e32 v[162:163], v[134:135], v[144:145]
	scratch_load_b128 v[132:135], off, off offset:304
	s_wait_loadcnt 0x5
	v_fmac_f64_e32 v[162:163], v[150:151], v[146:147]
	ds_load_2addr_b64 v[140:143], v2 offset0:91 offset1:92
	ds_load_2addr_b64 v[144:147], v2 offset0:93 offset1:94
	scratch_load_b128 v[148:151], off, off offset:320
	s_wait_dscnt 0x1
	v_fmac_f64_e32 v[162:163], v[152:153], v[140:141]
	s_wait_loadcnt 0x5
	s_delay_alu instid0(VALU_DEP_1) | instskip(SKIP_1) | instid1(VALU_DEP_1)
	v_fmac_f64_e32 v[162:163], v[136:137], v[142:143]
	s_wait_dscnt 0x0
	v_fmac_f64_e32 v[162:163], v[138:139], v[144:145]
	scratch_load_b128 v[136:139], off, off offset:336
	s_wait_loadcnt 0x5
	v_fmac_f64_e32 v[162:163], v[158:159], v[146:147]
	ds_load_2addr_b64 v[140:143], v2 offset0:95 offset1:96
	ds_load_2addr_b64 v[144:147], v2 offset0:97 offset1:98
	s_wait_dscnt 0x1
	v_fmac_f64_e32 v[162:163], v[160:161], v[140:141]
	scratch_load_b128 v[158:161], off, off offset:352
	s_wait_loadcnt 0x5
	v_fmac_f64_e32 v[162:163], v[128:129], v[142:143]
	s_wait_dscnt 0x0
	s_delay_alu instid0(VALU_DEP_1)
	v_fmac_f64_e32 v[162:163], v[130:131], v[144:145]
	scratch_load_b128 v[128:131], off, off offset:368
	s_wait_loadcnt 0x5
	v_fmac_f64_e32 v[162:163], v[154:155], v[146:147]
	ds_load_2addr_b64 v[140:143], v2 offset0:99 offset1:100
	ds_load_2addr_b64 v[144:147], v2 offset0:101 offset1:102
	scratch_load_b128 v[152:155], off, off offset:384
	s_wait_dscnt 0x1
	v_fmac_f64_e32 v[162:163], v[156:157], v[140:141]
	s_wait_loadcnt 0x5
	s_delay_alu instid0(VALU_DEP_1) | instskip(SKIP_1) | instid1(VALU_DEP_1)
	v_fmac_f64_e32 v[162:163], v[132:133], v[142:143]
	s_wait_dscnt 0x0
	v_fmac_f64_e32 v[162:163], v[134:135], v[144:145]
	scratch_load_b128 v[132:135], off, off offset:400
	s_wait_loadcnt 0x5
	v_fmac_f64_e32 v[162:163], v[148:149], v[146:147]
	ds_load_2addr_b64 v[140:143], v2 offset0:103 offset1:104
	ds_load_2addr_b64 v[144:147], v2 offset0:105 offset1:106
	s_wait_dscnt 0x1
	v_fmac_f64_e32 v[162:163], v[150:151], v[140:141]
	s_wait_loadcnt 0x4
	s_delay_alu instid0(VALU_DEP_1)
	v_fmac_f64_e32 v[162:163], v[136:137], v[142:143]
	scratch_load_b128 v[140:143], off, off offset:416
	s_wait_dscnt 0x0
	v_fmac_f64_e32 v[162:163], v[138:139], v[144:145]
	scratch_load_b128 v[136:139], off, off offset:432
	s_wait_loadcnt 0x5
	v_fmac_f64_e32 v[162:163], v[158:159], v[146:147]
	ds_load_2addr_b64 v[144:147], v2 offset0:107 offset1:108
	ds_load_2addr_b64 v[148:151], v2 offset0:109 offset1:110
	s_wait_dscnt 0x1
	v_fmac_f64_e32 v[162:163], v[160:161], v[144:145]
	s_wait_loadcnt 0x4
	s_delay_alu instid0(VALU_DEP_1)
	v_fmac_f64_e32 v[162:163], v[128:129], v[146:147]
	scratch_load_b128 v[144:147], off, off offset:448
	s_wait_dscnt 0x0
	v_fmac_f64_e32 v[162:163], v[130:131], v[148:149]
	scratch_load_b128 v[128:131], off, off offset:464
	s_wait_loadcnt 0x5
	v_fmac_f64_e32 v[162:163], v[152:153], v[150:151]
	ds_load_2addr_b64 v[148:151], v2 offset0:111 offset1:112
	ds_load_2addr_b64 v[156:159], v2 offset0:113 offset1:114
	scratch_load_b64 v[152:153], off, off offset:480
	s_wait_dscnt 0x1
	v_fmac_f64_e32 v[162:163], v[154:155], v[148:149]
	s_wait_loadcnt 0x5
	s_delay_alu instid0(VALU_DEP_1) | instskip(SKIP_1) | instid1(VALU_DEP_1)
	v_fmac_f64_e32 v[162:163], v[132:133], v[150:151]
	s_wait_dscnt 0x0
	v_fmac_f64_e32 v[162:163], v[134:135], v[156:157]
	ds_load_2addr_b64 v[132:135], v2 offset0:115 offset1:116
	ds_load_2addr_b64 v[148:151], v2 offset0:117 offset1:118
	s_wait_loadcnt 0x4
	v_fmac_f64_e32 v[162:163], v[140:141], v[158:159]
	s_wait_dscnt 0x1
	s_delay_alu instid0(VALU_DEP_1) | instskip(SKIP_1) | instid1(VALU_DEP_1)
	v_fmac_f64_e32 v[162:163], v[142:143], v[132:133]
	s_wait_loadcnt 0x3
	v_fmac_f64_e32 v[162:163], v[136:137], v[134:135]
	s_wait_dscnt 0x0
	s_delay_alu instid0(VALU_DEP_1)
	v_fmac_f64_e32 v[162:163], v[138:139], v[148:149]
	ds_load_2addr_b64 v[132:135], v2 offset0:119 offset1:120
	ds_load_2addr_b64 v[136:139], v2 offset0:121 offset1:122
	s_wait_loadcnt 0x2
	v_fmac_f64_e32 v[162:163], v[144:145], v[150:151]
	s_wait_dscnt 0x1
	s_delay_alu instid0(VALU_DEP_1) | instskip(SKIP_1) | instid1(VALU_DEP_1)
	v_fmac_f64_e32 v[162:163], v[146:147], v[132:133]
	s_wait_loadcnt 0x1
	v_fmac_f64_e32 v[162:163], v[128:129], v[134:135]
	s_wait_dscnt 0x0
	s_delay_alu instid0(VALU_DEP_1) | instskip(SKIP_1) | instid1(VALU_DEP_1)
	v_fmac_f64_e32 v[162:163], v[130:131], v[136:137]
	s_wait_loadcnt 0x0
	v_fmac_f64_e32 v[162:163], v[152:153], v[138:139]
	s_delay_alu instid0(VALU_DEP_1)
	v_add_f64_e64 v[2:3], v[126:127], -v[162:163]
	scratch_store_b64 off, v[2:3], off offset:64
	s_wait_xcnt 0x0
	v_cmpx_lt_u32_e32 7, v0
	s_cbranch_execz .LBB124_361
; %bb.360:
	scratch_load_b64 v[2:3], off, off offset:56
	v_mov_b64_e32 v[126:127], 0
	scratch_store_b64 off, v[126:127], off offset:56
	s_wait_loadcnt 0x0
	ds_store_b64 v1, v[2:3]
.LBB124_361:
	s_wait_xcnt 0x0
	s_or_b32 exec_lo, exec_lo, s0
	s_wait_storecnt_dscnt 0x0
	s_barrier_signal -1
	s_barrier_wait -1
	s_clause 0x5
	scratch_load_b128 v[126:129], off, off offset:56
	scratch_load_b128 v[130:133], off, off offset:72
	;; [unrolled: 1-line block ×6, first 2 shown]
	v_mov_b32_e32 v2, 0
	ds_load_b128 v[150:153], v2 offset:560
	ds_load_b128 v[154:157], v2 offset:576
	scratch_load_b128 v[158:161], off, off offset:152
	s_mov_b32 s0, exec_lo
	s_wait_loadcnt_dscnt 0x601
	v_fma_f64 v[162:163], v[128:129], v[150:151], 0
	s_wait_loadcnt 0x5
	s_delay_alu instid0(VALU_DEP_1) | instskip(SKIP_4) | instid1(VALU_DEP_1)
	v_fmac_f64_e32 v[162:163], v[130:131], v[152:153]
	scratch_load_b128 v[128:131], off, off offset:168
	s_wait_dscnt 0x0
	v_fmac_f64_e32 v[162:163], v[132:133], v[154:155]
	s_wait_loadcnt 0x5
	v_fmac_f64_e32 v[162:163], v[134:135], v[156:157]
	ds_load_b128 v[132:135], v2 offset:592
	ds_load_b128 v[150:153], v2 offset:608
	scratch_load_b128 v[154:157], off, off offset:184
	s_wait_dscnt 0x1
	v_fmac_f64_e32 v[162:163], v[136:137], v[132:133]
	s_wait_loadcnt 0x5
	s_delay_alu instid0(VALU_DEP_1) | instskip(SKIP_4) | instid1(VALU_DEP_1)
	v_fmac_f64_e32 v[162:163], v[138:139], v[134:135]
	scratch_load_b128 v[132:135], off, off offset:200
	s_wait_dscnt 0x0
	v_fmac_f64_e32 v[162:163], v[140:141], v[150:151]
	s_wait_loadcnt 0x5
	v_fmac_f64_e32 v[162:163], v[142:143], v[152:153]
	ds_load_b128 v[136:139], v2 offset:624
	ds_load_b128 v[140:143], v2 offset:640
	scratch_load_b128 v[150:153], off, off offset:216
	s_wait_dscnt 0x1
	v_fmac_f64_e32 v[162:163], v[144:145], v[136:137]
	s_wait_loadcnt 0x5
	s_delay_alu instid0(VALU_DEP_1) | instskip(SKIP_4) | instid1(VALU_DEP_1)
	v_fmac_f64_e32 v[162:163], v[146:147], v[138:139]
	scratch_load_b128 v[136:139], off, off offset:232
	s_wait_dscnt 0x0
	v_fmac_f64_e32 v[162:163], v[148:149], v[140:141]
	s_wait_loadcnt 0x5
	v_fmac_f64_e32 v[162:163], v[158:159], v[142:143]
	ds_load_b128 v[140:143], v2 offset:656
	ds_load_b128 v[144:147], v2 offset:672
	s_wait_dscnt 0x1
	v_fmac_f64_e32 v[162:163], v[160:161], v[140:141]
	scratch_load_b128 v[158:161], off, off offset:248
	s_wait_loadcnt 0x5
	v_fmac_f64_e32 v[162:163], v[128:129], v[142:143]
	s_wait_dscnt 0x0
	s_delay_alu instid0(VALU_DEP_1)
	v_fmac_f64_e32 v[162:163], v[130:131], v[144:145]
	scratch_load_b128 v[128:131], off, off offset:264
	s_wait_loadcnt 0x5
	v_fmac_f64_e32 v[162:163], v[154:155], v[146:147]
	ds_load_b128 v[140:143], v2 offset:688
	ds_load_b128 v[144:147], v2 offset:704
	s_wait_dscnt 0x1
	v_fmac_f64_e32 v[162:163], v[156:157], v[140:141]
	scratch_load_b128 v[154:157], off, off offset:280
	s_wait_loadcnt 0x5
	v_fmac_f64_e32 v[162:163], v[132:133], v[142:143]
	s_wait_dscnt 0x0
	s_delay_alu instid0(VALU_DEP_1)
	v_fmac_f64_e32 v[162:163], v[134:135], v[144:145]
	scratch_load_b128 v[132:135], off, off offset:296
	s_wait_loadcnt 0x5
	v_fmac_f64_e32 v[162:163], v[150:151], v[146:147]
	ds_load_b128 v[140:143], v2 offset:720
	ds_load_b128 v[144:147], v2 offset:736
	scratch_load_b128 v[148:151], off, off offset:312
	s_wait_dscnt 0x1
	v_fmac_f64_e32 v[162:163], v[152:153], v[140:141]
	s_wait_loadcnt 0x5
	s_delay_alu instid0(VALU_DEP_1) | instskip(SKIP_1) | instid1(VALU_DEP_1)
	v_fmac_f64_e32 v[162:163], v[136:137], v[142:143]
	s_wait_dscnt 0x0
	v_fmac_f64_e32 v[162:163], v[138:139], v[144:145]
	scratch_load_b128 v[136:139], off, off offset:328
	s_wait_loadcnt 0x5
	v_fmac_f64_e32 v[162:163], v[158:159], v[146:147]
	ds_load_b128 v[140:143], v2 offset:752
	ds_load_b128 v[144:147], v2 offset:768
	s_wait_dscnt 0x1
	v_fmac_f64_e32 v[162:163], v[160:161], v[140:141]
	scratch_load_b128 v[158:161], off, off offset:344
	s_wait_loadcnt 0x5
	v_fmac_f64_e32 v[162:163], v[128:129], v[142:143]
	s_wait_dscnt 0x0
	s_delay_alu instid0(VALU_DEP_1)
	v_fmac_f64_e32 v[162:163], v[130:131], v[144:145]
	scratch_load_b128 v[128:131], off, off offset:360
	s_wait_loadcnt 0x5
	v_fmac_f64_e32 v[162:163], v[154:155], v[146:147]
	ds_load_b128 v[140:143], v2 offset:784
	ds_load_b128 v[144:147], v2 offset:800
	scratch_load_b128 v[152:155], off, off offset:376
	s_wait_dscnt 0x1
	v_fmac_f64_e32 v[162:163], v[156:157], v[140:141]
	s_wait_loadcnt 0x5
	s_delay_alu instid0(VALU_DEP_1) | instskip(SKIP_1) | instid1(VALU_DEP_1)
	v_fmac_f64_e32 v[162:163], v[132:133], v[142:143]
	s_wait_dscnt 0x0
	v_fmac_f64_e32 v[162:163], v[134:135], v[144:145]
	scratch_load_b128 v[132:135], off, off offset:392
	s_wait_loadcnt 0x5
	v_fmac_f64_e32 v[162:163], v[148:149], v[146:147]
	ds_load_b128 v[140:143], v2 offset:816
	ds_load_b128 v[144:147], v2 offset:832
	s_wait_dscnt 0x1
	v_fmac_f64_e32 v[162:163], v[150:151], v[140:141]
	s_wait_loadcnt 0x4
	s_delay_alu instid0(VALU_DEP_1)
	v_fmac_f64_e32 v[162:163], v[136:137], v[142:143]
	scratch_load_b128 v[140:143], off, off offset:408
	s_wait_dscnt 0x0
	v_fmac_f64_e32 v[162:163], v[138:139], v[144:145]
	scratch_load_b128 v[136:139], off, off offset:424
	s_wait_loadcnt 0x5
	v_fmac_f64_e32 v[162:163], v[158:159], v[146:147]
	ds_load_b128 v[144:147], v2 offset:848
	ds_load_b128 v[148:151], v2 offset:864
	s_wait_dscnt 0x1
	v_fmac_f64_e32 v[162:163], v[160:161], v[144:145]
	s_wait_loadcnt 0x4
	s_delay_alu instid0(VALU_DEP_1)
	v_fmac_f64_e32 v[162:163], v[128:129], v[146:147]
	scratch_load_b128 v[144:147], off, off offset:440
	;; [unrolled: 13-line block ×3, first 2 shown]
	s_wait_dscnt 0x0
	v_fmac_f64_e32 v[162:163], v[134:135], v[156:157]
	ds_load_b128 v[132:135], v2 offset:912
	ds_load_b128 v[152:155], v2 offset:928
	s_wait_loadcnt 0x4
	v_fmac_f64_e32 v[162:163], v[140:141], v[158:159]
	s_wait_dscnt 0x1
	s_delay_alu instid0(VALU_DEP_1) | instskip(SKIP_1) | instid1(VALU_DEP_1)
	v_fmac_f64_e32 v[162:163], v[142:143], v[132:133]
	s_wait_loadcnt 0x3
	v_fmac_f64_e32 v[162:163], v[136:137], v[134:135]
	s_wait_dscnt 0x0
	s_delay_alu instid0(VALU_DEP_1)
	v_fmac_f64_e32 v[162:163], v[138:139], v[152:153]
	ds_load_b128 v[132:135], v2 offset:944
	ds_load_b128 v[136:139], v2 offset:960
	s_wait_loadcnt 0x2
	v_fmac_f64_e32 v[162:163], v[144:145], v[154:155]
	s_wait_dscnt 0x1
	s_delay_alu instid0(VALU_DEP_1) | instskip(SKIP_1) | instid1(VALU_DEP_1)
	v_fmac_f64_e32 v[162:163], v[146:147], v[132:133]
	s_wait_loadcnt 0x1
	v_fmac_f64_e32 v[162:163], v[128:129], v[134:135]
	ds_load_b64 v[128:129], v2 offset:976
	s_wait_dscnt 0x1
	v_fmac_f64_e32 v[162:163], v[130:131], v[136:137]
	s_wait_loadcnt 0x0
	s_delay_alu instid0(VALU_DEP_1) | instskip(SKIP_1) | instid1(VALU_DEP_1)
	v_fmac_f64_e32 v[162:163], v[148:149], v[138:139]
	s_wait_dscnt 0x0
	v_fmac_f64_e32 v[162:163], v[150:151], v[128:129]
	s_delay_alu instid0(VALU_DEP_1)
	v_add_f64_e64 v[126:127], v[126:127], -v[162:163]
	scratch_store_b64 off, v[126:127], off offset:56
	s_wait_xcnt 0x0
	v_cmpx_lt_u32_e32 6, v0
	s_cbranch_execz .LBB124_363
; %bb.362:
	scratch_load_b64 v[126:127], off, off offset:48
	v_mov_b64_e32 v[128:129], 0
	scratch_store_b64 off, v[128:129], off offset:48
	s_wait_loadcnt 0x0
	ds_store_b64 v1, v[126:127]
.LBB124_363:
	s_wait_xcnt 0x0
	s_or_b32 exec_lo, exec_lo, s0
	s_wait_storecnt_dscnt 0x0
	s_barrier_signal -1
	s_barrier_wait -1
	s_clause 0x5
	scratch_load_b128 v[126:129], off, off offset:48
	scratch_load_b128 v[130:133], off, off offset:64
	;; [unrolled: 1-line block ×6, first 2 shown]
	ds_load_2addr_b64 v[150:153], v2 offset0:69 offset1:70
	ds_load_2addr_b64 v[154:157], v2 offset0:71 offset1:72
	scratch_load_b128 v[158:161], off, off offset:144
	s_mov_b32 s0, exec_lo
	s_wait_loadcnt_dscnt 0x601
	v_fma_f64 v[162:163], v[128:129], v[150:151], 0
	s_wait_loadcnt 0x5
	s_delay_alu instid0(VALU_DEP_1) | instskip(SKIP_4) | instid1(VALU_DEP_1)
	v_fmac_f64_e32 v[162:163], v[130:131], v[152:153]
	scratch_load_b128 v[128:131], off, off offset:160
	s_wait_dscnt 0x0
	v_fmac_f64_e32 v[162:163], v[132:133], v[154:155]
	s_wait_loadcnt 0x5
	v_fmac_f64_e32 v[162:163], v[134:135], v[156:157]
	ds_load_2addr_b64 v[132:135], v2 offset0:73 offset1:74
	ds_load_2addr_b64 v[150:153], v2 offset0:75 offset1:76
	scratch_load_b128 v[154:157], off, off offset:176
	s_wait_dscnt 0x1
	v_fmac_f64_e32 v[162:163], v[136:137], v[132:133]
	s_wait_loadcnt 0x5
	s_delay_alu instid0(VALU_DEP_1) | instskip(SKIP_4) | instid1(VALU_DEP_1)
	v_fmac_f64_e32 v[162:163], v[138:139], v[134:135]
	scratch_load_b128 v[132:135], off, off offset:192
	s_wait_dscnt 0x0
	v_fmac_f64_e32 v[162:163], v[140:141], v[150:151]
	s_wait_loadcnt 0x5
	v_fmac_f64_e32 v[162:163], v[142:143], v[152:153]
	ds_load_2addr_b64 v[136:139], v2 offset0:77 offset1:78
	ds_load_2addr_b64 v[140:143], v2 offset0:79 offset1:80
	scratch_load_b128 v[150:153], off, off offset:208
	s_wait_dscnt 0x1
	v_fmac_f64_e32 v[162:163], v[144:145], v[136:137]
	s_wait_loadcnt 0x5
	s_delay_alu instid0(VALU_DEP_1) | instskip(SKIP_4) | instid1(VALU_DEP_1)
	v_fmac_f64_e32 v[162:163], v[146:147], v[138:139]
	scratch_load_b128 v[136:139], off, off offset:224
	s_wait_dscnt 0x0
	v_fmac_f64_e32 v[162:163], v[148:149], v[140:141]
	s_wait_loadcnt 0x5
	v_fmac_f64_e32 v[162:163], v[158:159], v[142:143]
	ds_load_2addr_b64 v[140:143], v2 offset0:81 offset1:82
	ds_load_2addr_b64 v[144:147], v2 offset0:83 offset1:84
	s_wait_dscnt 0x1
	v_fmac_f64_e32 v[162:163], v[160:161], v[140:141]
	scratch_load_b128 v[158:161], off, off offset:240
	s_wait_loadcnt 0x5
	v_fmac_f64_e32 v[162:163], v[128:129], v[142:143]
	s_wait_dscnt 0x0
	s_delay_alu instid0(VALU_DEP_1)
	v_fmac_f64_e32 v[162:163], v[130:131], v[144:145]
	scratch_load_b128 v[128:131], off, off offset:256
	s_wait_loadcnt 0x5
	v_fmac_f64_e32 v[162:163], v[154:155], v[146:147]
	ds_load_2addr_b64 v[140:143], v2 offset0:85 offset1:86
	ds_load_2addr_b64 v[144:147], v2 offset0:87 offset1:88
	s_wait_dscnt 0x1
	v_fmac_f64_e32 v[162:163], v[156:157], v[140:141]
	scratch_load_b128 v[154:157], off, off offset:272
	s_wait_loadcnt 0x5
	v_fmac_f64_e32 v[162:163], v[132:133], v[142:143]
	s_wait_dscnt 0x0
	s_delay_alu instid0(VALU_DEP_1)
	v_fmac_f64_e32 v[162:163], v[134:135], v[144:145]
	scratch_load_b128 v[132:135], off, off offset:288
	s_wait_loadcnt 0x5
	v_fmac_f64_e32 v[162:163], v[150:151], v[146:147]
	ds_load_2addr_b64 v[140:143], v2 offset0:89 offset1:90
	ds_load_2addr_b64 v[144:147], v2 offset0:91 offset1:92
	scratch_load_b128 v[148:151], off, off offset:304
	s_wait_dscnt 0x1
	v_fmac_f64_e32 v[162:163], v[152:153], v[140:141]
	s_wait_loadcnt 0x5
	s_delay_alu instid0(VALU_DEP_1) | instskip(SKIP_1) | instid1(VALU_DEP_1)
	v_fmac_f64_e32 v[162:163], v[136:137], v[142:143]
	s_wait_dscnt 0x0
	v_fmac_f64_e32 v[162:163], v[138:139], v[144:145]
	scratch_load_b128 v[136:139], off, off offset:320
	s_wait_loadcnt 0x5
	v_fmac_f64_e32 v[162:163], v[158:159], v[146:147]
	ds_load_2addr_b64 v[140:143], v2 offset0:93 offset1:94
	ds_load_2addr_b64 v[144:147], v2 offset0:95 offset1:96
	s_wait_dscnt 0x1
	v_fmac_f64_e32 v[162:163], v[160:161], v[140:141]
	scratch_load_b128 v[158:161], off, off offset:336
	s_wait_loadcnt 0x5
	v_fmac_f64_e32 v[162:163], v[128:129], v[142:143]
	s_wait_dscnt 0x0
	s_delay_alu instid0(VALU_DEP_1)
	v_fmac_f64_e32 v[162:163], v[130:131], v[144:145]
	scratch_load_b128 v[128:131], off, off offset:352
	s_wait_loadcnt 0x5
	v_fmac_f64_e32 v[162:163], v[154:155], v[146:147]
	ds_load_2addr_b64 v[140:143], v2 offset0:97 offset1:98
	ds_load_2addr_b64 v[144:147], v2 offset0:99 offset1:100
	scratch_load_b128 v[152:155], off, off offset:368
	s_wait_dscnt 0x1
	v_fmac_f64_e32 v[162:163], v[156:157], v[140:141]
	s_wait_loadcnt 0x5
	s_delay_alu instid0(VALU_DEP_1) | instskip(SKIP_1) | instid1(VALU_DEP_1)
	v_fmac_f64_e32 v[162:163], v[132:133], v[142:143]
	s_wait_dscnt 0x0
	v_fmac_f64_e32 v[162:163], v[134:135], v[144:145]
	scratch_load_b128 v[132:135], off, off offset:384
	s_wait_loadcnt 0x5
	v_fmac_f64_e32 v[162:163], v[148:149], v[146:147]
	ds_load_2addr_b64 v[140:143], v2 offset0:101 offset1:102
	ds_load_2addr_b64 v[144:147], v2 offset0:103 offset1:104
	s_wait_dscnt 0x1
	v_fmac_f64_e32 v[162:163], v[150:151], v[140:141]
	scratch_load_b128 v[148:151], off, off offset:400
	s_wait_loadcnt 0x5
	v_fmac_f64_e32 v[162:163], v[136:137], v[142:143]
	s_wait_dscnt 0x0
	s_delay_alu instid0(VALU_DEP_1)
	v_fmac_f64_e32 v[162:163], v[138:139], v[144:145]
	scratch_load_b128 v[136:139], off, off offset:416
	s_wait_loadcnt 0x5
	v_fmac_f64_e32 v[162:163], v[158:159], v[146:147]
	ds_load_2addr_b64 v[140:143], v2 offset0:105 offset1:106
	ds_load_2addr_b64 v[144:147], v2 offset0:107 offset1:108
	s_wait_dscnt 0x1
	v_fmac_f64_e32 v[162:163], v[160:161], v[140:141]
	s_wait_loadcnt 0x4
	s_delay_alu instid0(VALU_DEP_1)
	v_fmac_f64_e32 v[162:163], v[128:129], v[142:143]
	scratch_load_b128 v[140:143], off, off offset:432
	s_wait_dscnt 0x0
	v_fmac_f64_e32 v[162:163], v[130:131], v[144:145]
	scratch_load_b128 v[128:131], off, off offset:448
	s_wait_loadcnt 0x5
	v_fmac_f64_e32 v[162:163], v[152:153], v[146:147]
	ds_load_2addr_b64 v[144:147], v2 offset0:109 offset1:110
	ds_load_2addr_b64 v[156:159], v2 offset0:111 offset1:112
	s_wait_dscnt 0x1
	v_fmac_f64_e32 v[162:163], v[154:155], v[144:145]
	s_wait_loadcnt 0x4
	s_delay_alu instid0(VALU_DEP_1) | instskip(SKIP_4) | instid1(VALU_DEP_1)
	v_fmac_f64_e32 v[162:163], v[132:133], v[146:147]
	scratch_load_b128 v[144:147], off, off offset:464
	s_wait_dscnt 0x0
	v_fmac_f64_e32 v[162:163], v[134:135], v[156:157]
	s_wait_loadcnt 0x4
	v_fmac_f64_e32 v[162:163], v[148:149], v[158:159]
	scratch_load_b64 v[148:149], off, off offset:480
	ds_load_2addr_b64 v[132:135], v2 offset0:113 offset1:114
	ds_load_2addr_b64 v[152:155], v2 offset0:115 offset1:116
	s_wait_dscnt 0x1
	v_fmac_f64_e32 v[162:163], v[150:151], v[132:133]
	s_wait_loadcnt 0x4
	s_delay_alu instid0(VALU_DEP_1) | instskip(SKIP_1) | instid1(VALU_DEP_1)
	v_fmac_f64_e32 v[162:163], v[136:137], v[134:135]
	s_wait_dscnt 0x0
	v_fmac_f64_e32 v[162:163], v[138:139], v[152:153]
	ds_load_2addr_b64 v[132:135], v2 offset0:117 offset1:118
	ds_load_2addr_b64 v[136:139], v2 offset0:119 offset1:120
	s_wait_loadcnt 0x3
	v_fmac_f64_e32 v[162:163], v[140:141], v[154:155]
	s_wait_dscnt 0x1
	s_delay_alu instid0(VALU_DEP_1) | instskip(SKIP_1) | instid1(VALU_DEP_1)
	v_fmac_f64_e32 v[162:163], v[142:143], v[132:133]
	s_wait_loadcnt 0x2
	v_fmac_f64_e32 v[162:163], v[128:129], v[134:135]
	s_wait_dscnt 0x0
	s_delay_alu instid0(VALU_DEP_1) | instskip(SKIP_4) | instid1(VALU_DEP_1)
	v_fmac_f64_e32 v[162:163], v[130:131], v[136:137]
	ds_load_2addr_b64 v[128:131], v2 offset0:121 offset1:122
	s_wait_loadcnt 0x1
	v_fmac_f64_e32 v[162:163], v[144:145], v[138:139]
	s_wait_dscnt 0x0
	v_fmac_f64_e32 v[162:163], v[146:147], v[128:129]
	s_wait_loadcnt 0x0
	s_delay_alu instid0(VALU_DEP_1) | instskip(NEXT) | instid1(VALU_DEP_1)
	v_fmac_f64_e32 v[162:163], v[148:149], v[130:131]
	v_add_f64_e64 v[2:3], v[126:127], -v[162:163]
	scratch_store_b64 off, v[2:3], off offset:48
	s_wait_xcnt 0x0
	v_cmpx_lt_u32_e32 5, v0
	s_cbranch_execz .LBB124_365
; %bb.364:
	scratch_load_b64 v[2:3], off, off offset:40
	v_mov_b64_e32 v[126:127], 0
	scratch_store_b64 off, v[126:127], off offset:40
	s_wait_loadcnt 0x0
	ds_store_b64 v1, v[2:3]
.LBB124_365:
	s_wait_xcnt 0x0
	s_or_b32 exec_lo, exec_lo, s0
	s_wait_storecnt_dscnt 0x0
	s_barrier_signal -1
	s_barrier_wait -1
	s_clause 0x5
	scratch_load_b128 v[126:129], off, off offset:40
	scratch_load_b128 v[130:133], off, off offset:56
	;; [unrolled: 1-line block ×6, first 2 shown]
	v_mov_b32_e32 v2, 0
	ds_load_b128 v[150:153], v2 offset:544
	ds_load_b128 v[154:157], v2 offset:560
	scratch_load_b128 v[158:161], off, off offset:136
	s_mov_b32 s0, exec_lo
	s_wait_loadcnt_dscnt 0x601
	v_fma_f64 v[162:163], v[128:129], v[150:151], 0
	s_wait_loadcnt 0x5
	s_delay_alu instid0(VALU_DEP_1) | instskip(SKIP_4) | instid1(VALU_DEP_1)
	v_fmac_f64_e32 v[162:163], v[130:131], v[152:153]
	scratch_load_b128 v[128:131], off, off offset:152
	s_wait_dscnt 0x0
	v_fmac_f64_e32 v[162:163], v[132:133], v[154:155]
	s_wait_loadcnt 0x5
	v_fmac_f64_e32 v[162:163], v[134:135], v[156:157]
	ds_load_b128 v[132:135], v2 offset:576
	ds_load_b128 v[150:153], v2 offset:592
	scratch_load_b128 v[154:157], off, off offset:168
	s_wait_dscnt 0x1
	v_fmac_f64_e32 v[162:163], v[136:137], v[132:133]
	s_wait_loadcnt 0x5
	s_delay_alu instid0(VALU_DEP_1) | instskip(SKIP_4) | instid1(VALU_DEP_1)
	v_fmac_f64_e32 v[162:163], v[138:139], v[134:135]
	scratch_load_b128 v[132:135], off, off offset:184
	s_wait_dscnt 0x0
	v_fmac_f64_e32 v[162:163], v[140:141], v[150:151]
	s_wait_loadcnt 0x5
	v_fmac_f64_e32 v[162:163], v[142:143], v[152:153]
	ds_load_b128 v[136:139], v2 offset:608
	ds_load_b128 v[140:143], v2 offset:624
	scratch_load_b128 v[150:153], off, off offset:200
	s_wait_dscnt 0x1
	v_fmac_f64_e32 v[162:163], v[144:145], v[136:137]
	s_wait_loadcnt 0x5
	s_delay_alu instid0(VALU_DEP_1) | instskip(SKIP_4) | instid1(VALU_DEP_1)
	v_fmac_f64_e32 v[162:163], v[146:147], v[138:139]
	scratch_load_b128 v[136:139], off, off offset:216
	s_wait_dscnt 0x0
	v_fmac_f64_e32 v[162:163], v[148:149], v[140:141]
	s_wait_loadcnt 0x5
	v_fmac_f64_e32 v[162:163], v[158:159], v[142:143]
	ds_load_b128 v[140:143], v2 offset:640
	ds_load_b128 v[144:147], v2 offset:656
	s_wait_dscnt 0x1
	v_fmac_f64_e32 v[162:163], v[160:161], v[140:141]
	scratch_load_b128 v[158:161], off, off offset:232
	s_wait_loadcnt 0x5
	v_fmac_f64_e32 v[162:163], v[128:129], v[142:143]
	s_wait_dscnt 0x0
	s_delay_alu instid0(VALU_DEP_1)
	v_fmac_f64_e32 v[162:163], v[130:131], v[144:145]
	scratch_load_b128 v[128:131], off, off offset:248
	s_wait_loadcnt 0x5
	v_fmac_f64_e32 v[162:163], v[154:155], v[146:147]
	ds_load_b128 v[140:143], v2 offset:672
	ds_load_b128 v[144:147], v2 offset:688
	s_wait_dscnt 0x1
	v_fmac_f64_e32 v[162:163], v[156:157], v[140:141]
	scratch_load_b128 v[154:157], off, off offset:264
	s_wait_loadcnt 0x5
	v_fmac_f64_e32 v[162:163], v[132:133], v[142:143]
	s_wait_dscnt 0x0
	s_delay_alu instid0(VALU_DEP_1)
	v_fmac_f64_e32 v[162:163], v[134:135], v[144:145]
	scratch_load_b128 v[132:135], off, off offset:280
	s_wait_loadcnt 0x5
	v_fmac_f64_e32 v[162:163], v[150:151], v[146:147]
	ds_load_b128 v[140:143], v2 offset:704
	ds_load_b128 v[144:147], v2 offset:720
	scratch_load_b128 v[148:151], off, off offset:296
	s_wait_dscnt 0x1
	v_fmac_f64_e32 v[162:163], v[152:153], v[140:141]
	s_wait_loadcnt 0x5
	s_delay_alu instid0(VALU_DEP_1) | instskip(SKIP_1) | instid1(VALU_DEP_1)
	v_fmac_f64_e32 v[162:163], v[136:137], v[142:143]
	s_wait_dscnt 0x0
	v_fmac_f64_e32 v[162:163], v[138:139], v[144:145]
	scratch_load_b128 v[136:139], off, off offset:312
	s_wait_loadcnt 0x5
	v_fmac_f64_e32 v[162:163], v[158:159], v[146:147]
	ds_load_b128 v[140:143], v2 offset:736
	ds_load_b128 v[144:147], v2 offset:752
	s_wait_dscnt 0x1
	v_fmac_f64_e32 v[162:163], v[160:161], v[140:141]
	scratch_load_b128 v[158:161], off, off offset:328
	s_wait_loadcnt 0x5
	v_fmac_f64_e32 v[162:163], v[128:129], v[142:143]
	s_wait_dscnt 0x0
	s_delay_alu instid0(VALU_DEP_1)
	v_fmac_f64_e32 v[162:163], v[130:131], v[144:145]
	scratch_load_b128 v[128:131], off, off offset:344
	s_wait_loadcnt 0x5
	v_fmac_f64_e32 v[162:163], v[154:155], v[146:147]
	ds_load_b128 v[140:143], v2 offset:768
	ds_load_b128 v[144:147], v2 offset:784
	scratch_load_b128 v[152:155], off, off offset:360
	s_wait_dscnt 0x1
	v_fmac_f64_e32 v[162:163], v[156:157], v[140:141]
	s_wait_loadcnt 0x5
	s_delay_alu instid0(VALU_DEP_1) | instskip(SKIP_1) | instid1(VALU_DEP_1)
	v_fmac_f64_e32 v[162:163], v[132:133], v[142:143]
	s_wait_dscnt 0x0
	v_fmac_f64_e32 v[162:163], v[134:135], v[144:145]
	scratch_load_b128 v[132:135], off, off offset:376
	s_wait_loadcnt 0x5
	v_fmac_f64_e32 v[162:163], v[148:149], v[146:147]
	ds_load_b128 v[140:143], v2 offset:800
	ds_load_b128 v[144:147], v2 offset:816
	s_wait_dscnt 0x1
	v_fmac_f64_e32 v[162:163], v[150:151], v[140:141]
	scratch_load_b128 v[148:151], off, off offset:392
	s_wait_loadcnt 0x5
	v_fmac_f64_e32 v[162:163], v[136:137], v[142:143]
	s_wait_dscnt 0x0
	s_delay_alu instid0(VALU_DEP_1)
	v_fmac_f64_e32 v[162:163], v[138:139], v[144:145]
	scratch_load_b128 v[136:139], off, off offset:408
	s_wait_loadcnt 0x5
	v_fmac_f64_e32 v[162:163], v[158:159], v[146:147]
	ds_load_b128 v[140:143], v2 offset:832
	ds_load_b128 v[144:147], v2 offset:848
	s_wait_dscnt 0x1
	v_fmac_f64_e32 v[162:163], v[160:161], v[140:141]
	s_wait_loadcnt 0x4
	s_delay_alu instid0(VALU_DEP_1)
	v_fmac_f64_e32 v[162:163], v[128:129], v[142:143]
	scratch_load_b128 v[140:143], off, off offset:424
	s_wait_dscnt 0x0
	v_fmac_f64_e32 v[162:163], v[130:131], v[144:145]
	scratch_load_b128 v[128:131], off, off offset:440
	s_wait_loadcnt 0x5
	v_fmac_f64_e32 v[162:163], v[152:153], v[146:147]
	ds_load_b128 v[144:147], v2 offset:864
	ds_load_b128 v[156:159], v2 offset:880
	s_wait_dscnt 0x1
	v_fmac_f64_e32 v[162:163], v[154:155], v[144:145]
	s_wait_loadcnt 0x4
	s_delay_alu instid0(VALU_DEP_1)
	v_fmac_f64_e32 v[162:163], v[132:133], v[146:147]
	scratch_load_b128 v[144:147], off, off offset:456
	s_wait_dscnt 0x0
	v_fmac_f64_e32 v[162:163], v[134:135], v[156:157]
	scratch_load_b128 v[132:135], off, off offset:472
	s_wait_loadcnt 0x5
	v_fmac_f64_e32 v[162:163], v[148:149], v[158:159]
	ds_load_b128 v[152:155], v2 offset:896
	ds_load_b128 v[156:159], v2 offset:912
	s_wait_dscnt 0x1
	v_fmac_f64_e32 v[162:163], v[150:151], v[152:153]
	s_wait_loadcnt 0x4
	s_delay_alu instid0(VALU_DEP_1) | instskip(SKIP_1) | instid1(VALU_DEP_1)
	v_fmac_f64_e32 v[162:163], v[136:137], v[154:155]
	s_wait_dscnt 0x0
	v_fmac_f64_e32 v[162:163], v[138:139], v[156:157]
	ds_load_b128 v[136:139], v2 offset:928
	ds_load_b128 v[148:151], v2 offset:944
	s_wait_loadcnt 0x3
	v_fmac_f64_e32 v[162:163], v[140:141], v[158:159]
	s_wait_dscnt 0x1
	s_delay_alu instid0(VALU_DEP_1) | instskip(SKIP_1) | instid1(VALU_DEP_1)
	v_fmac_f64_e32 v[162:163], v[142:143], v[136:137]
	s_wait_loadcnt 0x2
	v_fmac_f64_e32 v[162:163], v[128:129], v[138:139]
	s_wait_dscnt 0x0
	s_delay_alu instid0(VALU_DEP_1)
	v_fmac_f64_e32 v[162:163], v[130:131], v[148:149]
	ds_load_b128 v[128:131], v2 offset:960
	ds_load_b64 v[136:137], v2 offset:976
	s_wait_loadcnt 0x1
	v_fmac_f64_e32 v[162:163], v[144:145], v[150:151]
	s_wait_dscnt 0x1
	s_delay_alu instid0(VALU_DEP_1) | instskip(SKIP_1) | instid1(VALU_DEP_1)
	v_fmac_f64_e32 v[162:163], v[146:147], v[128:129]
	s_wait_loadcnt 0x0
	v_fmac_f64_e32 v[162:163], v[132:133], v[130:131]
	s_wait_dscnt 0x0
	s_delay_alu instid0(VALU_DEP_1) | instskip(NEXT) | instid1(VALU_DEP_1)
	v_fmac_f64_e32 v[162:163], v[134:135], v[136:137]
	v_add_f64_e64 v[126:127], v[126:127], -v[162:163]
	scratch_store_b64 off, v[126:127], off offset:40
	s_wait_xcnt 0x0
	v_cmpx_lt_u32_e32 4, v0
	s_cbranch_execz .LBB124_367
; %bb.366:
	scratch_load_b64 v[126:127], off, off offset:32
	v_mov_b64_e32 v[128:129], 0
	scratch_store_b64 off, v[128:129], off offset:32
	s_wait_loadcnt 0x0
	ds_store_b64 v1, v[126:127]
.LBB124_367:
	s_wait_xcnt 0x0
	s_or_b32 exec_lo, exec_lo, s0
	s_wait_storecnt_dscnt 0x0
	s_barrier_signal -1
	s_barrier_wait -1
	s_clause 0x5
	scratch_load_b128 v[126:129], off, off offset:32
	scratch_load_b128 v[130:133], off, off offset:48
	;; [unrolled: 1-line block ×6, first 2 shown]
	ds_load_2addr_b64 v[150:153], v2 offset0:67 offset1:68
	ds_load_2addr_b64 v[154:157], v2 offset0:69 offset1:70
	scratch_load_b128 v[158:161], off, off offset:128
	s_mov_b32 s0, exec_lo
	s_wait_loadcnt_dscnt 0x601
	v_fma_f64 v[162:163], v[128:129], v[150:151], 0
	s_wait_loadcnt 0x5
	s_delay_alu instid0(VALU_DEP_1) | instskip(SKIP_4) | instid1(VALU_DEP_1)
	v_fmac_f64_e32 v[162:163], v[130:131], v[152:153]
	scratch_load_b128 v[128:131], off, off offset:144
	s_wait_dscnt 0x0
	v_fmac_f64_e32 v[162:163], v[132:133], v[154:155]
	s_wait_loadcnt 0x5
	v_fmac_f64_e32 v[162:163], v[134:135], v[156:157]
	ds_load_2addr_b64 v[132:135], v2 offset0:71 offset1:72
	ds_load_2addr_b64 v[150:153], v2 offset0:73 offset1:74
	scratch_load_b128 v[154:157], off, off offset:160
	s_wait_dscnt 0x1
	v_fmac_f64_e32 v[162:163], v[136:137], v[132:133]
	s_wait_loadcnt 0x5
	s_delay_alu instid0(VALU_DEP_1) | instskip(SKIP_4) | instid1(VALU_DEP_1)
	v_fmac_f64_e32 v[162:163], v[138:139], v[134:135]
	scratch_load_b128 v[132:135], off, off offset:176
	s_wait_dscnt 0x0
	v_fmac_f64_e32 v[162:163], v[140:141], v[150:151]
	s_wait_loadcnt 0x5
	v_fmac_f64_e32 v[162:163], v[142:143], v[152:153]
	ds_load_2addr_b64 v[136:139], v2 offset0:75 offset1:76
	ds_load_2addr_b64 v[140:143], v2 offset0:77 offset1:78
	scratch_load_b128 v[150:153], off, off offset:192
	s_wait_dscnt 0x1
	v_fmac_f64_e32 v[162:163], v[144:145], v[136:137]
	s_wait_loadcnt 0x5
	s_delay_alu instid0(VALU_DEP_1) | instskip(SKIP_4) | instid1(VALU_DEP_1)
	v_fmac_f64_e32 v[162:163], v[146:147], v[138:139]
	scratch_load_b128 v[136:139], off, off offset:208
	s_wait_dscnt 0x0
	v_fmac_f64_e32 v[162:163], v[148:149], v[140:141]
	s_wait_loadcnt 0x5
	v_fmac_f64_e32 v[162:163], v[158:159], v[142:143]
	ds_load_2addr_b64 v[140:143], v2 offset0:79 offset1:80
	ds_load_2addr_b64 v[144:147], v2 offset0:81 offset1:82
	s_wait_dscnt 0x1
	v_fmac_f64_e32 v[162:163], v[160:161], v[140:141]
	scratch_load_b128 v[158:161], off, off offset:224
	s_wait_loadcnt 0x5
	v_fmac_f64_e32 v[162:163], v[128:129], v[142:143]
	s_wait_dscnt 0x0
	s_delay_alu instid0(VALU_DEP_1)
	v_fmac_f64_e32 v[162:163], v[130:131], v[144:145]
	scratch_load_b128 v[128:131], off, off offset:240
	s_wait_loadcnt 0x5
	v_fmac_f64_e32 v[162:163], v[154:155], v[146:147]
	ds_load_2addr_b64 v[140:143], v2 offset0:83 offset1:84
	ds_load_2addr_b64 v[144:147], v2 offset0:85 offset1:86
	s_wait_dscnt 0x1
	v_fmac_f64_e32 v[162:163], v[156:157], v[140:141]
	scratch_load_b128 v[154:157], off, off offset:256
	s_wait_loadcnt 0x5
	v_fmac_f64_e32 v[162:163], v[132:133], v[142:143]
	s_wait_dscnt 0x0
	s_delay_alu instid0(VALU_DEP_1)
	v_fmac_f64_e32 v[162:163], v[134:135], v[144:145]
	scratch_load_b128 v[132:135], off, off offset:272
	s_wait_loadcnt 0x5
	v_fmac_f64_e32 v[162:163], v[150:151], v[146:147]
	ds_load_2addr_b64 v[140:143], v2 offset0:87 offset1:88
	ds_load_2addr_b64 v[144:147], v2 offset0:89 offset1:90
	scratch_load_b128 v[148:151], off, off offset:288
	s_wait_dscnt 0x1
	v_fmac_f64_e32 v[162:163], v[152:153], v[140:141]
	s_wait_loadcnt 0x5
	s_delay_alu instid0(VALU_DEP_1) | instskip(SKIP_1) | instid1(VALU_DEP_1)
	v_fmac_f64_e32 v[162:163], v[136:137], v[142:143]
	s_wait_dscnt 0x0
	v_fmac_f64_e32 v[162:163], v[138:139], v[144:145]
	scratch_load_b128 v[136:139], off, off offset:304
	s_wait_loadcnt 0x5
	v_fmac_f64_e32 v[162:163], v[158:159], v[146:147]
	ds_load_2addr_b64 v[140:143], v2 offset0:91 offset1:92
	ds_load_2addr_b64 v[144:147], v2 offset0:93 offset1:94
	s_wait_dscnt 0x1
	v_fmac_f64_e32 v[162:163], v[160:161], v[140:141]
	scratch_load_b128 v[158:161], off, off offset:320
	s_wait_loadcnt 0x5
	v_fmac_f64_e32 v[162:163], v[128:129], v[142:143]
	s_wait_dscnt 0x0
	s_delay_alu instid0(VALU_DEP_1)
	v_fmac_f64_e32 v[162:163], v[130:131], v[144:145]
	scratch_load_b128 v[128:131], off, off offset:336
	s_wait_loadcnt 0x5
	v_fmac_f64_e32 v[162:163], v[154:155], v[146:147]
	ds_load_2addr_b64 v[140:143], v2 offset0:95 offset1:96
	ds_load_2addr_b64 v[144:147], v2 offset0:97 offset1:98
	scratch_load_b128 v[152:155], off, off offset:352
	s_wait_dscnt 0x1
	v_fmac_f64_e32 v[162:163], v[156:157], v[140:141]
	s_wait_loadcnt 0x5
	s_delay_alu instid0(VALU_DEP_1) | instskip(SKIP_1) | instid1(VALU_DEP_1)
	v_fmac_f64_e32 v[162:163], v[132:133], v[142:143]
	s_wait_dscnt 0x0
	v_fmac_f64_e32 v[162:163], v[134:135], v[144:145]
	scratch_load_b128 v[132:135], off, off offset:368
	s_wait_loadcnt 0x5
	v_fmac_f64_e32 v[162:163], v[148:149], v[146:147]
	ds_load_2addr_b64 v[140:143], v2 offset0:99 offset1:100
	ds_load_2addr_b64 v[144:147], v2 offset0:101 offset1:102
	s_wait_dscnt 0x1
	v_fmac_f64_e32 v[162:163], v[150:151], v[140:141]
	scratch_load_b128 v[148:151], off, off offset:384
	s_wait_loadcnt 0x5
	v_fmac_f64_e32 v[162:163], v[136:137], v[142:143]
	s_wait_dscnt 0x0
	s_delay_alu instid0(VALU_DEP_1)
	v_fmac_f64_e32 v[162:163], v[138:139], v[144:145]
	scratch_load_b128 v[136:139], off, off offset:400
	s_wait_loadcnt 0x5
	v_fmac_f64_e32 v[162:163], v[158:159], v[146:147]
	ds_load_2addr_b64 v[140:143], v2 offset0:103 offset1:104
	ds_load_2addr_b64 v[144:147], v2 offset0:105 offset1:106
	s_wait_dscnt 0x1
	v_fmac_f64_e32 v[162:163], v[160:161], v[140:141]
	s_wait_loadcnt 0x4
	s_delay_alu instid0(VALU_DEP_1)
	v_fmac_f64_e32 v[162:163], v[128:129], v[142:143]
	scratch_load_b128 v[140:143], off, off offset:416
	s_wait_dscnt 0x0
	v_fmac_f64_e32 v[162:163], v[130:131], v[144:145]
	scratch_load_b128 v[128:131], off, off offset:432
	s_wait_loadcnt 0x5
	v_fmac_f64_e32 v[162:163], v[152:153], v[146:147]
	ds_load_2addr_b64 v[144:147], v2 offset0:107 offset1:108
	ds_load_2addr_b64 v[156:159], v2 offset0:109 offset1:110
	s_wait_dscnt 0x1
	v_fmac_f64_e32 v[162:163], v[154:155], v[144:145]
	s_wait_loadcnt 0x4
	s_delay_alu instid0(VALU_DEP_1)
	v_fmac_f64_e32 v[162:163], v[132:133], v[146:147]
	scratch_load_b128 v[144:147], off, off offset:448
	s_wait_dscnt 0x0
	v_fmac_f64_e32 v[162:163], v[134:135], v[156:157]
	scratch_load_b128 v[132:135], off, off offset:464
	s_wait_loadcnt 0x5
	v_fmac_f64_e32 v[162:163], v[148:149], v[158:159]
	ds_load_2addr_b64 v[152:155], v2 offset0:111 offset1:112
	ds_load_2addr_b64 v[156:159], v2 offset0:113 offset1:114
	s_wait_dscnt 0x1
	v_fmac_f64_e32 v[162:163], v[150:151], v[152:153]
	scratch_load_b64 v[152:153], off, off offset:480
	s_wait_loadcnt 0x5
	v_fmac_f64_e32 v[162:163], v[136:137], v[154:155]
	s_wait_dscnt 0x0
	s_delay_alu instid0(VALU_DEP_1)
	v_fmac_f64_e32 v[162:163], v[138:139], v[156:157]
	ds_load_2addr_b64 v[136:139], v2 offset0:115 offset1:116
	ds_load_2addr_b64 v[148:151], v2 offset0:117 offset1:118
	s_wait_loadcnt 0x4
	v_fmac_f64_e32 v[162:163], v[140:141], v[158:159]
	s_wait_dscnt 0x1
	s_delay_alu instid0(VALU_DEP_1) | instskip(SKIP_1) | instid1(VALU_DEP_1)
	v_fmac_f64_e32 v[162:163], v[142:143], v[136:137]
	s_wait_loadcnt 0x3
	v_fmac_f64_e32 v[162:163], v[128:129], v[138:139]
	s_wait_dscnt 0x0
	s_delay_alu instid0(VALU_DEP_1)
	v_fmac_f64_e32 v[162:163], v[130:131], v[148:149]
	ds_load_2addr_b64 v[128:131], v2 offset0:119 offset1:120
	ds_load_2addr_b64 v[136:139], v2 offset0:121 offset1:122
	s_wait_loadcnt 0x2
	v_fmac_f64_e32 v[162:163], v[144:145], v[150:151]
	s_wait_dscnt 0x1
	s_delay_alu instid0(VALU_DEP_1) | instskip(SKIP_1) | instid1(VALU_DEP_1)
	v_fmac_f64_e32 v[162:163], v[146:147], v[128:129]
	s_wait_loadcnt 0x1
	v_fmac_f64_e32 v[162:163], v[132:133], v[130:131]
	s_wait_dscnt 0x0
	s_delay_alu instid0(VALU_DEP_1) | instskip(SKIP_1) | instid1(VALU_DEP_1)
	v_fmac_f64_e32 v[162:163], v[134:135], v[136:137]
	s_wait_loadcnt 0x0
	v_fmac_f64_e32 v[162:163], v[152:153], v[138:139]
	s_delay_alu instid0(VALU_DEP_1)
	v_add_f64_e64 v[2:3], v[126:127], -v[162:163]
	scratch_store_b64 off, v[2:3], off offset:32
	s_wait_xcnt 0x0
	v_cmpx_lt_u32_e32 3, v0
	s_cbranch_execz .LBB124_369
; %bb.368:
	scratch_load_b64 v[2:3], off, off offset:24
	v_mov_b64_e32 v[126:127], 0
	scratch_store_b64 off, v[126:127], off offset:24
	s_wait_loadcnt 0x0
	ds_store_b64 v1, v[2:3]
.LBB124_369:
	s_wait_xcnt 0x0
	s_or_b32 exec_lo, exec_lo, s0
	s_wait_storecnt_dscnt 0x0
	s_barrier_signal -1
	s_barrier_wait -1
	s_clause 0x5
	scratch_load_b128 v[126:129], off, off offset:24
	scratch_load_b128 v[130:133], off, off offset:40
	;; [unrolled: 1-line block ×6, first 2 shown]
	v_mov_b32_e32 v2, 0
	ds_load_b128 v[150:153], v2 offset:528
	ds_load_b128 v[154:157], v2 offset:544
	scratch_load_b128 v[158:161], off, off offset:120
	s_mov_b32 s0, exec_lo
	s_wait_loadcnt_dscnt 0x601
	v_fma_f64 v[162:163], v[128:129], v[150:151], 0
	s_wait_loadcnt 0x5
	s_delay_alu instid0(VALU_DEP_1) | instskip(SKIP_4) | instid1(VALU_DEP_1)
	v_fmac_f64_e32 v[162:163], v[130:131], v[152:153]
	scratch_load_b128 v[128:131], off, off offset:136
	s_wait_dscnt 0x0
	v_fmac_f64_e32 v[162:163], v[132:133], v[154:155]
	s_wait_loadcnt 0x5
	v_fmac_f64_e32 v[162:163], v[134:135], v[156:157]
	ds_load_b128 v[132:135], v2 offset:560
	ds_load_b128 v[150:153], v2 offset:576
	scratch_load_b128 v[154:157], off, off offset:152
	s_wait_dscnt 0x1
	v_fmac_f64_e32 v[162:163], v[136:137], v[132:133]
	s_wait_loadcnt 0x5
	s_delay_alu instid0(VALU_DEP_1) | instskip(SKIP_4) | instid1(VALU_DEP_1)
	v_fmac_f64_e32 v[162:163], v[138:139], v[134:135]
	scratch_load_b128 v[132:135], off, off offset:168
	s_wait_dscnt 0x0
	v_fmac_f64_e32 v[162:163], v[140:141], v[150:151]
	s_wait_loadcnt 0x5
	v_fmac_f64_e32 v[162:163], v[142:143], v[152:153]
	ds_load_b128 v[136:139], v2 offset:592
	ds_load_b128 v[140:143], v2 offset:608
	scratch_load_b128 v[150:153], off, off offset:184
	s_wait_dscnt 0x1
	v_fmac_f64_e32 v[162:163], v[144:145], v[136:137]
	s_wait_loadcnt 0x5
	s_delay_alu instid0(VALU_DEP_1) | instskip(SKIP_4) | instid1(VALU_DEP_1)
	v_fmac_f64_e32 v[162:163], v[146:147], v[138:139]
	scratch_load_b128 v[136:139], off, off offset:200
	s_wait_dscnt 0x0
	v_fmac_f64_e32 v[162:163], v[148:149], v[140:141]
	s_wait_loadcnt 0x5
	v_fmac_f64_e32 v[162:163], v[158:159], v[142:143]
	ds_load_b128 v[140:143], v2 offset:624
	ds_load_b128 v[144:147], v2 offset:640
	s_wait_dscnt 0x1
	v_fmac_f64_e32 v[162:163], v[160:161], v[140:141]
	scratch_load_b128 v[158:161], off, off offset:216
	s_wait_loadcnt 0x5
	v_fmac_f64_e32 v[162:163], v[128:129], v[142:143]
	s_wait_dscnt 0x0
	s_delay_alu instid0(VALU_DEP_1)
	v_fmac_f64_e32 v[162:163], v[130:131], v[144:145]
	scratch_load_b128 v[128:131], off, off offset:232
	s_wait_loadcnt 0x5
	v_fmac_f64_e32 v[162:163], v[154:155], v[146:147]
	ds_load_b128 v[140:143], v2 offset:656
	ds_load_b128 v[144:147], v2 offset:672
	s_wait_dscnt 0x1
	v_fmac_f64_e32 v[162:163], v[156:157], v[140:141]
	scratch_load_b128 v[154:157], off, off offset:248
	s_wait_loadcnt 0x5
	v_fmac_f64_e32 v[162:163], v[132:133], v[142:143]
	s_wait_dscnt 0x0
	s_delay_alu instid0(VALU_DEP_1)
	v_fmac_f64_e32 v[162:163], v[134:135], v[144:145]
	scratch_load_b128 v[132:135], off, off offset:264
	s_wait_loadcnt 0x5
	v_fmac_f64_e32 v[162:163], v[150:151], v[146:147]
	ds_load_b128 v[140:143], v2 offset:688
	ds_load_b128 v[144:147], v2 offset:704
	scratch_load_b128 v[148:151], off, off offset:280
	s_wait_dscnt 0x1
	v_fmac_f64_e32 v[162:163], v[152:153], v[140:141]
	s_wait_loadcnt 0x5
	s_delay_alu instid0(VALU_DEP_1) | instskip(SKIP_1) | instid1(VALU_DEP_1)
	v_fmac_f64_e32 v[162:163], v[136:137], v[142:143]
	s_wait_dscnt 0x0
	v_fmac_f64_e32 v[162:163], v[138:139], v[144:145]
	scratch_load_b128 v[136:139], off, off offset:296
	s_wait_loadcnt 0x5
	v_fmac_f64_e32 v[162:163], v[158:159], v[146:147]
	ds_load_b128 v[140:143], v2 offset:720
	ds_load_b128 v[144:147], v2 offset:736
	s_wait_dscnt 0x1
	v_fmac_f64_e32 v[162:163], v[160:161], v[140:141]
	scratch_load_b128 v[158:161], off, off offset:312
	s_wait_loadcnt 0x5
	v_fmac_f64_e32 v[162:163], v[128:129], v[142:143]
	s_wait_dscnt 0x0
	s_delay_alu instid0(VALU_DEP_1)
	v_fmac_f64_e32 v[162:163], v[130:131], v[144:145]
	scratch_load_b128 v[128:131], off, off offset:328
	s_wait_loadcnt 0x5
	v_fmac_f64_e32 v[162:163], v[154:155], v[146:147]
	ds_load_b128 v[140:143], v2 offset:752
	ds_load_b128 v[144:147], v2 offset:768
	scratch_load_b128 v[152:155], off, off offset:344
	s_wait_dscnt 0x1
	v_fmac_f64_e32 v[162:163], v[156:157], v[140:141]
	s_wait_loadcnt 0x5
	s_delay_alu instid0(VALU_DEP_1) | instskip(SKIP_1) | instid1(VALU_DEP_1)
	v_fmac_f64_e32 v[162:163], v[132:133], v[142:143]
	s_wait_dscnt 0x0
	v_fmac_f64_e32 v[162:163], v[134:135], v[144:145]
	scratch_load_b128 v[132:135], off, off offset:360
	s_wait_loadcnt 0x5
	v_fmac_f64_e32 v[162:163], v[148:149], v[146:147]
	ds_load_b128 v[140:143], v2 offset:784
	ds_load_b128 v[144:147], v2 offset:800
	s_wait_dscnt 0x1
	v_fmac_f64_e32 v[162:163], v[150:151], v[140:141]
	scratch_load_b128 v[148:151], off, off offset:376
	s_wait_loadcnt 0x5
	v_fmac_f64_e32 v[162:163], v[136:137], v[142:143]
	s_wait_dscnt 0x0
	s_delay_alu instid0(VALU_DEP_1)
	v_fmac_f64_e32 v[162:163], v[138:139], v[144:145]
	scratch_load_b128 v[136:139], off, off offset:392
	s_wait_loadcnt 0x5
	v_fmac_f64_e32 v[162:163], v[158:159], v[146:147]
	ds_load_b128 v[140:143], v2 offset:816
	ds_load_b128 v[144:147], v2 offset:832
	s_wait_dscnt 0x1
	v_fmac_f64_e32 v[162:163], v[160:161], v[140:141]
	s_wait_loadcnt 0x4
	s_delay_alu instid0(VALU_DEP_1)
	v_fmac_f64_e32 v[162:163], v[128:129], v[142:143]
	scratch_load_b128 v[140:143], off, off offset:408
	s_wait_dscnt 0x0
	v_fmac_f64_e32 v[162:163], v[130:131], v[144:145]
	scratch_load_b128 v[128:131], off, off offset:424
	s_wait_loadcnt 0x5
	v_fmac_f64_e32 v[162:163], v[152:153], v[146:147]
	ds_load_b128 v[144:147], v2 offset:848
	ds_load_b128 v[156:159], v2 offset:864
	s_wait_dscnt 0x1
	v_fmac_f64_e32 v[162:163], v[154:155], v[144:145]
	s_wait_loadcnt 0x4
	s_delay_alu instid0(VALU_DEP_1)
	v_fmac_f64_e32 v[162:163], v[132:133], v[146:147]
	scratch_load_b128 v[144:147], off, off offset:440
	s_wait_dscnt 0x0
	v_fmac_f64_e32 v[162:163], v[134:135], v[156:157]
	scratch_load_b128 v[132:135], off, off offset:456
	s_wait_loadcnt 0x5
	v_fmac_f64_e32 v[162:163], v[148:149], v[158:159]
	ds_load_b128 v[152:155], v2 offset:880
	ds_load_b128 v[156:159], v2 offset:896
	s_wait_dscnt 0x1
	v_fmac_f64_e32 v[162:163], v[150:151], v[152:153]
	scratch_load_b128 v[148:151], off, off offset:472
	s_wait_loadcnt 0x5
	v_fmac_f64_e32 v[162:163], v[136:137], v[154:155]
	s_wait_dscnt 0x0
	s_delay_alu instid0(VALU_DEP_1)
	v_fmac_f64_e32 v[162:163], v[138:139], v[156:157]
	ds_load_b128 v[136:139], v2 offset:912
	ds_load_b128 v[152:155], v2 offset:928
	s_wait_loadcnt 0x4
	v_fmac_f64_e32 v[162:163], v[140:141], v[158:159]
	s_wait_dscnt 0x1
	s_delay_alu instid0(VALU_DEP_1) | instskip(SKIP_1) | instid1(VALU_DEP_1)
	v_fmac_f64_e32 v[162:163], v[142:143], v[136:137]
	s_wait_loadcnt 0x3
	v_fmac_f64_e32 v[162:163], v[128:129], v[138:139]
	s_wait_dscnt 0x0
	s_delay_alu instid0(VALU_DEP_1)
	v_fmac_f64_e32 v[162:163], v[130:131], v[152:153]
	ds_load_b128 v[128:131], v2 offset:944
	ds_load_b128 v[136:139], v2 offset:960
	s_wait_loadcnt 0x2
	v_fmac_f64_e32 v[162:163], v[144:145], v[154:155]
	s_wait_dscnt 0x1
	s_delay_alu instid0(VALU_DEP_1) | instskip(SKIP_4) | instid1(VALU_DEP_1)
	v_fmac_f64_e32 v[162:163], v[146:147], v[128:129]
	ds_load_b64 v[128:129], v2 offset:976
	s_wait_loadcnt 0x1
	v_fmac_f64_e32 v[162:163], v[132:133], v[130:131]
	s_wait_dscnt 0x1
	v_fmac_f64_e32 v[162:163], v[134:135], v[136:137]
	s_wait_loadcnt 0x0
	s_delay_alu instid0(VALU_DEP_1) | instskip(SKIP_1) | instid1(VALU_DEP_1)
	v_fmac_f64_e32 v[162:163], v[148:149], v[138:139]
	s_wait_dscnt 0x0
	v_fmac_f64_e32 v[162:163], v[150:151], v[128:129]
	s_delay_alu instid0(VALU_DEP_1)
	v_add_f64_e64 v[126:127], v[126:127], -v[162:163]
	scratch_store_b64 off, v[126:127], off offset:24
	s_wait_xcnt 0x0
	v_cmpx_lt_u32_e32 2, v0
	s_cbranch_execz .LBB124_371
; %bb.370:
	scratch_load_b64 v[126:127], off, off offset:16
	v_mov_b64_e32 v[128:129], 0
	scratch_store_b64 off, v[128:129], off offset:16
	s_wait_loadcnt 0x0
	ds_store_b64 v1, v[126:127]
.LBB124_371:
	s_wait_xcnt 0x0
	s_or_b32 exec_lo, exec_lo, s0
	s_wait_storecnt_dscnt 0x0
	s_barrier_signal -1
	s_barrier_wait -1
	s_clause 0x5
	scratch_load_b128 v[126:129], off, off offset:16
	scratch_load_b128 v[130:133], off, off offset:32
	;; [unrolled: 1-line block ×6, first 2 shown]
	ds_load_2addr_b64 v[150:153], v2 offset0:65 offset1:66
	ds_load_2addr_b64 v[154:157], v2 offset0:67 offset1:68
	scratch_load_b128 v[158:161], off, off offset:112
	s_mov_b32 s0, exec_lo
	s_wait_loadcnt_dscnt 0x601
	v_fma_f64 v[162:163], v[128:129], v[150:151], 0
	s_wait_loadcnt 0x5
	s_delay_alu instid0(VALU_DEP_1) | instskip(SKIP_4) | instid1(VALU_DEP_1)
	v_fmac_f64_e32 v[162:163], v[130:131], v[152:153]
	scratch_load_b128 v[128:131], off, off offset:128
	s_wait_dscnt 0x0
	v_fmac_f64_e32 v[162:163], v[132:133], v[154:155]
	s_wait_loadcnt 0x5
	v_fmac_f64_e32 v[162:163], v[134:135], v[156:157]
	ds_load_2addr_b64 v[132:135], v2 offset0:69 offset1:70
	ds_load_2addr_b64 v[150:153], v2 offset0:71 offset1:72
	scratch_load_b128 v[154:157], off, off offset:144
	s_wait_dscnt 0x1
	v_fmac_f64_e32 v[162:163], v[136:137], v[132:133]
	s_wait_loadcnt 0x5
	s_delay_alu instid0(VALU_DEP_1) | instskip(SKIP_4) | instid1(VALU_DEP_1)
	v_fmac_f64_e32 v[162:163], v[138:139], v[134:135]
	scratch_load_b128 v[132:135], off, off offset:160
	s_wait_dscnt 0x0
	v_fmac_f64_e32 v[162:163], v[140:141], v[150:151]
	s_wait_loadcnt 0x5
	v_fmac_f64_e32 v[162:163], v[142:143], v[152:153]
	ds_load_2addr_b64 v[136:139], v2 offset0:73 offset1:74
	ds_load_2addr_b64 v[140:143], v2 offset0:75 offset1:76
	scratch_load_b128 v[150:153], off, off offset:176
	s_wait_dscnt 0x1
	v_fmac_f64_e32 v[162:163], v[144:145], v[136:137]
	s_wait_loadcnt 0x5
	s_delay_alu instid0(VALU_DEP_1) | instskip(SKIP_4) | instid1(VALU_DEP_1)
	v_fmac_f64_e32 v[162:163], v[146:147], v[138:139]
	scratch_load_b128 v[136:139], off, off offset:192
	s_wait_dscnt 0x0
	v_fmac_f64_e32 v[162:163], v[148:149], v[140:141]
	s_wait_loadcnt 0x5
	v_fmac_f64_e32 v[162:163], v[158:159], v[142:143]
	ds_load_2addr_b64 v[140:143], v2 offset0:77 offset1:78
	ds_load_2addr_b64 v[144:147], v2 offset0:79 offset1:80
	s_wait_dscnt 0x1
	v_fmac_f64_e32 v[162:163], v[160:161], v[140:141]
	scratch_load_b128 v[158:161], off, off offset:208
	s_wait_loadcnt 0x5
	v_fmac_f64_e32 v[162:163], v[128:129], v[142:143]
	s_wait_dscnt 0x0
	s_delay_alu instid0(VALU_DEP_1)
	v_fmac_f64_e32 v[162:163], v[130:131], v[144:145]
	scratch_load_b128 v[128:131], off, off offset:224
	s_wait_loadcnt 0x5
	v_fmac_f64_e32 v[162:163], v[154:155], v[146:147]
	ds_load_2addr_b64 v[140:143], v2 offset0:81 offset1:82
	ds_load_2addr_b64 v[144:147], v2 offset0:83 offset1:84
	s_wait_dscnt 0x1
	v_fmac_f64_e32 v[162:163], v[156:157], v[140:141]
	scratch_load_b128 v[154:157], off, off offset:240
	s_wait_loadcnt 0x5
	v_fmac_f64_e32 v[162:163], v[132:133], v[142:143]
	s_wait_dscnt 0x0
	s_delay_alu instid0(VALU_DEP_1)
	v_fmac_f64_e32 v[162:163], v[134:135], v[144:145]
	scratch_load_b128 v[132:135], off, off offset:256
	s_wait_loadcnt 0x5
	v_fmac_f64_e32 v[162:163], v[150:151], v[146:147]
	ds_load_2addr_b64 v[140:143], v2 offset0:85 offset1:86
	ds_load_2addr_b64 v[144:147], v2 offset0:87 offset1:88
	scratch_load_b128 v[148:151], off, off offset:272
	s_wait_dscnt 0x1
	v_fmac_f64_e32 v[162:163], v[152:153], v[140:141]
	s_wait_loadcnt 0x5
	s_delay_alu instid0(VALU_DEP_1) | instskip(SKIP_1) | instid1(VALU_DEP_1)
	v_fmac_f64_e32 v[162:163], v[136:137], v[142:143]
	s_wait_dscnt 0x0
	v_fmac_f64_e32 v[162:163], v[138:139], v[144:145]
	scratch_load_b128 v[136:139], off, off offset:288
	s_wait_loadcnt 0x5
	v_fmac_f64_e32 v[162:163], v[158:159], v[146:147]
	ds_load_2addr_b64 v[140:143], v2 offset0:89 offset1:90
	ds_load_2addr_b64 v[144:147], v2 offset0:91 offset1:92
	s_wait_dscnt 0x1
	v_fmac_f64_e32 v[162:163], v[160:161], v[140:141]
	scratch_load_b128 v[158:161], off, off offset:304
	s_wait_loadcnt 0x5
	v_fmac_f64_e32 v[162:163], v[128:129], v[142:143]
	s_wait_dscnt 0x0
	s_delay_alu instid0(VALU_DEP_1)
	v_fmac_f64_e32 v[162:163], v[130:131], v[144:145]
	scratch_load_b128 v[128:131], off, off offset:320
	s_wait_loadcnt 0x5
	v_fmac_f64_e32 v[162:163], v[154:155], v[146:147]
	ds_load_2addr_b64 v[140:143], v2 offset0:93 offset1:94
	ds_load_2addr_b64 v[144:147], v2 offset0:95 offset1:96
	scratch_load_b128 v[152:155], off, off offset:336
	s_wait_dscnt 0x1
	v_fmac_f64_e32 v[162:163], v[156:157], v[140:141]
	s_wait_loadcnt 0x5
	s_delay_alu instid0(VALU_DEP_1) | instskip(SKIP_1) | instid1(VALU_DEP_1)
	v_fmac_f64_e32 v[162:163], v[132:133], v[142:143]
	s_wait_dscnt 0x0
	;; [unrolled: 26-line block ×3, first 2 shown]
	v_fmac_f64_e32 v[162:163], v[130:131], v[144:145]
	scratch_load_b128 v[128:131], off, off offset:416
	s_wait_loadcnt 0x5
	v_fmac_f64_e32 v[162:163], v[152:153], v[146:147]
	ds_load_2addr_b64 v[140:143], v2 offset0:105 offset1:106
	ds_load_2addr_b64 v[144:147], v2 offset0:107 offset1:108
	s_wait_dscnt 0x1
	v_fmac_f64_e32 v[162:163], v[154:155], v[140:141]
	s_wait_loadcnt 0x4
	s_delay_alu instid0(VALU_DEP_1)
	v_fmac_f64_e32 v[162:163], v[132:133], v[142:143]
	scratch_load_b128 v[140:143], off, off offset:432
	s_wait_dscnt 0x0
	v_fmac_f64_e32 v[162:163], v[134:135], v[144:145]
	scratch_load_b128 v[132:135], off, off offset:448
	s_wait_loadcnt 0x5
	v_fmac_f64_e32 v[162:163], v[148:149], v[146:147]
	ds_load_2addr_b64 v[144:147], v2 offset0:109 offset1:110
	ds_load_2addr_b64 v[152:155], v2 offset0:111 offset1:112
	s_wait_dscnt 0x1
	v_fmac_f64_e32 v[162:163], v[150:151], v[144:145]
	s_wait_loadcnt 0x4
	s_delay_alu instid0(VALU_DEP_1)
	v_fmac_f64_e32 v[162:163], v[136:137], v[146:147]
	scratch_load_b128 v[144:147], off, off offset:464
	s_wait_dscnt 0x0
	v_fmac_f64_e32 v[162:163], v[138:139], v[152:153]
	scratch_load_b64 v[152:153], off, off offset:480
	ds_load_2addr_b64 v[136:139], v2 offset0:113 offset1:114
	ds_load_2addr_b64 v[148:151], v2 offset0:115 offset1:116
	s_wait_loadcnt 0x5
	v_fmac_f64_e32 v[162:163], v[156:157], v[154:155]
	s_wait_dscnt 0x1
	s_delay_alu instid0(VALU_DEP_1) | instskip(SKIP_1) | instid1(VALU_DEP_1)
	v_fmac_f64_e32 v[162:163], v[158:159], v[136:137]
	s_wait_loadcnt 0x4
	v_fmac_f64_e32 v[162:163], v[128:129], v[138:139]
	s_wait_dscnt 0x0
	s_delay_alu instid0(VALU_DEP_1)
	v_fmac_f64_e32 v[162:163], v[130:131], v[148:149]
	ds_load_2addr_b64 v[128:131], v2 offset0:117 offset1:118
	ds_load_2addr_b64 v[136:139], v2 offset0:119 offset1:120
	s_wait_loadcnt 0x3
	v_fmac_f64_e32 v[162:163], v[140:141], v[150:151]
	s_wait_dscnt 0x1
	s_delay_alu instid0(VALU_DEP_1) | instskip(SKIP_1) | instid1(VALU_DEP_1)
	v_fmac_f64_e32 v[162:163], v[142:143], v[128:129]
	s_wait_loadcnt 0x2
	v_fmac_f64_e32 v[162:163], v[132:133], v[130:131]
	ds_load_2addr_b64 v[128:131], v2 offset0:121 offset1:122
	s_wait_dscnt 0x1
	v_fmac_f64_e32 v[162:163], v[134:135], v[136:137]
	s_wait_loadcnt 0x1
	s_delay_alu instid0(VALU_DEP_1) | instskip(SKIP_1) | instid1(VALU_DEP_1)
	v_fmac_f64_e32 v[162:163], v[144:145], v[138:139]
	s_wait_dscnt 0x0
	v_fmac_f64_e32 v[162:163], v[146:147], v[128:129]
	s_wait_loadcnt 0x0
	s_delay_alu instid0(VALU_DEP_1) | instskip(NEXT) | instid1(VALU_DEP_1)
	v_fmac_f64_e32 v[162:163], v[152:153], v[130:131]
	v_add_f64_e64 v[2:3], v[126:127], -v[162:163]
	scratch_store_b64 off, v[2:3], off offset:16
	s_wait_xcnt 0x0
	v_cmpx_lt_u32_e32 1, v0
	s_cbranch_execz .LBB124_373
; %bb.372:
	scratch_load_b64 v[2:3], off, off offset:8
	v_mov_b64_e32 v[126:127], 0
	scratch_store_b64 off, v[126:127], off offset:8
	s_wait_loadcnt 0x0
	ds_store_b64 v1, v[2:3]
.LBB124_373:
	s_wait_xcnt 0x0
	s_or_b32 exec_lo, exec_lo, s0
	s_wait_storecnt_dscnt 0x0
	s_barrier_signal -1
	s_barrier_wait -1
	s_clause 0x5
	scratch_load_b128 v[128:131], off, off offset:8
	scratch_load_b128 v[132:135], off, off offset:24
	;; [unrolled: 1-line block ×6, first 2 shown]
	v_dual_mov_b32 v126, 0 :: v_dual_ashrrev_i32 v9, 31, v8
	ds_load_b128 v[152:155], v126 offset:512
	ds_load_b128 v[156:159], v126 offset:528
	v_dual_ashrrev_i32 v11, 31, v10 :: v_dual_ashrrev_i32 v13, 31, v12
	v_dual_ashrrev_i32 v15, 31, v14 :: v_dual_ashrrev_i32 v17, 31, v16
	;; [unrolled: 1-line block ×28, first 2 shown]
	v_ashrrev_i32_e32 v123, 31, v122
	s_mov_b32 s0, exec_lo
	v_ashrrev_i32_e32 v73, 31, v72
	s_wait_loadcnt_dscnt 0x501
	v_fma_f64 v[2:3], v[130:131], v[152:153], 0
	s_wait_loadcnt 0x4
	s_delay_alu instid0(VALU_DEP_1) | instskip(SKIP_4) | instid1(VALU_DEP_1)
	v_fmac_f64_e32 v[2:3], v[132:133], v[154:155]
	scratch_load_b128 v[130:133], off, off offset:104
	s_wait_dscnt 0x0
	v_fmac_f64_e32 v[2:3], v[134:135], v[156:157]
	s_wait_loadcnt 0x4
	v_fmac_f64_e32 v[2:3], v[136:137], v[158:159]
	ds_load_b128 v[134:137], v126 offset:544
	ds_load_b128 v[152:155], v126 offset:560
	scratch_load_b128 v[156:159], off, off offset:120
	s_wait_dscnt 0x1
	v_fmac_f64_e32 v[2:3], v[138:139], v[134:135]
	s_wait_loadcnt 0x4
	s_delay_alu instid0(VALU_DEP_1) | instskip(SKIP_4) | instid1(VALU_DEP_1)
	v_fmac_f64_e32 v[2:3], v[140:141], v[136:137]
	scratch_load_b128 v[134:137], off, off offset:136
	s_wait_dscnt 0x0
	v_fmac_f64_e32 v[2:3], v[142:143], v[152:153]
	s_wait_loadcnt 0x4
	v_fmac_f64_e32 v[2:3], v[144:145], v[154:155]
	ds_load_b128 v[138:141], v126 offset:576
	ds_load_b128 v[142:145], v126 offset:592
	scratch_load_b128 v[152:155], off, off offset:152
	s_wait_dscnt 0x1
	v_fmac_f64_e32 v[2:3], v[146:147], v[138:139]
	s_wait_loadcnt 0x4
	s_delay_alu instid0(VALU_DEP_1) | instskip(SKIP_4) | instid1(VALU_DEP_1)
	v_fmac_f64_e32 v[2:3], v[148:149], v[140:141]
	scratch_load_b128 v[138:141], off, off offset:168
	s_wait_dscnt 0x0
	v_fmac_f64_e32 v[2:3], v[150:151], v[142:143]
	s_wait_loadcnt 0x4
	v_fmac_f64_e32 v[2:3], v[130:131], v[144:145]
	ds_load_b128 v[142:145], v126 offset:608
	ds_load_b128 v[146:149], v126 offset:624
	s_wait_dscnt 0x1
	v_fmac_f64_e32 v[2:3], v[132:133], v[142:143]
	scratch_load_b128 v[130:133], off, off offset:184
	s_wait_loadcnt 0x4
	v_fmac_f64_e32 v[2:3], v[156:157], v[144:145]
	scratch_load_b128 v[142:145], off, off offset:200
	s_wait_dscnt 0x0
	v_fmac_f64_e32 v[2:3], v[158:159], v[146:147]
	s_wait_loadcnt 0x4
	s_delay_alu instid0(VALU_DEP_1)
	v_fmac_f64_e32 v[2:3], v[134:135], v[148:149]
	ds_load_b128 v[146:149], v126 offset:640
	ds_load_b128 v[156:159], v126 offset:656
	s_wait_dscnt 0x1
	v_fmac_f64_e32 v[2:3], v[136:137], v[146:147]
	scratch_load_b128 v[134:137], off, off offset:216
	s_wait_loadcnt 0x4
	v_fmac_f64_e32 v[2:3], v[152:153], v[148:149]
	scratch_load_b128 v[146:149], off, off offset:232
	s_wait_dscnt 0x0
	v_fmac_f64_e32 v[2:3], v[154:155], v[156:157]
	ds_load_b128 v[150:153], v126 offset:672
	ds_load_b128 v[154:157], v126 offset:688
	s_wait_loadcnt 0x4
	v_fmac_f64_e32 v[2:3], v[138:139], v[158:159]
	s_wait_dscnt 0x1
	s_delay_alu instid0(VALU_DEP_1) | instskip(SKIP_4) | instid1(VALU_DEP_1)
	v_fmac_f64_e32 v[2:3], v[140:141], v[150:151]
	scratch_load_b128 v[138:141], off, off offset:248
	s_wait_loadcnt 0x4
	v_fmac_f64_e32 v[2:3], v[130:131], v[152:153]
	s_wait_dscnt 0x0
	v_fmac_f64_e32 v[2:3], v[132:133], v[154:155]
	scratch_load_b128 v[130:133], off, off offset:264
	s_wait_loadcnt 0x4
	v_fmac_f64_e32 v[2:3], v[142:143], v[156:157]
	ds_load_b128 v[150:153], v126 offset:704
	ds_load_b128 v[154:157], v126 offset:720
	s_wait_dscnt 0x1
	v_fmac_f64_e32 v[2:3], v[144:145], v[150:151]
	scratch_load_b128 v[142:145], off, off offset:280
	s_wait_loadcnt 0x4
	v_fmac_f64_e32 v[2:3], v[134:135], v[152:153]
	scratch_load_b128 v[150:153], off, off offset:296
	s_wait_dscnt 0x0
	v_fmac_f64_e32 v[2:3], v[136:137], v[154:155]
	s_wait_loadcnt 0x4
	s_delay_alu instid0(VALU_DEP_1)
	v_fmac_f64_e32 v[2:3], v[146:147], v[156:157]
	ds_load_b128 v[134:137], v126 offset:736
	ds_load_b128 v[154:157], v126 offset:752
	s_wait_dscnt 0x1
	v_fmac_f64_e32 v[2:3], v[148:149], v[134:135]
	scratch_load_b128 v[146:149], off, off offset:312
	s_wait_loadcnt 0x4
	v_fmac_f64_e32 v[2:3], v[138:139], v[136:137]
	scratch_load_b128 v[134:137], off, off offset:328
	s_wait_dscnt 0x0
	v_fmac_f64_e32 v[2:3], v[140:141], v[154:155]
	s_wait_loadcnt 0x4
	s_delay_alu instid0(VALU_DEP_1)
	;; [unrolled: 13-line block ×4, first 2 shown]
	v_fmac_f64_e32 v[2:3], v[134:135], v[156:157]
	ds_load_b128 v[146:149], v126 offset:832
	ds_load_b128 v[154:157], v126 offset:848
	s_wait_dscnt 0x1
	v_fmac_f64_e32 v[2:3], v[136:137], v[146:147]
	scratch_load_b128 v[134:137], off, off offset:408
	s_wait_loadcnt 0x4
	v_fmac_f64_e32 v[2:3], v[130:131], v[148:149]
	s_wait_dscnt 0x0
	s_delay_alu instid0(VALU_DEP_1)
	v_fmac_f64_e32 v[2:3], v[132:133], v[154:155]
	scratch_load_b128 v[130:133], off, off offset:424
	s_wait_loadcnt 0x4
	v_fmac_f64_e32 v[2:3], v[138:139], v[156:157]
	ds_load_b128 v[146:149], v126 offset:864
	ds_load_b128 v[154:157], v126 offset:880
	s_wait_dscnt 0x1
	v_fmac_f64_e32 v[2:3], v[140:141], v[146:147]
	scratch_load_b128 v[138:141], off, off offset:440
	s_wait_loadcnt 0x4
	v_fmac_f64_e32 v[2:3], v[150:151], v[148:149]
	scratch_load_b128 v[146:149], off, off offset:456
	s_wait_dscnt 0x0
	v_fmac_f64_e32 v[2:3], v[152:153], v[154:155]
	s_wait_loadcnt 0x4
	s_delay_alu instid0(VALU_DEP_1)
	v_fmac_f64_e32 v[2:3], v[142:143], v[156:157]
	ds_load_b128 v[150:153], v126 offset:896
	ds_load_b128 v[154:157], v126 offset:912
	s_wait_dscnt 0x1
	v_fmac_f64_e32 v[2:3], v[144:145], v[150:151]
	scratch_load_b128 v[142:145], off, off offset:472
	s_wait_loadcnt 0x4
	v_fmac_f64_e32 v[2:3], v[134:135], v[152:153]
	s_wait_dscnt 0x0
	s_delay_alu instid0(VALU_DEP_1)
	v_fmac_f64_e32 v[2:3], v[136:137], v[154:155]
	ds_load_b128 v[134:137], v126 offset:928
	ds_load_b128 v[150:153], v126 offset:944
	s_wait_loadcnt 0x3
	v_fmac_f64_e32 v[2:3], v[130:131], v[156:157]
	s_wait_dscnt 0x1
	s_delay_alu instid0(VALU_DEP_1) | instskip(SKIP_4) | instid1(VALU_DEP_1)
	v_fmac_f64_e32 v[2:3], v[132:133], v[134:135]
	ds_load_b128 v[130:133], v126 offset:960
	s_wait_loadcnt 0x2
	v_fmac_f64_e32 v[2:3], v[138:139], v[136:137]
	s_wait_dscnt 0x1
	v_fmac_f64_e32 v[2:3], v[140:141], v[150:151]
	s_wait_loadcnt 0x1
	s_delay_alu instid0(VALU_DEP_1) | instskip(SKIP_1) | instid1(VALU_DEP_1)
	v_fmac_f64_e32 v[2:3], v[146:147], v[152:153]
	s_wait_dscnt 0x0
	v_fmac_f64_e32 v[2:3], v[148:149], v[130:131]
	ds_load_b64 v[130:131], v126 offset:976
	s_wait_loadcnt 0x0
	v_fmac_f64_e32 v[2:3], v[142:143], v[132:133]
	s_wait_dscnt 0x0
	s_delay_alu instid0(VALU_DEP_1) | instskip(NEXT) | instid1(VALU_DEP_1)
	v_fmac_f64_e32 v[2:3], v[144:145], v[130:131]
	v_add_f64_e64 v[2:3], v[128:129], -v[2:3]
	scratch_store_b64 off, v[2:3], off offset:8
	s_wait_xcnt 0x0
	v_cmpx_ne_u32_e32 0, v0
	s_cbranch_execz .LBB124_375
; %bb.374:
	scratch_load_b64 v[2:3], off, off
	v_mov_b64_e32 v[128:129], 0
	scratch_store_b64 off, v[128:129], off
	s_wait_loadcnt 0x0
	ds_store_b64 v1, v[2:3]
.LBB124_375:
	s_wait_xcnt 0x0
	s_or_b32 exec_lo, exec_lo, s0
	s_wait_storecnt_dscnt 0x0
	s_barrier_signal -1
	s_barrier_wait -1
	s_clause 0x5
	scratch_load_b128 v[128:131], off, off
	scratch_load_b128 v[0:3], off, off offset:16
	scratch_load_b128 v[132:135], off, off offset:32
	scratch_load_b128 v[136:139], off, off offset:48
	scratch_load_b128 v[140:143], off, off offset:64
	scratch_load_b128 v[144:147], off, off offset:80
	ds_load_2addr_b64 v[148:151], v126 offset0:63 offset1:64
	scratch_load_b128 v[152:155], off, off offset:96
	s_and_b32 vcc_lo, exec_lo, s12
	s_wait_loadcnt_dscnt 0x600
	v_fma_f64 v[158:159], v[130:131], v[148:149], 0
	s_wait_loadcnt 0x5
	s_delay_alu instid0(VALU_DEP_1)
	v_fmac_f64_e32 v[158:159], v[0:1], v[150:151]
	ds_load_2addr_b64 v[148:151], v126 offset0:65 offset1:66
	s_wait_dscnt 0x0
	v_fmac_f64_e32 v[158:159], v[2:3], v[148:149]
	scratch_load_b128 v[0:3], off, off offset:112
	s_wait_loadcnt 0x5
	v_fmac_f64_e32 v[158:159], v[132:133], v[150:151]
	ds_load_2addr_b64 v[130:133], v126 offset0:67 offset1:68
	scratch_load_b128 v[148:151], off, off offset:128
	s_wait_dscnt 0x0
	v_fmac_f64_e32 v[158:159], v[134:135], v[130:131]
	s_wait_loadcnt 0x5
	s_delay_alu instid0(VALU_DEP_1)
	v_fmac_f64_e32 v[158:159], v[136:137], v[132:133]
	ds_load_2addr_b64 v[130:133], v126 offset0:69 offset1:70
	scratch_load_b128 v[134:137], off, off offset:144
	s_wait_dscnt 0x0
	v_fmac_f64_e32 v[158:159], v[138:139], v[130:131]
	s_wait_loadcnt 0x5
	s_delay_alu instid0(VALU_DEP_1)
	;; [unrolled: 7-line block ×4, first 2 shown]
	v_fmac_f64_e32 v[158:159], v[152:153], v[132:133]
	ds_load_2addr_b64 v[130:133], v126 offset0:75 offset1:76
	s_wait_dscnt 0x0
	v_fmac_f64_e32 v[158:159], v[154:155], v[130:131]
	scratch_load_b128 v[152:155], off, off offset:192
	s_wait_loadcnt 0x5
	v_fmac_f64_e32 v[158:159], v[0:1], v[132:133]
	ds_load_2addr_b64 v[130:133], v126 offset0:77 offset1:78
	s_wait_dscnt 0x0
	v_fmac_f64_e32 v[158:159], v[2:3], v[130:131]
	scratch_load_b128 v[0:3], off, off offset:208
	s_wait_loadcnt 0x5
	v_fmac_f64_e32 v[158:159], v[148:149], v[132:133]
	ds_load_2addr_b64 v[130:133], v126 offset0:79 offset1:80
	scratch_load_b128 v[146:149], off, off offset:224
	s_wait_dscnt 0x0
	v_fmac_f64_e32 v[158:159], v[150:151], v[130:131]
	s_wait_loadcnt 0x5
	s_delay_alu instid0(VALU_DEP_1)
	v_fmac_f64_e32 v[158:159], v[134:135], v[132:133]
	ds_load_2addr_b64 v[130:133], v126 offset0:81 offset1:82
	s_wait_dscnt 0x0
	v_fmac_f64_e32 v[158:159], v[136:137], v[130:131]
	scratch_load_b128 v[134:137], off, off offset:240
	s_wait_loadcnt 0x5
	v_fmac_f64_e32 v[158:159], v[138:139], v[132:133]
	ds_load_2addr_b64 v[130:133], v126 offset0:83 offset1:84
	s_wait_dscnt 0x0
	v_fmac_f64_e32 v[158:159], v[140:141], v[130:131]
	scratch_load_b128 v[138:141], off, off offset:256
	s_wait_loadcnt 0x5
	;; [unrolled: 6-line block ×3, first 2 shown]
	v_fmac_f64_e32 v[158:159], v[152:153], v[132:133]
	ds_load_2addr_b64 v[130:133], v126 offset0:87 offset1:88
	scratch_load_b128 v[150:153], off, off offset:288
	s_wait_dscnt 0x0
	v_fmac_f64_e32 v[158:159], v[154:155], v[130:131]
	scratch_load_b128 v[154:157], off, off offset:400
	s_wait_loadcnt 0x6
	v_fmac_f64_e32 v[158:159], v[0:1], v[132:133]
	ds_load_2addr_b64 v[130:133], v126 offset0:89 offset1:90
	s_wait_dscnt 0x0
	v_fmac_f64_e32 v[158:159], v[2:3], v[130:131]
	scratch_load_b128 v[0:3], off, off offset:304
	s_wait_loadcnt 0x6
	v_fmac_f64_e32 v[158:159], v[146:147], v[132:133]
	ds_load_2addr_b64 v[130:133], v126 offset0:91 offset1:92
	;; [unrolled: 6-line block ×7, first 2 shown]
	s_wait_dscnt 0x0
	v_fmac_f64_e32 v[158:159], v[2:3], v[130:131]
	ds_load_2addr_b64 v[0:3], v126 offset0:103 offset1:104
	s_wait_loadcnt 0x4
	v_fmac_f64_e32 v[158:159], v[146:147], v[132:133]
	scratch_load_b128 v[130:133], off, off offset:416
	s_wait_dscnt 0x0
	v_fmac_f64_e32 v[158:159], v[148:149], v[0:1]
	ds_load_2addr_b64 v[146:149], v126 offset0:109 offset1:110
	s_wait_loadcnt 0x4
	v_fmac_f64_e32 v[158:159], v[134:135], v[2:3]
	ds_load_2addr_b64 v[0:3], v126 offset0:105 offset1:106
	s_wait_dscnt 0x0
	v_fmac_f64_e32 v[158:159], v[136:137], v[0:1]
	scratch_load_b128 v[134:137], off, off offset:432
	s_wait_loadcnt 0x4
	v_fmac_f64_e32 v[158:159], v[138:139], v[2:3]
	ds_load_2addr_b64 v[0:3], v126 offset0:107 offset1:108
	s_wait_dscnt 0x0
	v_fmac_f64_e32 v[158:159], v[140:141], v[0:1]
	scratch_load_b128 v[138:141], off, off offset:448
	s_wait_loadcnt 0x4
	v_fmac_f64_e32 v[158:159], v[142:143], v[2:3]
	scratch_load_b128 v[0:3], off, off offset:464
	v_fmac_f64_e32 v[158:159], v[144:145], v[146:147]
	ds_load_2addr_b64 v[142:145], v126 offset0:111 offset1:112
	scratch_load_b64 v[146:147], off, off offset:480
	s_wait_loadcnt 0x5
	v_fmac_f64_e32 v[158:159], v[150:151], v[148:149]
	s_wait_dscnt 0x0
	s_delay_alu instid0(VALU_DEP_1) | instskip(NEXT) | instid1(VALU_DEP_1)
	v_fmac_f64_e32 v[158:159], v[152:153], v[142:143]
	v_fmac_f64_e32 v[158:159], v[154:155], v[144:145]
	ds_load_2addr_b64 v[142:145], v126 offset0:113 offset1:114
	s_wait_dscnt 0x0
	v_fmac_f64_e32 v[158:159], v[156:157], v[142:143]
	s_wait_loadcnt 0x4
	s_delay_alu instid0(VALU_DEP_1)
	v_fmac_f64_e32 v[158:159], v[130:131], v[144:145]
	ds_load_2addr_b64 v[142:145], v126 offset0:115 offset1:116
	s_wait_dscnt 0x0
	v_fmac_f64_e32 v[158:159], v[132:133], v[142:143]
	ds_load_2addr_b64 v[130:133], v126 offset0:117 offset1:118
	s_wait_loadcnt 0x3
	v_fmac_f64_e32 v[158:159], v[134:135], v[144:145]
	s_wait_dscnt 0x0
	s_delay_alu instid0(VALU_DEP_1) | instskip(SKIP_1) | instid1(VALU_DEP_1)
	v_fmac_f64_e32 v[158:159], v[136:137], v[130:131]
	s_wait_loadcnt 0x2
	v_fmac_f64_e32 v[158:159], v[138:139], v[132:133]
	ds_load_2addr_b64 v[130:133], v126 offset0:119 offset1:120
	s_wait_dscnt 0x0
	v_fmac_f64_e32 v[158:159], v[140:141], v[130:131]
	s_wait_loadcnt 0x1
	s_delay_alu instid0(VALU_DEP_1) | instskip(SKIP_4) | instid1(VALU_DEP_1)
	v_fmac_f64_e32 v[158:159], v[0:1], v[132:133]
	ds_load_2addr_b64 v[130:133], v126 offset0:121 offset1:122
	s_wait_dscnt 0x0
	v_fmac_f64_e32 v[158:159], v[2:3], v[130:131]
	s_wait_loadcnt 0x0
	v_fmac_f64_e32 v[158:159], v[146:147], v[132:133]
	s_delay_alu instid0(VALU_DEP_1)
	v_add_f64_e64 v[134:135], v[128:129], -v[158:159]
	scratch_store_b64 off, v[134:135], off
	s_cbranch_vccz .LBB124_496
; %bb.376:
	v_mov_b32_e32 v0, 0
	global_load_b32 v1, v0, s[8:9] offset:236
	s_wait_loadcnt 0x0
	v_cmp_ne_u32_e32 vcc_lo, 60, v1
	s_cbranch_vccz .LBB124_378
; %bb.377:
	v_lshlrev_b32_e32 v1, 3, v1
	scratch_load_b64 v[126:127], v1, off offset:-8
	s_wait_loadcnt 0x0
	scratch_store_b64 off, v[126:127], off offset:472
	scratch_store_b64 v1, v[2:3], off offset:-8
.LBB124_378:
	global_load_b32 v0, v0, s[8:9] offset:232
	s_wait_loadcnt 0x0
	v_cmp_eq_u32_e32 vcc_lo, 59, v0
	s_cbranch_vccnz .LBB124_380
; %bb.379:
	s_wait_xcnt 0x0
	v_lshlrev_b32_e32 v0, 3, v0
	s_delay_alu instid0(VALU_DEP_1)
	v_mov_b32_e32 v126, v0
	scratch_load_b64 v[0:1], v126, off offset:-8
	scratch_load_b64 v[2:3], off, off offset:464
	s_wait_loadcnt 0x1
	scratch_store_b64 off, v[0:1], off offset:464
	s_wait_loadcnt 0x0
	scratch_store_b64 v126, v[2:3], off offset:-8
.LBB124_380:
	s_wait_xcnt 0x0
	v_mov_b32_e32 v0, 0
	global_load_b32 v1, v0, s[8:9] offset:228
	s_wait_loadcnt 0x0
	v_cmp_eq_u32_e32 vcc_lo, 58, v1
	s_cbranch_vccnz .LBB124_382
; %bb.381:
	v_lshlrev_b32_e32 v1, 3, v1
	scratch_load_b64 v[2:3], v1, off offset:-8
	scratch_load_b64 v[126:127], off, off offset:456
	s_wait_loadcnt 0x1
	scratch_store_b64 off, v[2:3], off offset:456
	s_wait_loadcnt 0x0
	scratch_store_b64 v1, v[126:127], off offset:-8
.LBB124_382:
	global_load_b32 v0, v0, s[8:9] offset:224
	s_wait_loadcnt 0x0
	v_cmp_eq_u32_e32 vcc_lo, 57, v0
	s_cbranch_vccnz .LBB124_384
; %bb.383:
	s_wait_xcnt 0x0
	v_lshlrev_b32_e32 v0, 3, v0
	s_delay_alu instid0(VALU_DEP_1)
	v_mov_b32_e32 v126, v0
	scratch_load_b64 v[0:1], v126, off offset:-8
	scratch_load_b64 v[2:3], off, off offset:448
	s_wait_loadcnt 0x1
	scratch_store_b64 off, v[0:1], off offset:448
	s_wait_loadcnt 0x0
	scratch_store_b64 v126, v[2:3], off offset:-8
.LBB124_384:
	s_wait_xcnt 0x0
	v_mov_b32_e32 v0, 0
	global_load_b32 v1, v0, s[8:9] offset:220
	s_wait_loadcnt 0x0
	v_cmp_eq_u32_e32 vcc_lo, 56, v1
	s_cbranch_vccnz .LBB124_386
; %bb.385:
	v_lshlrev_b32_e32 v1, 3, v1
	scratch_load_b64 v[2:3], v1, off offset:-8
	scratch_load_b64 v[126:127], off, off offset:440
	s_wait_loadcnt 0x1
	scratch_store_b64 off, v[2:3], off offset:440
	s_wait_loadcnt 0x0
	scratch_store_b64 v1, v[126:127], off offset:-8
.LBB124_386:
	;; [unrolled: 31-line block ×29, first 2 shown]
	global_load_b32 v0, v0, s[8:9]
	scratch_load_b64 v[134:135], off, off
	s_wait_loadcnt 0x1
	v_cmp_eq_u32_e32 vcc_lo, 1, v0
	s_cbranch_vccnz .LBB124_496
; %bb.495:
	s_wait_xcnt 0x1
	v_lshlrev_b32_e32 v0, 3, v0
	s_delay_alu instid0(VALU_DEP_1)
	v_mov_b32_e32 v2, v0
	scratch_load_b64 v[0:1], v2, off offset:-8
	s_wait_loadcnt 0x0
	scratch_store_b64 off, v[0:1], off
	scratch_store_b64 v2, v[134:135], off offset:-8
	scratch_load_b64 v[134:135], off, off
.LBB124_496:
	s_wait_loadcnt 0x0
	flat_store_b64 v[4:5], v[134:135]
	scratch_load_b64 v[4:5], off, off offset:8
	v_lshl_add_u64 v[182:183], v[8:9], 3, s[2:3]
	v_lshl_add_u64 v[180:181], v[10:11], 3, s[2:3]
	;; [unrolled: 1-line block ×59, first 2 shown]
	s_wait_loadcnt 0x0
	flat_store_b64 v[6:7], v[4:5]
	scratch_load_b64 v[4:5], off, off offset:16
	s_wait_loadcnt 0x0
	flat_store_b64 v[182:183], v[4:5]
	scratch_load_b64 v[4:5], off, off offset:24
	;; [unrolled: 3-line block ×59, first 2 shown]
	s_wait_loadcnt 0x0
	flat_store_b64 v[0:1], v[2:3]
	s_sendmsg sendmsg(MSG_DEALLOC_VGPRS)
	s_endpgm
	.section	.rodata,"a",@progbits
	.p2align	6, 0x0
	.amdhsa_kernel _ZN9rocsolver6v33100L18getri_kernel_smallILi61EdPKPdEEvT1_iilPiilS6_bb
		.amdhsa_group_segment_fixed_size 984
		.amdhsa_private_segment_fixed_size 496
		.amdhsa_kernarg_size 60
		.amdhsa_user_sgpr_count 2
		.amdhsa_user_sgpr_dispatch_ptr 0
		.amdhsa_user_sgpr_queue_ptr 0
		.amdhsa_user_sgpr_kernarg_segment_ptr 1
		.amdhsa_user_sgpr_dispatch_id 0
		.amdhsa_user_sgpr_kernarg_preload_length 0
		.amdhsa_user_sgpr_kernarg_preload_offset 0
		.amdhsa_user_sgpr_private_segment_size 0
		.amdhsa_wavefront_size32 1
		.amdhsa_uses_dynamic_stack 0
		.amdhsa_enable_private_segment 1
		.amdhsa_system_sgpr_workgroup_id_x 1
		.amdhsa_system_sgpr_workgroup_id_y 0
		.amdhsa_system_sgpr_workgroup_id_z 0
		.amdhsa_system_sgpr_workgroup_info 0
		.amdhsa_system_vgpr_workitem_id 0
		.amdhsa_next_free_vgpr 184
		.amdhsa_next_free_sgpr 19
		.amdhsa_named_barrier_count 0
		.amdhsa_reserve_vcc 1
		.amdhsa_float_round_mode_32 0
		.amdhsa_float_round_mode_16_64 0
		.amdhsa_float_denorm_mode_32 3
		.amdhsa_float_denorm_mode_16_64 3
		.amdhsa_fp16_overflow 0
		.amdhsa_memory_ordered 1
		.amdhsa_forward_progress 1
		.amdhsa_inst_pref_size 255
		.amdhsa_round_robin_scheduling 0
		.amdhsa_exception_fp_ieee_invalid_op 0
		.amdhsa_exception_fp_denorm_src 0
		.amdhsa_exception_fp_ieee_div_zero 0
		.amdhsa_exception_fp_ieee_overflow 0
		.amdhsa_exception_fp_ieee_underflow 0
		.amdhsa_exception_fp_ieee_inexact 0
		.amdhsa_exception_int_div_zero 0
	.end_amdhsa_kernel
	.section	.text._ZN9rocsolver6v33100L18getri_kernel_smallILi61EdPKPdEEvT1_iilPiilS6_bb,"axG",@progbits,_ZN9rocsolver6v33100L18getri_kernel_smallILi61EdPKPdEEvT1_iilPiilS6_bb,comdat
.Lfunc_end124:
	.size	_ZN9rocsolver6v33100L18getri_kernel_smallILi61EdPKPdEEvT1_iilPiilS6_bb, .Lfunc_end124-_ZN9rocsolver6v33100L18getri_kernel_smallILi61EdPKPdEEvT1_iilPiilS6_bb
                                        ; -- End function
	.set _ZN9rocsolver6v33100L18getri_kernel_smallILi61EdPKPdEEvT1_iilPiilS6_bb.num_vgpr, 184
	.set _ZN9rocsolver6v33100L18getri_kernel_smallILi61EdPKPdEEvT1_iilPiilS6_bb.num_agpr, 0
	.set _ZN9rocsolver6v33100L18getri_kernel_smallILi61EdPKPdEEvT1_iilPiilS6_bb.numbered_sgpr, 19
	.set _ZN9rocsolver6v33100L18getri_kernel_smallILi61EdPKPdEEvT1_iilPiilS6_bb.num_named_barrier, 0
	.set _ZN9rocsolver6v33100L18getri_kernel_smallILi61EdPKPdEEvT1_iilPiilS6_bb.private_seg_size, 496
	.set _ZN9rocsolver6v33100L18getri_kernel_smallILi61EdPKPdEEvT1_iilPiilS6_bb.uses_vcc, 1
	.set _ZN9rocsolver6v33100L18getri_kernel_smallILi61EdPKPdEEvT1_iilPiilS6_bb.uses_flat_scratch, 1
	.set _ZN9rocsolver6v33100L18getri_kernel_smallILi61EdPKPdEEvT1_iilPiilS6_bb.has_dyn_sized_stack, 0
	.set _ZN9rocsolver6v33100L18getri_kernel_smallILi61EdPKPdEEvT1_iilPiilS6_bb.has_recursion, 0
	.set _ZN9rocsolver6v33100L18getri_kernel_smallILi61EdPKPdEEvT1_iilPiilS6_bb.has_indirect_call, 0
	.section	.AMDGPU.csdata,"",@progbits
; Kernel info:
; codeLenInByte = 65288
; TotalNumSgprs: 21
; NumVgprs: 184
; ScratchSize: 496
; MemoryBound: 0
; FloatMode: 240
; IeeeMode: 1
; LDSByteSize: 984 bytes/workgroup (compile time only)
; SGPRBlocks: 0
; VGPRBlocks: 11
; NumSGPRsForWavesPerEU: 21
; NumVGPRsForWavesPerEU: 184
; NamedBarCnt: 0
; Occupancy: 5
; WaveLimiterHint : 1
; COMPUTE_PGM_RSRC2:SCRATCH_EN: 1
; COMPUTE_PGM_RSRC2:USER_SGPR: 2
; COMPUTE_PGM_RSRC2:TRAP_HANDLER: 0
; COMPUTE_PGM_RSRC2:TGID_X_EN: 1
; COMPUTE_PGM_RSRC2:TGID_Y_EN: 0
; COMPUTE_PGM_RSRC2:TGID_Z_EN: 0
; COMPUTE_PGM_RSRC2:TIDIG_COMP_CNT: 0
	.section	.text._ZN9rocsolver6v33100L18getri_kernel_smallILi62EdPKPdEEvT1_iilPiilS6_bb,"axG",@progbits,_ZN9rocsolver6v33100L18getri_kernel_smallILi62EdPKPdEEvT1_iilPiilS6_bb,comdat
	.globl	_ZN9rocsolver6v33100L18getri_kernel_smallILi62EdPKPdEEvT1_iilPiilS6_bb ; -- Begin function _ZN9rocsolver6v33100L18getri_kernel_smallILi62EdPKPdEEvT1_iilPiilS6_bb
	.p2align	8
	.type	_ZN9rocsolver6v33100L18getri_kernel_smallILi62EdPKPdEEvT1_iilPiilS6_bb,@function
_ZN9rocsolver6v33100L18getri_kernel_smallILi62EdPKPdEEvT1_iilPiilS6_bb: ; @_ZN9rocsolver6v33100L18getri_kernel_smallILi62EdPKPdEEvT1_iilPiilS6_bb
; %bb.0:
	s_mov_b32 s2, exec_lo
	v_cmpx_gt_u32_e32 62, v0
	s_cbranch_execz .LBB125_258
; %bb.1:
	s_clause 0x1
	s_load_b32 s13, s[0:1], 0x38
	s_load_b64 s[2:3], s[0:1], 0x0
	s_getreg_b32 s6, hwreg(HW_REG_IB_STS2, 6, 4)
	s_wait_kmcnt 0x0
	s_bitcmp1_b32 s13, 8
	s_cselect_b32 s12, -1, 0
	s_bfe_u32 s4, ttmp6, 0x4000c
	s_and_b32 s5, ttmp6, 15
	s_add_co_i32 s4, s4, 1
	s_delay_alu instid0(SALU_CYCLE_1) | instskip(NEXT) | instid1(SALU_CYCLE_1)
	s_mul_i32 s4, ttmp9, s4
	s_add_co_i32 s5, s5, s4
	s_cmp_eq_u32 s6, 0
	s_cselect_b32 s10, ttmp9, s5
	s_load_b128 s[4:7], s[0:1], 0x28
	s_ashr_i32 s11, s10, 31
	s_delay_alu instid0(SALU_CYCLE_1) | instskip(NEXT) | instid1(SALU_CYCLE_1)
	s_lshl_b64 s[8:9], s[10:11], 3
	s_add_nc_u64 s[2:3], s[2:3], s[8:9]
	s_bfe_u32 s8, s13, 0x10008
	s_load_b64 s[2:3], s[2:3], 0x0
	s_cmp_eq_u32 s8, 0
                                        ; implicit-def: $sgpr8_sgpr9
	s_cbranch_scc1 .LBB125_3
; %bb.2:
	s_load_b96 s[16:18], s[0:1], 0x18
	s_wait_kmcnt 0x0
	s_mul_u64 s[4:5], s[4:5], s[10:11]
	s_delay_alu instid0(SALU_CYCLE_1) | instskip(SKIP_4) | instid1(SALU_CYCLE_1)
	s_lshl_b64 s[4:5], s[4:5], 2
	s_ashr_i32 s9, s18, 31
	s_mov_b32 s8, s18
	s_add_nc_u64 s[4:5], s[16:17], s[4:5]
	s_lshl_b64 s[8:9], s[8:9], 2
	s_add_nc_u64 s[8:9], s[4:5], s[8:9]
.LBB125_3:
	s_wait_kmcnt 0x0
	s_clause 0x1
	s_load_b64 s[4:5], s[0:1], 0x8
	s_load_b32 s13, s[0:1], 0x38
	v_dual_mov_b32 v3, 0 :: v_dual_lshlrev_b32 v2, 3, v0
	s_wait_kmcnt 0x0
	s_ashr_i32 s1, s4, 31
	s_mov_b32 s0, s4
	s_delay_alu instid0(SALU_CYCLE_1) | instskip(NEXT) | instid1(SALU_CYCLE_1)
	s_lshl_b64 s[0:1], s[0:1], 3
	s_add_nc_u64 s[2:3], s[2:3], s[0:1]
	s_ashr_i32 s1, s5, 31
	flat_load_b64 v[8:9], v0, s[2:3] scale_offset
	v_add_nc_u64_e32 v[4:5], s[2:3], v[2:3]
	s_mov_b32 s0, s5
	s_bitcmp0_b32 s13, 0
	s_delay_alu instid0(VALU_DEP_1)
	v_lshl_add_u64 v[6:7], s[0:1], 3, v[4:5]
	s_mov_b32 s1, -1
	s_wait_loadcnt_dscnt 0x0
	scratch_store_b64 off, v[8:9], off
	flat_load_b64 v[10:11], v[6:7]
	s_wait_xcnt 0x1
	v_add3_u32 v8, s5, s5, v0
	s_wait_loadcnt_dscnt 0x0
	scratch_store_b64 off, v[10:11], off offset:8
	flat_load_b64 v[12:13], v8, s[2:3] scale_offset
	s_wait_xcnt 0x1
	v_add_nc_u32_e32 v10, s5, v8
	s_wait_loadcnt_dscnt 0x0
	scratch_store_b64 off, v[12:13], off offset:16
	flat_load_b64 v[14:15], v10, s[2:3] scale_offset
	s_wait_xcnt 0x1
	v_add_nc_u32_e32 v12, s5, v10
	s_wait_loadcnt_dscnt 0x0
	scratch_store_b64 off, v[14:15], off offset:24
	flat_load_b64 v[16:17], v12, s[2:3] scale_offset
	s_wait_xcnt 0x1
	v_add_nc_u32_e32 v14, s5, v12
	s_wait_loadcnt_dscnt 0x0
	scratch_store_b64 off, v[16:17], off offset:32
	flat_load_b64 v[18:19], v14, s[2:3] scale_offset
	s_wait_xcnt 0x1
	v_add_nc_u32_e32 v16, s5, v14
	s_wait_loadcnt_dscnt 0x0
	scratch_store_b64 off, v[18:19], off offset:40
	flat_load_b64 v[20:21], v16, s[2:3] scale_offset
	s_wait_xcnt 0x1
	v_add_nc_u32_e32 v18, s5, v16
	s_wait_loadcnt_dscnt 0x0
	scratch_store_b64 off, v[20:21], off offset:48
	flat_load_b64 v[22:23], v18, s[2:3] scale_offset
	s_wait_xcnt 0x1
	v_add_nc_u32_e32 v20, s5, v18
	s_wait_loadcnt_dscnt 0x0
	scratch_store_b64 off, v[22:23], off offset:56
	flat_load_b64 v[24:25], v20, s[2:3] scale_offset
	s_wait_xcnt 0x1
	v_add_nc_u32_e32 v22, s5, v20
	s_wait_loadcnt_dscnt 0x0
	scratch_store_b64 off, v[24:25], off offset:64
	flat_load_b64 v[26:27], v22, s[2:3] scale_offset
	s_wait_xcnt 0x1
	v_add_nc_u32_e32 v24, s5, v22
	s_wait_loadcnt_dscnt 0x0
	scratch_store_b64 off, v[26:27], off offset:72
	flat_load_b64 v[28:29], v24, s[2:3] scale_offset
	s_wait_xcnt 0x1
	v_add_nc_u32_e32 v26, s5, v24
	s_wait_loadcnt_dscnt 0x0
	scratch_store_b64 off, v[28:29], off offset:80
	flat_load_b64 v[30:31], v26, s[2:3] scale_offset
	s_wait_xcnt 0x1
	v_add_nc_u32_e32 v28, s5, v26
	s_wait_loadcnt_dscnt 0x0
	scratch_store_b64 off, v[30:31], off offset:88
	flat_load_b64 v[32:33], v28, s[2:3] scale_offset
	s_wait_xcnt 0x1
	v_add_nc_u32_e32 v30, s5, v28
	s_wait_loadcnt_dscnt 0x0
	scratch_store_b64 off, v[32:33], off offset:96
	flat_load_b64 v[34:35], v30, s[2:3] scale_offset
	s_wait_xcnt 0x1
	v_add_nc_u32_e32 v32, s5, v30
	s_wait_loadcnt_dscnt 0x0
	scratch_store_b64 off, v[34:35], off offset:104
	flat_load_b64 v[36:37], v32, s[2:3] scale_offset
	s_wait_xcnt 0x1
	v_add_nc_u32_e32 v34, s5, v32
	s_wait_loadcnt_dscnt 0x0
	scratch_store_b64 off, v[36:37], off offset:112
	flat_load_b64 v[38:39], v34, s[2:3] scale_offset
	s_wait_xcnt 0x1
	v_add_nc_u32_e32 v36, s5, v34
	s_wait_loadcnt_dscnt 0x0
	scratch_store_b64 off, v[38:39], off offset:120
	flat_load_b64 v[40:41], v36, s[2:3] scale_offset
	s_wait_xcnt 0x1
	v_add_nc_u32_e32 v38, s5, v36
	s_wait_loadcnt_dscnt 0x0
	scratch_store_b64 off, v[40:41], off offset:128
	flat_load_b64 v[42:43], v38, s[2:3] scale_offset
	s_wait_xcnt 0x1
	v_add_nc_u32_e32 v40, s5, v38
	s_wait_loadcnt_dscnt 0x0
	scratch_store_b64 off, v[42:43], off offset:136
	flat_load_b64 v[44:45], v40, s[2:3] scale_offset
	s_wait_xcnt 0x1
	v_add_nc_u32_e32 v42, s5, v40
	s_wait_loadcnt_dscnt 0x0
	scratch_store_b64 off, v[44:45], off offset:144
	flat_load_b64 v[46:47], v42, s[2:3] scale_offset
	s_wait_xcnt 0x1
	v_add_nc_u32_e32 v44, s5, v42
	s_wait_loadcnt_dscnt 0x0
	scratch_store_b64 off, v[46:47], off offset:152
	flat_load_b64 v[48:49], v44, s[2:3] scale_offset
	s_wait_xcnt 0x1
	v_add_nc_u32_e32 v46, s5, v44
	s_wait_loadcnt_dscnt 0x0
	scratch_store_b64 off, v[48:49], off offset:160
	flat_load_b64 v[50:51], v46, s[2:3] scale_offset
	s_wait_xcnt 0x1
	v_add_nc_u32_e32 v48, s5, v46
	s_wait_loadcnt_dscnt 0x0
	scratch_store_b64 off, v[50:51], off offset:168
	flat_load_b64 v[52:53], v48, s[2:3] scale_offset
	s_wait_xcnt 0x1
	v_add_nc_u32_e32 v50, s5, v48
	s_wait_loadcnt_dscnt 0x0
	scratch_store_b64 off, v[52:53], off offset:176
	flat_load_b64 v[54:55], v50, s[2:3] scale_offset
	s_wait_xcnt 0x1
	v_add_nc_u32_e32 v52, s5, v50
	s_wait_loadcnt_dscnt 0x0
	scratch_store_b64 off, v[54:55], off offset:184
	flat_load_b64 v[56:57], v52, s[2:3] scale_offset
	s_wait_xcnt 0x1
	v_add_nc_u32_e32 v54, s5, v52
	s_wait_loadcnt_dscnt 0x0
	scratch_store_b64 off, v[56:57], off offset:192
	flat_load_b64 v[58:59], v54, s[2:3] scale_offset
	s_wait_xcnt 0x1
	v_add_nc_u32_e32 v56, s5, v54
	s_wait_loadcnt_dscnt 0x0
	scratch_store_b64 off, v[58:59], off offset:200
	flat_load_b64 v[60:61], v56, s[2:3] scale_offset
	s_wait_xcnt 0x1
	v_add_nc_u32_e32 v58, s5, v56
	s_wait_loadcnt_dscnt 0x0
	scratch_store_b64 off, v[60:61], off offset:208
	flat_load_b64 v[62:63], v58, s[2:3] scale_offset
	s_wait_xcnt 0x1
	v_add_nc_u32_e32 v60, s5, v58
	s_wait_loadcnt_dscnt 0x0
	scratch_store_b64 off, v[62:63], off offset:216
	flat_load_b64 v[64:65], v60, s[2:3] scale_offset
	s_wait_xcnt 0x1
	v_add_nc_u32_e32 v62, s5, v60
	s_wait_loadcnt_dscnt 0x0
	scratch_store_b64 off, v[64:65], off offset:224
	flat_load_b64 v[66:67], v62, s[2:3] scale_offset
	s_wait_xcnt 0x1
	v_add_nc_u32_e32 v64, s5, v62
	s_wait_loadcnt_dscnt 0x0
	scratch_store_b64 off, v[66:67], off offset:232
	flat_load_b64 v[68:69], v64, s[2:3] scale_offset
	s_wait_xcnt 0x1
	v_add_nc_u32_e32 v66, s5, v64
	s_wait_loadcnt_dscnt 0x0
	scratch_store_b64 off, v[68:69], off offset:240
	flat_load_b64 v[70:71], v66, s[2:3] scale_offset
	s_wait_xcnt 0x1
	v_add_nc_u32_e32 v68, s5, v66
	s_wait_loadcnt_dscnt 0x0
	scratch_store_b64 off, v[70:71], off offset:248
	flat_load_b64 v[72:73], v68, s[2:3] scale_offset
	s_wait_xcnt 0x1
	v_add_nc_u32_e32 v70, s5, v68
	s_wait_loadcnt_dscnt 0x0
	scratch_store_b64 off, v[72:73], off offset:256
	flat_load_b64 v[74:75], v70, s[2:3] scale_offset
	s_wait_xcnt 0x1
	v_add_nc_u32_e32 v72, s5, v70
	s_wait_loadcnt_dscnt 0x0
	scratch_store_b64 off, v[74:75], off offset:264
	flat_load_b64 v[76:77], v72, s[2:3] scale_offset
	s_wait_xcnt 0x1
	v_add_nc_u32_e32 v74, s5, v72
	s_wait_loadcnt_dscnt 0x0
	scratch_store_b64 off, v[76:77], off offset:272
	flat_load_b64 v[78:79], v74, s[2:3] scale_offset
	s_wait_xcnt 0x1
	v_add_nc_u32_e32 v76, s5, v74
	s_wait_loadcnt_dscnt 0x0
	scratch_store_b64 off, v[78:79], off offset:280
	flat_load_b64 v[80:81], v76, s[2:3] scale_offset
	s_wait_xcnt 0x1
	v_add_nc_u32_e32 v78, s5, v76
	s_wait_loadcnt_dscnt 0x0
	scratch_store_b64 off, v[80:81], off offset:288
	flat_load_b64 v[82:83], v78, s[2:3] scale_offset
	s_wait_xcnt 0x1
	v_add_nc_u32_e32 v80, s5, v78
	s_wait_loadcnt_dscnt 0x0
	scratch_store_b64 off, v[82:83], off offset:296
	flat_load_b64 v[84:85], v80, s[2:3] scale_offset
	s_wait_xcnt 0x1
	v_add_nc_u32_e32 v82, s5, v80
	s_wait_loadcnt_dscnt 0x0
	scratch_store_b64 off, v[84:85], off offset:304
	flat_load_b64 v[86:87], v82, s[2:3] scale_offset
	s_wait_xcnt 0x1
	v_add_nc_u32_e32 v84, s5, v82
	s_wait_loadcnt_dscnt 0x0
	scratch_store_b64 off, v[86:87], off offset:312
	flat_load_b64 v[88:89], v84, s[2:3] scale_offset
	s_wait_xcnt 0x1
	v_add_nc_u32_e32 v86, s5, v84
	s_wait_loadcnt_dscnt 0x0
	scratch_store_b64 off, v[88:89], off offset:320
	flat_load_b64 v[90:91], v86, s[2:3] scale_offset
	s_wait_xcnt 0x1
	v_add_nc_u32_e32 v88, s5, v86
	s_wait_loadcnt_dscnt 0x0
	scratch_store_b64 off, v[90:91], off offset:328
	flat_load_b64 v[92:93], v88, s[2:3] scale_offset
	s_wait_xcnt 0x1
	v_add_nc_u32_e32 v90, s5, v88
	s_wait_loadcnt_dscnt 0x0
	scratch_store_b64 off, v[92:93], off offset:336
	flat_load_b64 v[94:95], v90, s[2:3] scale_offset
	s_wait_xcnt 0x1
	v_add_nc_u32_e32 v92, s5, v90
	s_wait_loadcnt_dscnt 0x0
	scratch_store_b64 off, v[94:95], off offset:344
	flat_load_b64 v[96:97], v92, s[2:3] scale_offset
	s_wait_xcnt 0x1
	v_add_nc_u32_e32 v94, s5, v92
	s_wait_loadcnt_dscnt 0x0
	scratch_store_b64 off, v[96:97], off offset:352
	flat_load_b64 v[98:99], v94, s[2:3] scale_offset
	s_wait_xcnt 0x1
	v_add_nc_u32_e32 v96, s5, v94
	s_wait_loadcnt_dscnt 0x0
	scratch_store_b64 off, v[98:99], off offset:360
	flat_load_b64 v[100:101], v96, s[2:3] scale_offset
	s_wait_xcnt 0x1
	v_add_nc_u32_e32 v98, s5, v96
	s_wait_loadcnt_dscnt 0x0
	scratch_store_b64 off, v[100:101], off offset:368
	flat_load_b64 v[102:103], v98, s[2:3] scale_offset
	s_wait_xcnt 0x1
	v_add_nc_u32_e32 v100, s5, v98
	s_wait_loadcnt_dscnt 0x0
	scratch_store_b64 off, v[102:103], off offset:376
	flat_load_b64 v[104:105], v100, s[2:3] scale_offset
	s_wait_xcnt 0x1
	v_add_nc_u32_e32 v102, s5, v100
	s_wait_loadcnt_dscnt 0x0
	scratch_store_b64 off, v[104:105], off offset:384
	flat_load_b64 v[106:107], v102, s[2:3] scale_offset
	s_wait_xcnt 0x1
	v_add_nc_u32_e32 v104, s5, v102
	s_wait_loadcnt_dscnt 0x0
	scratch_store_b64 off, v[106:107], off offset:392
	flat_load_b64 v[108:109], v104, s[2:3] scale_offset
	s_wait_xcnt 0x1
	v_add_nc_u32_e32 v106, s5, v104
	s_wait_loadcnt_dscnt 0x0
	scratch_store_b64 off, v[108:109], off offset:400
	flat_load_b64 v[110:111], v106, s[2:3] scale_offset
	s_wait_xcnt 0x1
	v_add_nc_u32_e32 v108, s5, v106
	s_wait_loadcnt_dscnt 0x0
	scratch_store_b64 off, v[110:111], off offset:408
	flat_load_b64 v[112:113], v108, s[2:3] scale_offset
	s_wait_xcnt 0x1
	v_add_nc_u32_e32 v110, s5, v108
	s_wait_loadcnt_dscnt 0x0
	scratch_store_b64 off, v[112:113], off offset:416
	flat_load_b64 v[114:115], v110, s[2:3] scale_offset
	s_wait_xcnt 0x1
	v_add_nc_u32_e32 v112, s5, v110
	s_wait_loadcnt_dscnt 0x0
	scratch_store_b64 off, v[114:115], off offset:424
	flat_load_b64 v[116:117], v112, s[2:3] scale_offset
	s_wait_xcnt 0x1
	v_add_nc_u32_e32 v114, s5, v112
	s_wait_loadcnt_dscnt 0x0
	scratch_store_b64 off, v[116:117], off offset:432
	flat_load_b64 v[118:119], v114, s[2:3] scale_offset
	s_wait_xcnt 0x1
	v_add_nc_u32_e32 v116, s5, v114
	s_wait_loadcnt_dscnt 0x0
	scratch_store_b64 off, v[118:119], off offset:440
	flat_load_b64 v[120:121], v116, s[2:3] scale_offset
	s_wait_xcnt 0x1
	v_add_nc_u32_e32 v118, s5, v116
	s_wait_loadcnt_dscnt 0x0
	scratch_store_b64 off, v[120:121], off offset:448
	flat_load_b64 v[122:123], v118, s[2:3] scale_offset
	s_wait_xcnt 0x1
	v_add_nc_u32_e32 v120, s5, v118
	s_wait_loadcnt_dscnt 0x0
	scratch_store_b64 off, v[122:123], off offset:456
	flat_load_b64 v[124:125], v120, s[2:3] scale_offset
	s_wait_xcnt 0x1
	v_add_nc_u32_e32 v122, s5, v120
	s_wait_loadcnt_dscnt 0x0
	scratch_store_b64 off, v[124:125], off offset:464
	flat_load_b64 v[126:127], v122, s[2:3] scale_offset
	s_wait_xcnt 0x1
	v_add_nc_u32_e32 v124, s5, v122
	s_wait_loadcnt_dscnt 0x0
	scratch_store_b64 off, v[126:127], off offset:472
	flat_load_b64 v[128:129], v124, s[2:3] scale_offset
	s_wait_xcnt 0x1
	v_add_nc_u32_e32 v126, s5, v124
	s_wait_loadcnt_dscnt 0x0
	scratch_store_b64 off, v[128:129], off offset:480
	flat_load_b64 v[128:129], v126, s[2:3] scale_offset
	s_wait_loadcnt_dscnt 0x0
	scratch_store_b64 off, v[128:129], off offset:488
	s_cbranch_scc1 .LBB125_256
; %bb.4:
	v_cmp_eq_u32_e64 s0, 0, v0
	s_wait_xcnt 0x0
	s_and_saveexec_b32 s1, s0
; %bb.5:
	v_mov_b32_e32 v1, 0
	ds_store_b32 v1, v1 offset:992
; %bb.6:
	s_or_b32 exec_lo, exec_lo, s1
	s_wait_storecnt_dscnt 0x0
	s_barrier_signal -1
	s_barrier_wait -1
	scratch_load_b64 v[128:129], v0, off scale_offset
	s_mov_b32 s4, exec_lo
	s_wait_loadcnt 0x0
	v_cmpx_eq_f64_e32 0, v[128:129]
	s_cbranch_execz .LBB125_10
; %bb.7:
	v_mov_b32_e32 v1, 0
	s_mov_b32 s5, 0
	ds_load_b32 v3, v1 offset:992
	s_wait_dscnt 0x0
	v_readfirstlane_b32 s1, v3
	v_add_nc_u32_e32 v3, 1, v0
	s_cmp_eq_u32 s1, 0
	s_delay_alu instid0(VALU_DEP_1) | instskip(SKIP_1) | instid1(SALU_CYCLE_1)
	v_cmp_gt_i32_e32 vcc_lo, s1, v3
	s_cselect_b32 s13, -1, 0
	s_or_b32 s13, s13, vcc_lo
	s_delay_alu instid0(SALU_CYCLE_1)
	s_and_b32 exec_lo, exec_lo, s13
	s_cbranch_execz .LBB125_10
; %bb.8:
	v_mov_b32_e32 v9, s1
.LBB125_9:                              ; =>This Inner Loop Header: Depth=1
	ds_cmpstore_rtn_b32 v9, v1, v3, v9 offset:992
	s_wait_dscnt 0x0
	v_cmp_ne_u32_e32 vcc_lo, 0, v9
	v_cmp_le_i32_e64 s1, v9, v3
	s_and_b32 s1, vcc_lo, s1
	s_delay_alu instid0(SALU_CYCLE_1) | instskip(NEXT) | instid1(SALU_CYCLE_1)
	s_and_b32 s1, exec_lo, s1
	s_or_b32 s5, s1, s5
	s_delay_alu instid0(SALU_CYCLE_1)
	s_and_not1_b32 exec_lo, exec_lo, s5
	s_cbranch_execnz .LBB125_9
.LBB125_10:
	s_or_b32 exec_lo, exec_lo, s4
	v_mov_b32_e32 v1, 0
	s_barrier_signal -1
	s_barrier_wait -1
	ds_load_b32 v3, v1 offset:992
	s_and_saveexec_b32 s1, s0
	s_cbranch_execz .LBB125_12
; %bb.11:
	s_lshl_b64 s[4:5], s[10:11], 2
	s_delay_alu instid0(SALU_CYCLE_1)
	s_add_nc_u64 s[4:5], s[6:7], s[4:5]
	s_wait_dscnt 0x0
	global_store_b32 v1, v3, s[4:5]
.LBB125_12:
	s_wait_xcnt 0x0
	s_or_b32 exec_lo, exec_lo, s1
	s_wait_dscnt 0x0
	v_cmp_ne_u32_e32 vcc_lo, 0, v3
	s_mov_b32 s1, 0
	s_cbranch_vccnz .LBB125_256
; %bb.13:
	v_lshl_add_u32 v3, v0, 3, 0
	v_add_nc_u32_e32 v1, 0x1f0, v2
	scratch_load_b64 v[128:129], v3, off
	s_wait_loadcnt 0x0
	v_div_scale_f64 v[130:131], null, v[128:129], v[128:129], 1.0
	v_div_scale_f64 v[136:137], vcc_lo, 1.0, v[128:129], 1.0
	s_delay_alu instid0(VALU_DEP_2) | instskip(SKIP_1) | instid1(TRANS32_DEP_1)
	v_rcp_f64_e32 v[132:133], v[130:131]
	v_nop
	v_fma_f64 v[134:135], -v[130:131], v[132:133], 1.0
	s_delay_alu instid0(VALU_DEP_1) | instskip(NEXT) | instid1(VALU_DEP_1)
	v_fmac_f64_e32 v[132:133], v[132:133], v[134:135]
	v_fma_f64 v[134:135], -v[130:131], v[132:133], 1.0
	s_delay_alu instid0(VALU_DEP_1) | instskip(NEXT) | instid1(VALU_DEP_1)
	v_fmac_f64_e32 v[132:133], v[132:133], v[134:135]
	v_mul_f64_e32 v[134:135], v[136:137], v[132:133]
	s_delay_alu instid0(VALU_DEP_1) | instskip(NEXT) | instid1(VALU_DEP_1)
	v_fma_f64 v[130:131], -v[130:131], v[134:135], v[136:137]
	v_div_fmas_f64 v[130:131], v[130:131], v[132:133], v[134:135]
	s_delay_alu instid0(VALU_DEP_1)
	v_div_fixup_f64 v[128:129], v[130:131], v[128:129], 1.0
	scratch_store_b64 v3, v[128:129], off
	scratch_load_b64 v[130:131], off, off offset:8
	s_wait_xcnt 0x1
	v_xor_b32_e32 v129, 0x80000000, v129
	s_wait_loadcnt 0x0
	ds_store_2addr_b64 v2, v[128:129], v[130:131] offset1:62
	s_wait_storecnt_dscnt 0x0
	s_barrier_signal -1
	s_barrier_wait -1
	s_wait_xcnt 0x0
	s_and_saveexec_b32 s1, s0
	s_cbranch_execz .LBB125_15
; %bb.14:
	scratch_load_b64 v[128:129], v3, off
	ds_load_b64 v[130:131], v1
	s_wait_loadcnt_dscnt 0x0
	v_fma_f64 v[128:129], v[128:129], v[130:131], 0
	v_mov_b32_e32 v9, 0
	ds_load_b64 v[132:133], v9 offset:8
	s_wait_dscnt 0x0
	v_mul_f64_e32 v[128:129], v[128:129], v[132:133]
	scratch_store_b64 off, v[128:129], off offset:8
.LBB125_15:
	s_wait_xcnt 0x0
	s_or_b32 exec_lo, exec_lo, s1
	s_wait_storecnt 0x0
	s_barrier_signal -1
	s_barrier_wait -1
	scratch_load_b64 v[128:129], off, off offset:16
	s_mov_b32 s1, exec_lo
	s_wait_loadcnt 0x0
	ds_store_b64 v1, v[128:129]
	s_wait_dscnt 0x0
	s_barrier_signal -1
	s_barrier_wait -1
	v_cmpx_gt_u32_e32 2, v0
	s_cbranch_execz .LBB125_19
; %bb.16:
	scratch_load_b64 v[128:129], v3, off
	ds_load_b64 v[130:131], v1
	s_wait_loadcnt_dscnt 0x0
	v_fma_f64 v[128:129], v[128:129], v[130:131], 0
	s_and_saveexec_b32 s4, s0
	s_cbranch_execz .LBB125_18
; %bb.17:
	scratch_load_b64 v[130:131], off, off offset:8
	v_mov_b32_e32 v3, 0
	ds_load_b64 v[132:133], v3 offset:504
	s_wait_loadcnt_dscnt 0x0
	v_fmac_f64_e32 v[128:129], v[130:131], v[132:133]
.LBB125_18:
	s_or_b32 exec_lo, exec_lo, s4
	v_mov_b32_e32 v3, 0
	ds_load_b64 v[130:131], v3 offset:16
	s_wait_dscnt 0x0
	v_mul_f64_e32 v[128:129], v[128:129], v[130:131]
	scratch_store_b64 off, v[128:129], off offset:16
.LBB125_19:
	s_wait_xcnt 0x0
	s_or_b32 exec_lo, exec_lo, s1
	s_wait_storecnt 0x0
	s_barrier_signal -1
	s_barrier_wait -1
	scratch_load_b64 v[128:129], off, off offset:24
	v_add_nc_u32_e32 v3, -1, v0
	s_mov_b32 s0, exec_lo
	s_wait_loadcnt 0x0
	ds_store_b64 v1, v[128:129]
	s_wait_dscnt 0x0
	s_barrier_signal -1
	s_barrier_wait -1
	v_cmpx_gt_u32_e32 3, v0
	s_cbranch_execz .LBB125_23
; %bb.20:
	v_mov_b64_e32 v[128:129], 0
	v_dual_add_nc_u32 v9, -1, v0 :: v_dual_mov_b32 v13, v2
	v_add_nc_u32_e32 v11, 0x1f0, v2
	s_mov_b32 s1, 0
.LBB125_21:                             ; =>This Inner Loop Header: Depth=1
	scratch_load_b64 v[130:131], v13, off
	ds_load_b64 v[132:133], v11
	v_dual_add_nc_u32 v9, 1, v9 :: v_dual_add_nc_u32 v11, 8, v11
	s_wait_xcnt 0x0
	v_add_nc_u32_e32 v13, 8, v13
	s_delay_alu instid0(VALU_DEP_2)
	v_cmp_lt_u32_e32 vcc_lo, 1, v9
	s_or_b32 s1, vcc_lo, s1
	s_wait_loadcnt_dscnt 0x0
	v_fmac_f64_e32 v[128:129], v[130:131], v[132:133]
	s_and_not1_b32 exec_lo, exec_lo, s1
	s_cbranch_execnz .LBB125_21
; %bb.22:
	s_or_b32 exec_lo, exec_lo, s1
	v_mov_b32_e32 v9, 0
	ds_load_b64 v[130:131], v9 offset:24
	s_wait_dscnt 0x0
	v_mul_f64_e32 v[128:129], v[128:129], v[130:131]
	scratch_store_b64 off, v[128:129], off offset:24
.LBB125_23:
	s_wait_xcnt 0x0
	s_or_b32 exec_lo, exec_lo, s0
	s_wait_storecnt 0x0
	s_barrier_signal -1
	s_barrier_wait -1
	scratch_load_b64 v[128:129], off, off offset:32
	s_mov_b32 s0, exec_lo
	s_wait_loadcnt 0x0
	ds_store_b64 v1, v[128:129]
	s_wait_dscnt 0x0
	s_barrier_signal -1
	s_barrier_wait -1
	v_cmpx_gt_u32_e32 4, v0
	s_cbranch_execz .LBB125_27
; %bb.24:
	v_mov_b64_e32 v[128:129], 0
	v_dual_add_nc_u32 v9, -1, v0 :: v_dual_mov_b32 v13, v2
	v_add_nc_u32_e32 v11, 0x1f0, v2
	s_mov_b32 s1, 0
.LBB125_25:                             ; =>This Inner Loop Header: Depth=1
	scratch_load_b64 v[130:131], v13, off
	ds_load_b64 v[132:133], v11
	v_dual_add_nc_u32 v9, 1, v9 :: v_dual_add_nc_u32 v11, 8, v11
	s_wait_xcnt 0x0
	v_add_nc_u32_e32 v13, 8, v13
	s_delay_alu instid0(VALU_DEP_2)
	v_cmp_lt_u32_e32 vcc_lo, 2, v9
	s_or_b32 s1, vcc_lo, s1
	s_wait_loadcnt_dscnt 0x0
	v_fmac_f64_e32 v[128:129], v[130:131], v[132:133]
	s_and_not1_b32 exec_lo, exec_lo, s1
	s_cbranch_execnz .LBB125_25
; %bb.26:
	s_or_b32 exec_lo, exec_lo, s1
	v_mov_b32_e32 v9, 0
	ds_load_b64 v[130:131], v9 offset:32
	s_wait_dscnt 0x0
	v_mul_f64_e32 v[128:129], v[128:129], v[130:131]
	scratch_store_b64 off, v[128:129], off offset:32
.LBB125_27:
	s_wait_xcnt 0x0
	s_or_b32 exec_lo, exec_lo, s0
	s_wait_storecnt 0x0
	s_barrier_signal -1
	s_barrier_wait -1
	scratch_load_b64 v[128:129], off, off offset:40
	;; [unrolled: 40-line block ×20, first 2 shown]
	s_mov_b32 s0, exec_lo
	s_wait_loadcnt 0x0
	ds_store_b64 v1, v[128:129]
	s_wait_dscnt 0x0
	s_barrier_signal -1
	s_barrier_wait -1
	v_cmpx_gt_u32_e32 23, v0
	s_cbranch_execz .LBB125_103
; %bb.100:
	v_mov_b64_e32 v[128:129], 0
	v_dual_add_nc_u32 v9, -1, v0 :: v_dual_mov_b32 v13, v2
	v_add_nc_u32_e32 v11, 0x1f0, v2
	s_mov_b32 s1, 0
.LBB125_101:                            ; =>This Inner Loop Header: Depth=1
	scratch_load_b64 v[130:131], v13, off
	ds_load_b64 v[132:133], v11
	v_dual_add_nc_u32 v9, 1, v9 :: v_dual_add_nc_u32 v11, 8, v11
	s_wait_xcnt 0x0
	v_add_nc_u32_e32 v13, 8, v13
	s_delay_alu instid0(VALU_DEP_2)
	v_cmp_lt_u32_e32 vcc_lo, 21, v9
	s_or_b32 s1, vcc_lo, s1
	s_wait_loadcnt_dscnt 0x0
	v_fmac_f64_e32 v[128:129], v[130:131], v[132:133]
	s_and_not1_b32 exec_lo, exec_lo, s1
	s_cbranch_execnz .LBB125_101
; %bb.102:
	s_or_b32 exec_lo, exec_lo, s1
	v_mov_b32_e32 v9, 0
	ds_load_b64 v[130:131], v9 offset:184
	s_wait_dscnt 0x0
	v_mul_f64_e32 v[128:129], v[128:129], v[130:131]
	scratch_store_b64 off, v[128:129], off offset:184
.LBB125_103:
	s_wait_xcnt 0x0
	s_or_b32 exec_lo, exec_lo, s0
	s_wait_storecnt 0x0
	s_barrier_signal -1
	s_barrier_wait -1
	scratch_load_b64 v[128:129], off, off offset:192
	s_mov_b32 s0, exec_lo
	s_wait_loadcnt 0x0
	ds_store_b64 v1, v[128:129]
	s_wait_dscnt 0x0
	s_barrier_signal -1
	s_barrier_wait -1
	v_cmpx_gt_u32_e32 24, v0
	s_cbranch_execz .LBB125_107
; %bb.104:
	v_mov_b64_e32 v[128:129], 0
	v_dual_add_nc_u32 v9, -1, v0 :: v_dual_mov_b32 v13, v2
	v_add_nc_u32_e32 v11, 0x1f0, v2
	s_mov_b32 s1, 0
.LBB125_105:                            ; =>This Inner Loop Header: Depth=1
	scratch_load_b64 v[130:131], v13, off
	ds_load_b64 v[132:133], v11
	v_dual_add_nc_u32 v9, 1, v9 :: v_dual_add_nc_u32 v11, 8, v11
	s_wait_xcnt 0x0
	v_add_nc_u32_e32 v13, 8, v13
	s_delay_alu instid0(VALU_DEP_2)
	v_cmp_lt_u32_e32 vcc_lo, 22, v9
	s_or_b32 s1, vcc_lo, s1
	s_wait_loadcnt_dscnt 0x0
	v_fmac_f64_e32 v[128:129], v[130:131], v[132:133]
	s_and_not1_b32 exec_lo, exec_lo, s1
	s_cbranch_execnz .LBB125_105
; %bb.106:
	s_or_b32 exec_lo, exec_lo, s1
	v_mov_b32_e32 v9, 0
	ds_load_b64 v[130:131], v9 offset:192
	s_wait_dscnt 0x0
	v_mul_f64_e32 v[128:129], v[128:129], v[130:131]
	scratch_store_b64 off, v[128:129], off offset:192
.LBB125_107:
	s_wait_xcnt 0x0
	s_or_b32 exec_lo, exec_lo, s0
	s_wait_storecnt 0x0
	s_barrier_signal -1
	s_barrier_wait -1
	scratch_load_b64 v[128:129], off, off offset:200
	;; [unrolled: 40-line block ×38, first 2 shown]
	s_mov_b32 s0, exec_lo
	s_wait_loadcnt 0x0
	ds_store_b64 v1, v[128:129]
	s_wait_dscnt 0x0
	s_barrier_signal -1
	s_barrier_wait -1
	v_cmpx_ne_u32_e32 61, v0
	s_cbranch_execz .LBB125_255
; %bb.252:
	v_mov_b64_e32 v[128:129], 0
	s_mov_b32 s1, 0
.LBB125_253:                            ; =>This Inner Loop Header: Depth=1
	scratch_load_b64 v[130:131], v2, off
	ds_load_b64 v[132:133], v1
	v_dual_add_nc_u32 v3, 1, v3 :: v_dual_add_nc_u32 v1, 8, v1
	s_wait_xcnt 0x0
	v_add_nc_u32_e32 v2, 8, v2
	s_delay_alu instid0(VALU_DEP_2)
	v_cmp_lt_u32_e32 vcc_lo, 59, v3
	s_or_b32 s1, vcc_lo, s1
	s_wait_loadcnt_dscnt 0x0
	v_fmac_f64_e32 v[128:129], v[130:131], v[132:133]
	s_and_not1_b32 exec_lo, exec_lo, s1
	s_cbranch_execnz .LBB125_253
; %bb.254:
	s_or_b32 exec_lo, exec_lo, s1
	v_mov_b32_e32 v1, 0
	ds_load_b64 v[2:3], v1 offset:488
	s_wait_dscnt 0x0
	v_mul_f64_e32 v[2:3], v[128:129], v[2:3]
	scratch_store_b64 off, v[2:3], off offset:488
.LBB125_255:
	s_wait_xcnt 0x0
	s_or_b32 exec_lo, exec_lo, s0
	s_mov_b32 s1, -1
	s_wait_storecnt 0x0
	s_barrier_signal -1
	s_barrier_wait -1
.LBB125_256:
	s_and_b32 vcc_lo, exec_lo, s1
	s_cbranch_vccz .LBB125_258
; %bb.257:
	v_mov_b32_e32 v1, 0
	s_lshl_b64 s[0:1], s[10:11], 2
	s_delay_alu instid0(SALU_CYCLE_1)
	s_add_nc_u64 s[0:1], s[6:7], s[0:1]
	global_load_b32 v1, v1, s[0:1]
	s_wait_loadcnt 0x0
	v_cmp_ne_u32_e32 vcc_lo, 0, v1
	s_cbranch_vccz .LBB125_259
.LBB125_258:
	s_sendmsg sendmsg(MSG_DEALLOC_VGPRS)
	s_endpgm
.LBB125_259:
	s_wait_xcnt 0x0
	v_lshl_add_u32 v1, v0, 3, 0x1f0
	s_mov_b32 s0, exec_lo
	v_cmpx_eq_u32_e32 61, v0
	s_cbranch_execz .LBB125_261
; %bb.260:
	scratch_load_b64 v[2:3], off, off offset:480
	v_mov_b64_e32 v[128:129], 0
	scratch_store_b64 off, v[128:129], off offset:480
	s_wait_loadcnt 0x0
	ds_store_b64 v1, v[2:3]
.LBB125_261:
	s_wait_xcnt 0x0
	s_or_b32 exec_lo, exec_lo, s0
	s_wait_storecnt_dscnt 0x0
	s_barrier_signal -1
	s_barrier_wait -1
	scratch_load_b128 v[128:131], off, off offset:480
	v_mov_b32_e32 v2, 0
	s_mov_b32 s0, exec_lo
	ds_load_b64 v[132:133], v2 offset:984
	s_wait_loadcnt_dscnt 0x0
	v_fma_f64 v[130:131], v[130:131], v[132:133], 0
	s_delay_alu instid0(VALU_DEP_1)
	v_add_f64_e64 v[128:129], v[128:129], -v[130:131]
	scratch_store_b64 off, v[128:129], off offset:480
	s_wait_xcnt 0x0
	v_cmpx_lt_u32_e32 59, v0
	s_cbranch_execz .LBB125_263
; %bb.262:
	scratch_load_b64 v[128:129], off, off offset:472
	v_mov_b64_e32 v[130:131], 0
	scratch_store_b64 off, v[130:131], off offset:472
	s_wait_loadcnt 0x0
	ds_store_b64 v1, v[128:129]
.LBB125_263:
	s_wait_xcnt 0x0
	s_or_b32 exec_lo, exec_lo, s0
	s_wait_storecnt_dscnt 0x0
	s_barrier_signal -1
	s_barrier_wait -1
	s_clause 0x1
	scratch_load_b128 v[128:131], off, off offset:472
	scratch_load_b64 v[136:137], off, off offset:488
	ds_load_b128 v[132:135], v2 offset:976
	s_mov_b32 s0, exec_lo
	s_wait_loadcnt_dscnt 0x100
	v_fma_f64 v[2:3], v[130:131], v[132:133], 0
	s_wait_loadcnt 0x0
	s_delay_alu instid0(VALU_DEP_1) | instskip(NEXT) | instid1(VALU_DEP_1)
	v_fmac_f64_e32 v[2:3], v[136:137], v[134:135]
	v_add_f64_e64 v[2:3], v[128:129], -v[2:3]
	scratch_store_b64 off, v[2:3], off offset:472
	s_wait_xcnt 0x0
	v_cmpx_lt_u32_e32 58, v0
	s_cbranch_execz .LBB125_265
; %bb.264:
	scratch_load_b64 v[2:3], off, off offset:464
	v_mov_b64_e32 v[128:129], 0
	scratch_store_b64 off, v[128:129], off offset:464
	s_wait_loadcnt 0x0
	ds_store_b64 v1, v[2:3]
.LBB125_265:
	s_wait_xcnt 0x0
	s_or_b32 exec_lo, exec_lo, s0
	s_wait_storecnt_dscnt 0x0
	s_barrier_signal -1
	s_barrier_wait -1
	s_clause 0x1
	scratch_load_b128 v[128:131], off, off offset:464
	scratch_load_b128 v[132:135], off, off offset:480
	v_mov_b32_e32 v2, 0
	ds_load_2addr_b64 v[136:139], v2 offset0:121 offset1:122
	ds_load_b64 v[140:141], v2 offset:984
	s_mov_b32 s0, exec_lo
	s_wait_loadcnt_dscnt 0x101
	v_fma_f64 v[130:131], v[130:131], v[136:137], 0
	s_wait_loadcnt 0x0
	s_delay_alu instid0(VALU_DEP_1) | instskip(SKIP_1) | instid1(VALU_DEP_1)
	v_fmac_f64_e32 v[130:131], v[132:133], v[138:139]
	s_wait_dscnt 0x0
	v_fmac_f64_e32 v[130:131], v[134:135], v[140:141]
	s_delay_alu instid0(VALU_DEP_1)
	v_add_f64_e64 v[128:129], v[128:129], -v[130:131]
	scratch_store_b64 off, v[128:129], off offset:464
	s_wait_xcnt 0x0
	v_cmpx_lt_u32_e32 57, v0
	s_cbranch_execz .LBB125_267
; %bb.266:
	scratch_load_b64 v[128:129], off, off offset:456
	v_mov_b64_e32 v[130:131], 0
	scratch_store_b64 off, v[130:131], off offset:456
	s_wait_loadcnt 0x0
	ds_store_b64 v1, v[128:129]
.LBB125_267:
	s_wait_xcnt 0x0
	s_or_b32 exec_lo, exec_lo, s0
	s_wait_storecnt_dscnt 0x0
	s_barrier_signal -1
	s_barrier_wait -1
	s_clause 0x2
	scratch_load_b128 v[128:131], off, off offset:456
	scratch_load_b128 v[132:135], off, off offset:472
	scratch_load_b64 v[144:145], off, off offset:488
	ds_load_b128 v[136:139], v2 offset:960
	ds_load_b128 v[140:143], v2 offset:976
	s_mov_b32 s0, exec_lo
	s_wait_loadcnt_dscnt 0x201
	v_fma_f64 v[2:3], v[130:131], v[136:137], 0
	s_wait_loadcnt 0x1
	s_delay_alu instid0(VALU_DEP_1) | instskip(SKIP_1) | instid1(VALU_DEP_1)
	v_fmac_f64_e32 v[2:3], v[132:133], v[138:139]
	s_wait_dscnt 0x0
	v_fmac_f64_e32 v[2:3], v[134:135], v[140:141]
	s_wait_loadcnt 0x0
	s_delay_alu instid0(VALU_DEP_1) | instskip(NEXT) | instid1(VALU_DEP_1)
	v_fmac_f64_e32 v[2:3], v[144:145], v[142:143]
	v_add_f64_e64 v[2:3], v[128:129], -v[2:3]
	scratch_store_b64 off, v[2:3], off offset:456
	s_wait_xcnt 0x0
	v_cmpx_lt_u32_e32 56, v0
	s_cbranch_execz .LBB125_269
; %bb.268:
	scratch_load_b64 v[2:3], off, off offset:448
	v_mov_b64_e32 v[128:129], 0
	scratch_store_b64 off, v[128:129], off offset:448
	s_wait_loadcnt 0x0
	ds_store_b64 v1, v[2:3]
.LBB125_269:
	s_wait_xcnt 0x0
	s_or_b32 exec_lo, exec_lo, s0
	s_wait_storecnt_dscnt 0x0
	s_barrier_signal -1
	s_barrier_wait -1
	s_clause 0x2
	scratch_load_b128 v[128:131], off, off offset:448
	scratch_load_b128 v[132:135], off, off offset:464
	;; [unrolled: 1-line block ×3, first 2 shown]
	v_mov_b32_e32 v2, 0
	ds_load_2addr_b64 v[140:143], v2 offset0:119 offset1:120
	ds_load_2addr_b64 v[144:147], v2 offset0:121 offset1:122
	s_mov_b32 s0, exec_lo
	s_wait_loadcnt_dscnt 0x201
	v_fma_f64 v[130:131], v[130:131], v[140:141], 0
	s_wait_loadcnt 0x1
	s_delay_alu instid0(VALU_DEP_1) | instskip(SKIP_4) | instid1(VALU_DEP_1)
	v_fmac_f64_e32 v[130:131], v[132:133], v[142:143]
	ds_load_b64 v[132:133], v2 offset:984
	s_wait_dscnt 0x1
	v_fmac_f64_e32 v[130:131], v[134:135], v[144:145]
	s_wait_loadcnt 0x0
	v_fmac_f64_e32 v[130:131], v[136:137], v[146:147]
	s_wait_dscnt 0x0
	s_delay_alu instid0(VALU_DEP_1) | instskip(NEXT) | instid1(VALU_DEP_1)
	v_fmac_f64_e32 v[130:131], v[138:139], v[132:133]
	v_add_f64_e64 v[128:129], v[128:129], -v[130:131]
	scratch_store_b64 off, v[128:129], off offset:448
	s_wait_xcnt 0x0
	v_cmpx_lt_u32_e32 55, v0
	s_cbranch_execz .LBB125_271
; %bb.270:
	scratch_load_b64 v[128:129], off, off offset:440
	v_mov_b64_e32 v[130:131], 0
	scratch_store_b64 off, v[130:131], off offset:440
	s_wait_loadcnt 0x0
	ds_store_b64 v1, v[128:129]
.LBB125_271:
	s_wait_xcnt 0x0
	s_or_b32 exec_lo, exec_lo, s0
	s_wait_storecnt_dscnt 0x0
	s_barrier_signal -1
	s_barrier_wait -1
	s_clause 0x3
	scratch_load_b128 v[128:131], off, off offset:440
	scratch_load_b128 v[132:135], off, off offset:456
	;; [unrolled: 1-line block ×3, first 2 shown]
	scratch_load_b64 v[148:149], off, off offset:488
	ds_load_b128 v[140:143], v2 offset:944
	ds_load_b128 v[144:147], v2 offset:960
	s_mov_b32 s0, exec_lo
	s_wait_loadcnt_dscnt 0x301
	v_fma_f64 v[140:141], v[130:131], v[140:141], 0
	s_wait_loadcnt 0x2
	s_delay_alu instid0(VALU_DEP_1) | instskip(SKIP_4) | instid1(VALU_DEP_1)
	v_fmac_f64_e32 v[140:141], v[132:133], v[142:143]
	ds_load_b128 v[130:133], v2 offset:976
	s_wait_dscnt 0x1
	v_fmac_f64_e32 v[140:141], v[134:135], v[144:145]
	s_wait_loadcnt 0x1
	v_fmac_f64_e32 v[140:141], v[136:137], v[146:147]
	s_wait_dscnt 0x0
	s_delay_alu instid0(VALU_DEP_1) | instskip(SKIP_1) | instid1(VALU_DEP_1)
	v_fmac_f64_e32 v[140:141], v[138:139], v[130:131]
	s_wait_loadcnt 0x0
	v_fmac_f64_e32 v[140:141], v[148:149], v[132:133]
	s_delay_alu instid0(VALU_DEP_1)
	v_add_f64_e64 v[2:3], v[128:129], -v[140:141]
	scratch_store_b64 off, v[2:3], off offset:440
	s_wait_xcnt 0x0
	v_cmpx_lt_u32_e32 54, v0
	s_cbranch_execz .LBB125_273
; %bb.272:
	scratch_load_b64 v[2:3], off, off offset:432
	v_mov_b64_e32 v[128:129], 0
	scratch_store_b64 off, v[128:129], off offset:432
	s_wait_loadcnt 0x0
	ds_store_b64 v1, v[2:3]
.LBB125_273:
	s_wait_xcnt 0x0
	s_or_b32 exec_lo, exec_lo, s0
	s_wait_storecnt_dscnt 0x0
	s_barrier_signal -1
	s_barrier_wait -1
	s_clause 0x3
	scratch_load_b128 v[128:131], off, off offset:432
	scratch_load_b128 v[132:135], off, off offset:448
	;; [unrolled: 1-line block ×4, first 2 shown]
	v_mov_b32_e32 v2, 0
	ds_load_2addr_b64 v[144:147], v2 offset0:117 offset1:118
	ds_load_2addr_b64 v[148:151], v2 offset0:119 offset1:120
	s_mov_b32 s0, exec_lo
	s_wait_loadcnt_dscnt 0x301
	v_fma_f64 v[144:145], v[130:131], v[144:145], 0
	s_wait_loadcnt 0x2
	s_delay_alu instid0(VALU_DEP_1) | instskip(SKIP_1) | instid1(VALU_DEP_1)
	v_fmac_f64_e32 v[144:145], v[132:133], v[146:147]
	s_wait_dscnt 0x0
	v_fmac_f64_e32 v[144:145], v[134:135], v[148:149]
	ds_load_2addr_b64 v[130:133], v2 offset0:121 offset1:122
	ds_load_b64 v[134:135], v2 offset:984
	s_wait_loadcnt 0x1
	v_fmac_f64_e32 v[144:145], v[136:137], v[150:151]
	s_wait_dscnt 0x1
	s_delay_alu instid0(VALU_DEP_1) | instskip(SKIP_1) | instid1(VALU_DEP_1)
	v_fmac_f64_e32 v[144:145], v[138:139], v[130:131]
	s_wait_loadcnt 0x0
	v_fmac_f64_e32 v[144:145], v[140:141], v[132:133]
	s_wait_dscnt 0x0
	s_delay_alu instid0(VALU_DEP_1) | instskip(NEXT) | instid1(VALU_DEP_1)
	v_fmac_f64_e32 v[144:145], v[142:143], v[134:135]
	v_add_f64_e64 v[128:129], v[128:129], -v[144:145]
	scratch_store_b64 off, v[128:129], off offset:432
	s_wait_xcnt 0x0
	v_cmpx_lt_u32_e32 53, v0
	s_cbranch_execz .LBB125_275
; %bb.274:
	scratch_load_b64 v[128:129], off, off offset:424
	v_mov_b64_e32 v[130:131], 0
	scratch_store_b64 off, v[130:131], off offset:424
	s_wait_loadcnt 0x0
	ds_store_b64 v1, v[128:129]
.LBB125_275:
	s_wait_xcnt 0x0
	s_or_b32 exec_lo, exec_lo, s0
	s_wait_storecnt_dscnt 0x0
	s_barrier_signal -1
	s_barrier_wait -1
	s_clause 0x4
	scratch_load_b128 v[128:131], off, off offset:424
	scratch_load_b128 v[132:135], off, off offset:440
	;; [unrolled: 1-line block ×4, first 2 shown]
	scratch_load_b64 v[152:153], off, off offset:488
	ds_load_b128 v[144:147], v2 offset:928
	ds_load_b128 v[148:151], v2 offset:944
	s_mov_b32 s0, exec_lo
	s_wait_loadcnt_dscnt 0x401
	v_fma_f64 v[144:145], v[130:131], v[144:145], 0
	s_wait_loadcnt 0x3
	s_delay_alu instid0(VALU_DEP_1) | instskip(SKIP_1) | instid1(VALU_DEP_1)
	v_fmac_f64_e32 v[144:145], v[132:133], v[146:147]
	s_wait_dscnt 0x0
	v_fmac_f64_e32 v[144:145], v[134:135], v[148:149]
	s_wait_loadcnt 0x2
	s_delay_alu instid0(VALU_DEP_1)
	v_fmac_f64_e32 v[144:145], v[136:137], v[150:151]
	ds_load_b128 v[130:133], v2 offset:960
	ds_load_b128 v[134:137], v2 offset:976
	s_wait_dscnt 0x1
	v_fmac_f64_e32 v[144:145], v[138:139], v[130:131]
	s_wait_loadcnt 0x1
	s_delay_alu instid0(VALU_DEP_1) | instskip(SKIP_1) | instid1(VALU_DEP_1)
	v_fmac_f64_e32 v[144:145], v[140:141], v[132:133]
	s_wait_dscnt 0x0
	v_fmac_f64_e32 v[144:145], v[142:143], v[134:135]
	s_wait_loadcnt 0x0
	s_delay_alu instid0(VALU_DEP_1) | instskip(NEXT) | instid1(VALU_DEP_1)
	v_fmac_f64_e32 v[144:145], v[152:153], v[136:137]
	v_add_f64_e64 v[2:3], v[128:129], -v[144:145]
	scratch_store_b64 off, v[2:3], off offset:424
	s_wait_xcnt 0x0
	v_cmpx_lt_u32_e32 52, v0
	s_cbranch_execz .LBB125_277
; %bb.276:
	scratch_load_b64 v[2:3], off, off offset:416
	v_mov_b64_e32 v[128:129], 0
	scratch_store_b64 off, v[128:129], off offset:416
	s_wait_loadcnt 0x0
	ds_store_b64 v1, v[2:3]
.LBB125_277:
	s_wait_xcnt 0x0
	s_or_b32 exec_lo, exec_lo, s0
	s_wait_storecnt_dscnt 0x0
	s_barrier_signal -1
	s_barrier_wait -1
	s_clause 0x4
	scratch_load_b128 v[128:131], off, off offset:416
	scratch_load_b128 v[132:135], off, off offset:432
	;; [unrolled: 1-line block ×5, first 2 shown]
	v_mov_b32_e32 v2, 0
	ds_load_2addr_b64 v[148:151], v2 offset0:115 offset1:116
	ds_load_2addr_b64 v[152:155], v2 offset0:117 offset1:118
	s_mov_b32 s0, exec_lo
	s_wait_loadcnt_dscnt 0x401
	v_fma_f64 v[148:149], v[130:131], v[148:149], 0
	s_wait_loadcnt 0x3
	s_delay_alu instid0(VALU_DEP_1) | instskip(SKIP_1) | instid1(VALU_DEP_1)
	v_fmac_f64_e32 v[148:149], v[132:133], v[150:151]
	s_wait_dscnt 0x0
	v_fmac_f64_e32 v[148:149], v[134:135], v[152:153]
	s_wait_loadcnt 0x2
	s_delay_alu instid0(VALU_DEP_1)
	v_fmac_f64_e32 v[148:149], v[136:137], v[154:155]
	ds_load_2addr_b64 v[130:133], v2 offset0:119 offset1:120
	ds_load_2addr_b64 v[134:137], v2 offset0:121 offset1:122
	s_wait_dscnt 0x1
	v_fmac_f64_e32 v[148:149], v[138:139], v[130:131]
	ds_load_b64 v[130:131], v2 offset:984
	s_wait_loadcnt 0x1
	v_fmac_f64_e32 v[148:149], v[140:141], v[132:133]
	s_wait_dscnt 0x1
	s_delay_alu instid0(VALU_DEP_1) | instskip(SKIP_1) | instid1(VALU_DEP_1)
	v_fmac_f64_e32 v[148:149], v[142:143], v[134:135]
	s_wait_loadcnt 0x0
	v_fmac_f64_e32 v[148:149], v[144:145], v[136:137]
	s_wait_dscnt 0x0
	s_delay_alu instid0(VALU_DEP_1) | instskip(NEXT) | instid1(VALU_DEP_1)
	v_fmac_f64_e32 v[148:149], v[146:147], v[130:131]
	v_add_f64_e64 v[128:129], v[128:129], -v[148:149]
	scratch_store_b64 off, v[128:129], off offset:416
	s_wait_xcnt 0x0
	v_cmpx_lt_u32_e32 51, v0
	s_cbranch_execz .LBB125_279
; %bb.278:
	scratch_load_b64 v[128:129], off, off offset:408
	v_mov_b64_e32 v[130:131], 0
	scratch_store_b64 off, v[130:131], off offset:408
	s_wait_loadcnt 0x0
	ds_store_b64 v1, v[128:129]
.LBB125_279:
	s_wait_xcnt 0x0
	s_or_b32 exec_lo, exec_lo, s0
	s_wait_storecnt_dscnt 0x0
	s_barrier_signal -1
	s_barrier_wait -1
	s_clause 0x5
	scratch_load_b128 v[128:131], off, off offset:408
	scratch_load_b128 v[132:135], off, off offset:424
	;; [unrolled: 1-line block ×5, first 2 shown]
	scratch_load_b64 v[156:157], off, off offset:488
	ds_load_b128 v[148:151], v2 offset:912
	ds_load_b128 v[152:155], v2 offset:928
	s_mov_b32 s0, exec_lo
	s_wait_loadcnt_dscnt 0x501
	v_fma_f64 v[148:149], v[130:131], v[148:149], 0
	s_wait_loadcnt 0x4
	s_delay_alu instid0(VALU_DEP_1) | instskip(SKIP_1) | instid1(VALU_DEP_1)
	v_fmac_f64_e32 v[148:149], v[132:133], v[150:151]
	s_wait_dscnt 0x0
	v_fmac_f64_e32 v[148:149], v[134:135], v[152:153]
	s_wait_loadcnt 0x3
	s_delay_alu instid0(VALU_DEP_1)
	v_fmac_f64_e32 v[148:149], v[136:137], v[154:155]
	ds_load_b128 v[130:133], v2 offset:944
	ds_load_b128 v[134:137], v2 offset:960
	s_wait_dscnt 0x1
	v_fmac_f64_e32 v[148:149], v[138:139], v[130:131]
	s_wait_loadcnt 0x2
	s_delay_alu instid0(VALU_DEP_1) | instskip(SKIP_4) | instid1(VALU_DEP_1)
	v_fmac_f64_e32 v[148:149], v[140:141], v[132:133]
	ds_load_b128 v[130:133], v2 offset:976
	s_wait_dscnt 0x1
	v_fmac_f64_e32 v[148:149], v[142:143], v[134:135]
	s_wait_loadcnt 0x1
	v_fmac_f64_e32 v[148:149], v[144:145], v[136:137]
	s_wait_dscnt 0x0
	s_delay_alu instid0(VALU_DEP_1) | instskip(SKIP_1) | instid1(VALU_DEP_1)
	v_fmac_f64_e32 v[148:149], v[146:147], v[130:131]
	s_wait_loadcnt 0x0
	v_fmac_f64_e32 v[148:149], v[156:157], v[132:133]
	s_delay_alu instid0(VALU_DEP_1)
	v_add_f64_e64 v[2:3], v[128:129], -v[148:149]
	scratch_store_b64 off, v[2:3], off offset:408
	s_wait_xcnt 0x0
	v_cmpx_lt_u32_e32 50, v0
	s_cbranch_execz .LBB125_281
; %bb.280:
	scratch_load_b64 v[2:3], off, off offset:400
	v_mov_b64_e32 v[128:129], 0
	scratch_store_b64 off, v[128:129], off offset:400
	s_wait_loadcnt 0x0
	ds_store_b64 v1, v[2:3]
.LBB125_281:
	s_wait_xcnt 0x0
	s_or_b32 exec_lo, exec_lo, s0
	s_wait_storecnt_dscnt 0x0
	s_barrier_signal -1
	s_barrier_wait -1
	s_clause 0x5
	scratch_load_b128 v[128:131], off, off offset:400
	scratch_load_b128 v[132:135], off, off offset:416
	scratch_load_b128 v[136:139], off, off offset:432
	scratch_load_b128 v[140:143], off, off offset:448
	scratch_load_b128 v[144:147], off, off offset:464
	scratch_load_b128 v[148:151], off, off offset:480
	v_mov_b32_e32 v2, 0
	ds_load_2addr_b64 v[152:155], v2 offset0:113 offset1:114
	ds_load_2addr_b64 v[156:159], v2 offset0:115 offset1:116
	s_mov_b32 s0, exec_lo
	s_wait_loadcnt_dscnt 0x501
	v_fma_f64 v[152:153], v[130:131], v[152:153], 0
	s_wait_loadcnt 0x4
	s_delay_alu instid0(VALU_DEP_1) | instskip(SKIP_1) | instid1(VALU_DEP_1)
	v_fmac_f64_e32 v[152:153], v[132:133], v[154:155]
	s_wait_dscnt 0x0
	v_fmac_f64_e32 v[152:153], v[134:135], v[156:157]
	s_wait_loadcnt 0x3
	s_delay_alu instid0(VALU_DEP_1)
	v_fmac_f64_e32 v[152:153], v[136:137], v[158:159]
	ds_load_2addr_b64 v[130:133], v2 offset0:117 offset1:118
	ds_load_2addr_b64 v[134:137], v2 offset0:119 offset1:120
	s_wait_dscnt 0x1
	v_fmac_f64_e32 v[152:153], v[138:139], v[130:131]
	s_wait_loadcnt 0x2
	s_delay_alu instid0(VALU_DEP_1) | instskip(SKIP_1) | instid1(VALU_DEP_1)
	v_fmac_f64_e32 v[152:153], v[140:141], v[132:133]
	s_wait_dscnt 0x0
	v_fmac_f64_e32 v[152:153], v[142:143], v[134:135]
	ds_load_2addr_b64 v[130:133], v2 offset0:121 offset1:122
	ds_load_b64 v[134:135], v2 offset:984
	s_wait_loadcnt 0x1
	v_fmac_f64_e32 v[152:153], v[144:145], v[136:137]
	s_wait_dscnt 0x1
	s_delay_alu instid0(VALU_DEP_1) | instskip(SKIP_1) | instid1(VALU_DEP_1)
	v_fmac_f64_e32 v[152:153], v[146:147], v[130:131]
	s_wait_loadcnt 0x0
	v_fmac_f64_e32 v[152:153], v[148:149], v[132:133]
	s_wait_dscnt 0x0
	s_delay_alu instid0(VALU_DEP_1) | instskip(NEXT) | instid1(VALU_DEP_1)
	v_fmac_f64_e32 v[152:153], v[150:151], v[134:135]
	v_add_f64_e64 v[128:129], v[128:129], -v[152:153]
	scratch_store_b64 off, v[128:129], off offset:400
	s_wait_xcnt 0x0
	v_cmpx_lt_u32_e32 49, v0
	s_cbranch_execz .LBB125_283
; %bb.282:
	scratch_load_b64 v[128:129], off, off offset:392
	v_mov_b64_e32 v[130:131], 0
	scratch_store_b64 off, v[130:131], off offset:392
	s_wait_loadcnt 0x0
	ds_store_b64 v1, v[128:129]
.LBB125_283:
	s_wait_xcnt 0x0
	s_or_b32 exec_lo, exec_lo, s0
	s_wait_storecnt_dscnt 0x0
	s_barrier_signal -1
	s_barrier_wait -1
	s_clause 0x5
	scratch_load_b128 v[128:131], off, off offset:392
	scratch_load_b128 v[132:135], off, off offset:408
	;; [unrolled: 1-line block ×6, first 2 shown]
	ds_load_b128 v[152:155], v2 offset:896
	ds_load_b128 v[156:159], v2 offset:912
	s_mov_b32 s0, exec_lo
	s_wait_loadcnt_dscnt 0x501
	v_fma_f64 v[152:153], v[130:131], v[152:153], 0
	s_wait_loadcnt 0x4
	s_delay_alu instid0(VALU_DEP_1) | instskip(SKIP_4) | instid1(VALU_DEP_1)
	v_fmac_f64_e32 v[152:153], v[132:133], v[154:155]
	scratch_load_b64 v[154:155], off, off offset:488
	s_wait_dscnt 0x0
	v_fmac_f64_e32 v[152:153], v[134:135], v[156:157]
	s_wait_loadcnt 0x4
	v_fmac_f64_e32 v[152:153], v[136:137], v[158:159]
	ds_load_b128 v[130:133], v2 offset:928
	ds_load_b128 v[134:137], v2 offset:944
	s_wait_dscnt 0x1
	v_fmac_f64_e32 v[152:153], v[138:139], v[130:131]
	s_wait_loadcnt 0x3
	s_delay_alu instid0(VALU_DEP_1) | instskip(SKIP_1) | instid1(VALU_DEP_1)
	v_fmac_f64_e32 v[152:153], v[140:141], v[132:133]
	s_wait_dscnt 0x0
	v_fmac_f64_e32 v[152:153], v[142:143], v[134:135]
	s_wait_loadcnt 0x2
	s_delay_alu instid0(VALU_DEP_1)
	v_fmac_f64_e32 v[152:153], v[144:145], v[136:137]
	ds_load_b128 v[130:133], v2 offset:960
	ds_load_b128 v[134:137], v2 offset:976
	s_wait_dscnt 0x1
	v_fmac_f64_e32 v[152:153], v[146:147], v[130:131]
	s_wait_loadcnt 0x1
	s_delay_alu instid0(VALU_DEP_1) | instskip(SKIP_1) | instid1(VALU_DEP_1)
	v_fmac_f64_e32 v[152:153], v[148:149], v[132:133]
	s_wait_dscnt 0x0
	v_fmac_f64_e32 v[152:153], v[150:151], v[134:135]
	s_wait_loadcnt 0x0
	s_delay_alu instid0(VALU_DEP_1) | instskip(NEXT) | instid1(VALU_DEP_1)
	v_fmac_f64_e32 v[152:153], v[154:155], v[136:137]
	v_add_f64_e64 v[2:3], v[128:129], -v[152:153]
	scratch_store_b64 off, v[2:3], off offset:392
	s_wait_xcnt 0x0
	v_cmpx_lt_u32_e32 48, v0
	s_cbranch_execz .LBB125_285
; %bb.284:
	scratch_load_b64 v[2:3], off, off offset:384
	v_mov_b64_e32 v[128:129], 0
	scratch_store_b64 off, v[128:129], off offset:384
	s_wait_loadcnt 0x0
	ds_store_b64 v1, v[2:3]
.LBB125_285:
	s_wait_xcnt 0x0
	s_or_b32 exec_lo, exec_lo, s0
	s_wait_storecnt_dscnt 0x0
	s_barrier_signal -1
	s_barrier_wait -1
	s_clause 0x5
	scratch_load_b128 v[128:131], off, off offset:384
	scratch_load_b128 v[132:135], off, off offset:400
	;; [unrolled: 1-line block ×6, first 2 shown]
	v_mov_b32_e32 v2, 0
	ds_load_2addr_b64 v[152:155], v2 offset0:111 offset1:112
	ds_load_2addr_b64 v[156:159], v2 offset0:113 offset1:114
	s_mov_b32 s0, exec_lo
	s_wait_loadcnt_dscnt 0x501
	v_fma_f64 v[160:161], v[130:131], v[152:153], 0
	s_wait_loadcnt 0x4
	s_delay_alu instid0(VALU_DEP_1) | instskip(SKIP_4) | instid1(VALU_DEP_1)
	v_fmac_f64_e32 v[160:161], v[132:133], v[154:155]
	scratch_load_b128 v[130:133], off, off offset:480
	s_wait_dscnt 0x0
	v_fmac_f64_e32 v[160:161], v[134:135], v[156:157]
	s_wait_loadcnt 0x4
	v_fmac_f64_e32 v[160:161], v[136:137], v[158:159]
	ds_load_2addr_b64 v[134:137], v2 offset0:115 offset1:116
	ds_load_2addr_b64 v[152:155], v2 offset0:117 offset1:118
	s_wait_dscnt 0x1
	v_fmac_f64_e32 v[160:161], v[138:139], v[134:135]
	s_wait_loadcnt 0x3
	s_delay_alu instid0(VALU_DEP_1)
	v_fmac_f64_e32 v[160:161], v[140:141], v[136:137]
	ds_load_2addr_b64 v[134:137], v2 offset0:119 offset1:120
	ds_load_2addr_b64 v[138:141], v2 offset0:121 offset1:122
	s_wait_dscnt 0x2
	v_fmac_f64_e32 v[160:161], v[142:143], v[152:153]
	s_wait_loadcnt 0x2
	s_delay_alu instid0(VALU_DEP_1) | instskip(SKIP_1) | instid1(VALU_DEP_1)
	v_fmac_f64_e32 v[160:161], v[144:145], v[154:155]
	s_wait_dscnt 0x1
	v_fmac_f64_e32 v[160:161], v[146:147], v[134:135]
	s_wait_loadcnt 0x1
	s_delay_alu instid0(VALU_DEP_1) | instskip(SKIP_1) | instid1(VALU_DEP_1)
	v_fmac_f64_e32 v[160:161], v[148:149], v[136:137]
	s_wait_dscnt 0x0
	v_fmac_f64_e32 v[160:161], v[150:151], v[138:139]
	s_wait_loadcnt 0x0
	s_delay_alu instid0(VALU_DEP_1) | instskip(SKIP_3) | instid1(VALU_DEP_1)
	v_fmac_f64_e32 v[160:161], v[130:131], v[140:141]
	ds_load_b64 v[130:131], v2 offset:984
	s_wait_dscnt 0x0
	v_fmac_f64_e32 v[160:161], v[132:133], v[130:131]
	v_add_f64_e64 v[128:129], v[128:129], -v[160:161]
	scratch_store_b64 off, v[128:129], off offset:384
	s_wait_xcnt 0x0
	v_cmpx_lt_u32_e32 47, v0
	s_cbranch_execz .LBB125_287
; %bb.286:
	scratch_load_b64 v[128:129], off, off offset:376
	v_mov_b64_e32 v[130:131], 0
	scratch_store_b64 off, v[130:131], off offset:376
	s_wait_loadcnt 0x0
	ds_store_b64 v1, v[128:129]
.LBB125_287:
	s_wait_xcnt 0x0
	s_or_b32 exec_lo, exec_lo, s0
	s_wait_storecnt_dscnt 0x0
	s_barrier_signal -1
	s_barrier_wait -1
	s_clause 0x5
	scratch_load_b128 v[128:131], off, off offset:376
	scratch_load_b128 v[132:135], off, off offset:392
	scratch_load_b128 v[136:139], off, off offset:408
	scratch_load_b128 v[140:143], off, off offset:424
	scratch_load_b128 v[144:147], off, off offset:440
	scratch_load_b128 v[148:151], off, off offset:456
	ds_load_b128 v[152:155], v2 offset:880
	ds_load_b128 v[156:159], v2 offset:896
	s_mov_b32 s0, exec_lo
	s_wait_loadcnt_dscnt 0x501
	v_fma_f64 v[160:161], v[130:131], v[152:153], 0
	s_wait_loadcnt 0x4
	s_delay_alu instid0(VALU_DEP_1)
	v_fmac_f64_e32 v[160:161], v[132:133], v[154:155]
	scratch_load_b128 v[130:133], off, off offset:472
	s_wait_dscnt 0x0
	v_fmac_f64_e32 v[160:161], v[134:135], v[156:157]
	scratch_load_b64 v[156:157], off, off offset:488
	s_wait_loadcnt 0x5
	v_fmac_f64_e32 v[160:161], v[136:137], v[158:159]
	ds_load_b128 v[134:137], v2 offset:912
	ds_load_b128 v[152:155], v2 offset:928
	s_wait_dscnt 0x1
	v_fmac_f64_e32 v[160:161], v[138:139], v[134:135]
	s_wait_loadcnt 0x4
	s_delay_alu instid0(VALU_DEP_1)
	v_fmac_f64_e32 v[160:161], v[140:141], v[136:137]
	ds_load_b128 v[134:137], v2 offset:944
	ds_load_b128 v[138:141], v2 offset:960
	s_wait_dscnt 0x2
	v_fmac_f64_e32 v[160:161], v[142:143], v[152:153]
	s_wait_loadcnt 0x3
	s_delay_alu instid0(VALU_DEP_1) | instskip(SKIP_1) | instid1(VALU_DEP_1)
	v_fmac_f64_e32 v[160:161], v[144:145], v[154:155]
	s_wait_dscnt 0x1
	v_fmac_f64_e32 v[160:161], v[146:147], v[134:135]
	s_wait_loadcnt 0x2
	s_delay_alu instid0(VALU_DEP_1) | instskip(SKIP_4) | instid1(VALU_DEP_1)
	v_fmac_f64_e32 v[160:161], v[148:149], v[136:137]
	ds_load_b128 v[134:137], v2 offset:976
	s_wait_dscnt 0x1
	v_fmac_f64_e32 v[160:161], v[150:151], v[138:139]
	s_wait_loadcnt 0x1
	v_fmac_f64_e32 v[160:161], v[130:131], v[140:141]
	s_wait_dscnt 0x0
	s_delay_alu instid0(VALU_DEP_1) | instskip(SKIP_1) | instid1(VALU_DEP_1)
	v_fmac_f64_e32 v[160:161], v[132:133], v[134:135]
	s_wait_loadcnt 0x0
	v_fmac_f64_e32 v[160:161], v[156:157], v[136:137]
	s_delay_alu instid0(VALU_DEP_1)
	v_add_f64_e64 v[2:3], v[128:129], -v[160:161]
	scratch_store_b64 off, v[2:3], off offset:376
	s_wait_xcnt 0x0
	v_cmpx_lt_u32_e32 46, v0
	s_cbranch_execz .LBB125_289
; %bb.288:
	scratch_load_b64 v[2:3], off, off offset:368
	v_mov_b64_e32 v[128:129], 0
	scratch_store_b64 off, v[128:129], off offset:368
	s_wait_loadcnt 0x0
	ds_store_b64 v1, v[2:3]
.LBB125_289:
	s_wait_xcnt 0x0
	s_or_b32 exec_lo, exec_lo, s0
	s_wait_storecnt_dscnt 0x0
	s_barrier_signal -1
	s_barrier_wait -1
	s_clause 0x5
	scratch_load_b128 v[128:131], off, off offset:368
	scratch_load_b128 v[132:135], off, off offset:384
	;; [unrolled: 1-line block ×6, first 2 shown]
	v_mov_b32_e32 v2, 0
	ds_load_2addr_b64 v[152:155], v2 offset0:109 offset1:110
	ds_load_2addr_b64 v[156:159], v2 offset0:111 offset1:112
	s_mov_b32 s0, exec_lo
	s_wait_loadcnt_dscnt 0x501
	v_fma_f64 v[160:161], v[130:131], v[152:153], 0
	s_wait_loadcnt 0x4
	s_delay_alu instid0(VALU_DEP_1) | instskip(SKIP_4) | instid1(VALU_DEP_1)
	v_fmac_f64_e32 v[160:161], v[132:133], v[154:155]
	scratch_load_b128 v[130:133], off, off offset:464
	s_wait_dscnt 0x0
	v_fmac_f64_e32 v[160:161], v[134:135], v[156:157]
	s_wait_loadcnt 0x4
	v_fmac_f64_e32 v[160:161], v[136:137], v[158:159]
	scratch_load_b128 v[134:137], off, off offset:480
	ds_load_2addr_b64 v[152:155], v2 offset0:113 offset1:114
	ds_load_2addr_b64 v[156:159], v2 offset0:115 offset1:116
	s_wait_dscnt 0x1
	v_fmac_f64_e32 v[160:161], v[138:139], v[152:153]
	s_wait_loadcnt 0x4
	s_delay_alu instid0(VALU_DEP_1) | instskip(SKIP_1) | instid1(VALU_DEP_1)
	v_fmac_f64_e32 v[160:161], v[140:141], v[154:155]
	s_wait_dscnt 0x0
	v_fmac_f64_e32 v[160:161], v[142:143], v[156:157]
	s_wait_loadcnt 0x3
	s_delay_alu instid0(VALU_DEP_1)
	v_fmac_f64_e32 v[160:161], v[144:145], v[158:159]
	ds_load_2addr_b64 v[138:141], v2 offset0:117 offset1:118
	ds_load_2addr_b64 v[142:145], v2 offset0:119 offset1:120
	s_wait_dscnt 0x1
	v_fmac_f64_e32 v[160:161], v[146:147], v[138:139]
	s_wait_loadcnt 0x2
	s_delay_alu instid0(VALU_DEP_1) | instskip(SKIP_1) | instid1(VALU_DEP_1)
	v_fmac_f64_e32 v[160:161], v[148:149], v[140:141]
	s_wait_dscnt 0x0
	v_fmac_f64_e32 v[160:161], v[150:151], v[142:143]
	s_wait_loadcnt 0x1
	s_delay_alu instid0(VALU_DEP_1)
	v_fmac_f64_e32 v[160:161], v[130:131], v[144:145]
	ds_load_2addr_b64 v[138:141], v2 offset0:121 offset1:122
	ds_load_b64 v[130:131], v2 offset:984
	s_wait_dscnt 0x1
	v_fmac_f64_e32 v[160:161], v[132:133], v[138:139]
	s_wait_loadcnt 0x0
	s_delay_alu instid0(VALU_DEP_1) | instskip(SKIP_1) | instid1(VALU_DEP_1)
	v_fmac_f64_e32 v[160:161], v[134:135], v[140:141]
	s_wait_dscnt 0x0
	v_fmac_f64_e32 v[160:161], v[136:137], v[130:131]
	s_delay_alu instid0(VALU_DEP_1)
	v_add_f64_e64 v[128:129], v[128:129], -v[160:161]
	scratch_store_b64 off, v[128:129], off offset:368
	s_wait_xcnt 0x0
	v_cmpx_lt_u32_e32 45, v0
	s_cbranch_execz .LBB125_291
; %bb.290:
	scratch_load_b64 v[128:129], off, off offset:360
	v_mov_b64_e32 v[130:131], 0
	scratch_store_b64 off, v[130:131], off offset:360
	s_wait_loadcnt 0x0
	ds_store_b64 v1, v[128:129]
.LBB125_291:
	s_wait_xcnt 0x0
	s_or_b32 exec_lo, exec_lo, s0
	s_wait_storecnt_dscnt 0x0
	s_barrier_signal -1
	s_barrier_wait -1
	s_clause 0x5
	scratch_load_b128 v[128:131], off, off offset:360
	scratch_load_b128 v[132:135], off, off offset:376
	;; [unrolled: 1-line block ×6, first 2 shown]
	ds_load_b128 v[152:155], v2 offset:864
	ds_load_b128 v[156:159], v2 offset:880
	s_mov_b32 s0, exec_lo
	s_wait_loadcnt_dscnt 0x501
	v_fma_f64 v[160:161], v[130:131], v[152:153], 0
	s_wait_loadcnt 0x4
	s_delay_alu instid0(VALU_DEP_1) | instskip(SKIP_4) | instid1(VALU_DEP_1)
	v_fmac_f64_e32 v[160:161], v[132:133], v[154:155]
	scratch_load_b128 v[130:133], off, off offset:456
	s_wait_dscnt 0x0
	v_fmac_f64_e32 v[160:161], v[134:135], v[156:157]
	s_wait_loadcnt 0x4
	v_fmac_f64_e32 v[160:161], v[136:137], v[158:159]
	scratch_load_b128 v[134:137], off, off offset:472
	ds_load_b128 v[152:155], v2 offset:896
	ds_load_b128 v[156:159], v2 offset:912
	s_wait_dscnt 0x1
	v_fmac_f64_e32 v[160:161], v[138:139], v[152:153]
	scratch_load_b64 v[152:153], off, off offset:488
	s_wait_loadcnt 0x5
	v_fmac_f64_e32 v[160:161], v[140:141], v[154:155]
	s_wait_dscnt 0x0
	s_delay_alu instid0(VALU_DEP_1) | instskip(SKIP_1) | instid1(VALU_DEP_1)
	v_fmac_f64_e32 v[160:161], v[142:143], v[156:157]
	s_wait_loadcnt 0x4
	v_fmac_f64_e32 v[160:161], v[144:145], v[158:159]
	ds_load_b128 v[138:141], v2 offset:928
	ds_load_b128 v[142:145], v2 offset:944
	s_wait_dscnt 0x1
	v_fmac_f64_e32 v[160:161], v[146:147], v[138:139]
	s_wait_loadcnt 0x3
	s_delay_alu instid0(VALU_DEP_1) | instskip(SKIP_1) | instid1(VALU_DEP_1)
	v_fmac_f64_e32 v[160:161], v[148:149], v[140:141]
	s_wait_dscnt 0x0
	v_fmac_f64_e32 v[160:161], v[150:151], v[142:143]
	s_wait_loadcnt 0x2
	s_delay_alu instid0(VALU_DEP_1)
	v_fmac_f64_e32 v[160:161], v[130:131], v[144:145]
	ds_load_b128 v[138:141], v2 offset:960
	ds_load_b128 v[142:145], v2 offset:976
	s_wait_dscnt 0x1
	v_fmac_f64_e32 v[160:161], v[132:133], v[138:139]
	s_wait_loadcnt 0x1
	s_delay_alu instid0(VALU_DEP_1) | instskip(SKIP_1) | instid1(VALU_DEP_1)
	v_fmac_f64_e32 v[160:161], v[134:135], v[140:141]
	s_wait_dscnt 0x0
	v_fmac_f64_e32 v[160:161], v[136:137], v[142:143]
	s_wait_loadcnt 0x0
	s_delay_alu instid0(VALU_DEP_1) | instskip(NEXT) | instid1(VALU_DEP_1)
	v_fmac_f64_e32 v[160:161], v[152:153], v[144:145]
	v_add_f64_e64 v[2:3], v[128:129], -v[160:161]
	scratch_store_b64 off, v[2:3], off offset:360
	s_wait_xcnt 0x0
	v_cmpx_lt_u32_e32 44, v0
	s_cbranch_execz .LBB125_293
; %bb.292:
	scratch_load_b64 v[2:3], off, off offset:352
	v_mov_b64_e32 v[128:129], 0
	scratch_store_b64 off, v[128:129], off offset:352
	s_wait_loadcnt 0x0
	ds_store_b64 v1, v[2:3]
.LBB125_293:
	s_wait_xcnt 0x0
	s_or_b32 exec_lo, exec_lo, s0
	s_wait_storecnt_dscnt 0x0
	s_barrier_signal -1
	s_barrier_wait -1
	s_clause 0x5
	scratch_load_b128 v[128:131], off, off offset:352
	scratch_load_b128 v[132:135], off, off offset:368
	;; [unrolled: 1-line block ×6, first 2 shown]
	v_mov_b32_e32 v2, 0
	ds_load_2addr_b64 v[152:155], v2 offset0:107 offset1:108
	ds_load_2addr_b64 v[156:159], v2 offset0:109 offset1:110
	s_mov_b32 s0, exec_lo
	s_wait_loadcnt_dscnt 0x501
	v_fma_f64 v[160:161], v[130:131], v[152:153], 0
	s_wait_loadcnt 0x4
	s_delay_alu instid0(VALU_DEP_1) | instskip(SKIP_4) | instid1(VALU_DEP_1)
	v_fmac_f64_e32 v[160:161], v[132:133], v[154:155]
	scratch_load_b128 v[130:133], off, off offset:448
	s_wait_dscnt 0x0
	v_fmac_f64_e32 v[160:161], v[134:135], v[156:157]
	s_wait_loadcnt 0x4
	v_fmac_f64_e32 v[160:161], v[136:137], v[158:159]
	scratch_load_b128 v[134:137], off, off offset:464
	ds_load_2addr_b64 v[152:155], v2 offset0:111 offset1:112
	ds_load_2addr_b64 v[156:159], v2 offset0:113 offset1:114
	s_wait_dscnt 0x1
	v_fmac_f64_e32 v[160:161], v[138:139], v[152:153]
	s_wait_loadcnt 0x4
	s_delay_alu instid0(VALU_DEP_1) | instskip(SKIP_4) | instid1(VALU_DEP_1)
	v_fmac_f64_e32 v[160:161], v[140:141], v[154:155]
	scratch_load_b128 v[138:141], off, off offset:480
	s_wait_dscnt 0x0
	v_fmac_f64_e32 v[160:161], v[142:143], v[156:157]
	s_wait_loadcnt 0x4
	v_fmac_f64_e32 v[160:161], v[144:145], v[158:159]
	ds_load_2addr_b64 v[142:145], v2 offset0:115 offset1:116
	ds_load_2addr_b64 v[152:155], v2 offset0:117 offset1:118
	s_wait_dscnt 0x1
	v_fmac_f64_e32 v[160:161], v[146:147], v[142:143]
	s_wait_loadcnt 0x3
	s_delay_alu instid0(VALU_DEP_1)
	v_fmac_f64_e32 v[160:161], v[148:149], v[144:145]
	ds_load_2addr_b64 v[142:145], v2 offset0:119 offset1:120
	ds_load_2addr_b64 v[146:149], v2 offset0:121 offset1:122
	s_wait_dscnt 0x2
	v_fmac_f64_e32 v[160:161], v[150:151], v[152:153]
	s_wait_loadcnt 0x2
	s_delay_alu instid0(VALU_DEP_1) | instskip(SKIP_4) | instid1(VALU_DEP_1)
	v_fmac_f64_e32 v[160:161], v[130:131], v[154:155]
	ds_load_b64 v[130:131], v2 offset:984
	s_wait_dscnt 0x2
	v_fmac_f64_e32 v[160:161], v[132:133], v[142:143]
	s_wait_loadcnt 0x1
	v_fmac_f64_e32 v[160:161], v[134:135], v[144:145]
	s_wait_dscnt 0x1
	s_delay_alu instid0(VALU_DEP_1) | instskip(SKIP_1) | instid1(VALU_DEP_1)
	v_fmac_f64_e32 v[160:161], v[136:137], v[146:147]
	s_wait_loadcnt 0x0
	v_fmac_f64_e32 v[160:161], v[138:139], v[148:149]
	s_wait_dscnt 0x0
	s_delay_alu instid0(VALU_DEP_1) | instskip(NEXT) | instid1(VALU_DEP_1)
	v_fmac_f64_e32 v[160:161], v[140:141], v[130:131]
	v_add_f64_e64 v[128:129], v[128:129], -v[160:161]
	scratch_store_b64 off, v[128:129], off offset:352
	s_wait_xcnt 0x0
	v_cmpx_lt_u32_e32 43, v0
	s_cbranch_execz .LBB125_295
; %bb.294:
	scratch_load_b64 v[128:129], off, off offset:344
	v_mov_b64_e32 v[130:131], 0
	scratch_store_b64 off, v[130:131], off offset:344
	s_wait_loadcnt 0x0
	ds_store_b64 v1, v[128:129]
.LBB125_295:
	s_wait_xcnt 0x0
	s_or_b32 exec_lo, exec_lo, s0
	s_wait_storecnt_dscnt 0x0
	s_barrier_signal -1
	s_barrier_wait -1
	s_clause 0x5
	scratch_load_b128 v[128:131], off, off offset:344
	scratch_load_b128 v[132:135], off, off offset:360
	;; [unrolled: 1-line block ×6, first 2 shown]
	ds_load_b128 v[152:155], v2 offset:848
	ds_load_b128 v[156:159], v2 offset:864
	s_mov_b32 s0, exec_lo
	s_wait_loadcnt_dscnt 0x501
	v_fma_f64 v[160:161], v[130:131], v[152:153], 0
	s_wait_loadcnt 0x4
	s_delay_alu instid0(VALU_DEP_1) | instskip(SKIP_4) | instid1(VALU_DEP_1)
	v_fmac_f64_e32 v[160:161], v[132:133], v[154:155]
	scratch_load_b128 v[130:133], off, off offset:440
	s_wait_dscnt 0x0
	v_fmac_f64_e32 v[160:161], v[134:135], v[156:157]
	s_wait_loadcnt 0x4
	v_fmac_f64_e32 v[160:161], v[136:137], v[158:159]
	scratch_load_b128 v[134:137], off, off offset:456
	ds_load_b128 v[152:155], v2 offset:880
	ds_load_b128 v[156:159], v2 offset:896
	s_wait_dscnt 0x1
	v_fmac_f64_e32 v[160:161], v[138:139], v[152:153]
	s_wait_loadcnt 0x4
	s_delay_alu instid0(VALU_DEP_1)
	v_fmac_f64_e32 v[160:161], v[140:141], v[154:155]
	scratch_load_b128 v[138:141], off, off offset:472
	s_wait_dscnt 0x0
	v_fmac_f64_e32 v[160:161], v[142:143], v[156:157]
	scratch_load_b64 v[156:157], off, off offset:488
	s_wait_loadcnt 0x5
	v_fmac_f64_e32 v[160:161], v[144:145], v[158:159]
	ds_load_b128 v[142:145], v2 offset:912
	ds_load_b128 v[152:155], v2 offset:928
	s_wait_dscnt 0x1
	v_fmac_f64_e32 v[160:161], v[146:147], v[142:143]
	s_wait_loadcnt 0x4
	s_delay_alu instid0(VALU_DEP_1)
	v_fmac_f64_e32 v[160:161], v[148:149], v[144:145]
	ds_load_b128 v[142:145], v2 offset:944
	ds_load_b128 v[146:149], v2 offset:960
	s_wait_dscnt 0x2
	v_fmac_f64_e32 v[160:161], v[150:151], v[152:153]
	s_wait_loadcnt 0x3
	s_delay_alu instid0(VALU_DEP_1) | instskip(SKIP_1) | instid1(VALU_DEP_1)
	v_fmac_f64_e32 v[160:161], v[130:131], v[154:155]
	s_wait_dscnt 0x1
	v_fmac_f64_e32 v[160:161], v[132:133], v[142:143]
	ds_load_b128 v[130:133], v2 offset:976
	s_wait_loadcnt 0x2
	v_fmac_f64_e32 v[160:161], v[134:135], v[144:145]
	s_wait_dscnt 0x1
	s_delay_alu instid0(VALU_DEP_1) | instskip(SKIP_1) | instid1(VALU_DEP_1)
	v_fmac_f64_e32 v[160:161], v[136:137], v[146:147]
	s_wait_loadcnt 0x1
	v_fmac_f64_e32 v[160:161], v[138:139], v[148:149]
	s_wait_dscnt 0x0
	s_delay_alu instid0(VALU_DEP_1) | instskip(SKIP_1) | instid1(VALU_DEP_1)
	v_fmac_f64_e32 v[160:161], v[140:141], v[130:131]
	s_wait_loadcnt 0x0
	v_fmac_f64_e32 v[160:161], v[156:157], v[132:133]
	s_delay_alu instid0(VALU_DEP_1)
	v_add_f64_e64 v[2:3], v[128:129], -v[160:161]
	scratch_store_b64 off, v[2:3], off offset:344
	s_wait_xcnt 0x0
	v_cmpx_lt_u32_e32 42, v0
	s_cbranch_execz .LBB125_297
; %bb.296:
	scratch_load_b64 v[2:3], off, off offset:336
	v_mov_b64_e32 v[128:129], 0
	scratch_store_b64 off, v[128:129], off offset:336
	s_wait_loadcnt 0x0
	ds_store_b64 v1, v[2:3]
.LBB125_297:
	s_wait_xcnt 0x0
	s_or_b32 exec_lo, exec_lo, s0
	s_wait_storecnt_dscnt 0x0
	s_barrier_signal -1
	s_barrier_wait -1
	s_clause 0x5
	scratch_load_b128 v[128:131], off, off offset:336
	scratch_load_b128 v[132:135], off, off offset:352
	;; [unrolled: 1-line block ×6, first 2 shown]
	v_mov_b32_e32 v2, 0
	ds_load_2addr_b64 v[152:155], v2 offset0:105 offset1:106
	ds_load_2addr_b64 v[156:159], v2 offset0:107 offset1:108
	s_mov_b32 s0, exec_lo
	s_wait_loadcnt_dscnt 0x501
	v_fma_f64 v[160:161], v[130:131], v[152:153], 0
	s_wait_loadcnt 0x4
	s_delay_alu instid0(VALU_DEP_1) | instskip(SKIP_4) | instid1(VALU_DEP_1)
	v_fmac_f64_e32 v[160:161], v[132:133], v[154:155]
	scratch_load_b128 v[130:133], off, off offset:432
	s_wait_dscnt 0x0
	v_fmac_f64_e32 v[160:161], v[134:135], v[156:157]
	s_wait_loadcnt 0x4
	v_fmac_f64_e32 v[160:161], v[136:137], v[158:159]
	scratch_load_b128 v[134:137], off, off offset:448
	ds_load_2addr_b64 v[152:155], v2 offset0:109 offset1:110
	ds_load_2addr_b64 v[156:159], v2 offset0:111 offset1:112
	s_wait_dscnt 0x1
	v_fmac_f64_e32 v[160:161], v[138:139], v[152:153]
	s_wait_loadcnt 0x4
	s_delay_alu instid0(VALU_DEP_1) | instskip(SKIP_4) | instid1(VALU_DEP_1)
	v_fmac_f64_e32 v[160:161], v[140:141], v[154:155]
	scratch_load_b128 v[138:141], off, off offset:464
	s_wait_dscnt 0x0
	v_fmac_f64_e32 v[160:161], v[142:143], v[156:157]
	s_wait_loadcnt 0x4
	v_fmac_f64_e32 v[160:161], v[144:145], v[158:159]
	scratch_load_b128 v[142:145], off, off offset:480
	ds_load_2addr_b64 v[152:155], v2 offset0:113 offset1:114
	ds_load_2addr_b64 v[156:159], v2 offset0:115 offset1:116
	s_wait_dscnt 0x1
	v_fmac_f64_e32 v[160:161], v[146:147], v[152:153]
	s_wait_loadcnt 0x4
	s_delay_alu instid0(VALU_DEP_1) | instskip(SKIP_1) | instid1(VALU_DEP_1)
	v_fmac_f64_e32 v[160:161], v[148:149], v[154:155]
	s_wait_dscnt 0x0
	v_fmac_f64_e32 v[160:161], v[150:151], v[156:157]
	ds_load_2addr_b64 v[146:149], v2 offset0:117 offset1:118
	ds_load_2addr_b64 v[150:153], v2 offset0:119 offset1:120
	s_wait_loadcnt 0x3
	v_fmac_f64_e32 v[160:161], v[130:131], v[158:159]
	s_wait_dscnt 0x1
	s_delay_alu instid0(VALU_DEP_1) | instskip(SKIP_1) | instid1(VALU_DEP_1)
	v_fmac_f64_e32 v[160:161], v[132:133], v[146:147]
	s_wait_loadcnt 0x2
	v_fmac_f64_e32 v[160:161], v[134:135], v[148:149]
	ds_load_2addr_b64 v[130:133], v2 offset0:121 offset1:122
	ds_load_b64 v[134:135], v2 offset:984
	s_wait_dscnt 0x2
	v_fmac_f64_e32 v[160:161], v[136:137], v[150:151]
	s_wait_loadcnt 0x1
	s_delay_alu instid0(VALU_DEP_1) | instskip(SKIP_1) | instid1(VALU_DEP_1)
	v_fmac_f64_e32 v[160:161], v[138:139], v[152:153]
	s_wait_dscnt 0x1
	v_fmac_f64_e32 v[160:161], v[140:141], v[130:131]
	s_wait_loadcnt 0x0
	s_delay_alu instid0(VALU_DEP_1) | instskip(SKIP_1) | instid1(VALU_DEP_1)
	v_fmac_f64_e32 v[160:161], v[142:143], v[132:133]
	s_wait_dscnt 0x0
	v_fmac_f64_e32 v[160:161], v[144:145], v[134:135]
	s_delay_alu instid0(VALU_DEP_1)
	v_add_f64_e64 v[128:129], v[128:129], -v[160:161]
	scratch_store_b64 off, v[128:129], off offset:336
	s_wait_xcnt 0x0
	v_cmpx_lt_u32_e32 41, v0
	s_cbranch_execz .LBB125_299
; %bb.298:
	scratch_load_b64 v[128:129], off, off offset:328
	v_mov_b64_e32 v[130:131], 0
	scratch_store_b64 off, v[130:131], off offset:328
	s_wait_loadcnt 0x0
	ds_store_b64 v1, v[128:129]
.LBB125_299:
	s_wait_xcnt 0x0
	s_or_b32 exec_lo, exec_lo, s0
	s_wait_storecnt_dscnt 0x0
	s_barrier_signal -1
	s_barrier_wait -1
	s_clause 0x5
	scratch_load_b128 v[128:131], off, off offset:328
	scratch_load_b128 v[132:135], off, off offset:344
	;; [unrolled: 1-line block ×6, first 2 shown]
	ds_load_b128 v[152:155], v2 offset:832
	ds_load_b128 v[156:159], v2 offset:848
	s_mov_b32 s0, exec_lo
	s_wait_loadcnt_dscnt 0x501
	v_fma_f64 v[160:161], v[130:131], v[152:153], 0
	s_wait_loadcnt 0x4
	s_delay_alu instid0(VALU_DEP_1) | instskip(SKIP_4) | instid1(VALU_DEP_1)
	v_fmac_f64_e32 v[160:161], v[132:133], v[154:155]
	scratch_load_b128 v[130:133], off, off offset:424
	s_wait_dscnt 0x0
	v_fmac_f64_e32 v[160:161], v[134:135], v[156:157]
	s_wait_loadcnt 0x4
	v_fmac_f64_e32 v[160:161], v[136:137], v[158:159]
	scratch_load_b128 v[134:137], off, off offset:440
	ds_load_b128 v[152:155], v2 offset:864
	ds_load_b128 v[156:159], v2 offset:880
	s_wait_dscnt 0x1
	v_fmac_f64_e32 v[160:161], v[138:139], v[152:153]
	s_wait_loadcnt 0x4
	s_delay_alu instid0(VALU_DEP_1) | instskip(SKIP_4) | instid1(VALU_DEP_1)
	v_fmac_f64_e32 v[160:161], v[140:141], v[154:155]
	scratch_load_b128 v[138:141], off, off offset:456
	s_wait_dscnt 0x0
	v_fmac_f64_e32 v[160:161], v[142:143], v[156:157]
	s_wait_loadcnt 0x4
	v_fmac_f64_e32 v[160:161], v[144:145], v[158:159]
	scratch_load_b128 v[142:145], off, off offset:472
	ds_load_b128 v[152:155], v2 offset:896
	ds_load_b128 v[156:159], v2 offset:912
	s_wait_dscnt 0x1
	v_fmac_f64_e32 v[160:161], v[146:147], v[152:153]
	s_wait_loadcnt 0x4
	s_delay_alu instid0(VALU_DEP_1)
	v_fmac_f64_e32 v[160:161], v[148:149], v[154:155]
	scratch_load_b64 v[154:155], off, off offset:488
	s_wait_dscnt 0x0
	v_fmac_f64_e32 v[160:161], v[150:151], v[156:157]
	ds_load_b128 v[146:149], v2 offset:928
	ds_load_b128 v[150:153], v2 offset:944
	s_wait_loadcnt 0x4
	v_fmac_f64_e32 v[160:161], v[130:131], v[158:159]
	s_wait_dscnt 0x1
	s_delay_alu instid0(VALU_DEP_1) | instskip(SKIP_1) | instid1(VALU_DEP_1)
	v_fmac_f64_e32 v[160:161], v[132:133], v[146:147]
	s_wait_loadcnt 0x3
	v_fmac_f64_e32 v[160:161], v[134:135], v[148:149]
	s_wait_dscnt 0x0
	s_delay_alu instid0(VALU_DEP_1)
	v_fmac_f64_e32 v[160:161], v[136:137], v[150:151]
	ds_load_b128 v[130:133], v2 offset:960
	ds_load_b128 v[134:137], v2 offset:976
	s_wait_loadcnt 0x2
	v_fmac_f64_e32 v[160:161], v[138:139], v[152:153]
	s_wait_dscnt 0x1
	s_delay_alu instid0(VALU_DEP_1) | instskip(SKIP_1) | instid1(VALU_DEP_1)
	v_fmac_f64_e32 v[160:161], v[140:141], v[130:131]
	s_wait_loadcnt 0x1
	v_fmac_f64_e32 v[160:161], v[142:143], v[132:133]
	s_wait_dscnt 0x0
	s_delay_alu instid0(VALU_DEP_1) | instskip(SKIP_1) | instid1(VALU_DEP_1)
	v_fmac_f64_e32 v[160:161], v[144:145], v[134:135]
	s_wait_loadcnt 0x0
	v_fmac_f64_e32 v[160:161], v[154:155], v[136:137]
	s_delay_alu instid0(VALU_DEP_1)
	v_add_f64_e64 v[2:3], v[128:129], -v[160:161]
	scratch_store_b64 off, v[2:3], off offset:328
	s_wait_xcnt 0x0
	v_cmpx_lt_u32_e32 40, v0
	s_cbranch_execz .LBB125_301
; %bb.300:
	scratch_load_b64 v[2:3], off, off offset:320
	v_mov_b64_e32 v[128:129], 0
	scratch_store_b64 off, v[128:129], off offset:320
	s_wait_loadcnt 0x0
	ds_store_b64 v1, v[2:3]
.LBB125_301:
	s_wait_xcnt 0x0
	s_or_b32 exec_lo, exec_lo, s0
	s_wait_storecnt_dscnt 0x0
	s_barrier_signal -1
	s_barrier_wait -1
	s_clause 0x5
	scratch_load_b128 v[128:131], off, off offset:320
	scratch_load_b128 v[132:135], off, off offset:336
	;; [unrolled: 1-line block ×6, first 2 shown]
	v_mov_b32_e32 v2, 0
	ds_load_2addr_b64 v[152:155], v2 offset0:103 offset1:104
	ds_load_2addr_b64 v[156:159], v2 offset0:105 offset1:106
	s_mov_b32 s0, exec_lo
	s_wait_loadcnt_dscnt 0x501
	v_fma_f64 v[160:161], v[130:131], v[152:153], 0
	s_wait_loadcnt 0x4
	s_delay_alu instid0(VALU_DEP_1) | instskip(SKIP_4) | instid1(VALU_DEP_1)
	v_fmac_f64_e32 v[160:161], v[132:133], v[154:155]
	scratch_load_b128 v[130:133], off, off offset:416
	s_wait_dscnt 0x0
	v_fmac_f64_e32 v[160:161], v[134:135], v[156:157]
	s_wait_loadcnt 0x4
	v_fmac_f64_e32 v[160:161], v[136:137], v[158:159]
	scratch_load_b128 v[134:137], off, off offset:432
	ds_load_2addr_b64 v[152:155], v2 offset0:107 offset1:108
	ds_load_2addr_b64 v[156:159], v2 offset0:109 offset1:110
	s_wait_dscnt 0x1
	v_fmac_f64_e32 v[160:161], v[138:139], v[152:153]
	s_wait_loadcnt 0x4
	s_delay_alu instid0(VALU_DEP_1) | instskip(SKIP_4) | instid1(VALU_DEP_1)
	v_fmac_f64_e32 v[160:161], v[140:141], v[154:155]
	scratch_load_b128 v[138:141], off, off offset:448
	s_wait_dscnt 0x0
	v_fmac_f64_e32 v[160:161], v[142:143], v[156:157]
	s_wait_loadcnt 0x4
	v_fmac_f64_e32 v[160:161], v[144:145], v[158:159]
	scratch_load_b128 v[142:145], off, off offset:464
	ds_load_2addr_b64 v[152:155], v2 offset0:111 offset1:112
	ds_load_2addr_b64 v[156:159], v2 offset0:113 offset1:114
	s_wait_dscnt 0x1
	v_fmac_f64_e32 v[160:161], v[146:147], v[152:153]
	s_wait_loadcnt 0x4
	s_delay_alu instid0(VALU_DEP_1)
	v_fmac_f64_e32 v[160:161], v[148:149], v[154:155]
	scratch_load_b128 v[146:149], off, off offset:480
	s_wait_dscnt 0x0
	v_fmac_f64_e32 v[160:161], v[150:151], v[156:157]
	ds_load_2addr_b64 v[150:153], v2 offset0:115 offset1:116
	ds_load_2addr_b64 v[154:157], v2 offset0:117 offset1:118
	s_wait_loadcnt 0x4
	v_fmac_f64_e32 v[160:161], v[130:131], v[158:159]
	s_wait_dscnt 0x1
	s_delay_alu instid0(VALU_DEP_1) | instskip(SKIP_1) | instid1(VALU_DEP_1)
	v_fmac_f64_e32 v[160:161], v[132:133], v[150:151]
	s_wait_loadcnt 0x3
	v_fmac_f64_e32 v[160:161], v[134:135], v[152:153]
	s_wait_dscnt 0x0
	s_delay_alu instid0(VALU_DEP_1)
	v_fmac_f64_e32 v[160:161], v[136:137], v[154:155]
	ds_load_2addr_b64 v[130:133], v2 offset0:119 offset1:120
	ds_load_2addr_b64 v[134:137], v2 offset0:121 offset1:122
	s_wait_loadcnt 0x2
	v_fmac_f64_e32 v[160:161], v[138:139], v[156:157]
	s_wait_dscnt 0x1
	s_delay_alu instid0(VALU_DEP_1) | instskip(SKIP_4) | instid1(VALU_DEP_1)
	v_fmac_f64_e32 v[160:161], v[140:141], v[130:131]
	ds_load_b64 v[130:131], v2 offset:984
	s_wait_loadcnt 0x1
	v_fmac_f64_e32 v[160:161], v[142:143], v[132:133]
	s_wait_dscnt 0x1
	v_fmac_f64_e32 v[160:161], v[144:145], v[134:135]
	s_wait_loadcnt 0x0
	s_delay_alu instid0(VALU_DEP_1) | instskip(SKIP_1) | instid1(VALU_DEP_1)
	v_fmac_f64_e32 v[160:161], v[146:147], v[136:137]
	s_wait_dscnt 0x0
	v_fmac_f64_e32 v[160:161], v[148:149], v[130:131]
	s_delay_alu instid0(VALU_DEP_1)
	v_add_f64_e64 v[128:129], v[128:129], -v[160:161]
	scratch_store_b64 off, v[128:129], off offset:320
	s_wait_xcnt 0x0
	v_cmpx_lt_u32_e32 39, v0
	s_cbranch_execz .LBB125_303
; %bb.302:
	scratch_load_b64 v[128:129], off, off offset:312
	v_mov_b64_e32 v[130:131], 0
	scratch_store_b64 off, v[130:131], off offset:312
	s_wait_loadcnt 0x0
	ds_store_b64 v1, v[128:129]
.LBB125_303:
	s_wait_xcnt 0x0
	s_or_b32 exec_lo, exec_lo, s0
	s_wait_storecnt_dscnt 0x0
	s_barrier_signal -1
	s_barrier_wait -1
	s_clause 0x5
	scratch_load_b128 v[128:131], off, off offset:312
	scratch_load_b128 v[132:135], off, off offset:328
	;; [unrolled: 1-line block ×6, first 2 shown]
	ds_load_b128 v[152:155], v2 offset:816
	ds_load_b128 v[156:159], v2 offset:832
	scratch_load_b128 v[160:163], off, off offset:408
	s_mov_b32 s0, exec_lo
	s_wait_loadcnt_dscnt 0x601
	v_fma_f64 v[164:165], v[130:131], v[152:153], 0
	s_wait_loadcnt 0x5
	s_delay_alu instid0(VALU_DEP_1) | instskip(SKIP_4) | instid1(VALU_DEP_1)
	v_fmac_f64_e32 v[164:165], v[132:133], v[154:155]
	scratch_load_b128 v[130:133], off, off offset:424
	s_wait_dscnt 0x0
	v_fmac_f64_e32 v[164:165], v[134:135], v[156:157]
	s_wait_loadcnt 0x5
	v_fmac_f64_e32 v[164:165], v[136:137], v[158:159]
	ds_load_b128 v[134:137], v2 offset:848
	ds_load_b128 v[152:155], v2 offset:864
	s_wait_dscnt 0x1
	v_fmac_f64_e32 v[164:165], v[138:139], v[134:135]
	s_wait_loadcnt 0x4
	s_delay_alu instid0(VALU_DEP_1)
	v_fmac_f64_e32 v[164:165], v[140:141], v[136:137]
	s_clause 0x1
	scratch_load_b128 v[134:137], off, off offset:440
	scratch_load_b128 v[138:141], off, off offset:456
	s_wait_dscnt 0x0
	v_fmac_f64_e32 v[164:165], v[142:143], v[152:153]
	s_wait_loadcnt 0x5
	s_delay_alu instid0(VALU_DEP_1)
	v_fmac_f64_e32 v[164:165], v[144:145], v[154:155]
	ds_load_b128 v[142:145], v2 offset:880
	ds_load_b128 v[152:155], v2 offset:896
	s_wait_dscnt 0x1
	v_fmac_f64_e32 v[164:165], v[146:147], v[142:143]
	s_wait_loadcnt 0x4
	s_delay_alu instid0(VALU_DEP_1) | instskip(SKIP_4) | instid1(VALU_DEP_1)
	v_fmac_f64_e32 v[164:165], v[148:149], v[144:145]
	scratch_load_b128 v[142:145], off, off offset:472
	s_wait_dscnt 0x0
	v_fmac_f64_e32 v[164:165], v[150:151], v[152:153]
	s_wait_loadcnt 0x4
	v_fmac_f64_e32 v[164:165], v[160:161], v[154:155]
	scratch_load_b64 v[154:155], off, off offset:488
	ds_load_b128 v[146:149], v2 offset:912
	ds_load_b128 v[150:153], v2 offset:928
	s_wait_dscnt 0x1
	v_fmac_f64_e32 v[164:165], v[162:163], v[146:147]
	s_wait_loadcnt 0x4
	s_delay_alu instid0(VALU_DEP_1) | instskip(SKIP_1) | instid1(VALU_DEP_1)
	v_fmac_f64_e32 v[164:165], v[130:131], v[148:149]
	s_wait_dscnt 0x0
	v_fmac_f64_e32 v[164:165], v[132:133], v[150:151]
	ds_load_b128 v[130:133], v2 offset:944
	ds_load_b128 v[146:149], v2 offset:960
	s_wait_loadcnt 0x3
	v_fmac_f64_e32 v[164:165], v[134:135], v[152:153]
	s_wait_dscnt 0x1
	s_delay_alu instid0(VALU_DEP_1) | instskip(SKIP_1) | instid1(VALU_DEP_1)
	v_fmac_f64_e32 v[164:165], v[136:137], v[130:131]
	s_wait_loadcnt 0x2
	v_fmac_f64_e32 v[164:165], v[138:139], v[132:133]
	ds_load_b128 v[130:133], v2 offset:976
	s_wait_dscnt 0x1
	v_fmac_f64_e32 v[164:165], v[140:141], v[146:147]
	s_wait_loadcnt 0x1
	s_delay_alu instid0(VALU_DEP_1) | instskip(SKIP_1) | instid1(VALU_DEP_1)
	v_fmac_f64_e32 v[164:165], v[142:143], v[148:149]
	s_wait_dscnt 0x0
	v_fmac_f64_e32 v[164:165], v[144:145], v[130:131]
	s_wait_loadcnt 0x0
	s_delay_alu instid0(VALU_DEP_1) | instskip(NEXT) | instid1(VALU_DEP_1)
	v_fmac_f64_e32 v[164:165], v[154:155], v[132:133]
	v_add_f64_e64 v[2:3], v[128:129], -v[164:165]
	scratch_store_b64 off, v[2:3], off offset:312
	s_wait_xcnt 0x0
	v_cmpx_lt_u32_e32 38, v0
	s_cbranch_execz .LBB125_305
; %bb.304:
	scratch_load_b64 v[2:3], off, off offset:304
	v_mov_b64_e32 v[128:129], 0
	scratch_store_b64 off, v[128:129], off offset:304
	s_wait_loadcnt 0x0
	ds_store_b64 v1, v[2:3]
.LBB125_305:
	s_wait_xcnt 0x0
	s_or_b32 exec_lo, exec_lo, s0
	s_wait_storecnt_dscnt 0x0
	s_barrier_signal -1
	s_barrier_wait -1
	s_clause 0x5
	scratch_load_b128 v[128:131], off, off offset:304
	scratch_load_b128 v[132:135], off, off offset:320
	;; [unrolled: 1-line block ×6, first 2 shown]
	v_mov_b32_e32 v2, 0
	ds_load_2addr_b64 v[152:155], v2 offset0:101 offset1:102
	ds_load_2addr_b64 v[156:159], v2 offset0:103 offset1:104
	scratch_load_b128 v[160:163], off, off offset:400
	s_mov_b32 s0, exec_lo
	s_wait_loadcnt_dscnt 0x601
	v_fma_f64 v[164:165], v[130:131], v[152:153], 0
	s_wait_loadcnt 0x5
	s_delay_alu instid0(VALU_DEP_1) | instskip(SKIP_4) | instid1(VALU_DEP_1)
	v_fmac_f64_e32 v[164:165], v[132:133], v[154:155]
	scratch_load_b128 v[130:133], off, off offset:416
	s_wait_dscnt 0x0
	v_fmac_f64_e32 v[164:165], v[134:135], v[156:157]
	s_wait_loadcnt 0x5
	v_fmac_f64_e32 v[164:165], v[136:137], v[158:159]
	ds_load_2addr_b64 v[134:137], v2 offset0:105 offset1:106
	ds_load_2addr_b64 v[152:155], v2 offset0:107 offset1:108
	s_wait_dscnt 0x1
	v_fmac_f64_e32 v[164:165], v[138:139], v[134:135]
	s_wait_loadcnt 0x4
	s_delay_alu instid0(VALU_DEP_1)
	v_fmac_f64_e32 v[164:165], v[140:141], v[136:137]
	s_clause 0x1
	scratch_load_b128 v[134:137], off, off offset:432
	scratch_load_b128 v[138:141], off, off offset:448
	s_wait_dscnt 0x0
	v_fmac_f64_e32 v[164:165], v[142:143], v[152:153]
	s_wait_loadcnt 0x5
	s_delay_alu instid0(VALU_DEP_1)
	v_fmac_f64_e32 v[164:165], v[144:145], v[154:155]
	ds_load_2addr_b64 v[142:145], v2 offset0:109 offset1:110
	ds_load_2addr_b64 v[152:155], v2 offset0:111 offset1:112
	s_wait_dscnt 0x1
	v_fmac_f64_e32 v[164:165], v[146:147], v[142:143]
	s_wait_loadcnt 0x4
	s_delay_alu instid0(VALU_DEP_1)
	v_fmac_f64_e32 v[164:165], v[148:149], v[144:145]
	s_clause 0x1
	scratch_load_b128 v[142:145], off, off offset:464
	scratch_load_b128 v[146:149], off, off offset:480
	s_wait_dscnt 0x0
	v_fmac_f64_e32 v[164:165], v[150:151], v[152:153]
	s_wait_loadcnt 0x5
	s_delay_alu instid0(VALU_DEP_1)
	v_fmac_f64_e32 v[164:165], v[160:161], v[154:155]
	ds_load_2addr_b64 v[150:153], v2 offset0:113 offset1:114
	ds_load_2addr_b64 v[154:157], v2 offset0:115 offset1:116
	s_wait_dscnt 0x1
	v_fmac_f64_e32 v[164:165], v[162:163], v[150:151]
	s_wait_loadcnt 0x4
	s_delay_alu instid0(VALU_DEP_1) | instskip(SKIP_1) | instid1(VALU_DEP_1)
	v_fmac_f64_e32 v[164:165], v[130:131], v[152:153]
	s_wait_dscnt 0x0
	v_fmac_f64_e32 v[164:165], v[132:133], v[154:155]
	ds_load_2addr_b64 v[130:133], v2 offset0:117 offset1:118
	ds_load_2addr_b64 v[150:153], v2 offset0:119 offset1:120
	s_wait_loadcnt 0x3
	v_fmac_f64_e32 v[164:165], v[134:135], v[156:157]
	s_wait_dscnt 0x1
	s_delay_alu instid0(VALU_DEP_1) | instskip(SKIP_1) | instid1(VALU_DEP_1)
	v_fmac_f64_e32 v[164:165], v[136:137], v[130:131]
	s_wait_loadcnt 0x2
	v_fmac_f64_e32 v[164:165], v[138:139], v[132:133]
	ds_load_2addr_b64 v[130:133], v2 offset0:121 offset1:122
	ds_load_b64 v[134:135], v2 offset:984
	s_wait_dscnt 0x2
	v_fmac_f64_e32 v[164:165], v[140:141], v[150:151]
	s_wait_loadcnt 0x1
	s_delay_alu instid0(VALU_DEP_1) | instskip(SKIP_1) | instid1(VALU_DEP_1)
	v_fmac_f64_e32 v[164:165], v[142:143], v[152:153]
	s_wait_dscnt 0x1
	v_fmac_f64_e32 v[164:165], v[144:145], v[130:131]
	s_wait_loadcnt 0x0
	s_delay_alu instid0(VALU_DEP_1) | instskip(SKIP_1) | instid1(VALU_DEP_1)
	v_fmac_f64_e32 v[164:165], v[146:147], v[132:133]
	s_wait_dscnt 0x0
	v_fmac_f64_e32 v[164:165], v[148:149], v[134:135]
	s_delay_alu instid0(VALU_DEP_1)
	v_add_f64_e64 v[128:129], v[128:129], -v[164:165]
	scratch_store_b64 off, v[128:129], off offset:304
	s_wait_xcnt 0x0
	v_cmpx_lt_u32_e32 37, v0
	s_cbranch_execz .LBB125_307
; %bb.306:
	scratch_load_b64 v[128:129], off, off offset:296
	v_mov_b64_e32 v[130:131], 0
	scratch_store_b64 off, v[130:131], off offset:296
	s_wait_loadcnt 0x0
	ds_store_b64 v1, v[128:129]
.LBB125_307:
	s_wait_xcnt 0x0
	s_or_b32 exec_lo, exec_lo, s0
	s_wait_storecnt_dscnt 0x0
	s_barrier_signal -1
	s_barrier_wait -1
	s_clause 0x5
	scratch_load_b128 v[128:131], off, off offset:296
	scratch_load_b128 v[132:135], off, off offset:312
	;; [unrolled: 1-line block ×6, first 2 shown]
	ds_load_b128 v[152:155], v2 offset:800
	ds_load_b128 v[156:159], v2 offset:816
	scratch_load_b128 v[160:163], off, off offset:392
	s_mov_b32 s0, exec_lo
	s_wait_loadcnt_dscnt 0x601
	v_fma_f64 v[164:165], v[130:131], v[152:153], 0
	s_wait_loadcnt 0x5
	s_delay_alu instid0(VALU_DEP_1) | instskip(SKIP_4) | instid1(VALU_DEP_1)
	v_fmac_f64_e32 v[164:165], v[132:133], v[154:155]
	scratch_load_b128 v[130:133], off, off offset:408
	s_wait_dscnt 0x0
	v_fmac_f64_e32 v[164:165], v[134:135], v[156:157]
	s_wait_loadcnt 0x5
	v_fmac_f64_e32 v[164:165], v[136:137], v[158:159]
	ds_load_b128 v[134:137], v2 offset:832
	ds_load_b128 v[152:155], v2 offset:848
	s_wait_dscnt 0x1
	v_fmac_f64_e32 v[164:165], v[138:139], v[134:135]
	s_wait_loadcnt 0x4
	s_delay_alu instid0(VALU_DEP_1)
	v_fmac_f64_e32 v[164:165], v[140:141], v[136:137]
	s_clause 0x1
	scratch_load_b128 v[134:137], off, off offset:424
	scratch_load_b128 v[138:141], off, off offset:440
	s_wait_dscnt 0x0
	v_fmac_f64_e32 v[164:165], v[142:143], v[152:153]
	s_wait_loadcnt 0x5
	s_delay_alu instid0(VALU_DEP_1)
	v_fmac_f64_e32 v[164:165], v[144:145], v[154:155]
	ds_load_b128 v[142:145], v2 offset:864
	ds_load_b128 v[152:155], v2 offset:880
	s_wait_dscnt 0x1
	v_fmac_f64_e32 v[164:165], v[146:147], v[142:143]
	s_wait_loadcnt 0x4
	s_delay_alu instid0(VALU_DEP_1)
	v_fmac_f64_e32 v[164:165], v[148:149], v[144:145]
	s_clause 0x1
	scratch_load_b128 v[142:145], off, off offset:456
	scratch_load_b128 v[146:149], off, off offset:472
	s_wait_dscnt 0x0
	v_fmac_f64_e32 v[164:165], v[150:151], v[152:153]
	s_wait_loadcnt 0x5
	s_delay_alu instid0(VALU_DEP_1)
	v_fmac_f64_e32 v[164:165], v[160:161], v[154:155]
	ds_load_b128 v[150:153], v2 offset:896
	ds_load_b128 v[154:157], v2 offset:912
	scratch_load_b64 v[158:159], off, off offset:488
	s_wait_dscnt 0x1
	v_fmac_f64_e32 v[164:165], v[162:163], v[150:151]
	s_wait_loadcnt 0x5
	s_delay_alu instid0(VALU_DEP_1) | instskip(SKIP_1) | instid1(VALU_DEP_1)
	v_fmac_f64_e32 v[164:165], v[130:131], v[152:153]
	s_wait_dscnt 0x0
	v_fmac_f64_e32 v[164:165], v[132:133], v[154:155]
	ds_load_b128 v[130:133], v2 offset:928
	ds_load_b128 v[150:153], v2 offset:944
	s_wait_loadcnt 0x4
	v_fmac_f64_e32 v[164:165], v[134:135], v[156:157]
	s_wait_dscnt 0x1
	s_delay_alu instid0(VALU_DEP_1) | instskip(SKIP_1) | instid1(VALU_DEP_1)
	v_fmac_f64_e32 v[164:165], v[136:137], v[130:131]
	s_wait_loadcnt 0x3
	v_fmac_f64_e32 v[164:165], v[138:139], v[132:133]
	ds_load_b128 v[130:133], v2 offset:960
	ds_load_b128 v[134:137], v2 offset:976
	s_wait_dscnt 0x2
	v_fmac_f64_e32 v[164:165], v[140:141], v[150:151]
	s_wait_loadcnt 0x2
	s_delay_alu instid0(VALU_DEP_1) | instskip(SKIP_1) | instid1(VALU_DEP_1)
	v_fmac_f64_e32 v[164:165], v[142:143], v[152:153]
	s_wait_dscnt 0x1
	v_fmac_f64_e32 v[164:165], v[144:145], v[130:131]
	s_wait_loadcnt 0x1
	s_delay_alu instid0(VALU_DEP_1) | instskip(SKIP_1) | instid1(VALU_DEP_1)
	v_fmac_f64_e32 v[164:165], v[146:147], v[132:133]
	s_wait_dscnt 0x0
	v_fmac_f64_e32 v[164:165], v[148:149], v[134:135]
	s_wait_loadcnt 0x0
	s_delay_alu instid0(VALU_DEP_1) | instskip(NEXT) | instid1(VALU_DEP_1)
	v_fmac_f64_e32 v[164:165], v[158:159], v[136:137]
	v_add_f64_e64 v[2:3], v[128:129], -v[164:165]
	scratch_store_b64 off, v[2:3], off offset:296
	s_wait_xcnt 0x0
	v_cmpx_lt_u32_e32 36, v0
	s_cbranch_execz .LBB125_309
; %bb.308:
	scratch_load_b64 v[2:3], off, off offset:288
	v_mov_b64_e32 v[128:129], 0
	scratch_store_b64 off, v[128:129], off offset:288
	s_wait_loadcnt 0x0
	ds_store_b64 v1, v[2:3]
.LBB125_309:
	s_wait_xcnt 0x0
	s_or_b32 exec_lo, exec_lo, s0
	s_wait_storecnt_dscnt 0x0
	s_barrier_signal -1
	s_barrier_wait -1
	s_clause 0x5
	scratch_load_b128 v[128:131], off, off offset:288
	scratch_load_b128 v[132:135], off, off offset:304
	;; [unrolled: 1-line block ×6, first 2 shown]
	v_mov_b32_e32 v2, 0
	ds_load_2addr_b64 v[152:155], v2 offset0:99 offset1:100
	ds_load_2addr_b64 v[156:159], v2 offset0:101 offset1:102
	scratch_load_b128 v[160:163], off, off offset:384
	s_mov_b32 s0, exec_lo
	s_wait_loadcnt_dscnt 0x601
	v_fma_f64 v[164:165], v[130:131], v[152:153], 0
	s_wait_loadcnt 0x5
	s_delay_alu instid0(VALU_DEP_1) | instskip(SKIP_4) | instid1(VALU_DEP_1)
	v_fmac_f64_e32 v[164:165], v[132:133], v[154:155]
	scratch_load_b128 v[130:133], off, off offset:400
	s_wait_dscnt 0x0
	v_fmac_f64_e32 v[164:165], v[134:135], v[156:157]
	s_wait_loadcnt 0x5
	v_fmac_f64_e32 v[164:165], v[136:137], v[158:159]
	ds_load_2addr_b64 v[134:137], v2 offset0:103 offset1:104
	ds_load_2addr_b64 v[152:155], v2 offset0:105 offset1:106
	s_wait_dscnt 0x1
	v_fmac_f64_e32 v[164:165], v[138:139], v[134:135]
	s_wait_loadcnt 0x4
	s_delay_alu instid0(VALU_DEP_1)
	v_fmac_f64_e32 v[164:165], v[140:141], v[136:137]
	s_clause 0x1
	scratch_load_b128 v[134:137], off, off offset:416
	scratch_load_b128 v[138:141], off, off offset:432
	s_wait_dscnt 0x0
	v_fmac_f64_e32 v[164:165], v[142:143], v[152:153]
	s_wait_loadcnt 0x5
	s_delay_alu instid0(VALU_DEP_1)
	v_fmac_f64_e32 v[164:165], v[144:145], v[154:155]
	ds_load_2addr_b64 v[142:145], v2 offset0:107 offset1:108
	ds_load_2addr_b64 v[152:155], v2 offset0:109 offset1:110
	s_wait_dscnt 0x1
	v_fmac_f64_e32 v[164:165], v[146:147], v[142:143]
	s_wait_loadcnt 0x4
	s_delay_alu instid0(VALU_DEP_1)
	v_fmac_f64_e32 v[164:165], v[148:149], v[144:145]
	s_clause 0x1
	scratch_load_b128 v[142:145], off, off offset:448
	scratch_load_b128 v[146:149], off, off offset:464
	s_wait_dscnt 0x0
	v_fmac_f64_e32 v[164:165], v[150:151], v[152:153]
	s_wait_loadcnt 0x5
	s_delay_alu instid0(VALU_DEP_1)
	v_fmac_f64_e32 v[164:165], v[160:161], v[154:155]
	ds_load_2addr_b64 v[150:153], v2 offset0:111 offset1:112
	ds_load_2addr_b64 v[154:157], v2 offset0:113 offset1:114
	s_wait_dscnt 0x1
	v_fmac_f64_e32 v[164:165], v[162:163], v[150:151]
	s_wait_loadcnt 0x4
	s_delay_alu instid0(VALU_DEP_1) | instskip(SKIP_4) | instid1(VALU_DEP_1)
	v_fmac_f64_e32 v[164:165], v[130:131], v[152:153]
	scratch_load_b128 v[150:153], off, off offset:480
	s_wait_dscnt 0x0
	v_fmac_f64_e32 v[164:165], v[132:133], v[154:155]
	s_wait_loadcnt 0x4
	v_fmac_f64_e32 v[164:165], v[134:135], v[156:157]
	ds_load_2addr_b64 v[130:133], v2 offset0:115 offset1:116
	ds_load_2addr_b64 v[154:157], v2 offset0:117 offset1:118
	s_wait_dscnt 0x1
	v_fmac_f64_e32 v[164:165], v[136:137], v[130:131]
	s_wait_loadcnt 0x3
	s_delay_alu instid0(VALU_DEP_1)
	v_fmac_f64_e32 v[164:165], v[138:139], v[132:133]
	ds_load_2addr_b64 v[130:133], v2 offset0:119 offset1:120
	ds_load_2addr_b64 v[134:137], v2 offset0:121 offset1:122
	s_wait_dscnt 0x2
	v_fmac_f64_e32 v[164:165], v[140:141], v[154:155]
	s_wait_loadcnt 0x2
	s_delay_alu instid0(VALU_DEP_1) | instskip(SKIP_1) | instid1(VALU_DEP_1)
	v_fmac_f64_e32 v[164:165], v[142:143], v[156:157]
	s_wait_dscnt 0x1
	v_fmac_f64_e32 v[164:165], v[144:145], v[130:131]
	ds_load_b64 v[130:131], v2 offset:984
	s_wait_loadcnt 0x1
	v_fmac_f64_e32 v[164:165], v[146:147], v[132:133]
	s_wait_dscnt 0x1
	s_delay_alu instid0(VALU_DEP_1) | instskip(SKIP_1) | instid1(VALU_DEP_1)
	v_fmac_f64_e32 v[164:165], v[148:149], v[134:135]
	s_wait_loadcnt 0x0
	v_fmac_f64_e32 v[164:165], v[150:151], v[136:137]
	s_wait_dscnt 0x0
	s_delay_alu instid0(VALU_DEP_1) | instskip(NEXT) | instid1(VALU_DEP_1)
	v_fmac_f64_e32 v[164:165], v[152:153], v[130:131]
	v_add_f64_e64 v[128:129], v[128:129], -v[164:165]
	scratch_store_b64 off, v[128:129], off offset:288
	s_wait_xcnt 0x0
	v_cmpx_lt_u32_e32 35, v0
	s_cbranch_execz .LBB125_311
; %bb.310:
	scratch_load_b64 v[128:129], off, off offset:280
	v_mov_b64_e32 v[130:131], 0
	scratch_store_b64 off, v[130:131], off offset:280
	s_wait_loadcnt 0x0
	ds_store_b64 v1, v[128:129]
.LBB125_311:
	s_wait_xcnt 0x0
	s_or_b32 exec_lo, exec_lo, s0
	s_wait_storecnt_dscnt 0x0
	s_barrier_signal -1
	s_barrier_wait -1
	s_clause 0x5
	scratch_load_b128 v[128:131], off, off offset:280
	scratch_load_b128 v[132:135], off, off offset:296
	;; [unrolled: 1-line block ×6, first 2 shown]
	ds_load_b128 v[152:155], v2 offset:784
	ds_load_b128 v[156:159], v2 offset:800
	scratch_load_b128 v[160:163], off, off offset:376
	s_mov_b32 s0, exec_lo
	s_wait_loadcnt_dscnt 0x601
	v_fma_f64 v[164:165], v[130:131], v[152:153], 0
	s_wait_loadcnt 0x5
	s_delay_alu instid0(VALU_DEP_1) | instskip(SKIP_4) | instid1(VALU_DEP_1)
	v_fmac_f64_e32 v[164:165], v[132:133], v[154:155]
	scratch_load_b128 v[130:133], off, off offset:392
	s_wait_dscnt 0x0
	v_fmac_f64_e32 v[164:165], v[134:135], v[156:157]
	s_wait_loadcnt 0x5
	v_fmac_f64_e32 v[164:165], v[136:137], v[158:159]
	ds_load_b128 v[134:137], v2 offset:816
	ds_load_b128 v[152:155], v2 offset:832
	scratch_load_b128 v[156:159], off, off offset:408
	s_wait_dscnt 0x1
	v_fmac_f64_e32 v[164:165], v[138:139], v[134:135]
	s_wait_loadcnt 0x5
	s_delay_alu instid0(VALU_DEP_1) | instskip(SKIP_4) | instid1(VALU_DEP_1)
	v_fmac_f64_e32 v[164:165], v[140:141], v[136:137]
	scratch_load_b128 v[134:137], off, off offset:424
	s_wait_dscnt 0x0
	v_fmac_f64_e32 v[164:165], v[142:143], v[152:153]
	s_wait_loadcnt 0x5
	v_fmac_f64_e32 v[164:165], v[144:145], v[154:155]
	ds_load_b128 v[138:141], v2 offset:848
	ds_load_b128 v[142:145], v2 offset:864
	s_wait_dscnt 0x1
	v_fmac_f64_e32 v[164:165], v[146:147], v[138:139]
	s_wait_loadcnt 0x4
	s_delay_alu instid0(VALU_DEP_1) | instskip(SKIP_4) | instid1(VALU_DEP_1)
	v_fmac_f64_e32 v[164:165], v[148:149], v[140:141]
	scratch_load_b128 v[138:141], off, off offset:440
	s_wait_dscnt 0x0
	v_fmac_f64_e32 v[164:165], v[150:151], v[142:143]
	s_wait_loadcnt 0x4
	v_fmac_f64_e32 v[164:165], v[160:161], v[144:145]
	scratch_load_b128 v[142:145], off, off offset:456
	ds_load_b128 v[146:149], v2 offset:880
	ds_load_b128 v[150:153], v2 offset:896
	scratch_load_b64 v[154:155], off, off offset:488
	s_wait_dscnt 0x1
	v_fmac_f64_e32 v[164:165], v[162:163], v[146:147]
	s_wait_loadcnt 0x5
	s_delay_alu instid0(VALU_DEP_1) | instskip(SKIP_4) | instid1(VALU_DEP_1)
	v_fmac_f64_e32 v[164:165], v[130:131], v[148:149]
	scratch_load_b128 v[146:149], off, off offset:472
	s_wait_dscnt 0x0
	v_fmac_f64_e32 v[164:165], v[132:133], v[150:151]
	s_wait_loadcnt 0x5
	v_fmac_f64_e32 v[164:165], v[156:157], v[152:153]
	ds_load_b128 v[130:133], v2 offset:912
	ds_load_b128 v[150:153], v2 offset:928
	s_wait_dscnt 0x1
	v_fmac_f64_e32 v[164:165], v[158:159], v[130:131]
	s_wait_loadcnt 0x4
	s_delay_alu instid0(VALU_DEP_1) | instskip(SKIP_1) | instid1(VALU_DEP_1)
	v_fmac_f64_e32 v[164:165], v[134:135], v[132:133]
	s_wait_dscnt 0x0
	v_fmac_f64_e32 v[164:165], v[136:137], v[150:151]
	ds_load_b128 v[130:133], v2 offset:944
	ds_load_b128 v[134:137], v2 offset:960
	s_wait_loadcnt 0x3
	v_fmac_f64_e32 v[164:165], v[138:139], v[152:153]
	s_wait_dscnt 0x1
	s_delay_alu instid0(VALU_DEP_1) | instskip(SKIP_1) | instid1(VALU_DEP_1)
	v_fmac_f64_e32 v[164:165], v[140:141], v[130:131]
	s_wait_loadcnt 0x2
	v_fmac_f64_e32 v[164:165], v[142:143], v[132:133]
	ds_load_b128 v[130:133], v2 offset:976
	s_wait_dscnt 0x1
	v_fmac_f64_e32 v[164:165], v[144:145], v[134:135]
	s_wait_loadcnt 0x0
	s_delay_alu instid0(VALU_DEP_1) | instskip(SKIP_1) | instid1(VALU_DEP_1)
	v_fmac_f64_e32 v[164:165], v[146:147], v[136:137]
	s_wait_dscnt 0x0
	v_fmac_f64_e32 v[164:165], v[148:149], v[130:131]
	s_delay_alu instid0(VALU_DEP_1) | instskip(NEXT) | instid1(VALU_DEP_1)
	v_fmac_f64_e32 v[164:165], v[154:155], v[132:133]
	v_add_f64_e64 v[2:3], v[128:129], -v[164:165]
	scratch_store_b64 off, v[2:3], off offset:280
	s_wait_xcnt 0x0
	v_cmpx_lt_u32_e32 34, v0
	s_cbranch_execz .LBB125_313
; %bb.312:
	scratch_load_b64 v[2:3], off, off offset:272
	v_mov_b64_e32 v[128:129], 0
	scratch_store_b64 off, v[128:129], off offset:272
	s_wait_loadcnt 0x0
	ds_store_b64 v1, v[2:3]
.LBB125_313:
	s_wait_xcnt 0x0
	s_or_b32 exec_lo, exec_lo, s0
	s_wait_storecnt_dscnt 0x0
	s_barrier_signal -1
	s_barrier_wait -1
	s_clause 0x5
	scratch_load_b128 v[128:131], off, off offset:272
	scratch_load_b128 v[132:135], off, off offset:288
	;; [unrolled: 1-line block ×6, first 2 shown]
	v_mov_b32_e32 v2, 0
	ds_load_2addr_b64 v[152:155], v2 offset0:97 offset1:98
	ds_load_2addr_b64 v[156:159], v2 offset0:99 offset1:100
	scratch_load_b128 v[160:163], off, off offset:368
	s_mov_b32 s0, exec_lo
	s_wait_loadcnt_dscnt 0x601
	v_fma_f64 v[164:165], v[130:131], v[152:153], 0
	s_wait_loadcnt 0x5
	s_delay_alu instid0(VALU_DEP_1) | instskip(SKIP_4) | instid1(VALU_DEP_1)
	v_fmac_f64_e32 v[164:165], v[132:133], v[154:155]
	scratch_load_b128 v[130:133], off, off offset:384
	s_wait_dscnt 0x0
	v_fmac_f64_e32 v[164:165], v[134:135], v[156:157]
	s_wait_loadcnt 0x5
	v_fmac_f64_e32 v[164:165], v[136:137], v[158:159]
	ds_load_2addr_b64 v[134:137], v2 offset0:101 offset1:102
	ds_load_2addr_b64 v[152:155], v2 offset0:103 offset1:104
	scratch_load_b128 v[156:159], off, off offset:400
	s_wait_dscnt 0x1
	v_fmac_f64_e32 v[164:165], v[138:139], v[134:135]
	s_wait_loadcnt 0x5
	s_delay_alu instid0(VALU_DEP_1) | instskip(SKIP_4) | instid1(VALU_DEP_1)
	v_fmac_f64_e32 v[164:165], v[140:141], v[136:137]
	scratch_load_b128 v[134:137], off, off offset:416
	s_wait_dscnt 0x0
	v_fmac_f64_e32 v[164:165], v[142:143], v[152:153]
	s_wait_loadcnt 0x5
	v_fmac_f64_e32 v[164:165], v[144:145], v[154:155]
	ds_load_2addr_b64 v[138:141], v2 offset0:105 offset1:106
	ds_load_2addr_b64 v[142:145], v2 offset0:107 offset1:108
	s_wait_dscnt 0x1
	v_fmac_f64_e32 v[164:165], v[146:147], v[138:139]
	s_wait_loadcnt 0x4
	s_delay_alu instid0(VALU_DEP_1) | instskip(SKIP_4) | instid1(VALU_DEP_1)
	v_fmac_f64_e32 v[164:165], v[148:149], v[140:141]
	scratch_load_b128 v[138:141], off, off offset:432
	s_wait_dscnt 0x0
	v_fmac_f64_e32 v[164:165], v[150:151], v[142:143]
	s_wait_loadcnt 0x4
	v_fmac_f64_e32 v[164:165], v[160:161], v[144:145]
	scratch_load_b128 v[142:145], off, off offset:448
	ds_load_2addr_b64 v[146:149], v2 offset0:109 offset1:110
	ds_load_2addr_b64 v[150:153], v2 offset0:111 offset1:112
	s_wait_dscnt 0x1
	v_fmac_f64_e32 v[164:165], v[162:163], v[146:147]
	s_wait_loadcnt 0x4
	s_delay_alu instid0(VALU_DEP_1)
	v_fmac_f64_e32 v[164:165], v[130:131], v[148:149]
	scratch_load_b128 v[146:149], off, off offset:464
	s_wait_dscnt 0x0
	v_fmac_f64_e32 v[164:165], v[132:133], v[150:151]
	scratch_load_b128 v[130:133], off, off offset:480
	s_wait_loadcnt 0x5
	v_fmac_f64_e32 v[164:165], v[156:157], v[152:153]
	ds_load_2addr_b64 v[150:153], v2 offset0:113 offset1:114
	ds_load_2addr_b64 v[154:157], v2 offset0:115 offset1:116
	s_wait_dscnt 0x1
	v_fmac_f64_e32 v[164:165], v[158:159], v[150:151]
	s_wait_loadcnt 0x4
	s_delay_alu instid0(VALU_DEP_1) | instskip(SKIP_1) | instid1(VALU_DEP_1)
	v_fmac_f64_e32 v[164:165], v[134:135], v[152:153]
	s_wait_dscnt 0x0
	v_fmac_f64_e32 v[164:165], v[136:137], v[154:155]
	ds_load_2addr_b64 v[134:137], v2 offset0:117 offset1:118
	ds_load_2addr_b64 v[150:153], v2 offset0:119 offset1:120
	s_wait_loadcnt 0x3
	v_fmac_f64_e32 v[164:165], v[138:139], v[156:157]
	s_wait_dscnt 0x1
	s_delay_alu instid0(VALU_DEP_1) | instskip(SKIP_1) | instid1(VALU_DEP_1)
	v_fmac_f64_e32 v[164:165], v[140:141], v[134:135]
	s_wait_loadcnt 0x2
	v_fmac_f64_e32 v[164:165], v[142:143], v[136:137]
	ds_load_2addr_b64 v[134:137], v2 offset0:121 offset1:122
	ds_load_b64 v[138:139], v2 offset:984
	s_wait_dscnt 0x2
	v_fmac_f64_e32 v[164:165], v[144:145], v[150:151]
	s_wait_loadcnt 0x1
	s_delay_alu instid0(VALU_DEP_1) | instskip(SKIP_1) | instid1(VALU_DEP_1)
	v_fmac_f64_e32 v[164:165], v[146:147], v[152:153]
	s_wait_dscnt 0x1
	v_fmac_f64_e32 v[164:165], v[148:149], v[134:135]
	s_wait_loadcnt 0x0
	s_delay_alu instid0(VALU_DEP_1) | instskip(SKIP_1) | instid1(VALU_DEP_1)
	v_fmac_f64_e32 v[164:165], v[130:131], v[136:137]
	s_wait_dscnt 0x0
	v_fmac_f64_e32 v[164:165], v[132:133], v[138:139]
	s_delay_alu instid0(VALU_DEP_1)
	v_add_f64_e64 v[128:129], v[128:129], -v[164:165]
	scratch_store_b64 off, v[128:129], off offset:272
	s_wait_xcnt 0x0
	v_cmpx_lt_u32_e32 33, v0
	s_cbranch_execz .LBB125_315
; %bb.314:
	scratch_load_b64 v[128:129], off, off offset:264
	v_mov_b64_e32 v[130:131], 0
	scratch_store_b64 off, v[130:131], off offset:264
	s_wait_loadcnt 0x0
	ds_store_b64 v1, v[128:129]
.LBB125_315:
	s_wait_xcnt 0x0
	s_or_b32 exec_lo, exec_lo, s0
	s_wait_storecnt_dscnt 0x0
	s_barrier_signal -1
	s_barrier_wait -1
	s_clause 0x5
	scratch_load_b128 v[128:131], off, off offset:264
	scratch_load_b128 v[132:135], off, off offset:280
	;; [unrolled: 1-line block ×6, first 2 shown]
	ds_load_b128 v[152:155], v2 offset:768
	ds_load_b128 v[156:159], v2 offset:784
	scratch_load_b128 v[160:163], off, off offset:360
	s_mov_b32 s0, exec_lo
	s_wait_loadcnt_dscnt 0x601
	v_fma_f64 v[164:165], v[130:131], v[152:153], 0
	s_wait_loadcnt 0x5
	s_delay_alu instid0(VALU_DEP_1) | instskip(SKIP_4) | instid1(VALU_DEP_1)
	v_fmac_f64_e32 v[164:165], v[132:133], v[154:155]
	scratch_load_b128 v[130:133], off, off offset:376
	s_wait_dscnt 0x0
	v_fmac_f64_e32 v[164:165], v[134:135], v[156:157]
	s_wait_loadcnt 0x5
	v_fmac_f64_e32 v[164:165], v[136:137], v[158:159]
	ds_load_b128 v[134:137], v2 offset:800
	ds_load_b128 v[152:155], v2 offset:816
	scratch_load_b128 v[156:159], off, off offset:392
	s_wait_dscnt 0x1
	v_fmac_f64_e32 v[164:165], v[138:139], v[134:135]
	s_wait_loadcnt 0x5
	s_delay_alu instid0(VALU_DEP_1) | instskip(SKIP_4) | instid1(VALU_DEP_1)
	v_fmac_f64_e32 v[164:165], v[140:141], v[136:137]
	scratch_load_b128 v[134:137], off, off offset:408
	s_wait_dscnt 0x0
	v_fmac_f64_e32 v[164:165], v[142:143], v[152:153]
	s_wait_loadcnt 0x5
	v_fmac_f64_e32 v[164:165], v[144:145], v[154:155]
	ds_load_b128 v[138:141], v2 offset:832
	ds_load_b128 v[142:145], v2 offset:848
	s_wait_dscnt 0x1
	v_fmac_f64_e32 v[164:165], v[146:147], v[138:139]
	s_wait_loadcnt 0x4
	s_delay_alu instid0(VALU_DEP_1) | instskip(SKIP_4) | instid1(VALU_DEP_1)
	v_fmac_f64_e32 v[164:165], v[148:149], v[140:141]
	scratch_load_b128 v[138:141], off, off offset:424
	s_wait_dscnt 0x0
	v_fmac_f64_e32 v[164:165], v[150:151], v[142:143]
	s_wait_loadcnt 0x4
	v_fmac_f64_e32 v[164:165], v[160:161], v[144:145]
	scratch_load_b128 v[142:145], off, off offset:440
	ds_load_b128 v[146:149], v2 offset:864
	ds_load_b128 v[150:153], v2 offset:880
	s_wait_dscnt 0x1
	v_fmac_f64_e32 v[164:165], v[162:163], v[146:147]
	s_wait_loadcnt 0x4
	s_delay_alu instid0(VALU_DEP_1)
	v_fmac_f64_e32 v[164:165], v[130:131], v[148:149]
	scratch_load_b128 v[146:149], off, off offset:456
	s_wait_dscnt 0x0
	v_fmac_f64_e32 v[164:165], v[132:133], v[150:151]
	scratch_load_b128 v[130:133], off, off offset:472
	s_wait_loadcnt 0x5
	v_fmac_f64_e32 v[164:165], v[156:157], v[152:153]
	ds_load_b128 v[150:153], v2 offset:896
	ds_load_b128 v[154:157], v2 offset:912
	s_wait_dscnt 0x1
	v_fmac_f64_e32 v[164:165], v[158:159], v[150:151]
	scratch_load_b64 v[158:159], off, off offset:488
	s_wait_loadcnt 0x5
	v_fmac_f64_e32 v[164:165], v[134:135], v[152:153]
	s_wait_dscnt 0x0
	s_delay_alu instid0(VALU_DEP_1)
	v_fmac_f64_e32 v[164:165], v[136:137], v[154:155]
	ds_load_b128 v[134:137], v2 offset:928
	ds_load_b128 v[150:153], v2 offset:944
	s_wait_loadcnt 0x4
	v_fmac_f64_e32 v[164:165], v[138:139], v[156:157]
	s_wait_dscnt 0x1
	s_delay_alu instid0(VALU_DEP_1) | instskip(SKIP_1) | instid1(VALU_DEP_1)
	v_fmac_f64_e32 v[164:165], v[140:141], v[134:135]
	s_wait_loadcnt 0x3
	v_fmac_f64_e32 v[164:165], v[142:143], v[136:137]
	ds_load_b128 v[134:137], v2 offset:960
	ds_load_b128 v[138:141], v2 offset:976
	s_wait_dscnt 0x2
	v_fmac_f64_e32 v[164:165], v[144:145], v[150:151]
	s_wait_loadcnt 0x2
	s_delay_alu instid0(VALU_DEP_1) | instskip(SKIP_1) | instid1(VALU_DEP_1)
	v_fmac_f64_e32 v[164:165], v[146:147], v[152:153]
	s_wait_dscnt 0x1
	v_fmac_f64_e32 v[164:165], v[148:149], v[134:135]
	s_wait_loadcnt 0x1
	s_delay_alu instid0(VALU_DEP_1) | instskip(SKIP_1) | instid1(VALU_DEP_1)
	v_fmac_f64_e32 v[164:165], v[130:131], v[136:137]
	s_wait_dscnt 0x0
	v_fmac_f64_e32 v[164:165], v[132:133], v[138:139]
	s_wait_loadcnt 0x0
	s_delay_alu instid0(VALU_DEP_1) | instskip(NEXT) | instid1(VALU_DEP_1)
	v_fmac_f64_e32 v[164:165], v[158:159], v[140:141]
	v_add_f64_e64 v[2:3], v[128:129], -v[164:165]
	scratch_store_b64 off, v[2:3], off offset:264
	s_wait_xcnt 0x0
	v_cmpx_lt_u32_e32 32, v0
	s_cbranch_execz .LBB125_317
; %bb.316:
	scratch_load_b64 v[2:3], off, off offset:256
	v_mov_b64_e32 v[128:129], 0
	scratch_store_b64 off, v[128:129], off offset:256
	s_wait_loadcnt 0x0
	ds_store_b64 v1, v[2:3]
.LBB125_317:
	s_wait_xcnt 0x0
	s_or_b32 exec_lo, exec_lo, s0
	s_wait_storecnt_dscnt 0x0
	s_barrier_signal -1
	s_barrier_wait -1
	s_clause 0x5
	scratch_load_b128 v[128:131], off, off offset:256
	scratch_load_b128 v[132:135], off, off offset:272
	;; [unrolled: 1-line block ×6, first 2 shown]
	v_mov_b32_e32 v2, 0
	ds_load_2addr_b64 v[152:155], v2 offset0:95 offset1:96
	ds_load_2addr_b64 v[156:159], v2 offset0:97 offset1:98
	scratch_load_b128 v[160:163], off, off offset:352
	s_mov_b32 s0, exec_lo
	s_wait_loadcnt_dscnt 0x601
	v_fma_f64 v[164:165], v[130:131], v[152:153], 0
	s_wait_loadcnt 0x5
	s_delay_alu instid0(VALU_DEP_1) | instskip(SKIP_4) | instid1(VALU_DEP_1)
	v_fmac_f64_e32 v[164:165], v[132:133], v[154:155]
	scratch_load_b128 v[130:133], off, off offset:368
	s_wait_dscnt 0x0
	v_fmac_f64_e32 v[164:165], v[134:135], v[156:157]
	s_wait_loadcnt 0x5
	v_fmac_f64_e32 v[164:165], v[136:137], v[158:159]
	ds_load_2addr_b64 v[134:137], v2 offset0:99 offset1:100
	ds_load_2addr_b64 v[152:155], v2 offset0:101 offset1:102
	scratch_load_b128 v[156:159], off, off offset:384
	s_wait_dscnt 0x1
	v_fmac_f64_e32 v[164:165], v[138:139], v[134:135]
	s_wait_loadcnt 0x5
	s_delay_alu instid0(VALU_DEP_1) | instskip(SKIP_4) | instid1(VALU_DEP_1)
	v_fmac_f64_e32 v[164:165], v[140:141], v[136:137]
	scratch_load_b128 v[134:137], off, off offset:400
	s_wait_dscnt 0x0
	v_fmac_f64_e32 v[164:165], v[142:143], v[152:153]
	s_wait_loadcnt 0x5
	v_fmac_f64_e32 v[164:165], v[144:145], v[154:155]
	ds_load_2addr_b64 v[138:141], v2 offset0:103 offset1:104
	ds_load_2addr_b64 v[142:145], v2 offset0:105 offset1:106
	s_wait_dscnt 0x1
	v_fmac_f64_e32 v[164:165], v[146:147], v[138:139]
	s_wait_loadcnt 0x4
	s_delay_alu instid0(VALU_DEP_1) | instskip(SKIP_4) | instid1(VALU_DEP_1)
	v_fmac_f64_e32 v[164:165], v[148:149], v[140:141]
	scratch_load_b128 v[138:141], off, off offset:416
	s_wait_dscnt 0x0
	v_fmac_f64_e32 v[164:165], v[150:151], v[142:143]
	s_wait_loadcnt 0x4
	v_fmac_f64_e32 v[164:165], v[160:161], v[144:145]
	scratch_load_b128 v[142:145], off, off offset:432
	ds_load_2addr_b64 v[146:149], v2 offset0:107 offset1:108
	ds_load_2addr_b64 v[150:153], v2 offset0:109 offset1:110
	s_wait_dscnt 0x1
	v_fmac_f64_e32 v[164:165], v[162:163], v[146:147]
	s_wait_loadcnt 0x4
	s_delay_alu instid0(VALU_DEP_1)
	v_fmac_f64_e32 v[164:165], v[130:131], v[148:149]
	scratch_load_b128 v[146:149], off, off offset:448
	s_wait_dscnt 0x0
	v_fmac_f64_e32 v[164:165], v[132:133], v[150:151]
	scratch_load_b128 v[130:133], off, off offset:464
	s_wait_loadcnt 0x5
	v_fmac_f64_e32 v[164:165], v[156:157], v[152:153]
	ds_load_2addr_b64 v[150:153], v2 offset0:111 offset1:112
	ds_load_2addr_b64 v[154:157], v2 offset0:113 offset1:114
	s_wait_dscnt 0x1
	v_fmac_f64_e32 v[164:165], v[158:159], v[150:151]
	s_wait_loadcnt 0x4
	s_delay_alu instid0(VALU_DEP_1) | instskip(SKIP_4) | instid1(VALU_DEP_1)
	v_fmac_f64_e32 v[164:165], v[134:135], v[152:153]
	scratch_load_b128 v[150:153], off, off offset:480
	s_wait_dscnt 0x0
	v_fmac_f64_e32 v[164:165], v[136:137], v[154:155]
	s_wait_loadcnt 0x4
	v_fmac_f64_e32 v[164:165], v[138:139], v[156:157]
	ds_load_2addr_b64 v[134:137], v2 offset0:115 offset1:116
	ds_load_2addr_b64 v[154:157], v2 offset0:117 offset1:118
	s_wait_dscnt 0x1
	v_fmac_f64_e32 v[164:165], v[140:141], v[134:135]
	s_wait_loadcnt 0x3
	s_delay_alu instid0(VALU_DEP_1)
	v_fmac_f64_e32 v[164:165], v[142:143], v[136:137]
	ds_load_2addr_b64 v[134:137], v2 offset0:119 offset1:120
	ds_load_2addr_b64 v[138:141], v2 offset0:121 offset1:122
	s_wait_dscnt 0x2
	v_fmac_f64_e32 v[164:165], v[144:145], v[154:155]
	s_wait_loadcnt 0x2
	s_delay_alu instid0(VALU_DEP_1) | instskip(SKIP_1) | instid1(VALU_DEP_1)
	v_fmac_f64_e32 v[164:165], v[146:147], v[156:157]
	s_wait_dscnt 0x1
	v_fmac_f64_e32 v[164:165], v[148:149], v[134:135]
	s_wait_loadcnt 0x1
	s_delay_alu instid0(VALU_DEP_1) | instskip(SKIP_4) | instid1(VALU_DEP_1)
	v_fmac_f64_e32 v[164:165], v[130:131], v[136:137]
	ds_load_b64 v[130:131], v2 offset:984
	s_wait_dscnt 0x1
	v_fmac_f64_e32 v[164:165], v[132:133], v[138:139]
	s_wait_loadcnt 0x0
	v_fmac_f64_e32 v[164:165], v[150:151], v[140:141]
	s_wait_dscnt 0x0
	s_delay_alu instid0(VALU_DEP_1) | instskip(NEXT) | instid1(VALU_DEP_1)
	v_fmac_f64_e32 v[164:165], v[152:153], v[130:131]
	v_add_f64_e64 v[128:129], v[128:129], -v[164:165]
	scratch_store_b64 off, v[128:129], off offset:256
	s_wait_xcnt 0x0
	v_cmpx_lt_u32_e32 31, v0
	s_cbranch_execz .LBB125_319
; %bb.318:
	scratch_load_b64 v[128:129], off, off offset:248
	v_mov_b64_e32 v[130:131], 0
	scratch_store_b64 off, v[130:131], off offset:248
	s_wait_loadcnt 0x0
	ds_store_b64 v1, v[128:129]
.LBB125_319:
	s_wait_xcnt 0x0
	s_or_b32 exec_lo, exec_lo, s0
	s_wait_storecnt_dscnt 0x0
	s_barrier_signal -1
	s_barrier_wait -1
	s_clause 0x5
	scratch_load_b128 v[128:131], off, off offset:248
	scratch_load_b128 v[132:135], off, off offset:264
	;; [unrolled: 1-line block ×6, first 2 shown]
	ds_load_b128 v[152:155], v2 offset:752
	ds_load_b128 v[156:159], v2 offset:768
	scratch_load_b128 v[160:163], off, off offset:344
	s_mov_b32 s0, exec_lo
	s_wait_loadcnt_dscnt 0x601
	v_fma_f64 v[164:165], v[130:131], v[152:153], 0
	s_wait_loadcnt 0x5
	s_delay_alu instid0(VALU_DEP_1) | instskip(SKIP_4) | instid1(VALU_DEP_1)
	v_fmac_f64_e32 v[164:165], v[132:133], v[154:155]
	scratch_load_b128 v[130:133], off, off offset:360
	s_wait_dscnt 0x0
	v_fmac_f64_e32 v[164:165], v[134:135], v[156:157]
	s_wait_loadcnt 0x5
	v_fmac_f64_e32 v[164:165], v[136:137], v[158:159]
	ds_load_b128 v[134:137], v2 offset:784
	ds_load_b128 v[152:155], v2 offset:800
	scratch_load_b128 v[156:159], off, off offset:376
	s_wait_dscnt 0x1
	v_fmac_f64_e32 v[164:165], v[138:139], v[134:135]
	s_wait_loadcnt 0x5
	s_delay_alu instid0(VALU_DEP_1) | instskip(SKIP_4) | instid1(VALU_DEP_1)
	v_fmac_f64_e32 v[164:165], v[140:141], v[136:137]
	scratch_load_b128 v[134:137], off, off offset:392
	s_wait_dscnt 0x0
	v_fmac_f64_e32 v[164:165], v[142:143], v[152:153]
	s_wait_loadcnt 0x5
	v_fmac_f64_e32 v[164:165], v[144:145], v[154:155]
	ds_load_b128 v[138:141], v2 offset:816
	ds_load_b128 v[142:145], v2 offset:832
	scratch_load_b128 v[152:155], off, off offset:408
	s_wait_dscnt 0x1
	v_fmac_f64_e32 v[164:165], v[146:147], v[138:139]
	s_wait_loadcnt 0x5
	s_delay_alu instid0(VALU_DEP_1) | instskip(SKIP_4) | instid1(VALU_DEP_1)
	v_fmac_f64_e32 v[164:165], v[148:149], v[140:141]
	scratch_load_b128 v[138:141], off, off offset:424
	s_wait_dscnt 0x0
	v_fmac_f64_e32 v[164:165], v[150:151], v[142:143]
	s_wait_loadcnt 0x5
	v_fmac_f64_e32 v[164:165], v[160:161], v[144:145]
	ds_load_b128 v[142:145], v2 offset:848
	ds_load_b128 v[146:149], v2 offset:864
	s_wait_dscnt 0x1
	v_fmac_f64_e32 v[164:165], v[162:163], v[142:143]
	s_wait_loadcnt 0x4
	s_delay_alu instid0(VALU_DEP_1)
	v_fmac_f64_e32 v[164:165], v[130:131], v[144:145]
	scratch_load_b128 v[142:145], off, off offset:440
	s_wait_dscnt 0x0
	v_fmac_f64_e32 v[164:165], v[132:133], v[146:147]
	scratch_load_b128 v[130:133], off, off offset:456
	s_wait_loadcnt 0x5
	v_fmac_f64_e32 v[164:165], v[156:157], v[148:149]
	ds_load_b128 v[146:149], v2 offset:880
	ds_load_b128 v[160:163], v2 offset:896
	scratch_load_b64 v[156:157], off, off offset:488
	s_wait_dscnt 0x1
	v_fmac_f64_e32 v[164:165], v[158:159], v[146:147]
	s_wait_loadcnt 0x5
	s_delay_alu instid0(VALU_DEP_1) | instskip(SKIP_4) | instid1(VALU_DEP_1)
	v_fmac_f64_e32 v[164:165], v[134:135], v[148:149]
	scratch_load_b128 v[146:149], off, off offset:472
	s_wait_dscnt 0x0
	v_fmac_f64_e32 v[164:165], v[136:137], v[160:161]
	s_wait_loadcnt 0x5
	v_fmac_f64_e32 v[164:165], v[152:153], v[162:163]
	ds_load_b128 v[134:137], v2 offset:912
	ds_load_b128 v[150:153], v2 offset:928
	s_wait_dscnt 0x1
	v_fmac_f64_e32 v[164:165], v[154:155], v[134:135]
	s_wait_loadcnt 0x4
	s_delay_alu instid0(VALU_DEP_1) | instskip(SKIP_1) | instid1(VALU_DEP_1)
	v_fmac_f64_e32 v[164:165], v[138:139], v[136:137]
	s_wait_dscnt 0x0
	v_fmac_f64_e32 v[164:165], v[140:141], v[150:151]
	ds_load_b128 v[134:137], v2 offset:944
	ds_load_b128 v[138:141], v2 offset:960
	s_wait_loadcnt 0x3
	v_fmac_f64_e32 v[164:165], v[142:143], v[152:153]
	s_wait_dscnt 0x1
	s_delay_alu instid0(VALU_DEP_1) | instskip(SKIP_1) | instid1(VALU_DEP_1)
	v_fmac_f64_e32 v[164:165], v[144:145], v[134:135]
	s_wait_loadcnt 0x2
	v_fmac_f64_e32 v[164:165], v[130:131], v[136:137]
	s_wait_dscnt 0x0
	s_delay_alu instid0(VALU_DEP_1) | instskip(SKIP_4) | instid1(VALU_DEP_1)
	v_fmac_f64_e32 v[164:165], v[132:133], v[138:139]
	ds_load_b128 v[130:133], v2 offset:976
	s_wait_loadcnt 0x0
	v_fmac_f64_e32 v[164:165], v[146:147], v[140:141]
	s_wait_dscnt 0x0
	v_fmac_f64_e32 v[164:165], v[148:149], v[130:131]
	s_delay_alu instid0(VALU_DEP_1) | instskip(NEXT) | instid1(VALU_DEP_1)
	v_fmac_f64_e32 v[164:165], v[156:157], v[132:133]
	v_add_f64_e64 v[2:3], v[128:129], -v[164:165]
	scratch_store_b64 off, v[2:3], off offset:248
	s_wait_xcnt 0x0
	v_cmpx_lt_u32_e32 30, v0
	s_cbranch_execz .LBB125_321
; %bb.320:
	scratch_load_b64 v[2:3], off, off offset:240
	v_mov_b64_e32 v[128:129], 0
	scratch_store_b64 off, v[128:129], off offset:240
	s_wait_loadcnt 0x0
	ds_store_b64 v1, v[2:3]
.LBB125_321:
	s_wait_xcnt 0x0
	s_or_b32 exec_lo, exec_lo, s0
	s_wait_storecnt_dscnt 0x0
	s_barrier_signal -1
	s_barrier_wait -1
	s_clause 0x5
	scratch_load_b128 v[128:131], off, off offset:240
	scratch_load_b128 v[132:135], off, off offset:256
	;; [unrolled: 1-line block ×6, first 2 shown]
	v_mov_b32_e32 v2, 0
	ds_load_2addr_b64 v[152:155], v2 offset0:93 offset1:94
	ds_load_2addr_b64 v[156:159], v2 offset0:95 offset1:96
	scratch_load_b128 v[160:163], off, off offset:336
	s_mov_b32 s0, exec_lo
	s_wait_loadcnt_dscnt 0x601
	v_fma_f64 v[164:165], v[130:131], v[152:153], 0
	s_wait_loadcnt 0x5
	s_delay_alu instid0(VALU_DEP_1) | instskip(SKIP_4) | instid1(VALU_DEP_1)
	v_fmac_f64_e32 v[164:165], v[132:133], v[154:155]
	scratch_load_b128 v[130:133], off, off offset:352
	s_wait_dscnt 0x0
	v_fmac_f64_e32 v[164:165], v[134:135], v[156:157]
	s_wait_loadcnt 0x5
	v_fmac_f64_e32 v[164:165], v[136:137], v[158:159]
	ds_load_2addr_b64 v[134:137], v2 offset0:97 offset1:98
	ds_load_2addr_b64 v[152:155], v2 offset0:99 offset1:100
	scratch_load_b128 v[156:159], off, off offset:368
	s_wait_dscnt 0x1
	v_fmac_f64_e32 v[164:165], v[138:139], v[134:135]
	s_wait_loadcnt 0x5
	s_delay_alu instid0(VALU_DEP_1) | instskip(SKIP_4) | instid1(VALU_DEP_1)
	v_fmac_f64_e32 v[164:165], v[140:141], v[136:137]
	scratch_load_b128 v[134:137], off, off offset:384
	s_wait_dscnt 0x0
	v_fmac_f64_e32 v[164:165], v[142:143], v[152:153]
	s_wait_loadcnt 0x5
	v_fmac_f64_e32 v[164:165], v[144:145], v[154:155]
	ds_load_2addr_b64 v[138:141], v2 offset0:101 offset1:102
	ds_load_2addr_b64 v[142:145], v2 offset0:103 offset1:104
	scratch_load_b128 v[152:155], off, off offset:400
	s_wait_dscnt 0x1
	v_fmac_f64_e32 v[164:165], v[146:147], v[138:139]
	s_wait_loadcnt 0x5
	s_delay_alu instid0(VALU_DEP_1) | instskip(SKIP_4) | instid1(VALU_DEP_1)
	v_fmac_f64_e32 v[164:165], v[148:149], v[140:141]
	scratch_load_b128 v[138:141], off, off offset:416
	s_wait_dscnt 0x0
	v_fmac_f64_e32 v[164:165], v[150:151], v[142:143]
	s_wait_loadcnt 0x5
	v_fmac_f64_e32 v[164:165], v[160:161], v[144:145]
	ds_load_2addr_b64 v[142:145], v2 offset0:105 offset1:106
	ds_load_2addr_b64 v[146:149], v2 offset0:107 offset1:108
	s_wait_dscnt 0x1
	v_fmac_f64_e32 v[164:165], v[162:163], v[142:143]
	s_wait_loadcnt 0x4
	s_delay_alu instid0(VALU_DEP_1)
	v_fmac_f64_e32 v[164:165], v[130:131], v[144:145]
	scratch_load_b128 v[142:145], off, off offset:432
	s_wait_dscnt 0x0
	v_fmac_f64_e32 v[164:165], v[132:133], v[146:147]
	scratch_load_b128 v[130:133], off, off offset:448
	s_wait_loadcnt 0x5
	v_fmac_f64_e32 v[164:165], v[156:157], v[148:149]
	ds_load_2addr_b64 v[146:149], v2 offset0:109 offset1:110
	ds_load_2addr_b64 v[160:163], v2 offset0:111 offset1:112
	s_wait_dscnt 0x1
	v_fmac_f64_e32 v[164:165], v[158:159], v[146:147]
	s_wait_loadcnt 0x4
	s_delay_alu instid0(VALU_DEP_1)
	v_fmac_f64_e32 v[164:165], v[134:135], v[148:149]
	scratch_load_b128 v[146:149], off, off offset:464
	s_wait_dscnt 0x0
	v_fmac_f64_e32 v[164:165], v[136:137], v[160:161]
	scratch_load_b128 v[134:137], off, off offset:480
	s_wait_loadcnt 0x5
	v_fmac_f64_e32 v[164:165], v[152:153], v[162:163]
	ds_load_2addr_b64 v[150:153], v2 offset0:113 offset1:114
	ds_load_2addr_b64 v[156:159], v2 offset0:115 offset1:116
	s_wait_dscnt 0x1
	v_fmac_f64_e32 v[164:165], v[154:155], v[150:151]
	s_wait_loadcnt 0x4
	s_delay_alu instid0(VALU_DEP_1) | instskip(SKIP_1) | instid1(VALU_DEP_1)
	v_fmac_f64_e32 v[164:165], v[138:139], v[152:153]
	s_wait_dscnt 0x0
	v_fmac_f64_e32 v[164:165], v[140:141], v[156:157]
	ds_load_2addr_b64 v[138:141], v2 offset0:117 offset1:118
	ds_load_2addr_b64 v[150:153], v2 offset0:119 offset1:120
	s_wait_loadcnt 0x3
	v_fmac_f64_e32 v[164:165], v[142:143], v[158:159]
	s_wait_dscnt 0x1
	s_delay_alu instid0(VALU_DEP_1) | instskip(SKIP_1) | instid1(VALU_DEP_1)
	v_fmac_f64_e32 v[164:165], v[144:145], v[138:139]
	s_wait_loadcnt 0x2
	v_fmac_f64_e32 v[164:165], v[130:131], v[140:141]
	s_wait_dscnt 0x0
	s_delay_alu instid0(VALU_DEP_1)
	v_fmac_f64_e32 v[164:165], v[132:133], v[150:151]
	ds_load_2addr_b64 v[130:133], v2 offset0:121 offset1:122
	ds_load_b64 v[138:139], v2 offset:984
	s_wait_loadcnt 0x1
	v_fmac_f64_e32 v[164:165], v[146:147], v[152:153]
	s_wait_dscnt 0x1
	s_delay_alu instid0(VALU_DEP_1) | instskip(SKIP_1) | instid1(VALU_DEP_1)
	v_fmac_f64_e32 v[164:165], v[148:149], v[130:131]
	s_wait_loadcnt 0x0
	v_fmac_f64_e32 v[164:165], v[134:135], v[132:133]
	s_wait_dscnt 0x0
	s_delay_alu instid0(VALU_DEP_1) | instskip(NEXT) | instid1(VALU_DEP_1)
	v_fmac_f64_e32 v[164:165], v[136:137], v[138:139]
	v_add_f64_e64 v[128:129], v[128:129], -v[164:165]
	scratch_store_b64 off, v[128:129], off offset:240
	s_wait_xcnt 0x0
	v_cmpx_lt_u32_e32 29, v0
	s_cbranch_execz .LBB125_323
; %bb.322:
	scratch_load_b64 v[128:129], off, off offset:232
	v_mov_b64_e32 v[130:131], 0
	scratch_store_b64 off, v[130:131], off offset:232
	s_wait_loadcnt 0x0
	ds_store_b64 v1, v[128:129]
.LBB125_323:
	s_wait_xcnt 0x0
	s_or_b32 exec_lo, exec_lo, s0
	s_wait_storecnt_dscnt 0x0
	s_barrier_signal -1
	s_barrier_wait -1
	s_clause 0x5
	scratch_load_b128 v[128:131], off, off offset:232
	scratch_load_b128 v[132:135], off, off offset:248
	;; [unrolled: 1-line block ×6, first 2 shown]
	ds_load_b128 v[152:155], v2 offset:736
	ds_load_b128 v[156:159], v2 offset:752
	scratch_load_b128 v[160:163], off, off offset:328
	s_mov_b32 s0, exec_lo
	s_wait_loadcnt_dscnt 0x601
	v_fma_f64 v[164:165], v[130:131], v[152:153], 0
	s_wait_loadcnt 0x5
	s_delay_alu instid0(VALU_DEP_1) | instskip(SKIP_4) | instid1(VALU_DEP_1)
	v_fmac_f64_e32 v[164:165], v[132:133], v[154:155]
	scratch_load_b128 v[130:133], off, off offset:344
	s_wait_dscnt 0x0
	v_fmac_f64_e32 v[164:165], v[134:135], v[156:157]
	s_wait_loadcnt 0x5
	v_fmac_f64_e32 v[164:165], v[136:137], v[158:159]
	ds_load_b128 v[134:137], v2 offset:768
	ds_load_b128 v[152:155], v2 offset:784
	scratch_load_b128 v[156:159], off, off offset:360
	s_wait_dscnt 0x1
	v_fmac_f64_e32 v[164:165], v[138:139], v[134:135]
	s_wait_loadcnt 0x5
	s_delay_alu instid0(VALU_DEP_1) | instskip(SKIP_4) | instid1(VALU_DEP_1)
	v_fmac_f64_e32 v[164:165], v[140:141], v[136:137]
	scratch_load_b128 v[134:137], off, off offset:376
	s_wait_dscnt 0x0
	v_fmac_f64_e32 v[164:165], v[142:143], v[152:153]
	s_wait_loadcnt 0x5
	v_fmac_f64_e32 v[164:165], v[144:145], v[154:155]
	ds_load_b128 v[138:141], v2 offset:800
	ds_load_b128 v[142:145], v2 offset:816
	scratch_load_b128 v[152:155], off, off offset:392
	s_wait_dscnt 0x1
	v_fmac_f64_e32 v[164:165], v[146:147], v[138:139]
	s_wait_loadcnt 0x5
	s_delay_alu instid0(VALU_DEP_1) | instskip(SKIP_4) | instid1(VALU_DEP_1)
	v_fmac_f64_e32 v[164:165], v[148:149], v[140:141]
	scratch_load_b128 v[138:141], off, off offset:408
	s_wait_dscnt 0x0
	v_fmac_f64_e32 v[164:165], v[150:151], v[142:143]
	s_wait_loadcnt 0x5
	v_fmac_f64_e32 v[164:165], v[160:161], v[144:145]
	ds_load_b128 v[142:145], v2 offset:832
	ds_load_b128 v[146:149], v2 offset:848
	s_wait_dscnt 0x1
	v_fmac_f64_e32 v[164:165], v[162:163], v[142:143]
	s_wait_loadcnt 0x4
	s_delay_alu instid0(VALU_DEP_1)
	v_fmac_f64_e32 v[164:165], v[130:131], v[144:145]
	scratch_load_b128 v[142:145], off, off offset:424
	s_wait_dscnt 0x0
	v_fmac_f64_e32 v[164:165], v[132:133], v[146:147]
	scratch_load_b128 v[130:133], off, off offset:440
	s_wait_loadcnt 0x5
	v_fmac_f64_e32 v[164:165], v[156:157], v[148:149]
	ds_load_b128 v[146:149], v2 offset:864
	ds_load_b128 v[160:163], v2 offset:880
	s_wait_dscnt 0x1
	v_fmac_f64_e32 v[164:165], v[158:159], v[146:147]
	s_wait_loadcnt 0x4
	s_delay_alu instid0(VALU_DEP_1)
	v_fmac_f64_e32 v[164:165], v[134:135], v[148:149]
	scratch_load_b128 v[146:149], off, off offset:456
	s_wait_dscnt 0x0
	v_fmac_f64_e32 v[164:165], v[136:137], v[160:161]
	scratch_load_b128 v[134:137], off, off offset:472
	s_wait_loadcnt 0x5
	v_fmac_f64_e32 v[164:165], v[152:153], v[162:163]
	ds_load_b128 v[150:153], v2 offset:896
	ds_load_b128 v[156:159], v2 offset:912
	s_wait_dscnt 0x1
	v_fmac_f64_e32 v[164:165], v[154:155], v[150:151]
	scratch_load_b64 v[154:155], off, off offset:488
	s_wait_loadcnt 0x5
	v_fmac_f64_e32 v[164:165], v[138:139], v[152:153]
	s_wait_dscnt 0x0
	s_delay_alu instid0(VALU_DEP_1)
	v_fmac_f64_e32 v[164:165], v[140:141], v[156:157]
	ds_load_b128 v[138:141], v2 offset:928
	ds_load_b128 v[150:153], v2 offset:944
	s_wait_loadcnt 0x4
	v_fmac_f64_e32 v[164:165], v[142:143], v[158:159]
	s_wait_dscnt 0x1
	s_delay_alu instid0(VALU_DEP_1) | instskip(SKIP_1) | instid1(VALU_DEP_1)
	v_fmac_f64_e32 v[164:165], v[144:145], v[138:139]
	s_wait_loadcnt 0x3
	v_fmac_f64_e32 v[164:165], v[130:131], v[140:141]
	s_wait_dscnt 0x0
	s_delay_alu instid0(VALU_DEP_1)
	v_fmac_f64_e32 v[164:165], v[132:133], v[150:151]
	ds_load_b128 v[130:133], v2 offset:960
	ds_load_b128 v[138:141], v2 offset:976
	s_wait_loadcnt 0x2
	v_fmac_f64_e32 v[164:165], v[146:147], v[152:153]
	s_wait_dscnt 0x1
	s_delay_alu instid0(VALU_DEP_1) | instskip(SKIP_1) | instid1(VALU_DEP_1)
	v_fmac_f64_e32 v[164:165], v[148:149], v[130:131]
	s_wait_loadcnt 0x1
	v_fmac_f64_e32 v[164:165], v[134:135], v[132:133]
	s_wait_dscnt 0x0
	s_delay_alu instid0(VALU_DEP_1) | instskip(SKIP_1) | instid1(VALU_DEP_1)
	v_fmac_f64_e32 v[164:165], v[136:137], v[138:139]
	s_wait_loadcnt 0x0
	v_fmac_f64_e32 v[164:165], v[154:155], v[140:141]
	s_delay_alu instid0(VALU_DEP_1)
	v_add_f64_e64 v[2:3], v[128:129], -v[164:165]
	scratch_store_b64 off, v[2:3], off offset:232
	s_wait_xcnt 0x0
	v_cmpx_lt_u32_e32 28, v0
	s_cbranch_execz .LBB125_325
; %bb.324:
	scratch_load_b64 v[2:3], off, off offset:224
	v_mov_b64_e32 v[128:129], 0
	scratch_store_b64 off, v[128:129], off offset:224
	s_wait_loadcnt 0x0
	ds_store_b64 v1, v[2:3]
.LBB125_325:
	s_wait_xcnt 0x0
	s_or_b32 exec_lo, exec_lo, s0
	s_wait_storecnt_dscnt 0x0
	s_barrier_signal -1
	s_barrier_wait -1
	s_clause 0x5
	scratch_load_b128 v[128:131], off, off offset:224
	scratch_load_b128 v[132:135], off, off offset:240
	;; [unrolled: 1-line block ×6, first 2 shown]
	v_mov_b32_e32 v2, 0
	ds_load_2addr_b64 v[152:155], v2 offset0:91 offset1:92
	ds_load_2addr_b64 v[156:159], v2 offset0:93 offset1:94
	scratch_load_b128 v[160:163], off, off offset:320
	s_mov_b32 s0, exec_lo
	s_wait_loadcnt_dscnt 0x601
	v_fma_f64 v[164:165], v[130:131], v[152:153], 0
	s_wait_loadcnt 0x5
	s_delay_alu instid0(VALU_DEP_1) | instskip(SKIP_4) | instid1(VALU_DEP_1)
	v_fmac_f64_e32 v[164:165], v[132:133], v[154:155]
	scratch_load_b128 v[130:133], off, off offset:336
	s_wait_dscnt 0x0
	v_fmac_f64_e32 v[164:165], v[134:135], v[156:157]
	s_wait_loadcnt 0x5
	v_fmac_f64_e32 v[164:165], v[136:137], v[158:159]
	ds_load_2addr_b64 v[134:137], v2 offset0:95 offset1:96
	ds_load_2addr_b64 v[152:155], v2 offset0:97 offset1:98
	scratch_load_b128 v[156:159], off, off offset:352
	s_wait_dscnt 0x1
	v_fmac_f64_e32 v[164:165], v[138:139], v[134:135]
	s_wait_loadcnt 0x5
	s_delay_alu instid0(VALU_DEP_1) | instskip(SKIP_4) | instid1(VALU_DEP_1)
	v_fmac_f64_e32 v[164:165], v[140:141], v[136:137]
	scratch_load_b128 v[134:137], off, off offset:368
	s_wait_dscnt 0x0
	v_fmac_f64_e32 v[164:165], v[142:143], v[152:153]
	s_wait_loadcnt 0x5
	v_fmac_f64_e32 v[164:165], v[144:145], v[154:155]
	ds_load_2addr_b64 v[138:141], v2 offset0:99 offset1:100
	ds_load_2addr_b64 v[142:145], v2 offset0:101 offset1:102
	scratch_load_b128 v[152:155], off, off offset:384
	s_wait_dscnt 0x1
	v_fmac_f64_e32 v[164:165], v[146:147], v[138:139]
	s_wait_loadcnt 0x5
	s_delay_alu instid0(VALU_DEP_1) | instskip(SKIP_4) | instid1(VALU_DEP_1)
	v_fmac_f64_e32 v[164:165], v[148:149], v[140:141]
	scratch_load_b128 v[138:141], off, off offset:400
	s_wait_dscnt 0x0
	v_fmac_f64_e32 v[164:165], v[150:151], v[142:143]
	s_wait_loadcnt 0x5
	v_fmac_f64_e32 v[164:165], v[160:161], v[144:145]
	ds_load_2addr_b64 v[142:145], v2 offset0:103 offset1:104
	ds_load_2addr_b64 v[146:149], v2 offset0:105 offset1:106
	s_wait_dscnt 0x1
	v_fmac_f64_e32 v[164:165], v[162:163], v[142:143]
	s_wait_loadcnt 0x4
	s_delay_alu instid0(VALU_DEP_1)
	v_fmac_f64_e32 v[164:165], v[130:131], v[144:145]
	scratch_load_b128 v[142:145], off, off offset:416
	s_wait_dscnt 0x0
	v_fmac_f64_e32 v[164:165], v[132:133], v[146:147]
	scratch_load_b128 v[130:133], off, off offset:432
	s_wait_loadcnt 0x5
	v_fmac_f64_e32 v[164:165], v[156:157], v[148:149]
	ds_load_2addr_b64 v[146:149], v2 offset0:107 offset1:108
	ds_load_2addr_b64 v[160:163], v2 offset0:109 offset1:110
	s_wait_dscnt 0x1
	v_fmac_f64_e32 v[164:165], v[158:159], v[146:147]
	s_wait_loadcnt 0x4
	s_delay_alu instid0(VALU_DEP_1)
	v_fmac_f64_e32 v[164:165], v[134:135], v[148:149]
	scratch_load_b128 v[146:149], off, off offset:448
	s_wait_dscnt 0x0
	v_fmac_f64_e32 v[164:165], v[136:137], v[160:161]
	scratch_load_b128 v[134:137], off, off offset:464
	s_wait_loadcnt 0x5
	v_fmac_f64_e32 v[164:165], v[152:153], v[162:163]
	ds_load_2addr_b64 v[150:153], v2 offset0:111 offset1:112
	ds_load_2addr_b64 v[156:159], v2 offset0:113 offset1:114
	s_wait_dscnt 0x1
	v_fmac_f64_e32 v[164:165], v[154:155], v[150:151]
	s_wait_loadcnt 0x4
	s_delay_alu instid0(VALU_DEP_1)
	v_fmac_f64_e32 v[164:165], v[138:139], v[152:153]
	scratch_load_b128 v[150:153], off, off offset:480
	s_wait_dscnt 0x0
	v_fmac_f64_e32 v[164:165], v[140:141], v[156:157]
	ds_load_2addr_b64 v[138:141], v2 offset0:115 offset1:116
	ds_load_2addr_b64 v[154:157], v2 offset0:117 offset1:118
	s_wait_loadcnt 0x4
	v_fmac_f64_e32 v[164:165], v[142:143], v[158:159]
	s_wait_dscnt 0x1
	s_delay_alu instid0(VALU_DEP_1) | instskip(SKIP_1) | instid1(VALU_DEP_1)
	v_fmac_f64_e32 v[164:165], v[144:145], v[138:139]
	s_wait_loadcnt 0x3
	v_fmac_f64_e32 v[164:165], v[130:131], v[140:141]
	s_wait_dscnt 0x0
	s_delay_alu instid0(VALU_DEP_1)
	v_fmac_f64_e32 v[164:165], v[132:133], v[154:155]
	ds_load_2addr_b64 v[130:133], v2 offset0:119 offset1:120
	ds_load_2addr_b64 v[138:141], v2 offset0:121 offset1:122
	s_wait_loadcnt 0x2
	v_fmac_f64_e32 v[164:165], v[146:147], v[156:157]
	s_wait_dscnt 0x1
	s_delay_alu instid0(VALU_DEP_1) | instskip(SKIP_4) | instid1(VALU_DEP_1)
	v_fmac_f64_e32 v[164:165], v[148:149], v[130:131]
	ds_load_b64 v[130:131], v2 offset:984
	s_wait_loadcnt 0x1
	v_fmac_f64_e32 v[164:165], v[134:135], v[132:133]
	s_wait_dscnt 0x1
	v_fmac_f64_e32 v[164:165], v[136:137], v[138:139]
	s_wait_loadcnt 0x0
	s_delay_alu instid0(VALU_DEP_1) | instskip(SKIP_1) | instid1(VALU_DEP_1)
	v_fmac_f64_e32 v[164:165], v[150:151], v[140:141]
	s_wait_dscnt 0x0
	v_fmac_f64_e32 v[164:165], v[152:153], v[130:131]
	s_delay_alu instid0(VALU_DEP_1)
	v_add_f64_e64 v[128:129], v[128:129], -v[164:165]
	scratch_store_b64 off, v[128:129], off offset:224
	s_wait_xcnt 0x0
	v_cmpx_lt_u32_e32 27, v0
	s_cbranch_execz .LBB125_327
; %bb.326:
	scratch_load_b64 v[128:129], off, off offset:216
	v_mov_b64_e32 v[130:131], 0
	scratch_store_b64 off, v[130:131], off offset:216
	s_wait_loadcnt 0x0
	ds_store_b64 v1, v[128:129]
.LBB125_327:
	s_wait_xcnt 0x0
	s_or_b32 exec_lo, exec_lo, s0
	s_wait_storecnt_dscnt 0x0
	s_barrier_signal -1
	s_barrier_wait -1
	s_clause 0x5
	scratch_load_b128 v[128:131], off, off offset:216
	scratch_load_b128 v[132:135], off, off offset:232
	scratch_load_b128 v[136:139], off, off offset:248
	scratch_load_b128 v[140:143], off, off offset:264
	scratch_load_b128 v[144:147], off, off offset:280
	scratch_load_b128 v[148:151], off, off offset:296
	ds_load_b128 v[152:155], v2 offset:720
	ds_load_b128 v[156:159], v2 offset:736
	scratch_load_b128 v[160:163], off, off offset:312
	s_mov_b32 s0, exec_lo
	s_wait_loadcnt_dscnt 0x601
	v_fma_f64 v[164:165], v[130:131], v[152:153], 0
	s_wait_loadcnt 0x5
	s_delay_alu instid0(VALU_DEP_1) | instskip(SKIP_4) | instid1(VALU_DEP_1)
	v_fmac_f64_e32 v[164:165], v[132:133], v[154:155]
	scratch_load_b128 v[130:133], off, off offset:328
	s_wait_dscnt 0x0
	v_fmac_f64_e32 v[164:165], v[134:135], v[156:157]
	s_wait_loadcnt 0x5
	v_fmac_f64_e32 v[164:165], v[136:137], v[158:159]
	ds_load_b128 v[134:137], v2 offset:752
	ds_load_b128 v[152:155], v2 offset:768
	scratch_load_b128 v[156:159], off, off offset:344
	s_wait_dscnt 0x1
	v_fmac_f64_e32 v[164:165], v[138:139], v[134:135]
	s_wait_loadcnt 0x5
	s_delay_alu instid0(VALU_DEP_1) | instskip(SKIP_4) | instid1(VALU_DEP_1)
	v_fmac_f64_e32 v[164:165], v[140:141], v[136:137]
	scratch_load_b128 v[134:137], off, off offset:360
	s_wait_dscnt 0x0
	v_fmac_f64_e32 v[164:165], v[142:143], v[152:153]
	s_wait_loadcnt 0x5
	v_fmac_f64_e32 v[164:165], v[144:145], v[154:155]
	ds_load_b128 v[138:141], v2 offset:784
	ds_load_b128 v[142:145], v2 offset:800
	scratch_load_b128 v[152:155], off, off offset:376
	s_wait_dscnt 0x1
	v_fmac_f64_e32 v[164:165], v[146:147], v[138:139]
	s_wait_loadcnt 0x5
	s_delay_alu instid0(VALU_DEP_1) | instskip(SKIP_4) | instid1(VALU_DEP_1)
	v_fmac_f64_e32 v[164:165], v[148:149], v[140:141]
	scratch_load_b128 v[138:141], off, off offset:392
	s_wait_dscnt 0x0
	v_fmac_f64_e32 v[164:165], v[150:151], v[142:143]
	s_wait_loadcnt 0x5
	v_fmac_f64_e32 v[164:165], v[160:161], v[144:145]
	ds_load_b128 v[142:145], v2 offset:816
	ds_load_b128 v[146:149], v2 offset:832
	s_wait_dscnt 0x1
	v_fmac_f64_e32 v[164:165], v[162:163], v[142:143]
	scratch_load_b128 v[160:163], off, off offset:408
	s_wait_loadcnt 0x5
	v_fmac_f64_e32 v[164:165], v[130:131], v[144:145]
	s_wait_dscnt 0x0
	s_delay_alu instid0(VALU_DEP_1)
	v_fmac_f64_e32 v[164:165], v[132:133], v[146:147]
	scratch_load_b128 v[130:133], off, off offset:424
	s_wait_loadcnt 0x5
	v_fmac_f64_e32 v[164:165], v[156:157], v[148:149]
	ds_load_b128 v[142:145], v2 offset:848
	ds_load_b128 v[146:149], v2 offset:864
	s_wait_dscnt 0x1
	v_fmac_f64_e32 v[164:165], v[158:159], v[142:143]
	s_wait_loadcnt 0x4
	s_delay_alu instid0(VALU_DEP_1)
	v_fmac_f64_e32 v[164:165], v[134:135], v[144:145]
	scratch_load_b128 v[142:145], off, off offset:440
	s_wait_dscnt 0x0
	v_fmac_f64_e32 v[164:165], v[136:137], v[146:147]
	scratch_load_b128 v[134:137], off, off offset:456
	s_wait_loadcnt 0x5
	v_fmac_f64_e32 v[164:165], v[152:153], v[148:149]
	ds_load_b128 v[146:149], v2 offset:880
	ds_load_b128 v[150:153], v2 offset:896
	s_wait_dscnt 0x1
	v_fmac_f64_e32 v[164:165], v[154:155], v[146:147]
	scratch_load_b64 v[154:155], off, off offset:488
	s_wait_loadcnt 0x5
	v_fmac_f64_e32 v[164:165], v[138:139], v[148:149]
	scratch_load_b128 v[146:149], off, off offset:472
	s_wait_dscnt 0x0
	v_fmac_f64_e32 v[164:165], v[140:141], v[150:151]
	s_wait_loadcnt 0x5
	s_delay_alu instid0(VALU_DEP_1)
	v_fmac_f64_e32 v[164:165], v[160:161], v[152:153]
	ds_load_b128 v[138:141], v2 offset:912
	ds_load_b128 v[150:153], v2 offset:928
	s_wait_dscnt 0x1
	v_fmac_f64_e32 v[164:165], v[162:163], v[138:139]
	s_wait_loadcnt 0x4
	s_delay_alu instid0(VALU_DEP_1) | instskip(SKIP_1) | instid1(VALU_DEP_1)
	v_fmac_f64_e32 v[164:165], v[130:131], v[140:141]
	s_wait_dscnt 0x0
	v_fmac_f64_e32 v[164:165], v[132:133], v[150:151]
	ds_load_b128 v[130:133], v2 offset:944
	ds_load_b128 v[138:141], v2 offset:960
	s_wait_loadcnt 0x3
	v_fmac_f64_e32 v[164:165], v[142:143], v[152:153]
	s_wait_dscnt 0x1
	s_delay_alu instid0(VALU_DEP_1) | instskip(SKIP_1) | instid1(VALU_DEP_1)
	v_fmac_f64_e32 v[164:165], v[144:145], v[130:131]
	s_wait_loadcnt 0x2
	v_fmac_f64_e32 v[164:165], v[134:135], v[132:133]
	ds_load_b128 v[130:133], v2 offset:976
	s_wait_dscnt 0x1
	v_fmac_f64_e32 v[164:165], v[136:137], v[138:139]
	s_wait_loadcnt 0x0
	s_delay_alu instid0(VALU_DEP_1) | instskip(SKIP_1) | instid1(VALU_DEP_1)
	v_fmac_f64_e32 v[164:165], v[146:147], v[140:141]
	s_wait_dscnt 0x0
	v_fmac_f64_e32 v[164:165], v[148:149], v[130:131]
	s_delay_alu instid0(VALU_DEP_1) | instskip(NEXT) | instid1(VALU_DEP_1)
	v_fmac_f64_e32 v[164:165], v[154:155], v[132:133]
	v_add_f64_e64 v[2:3], v[128:129], -v[164:165]
	scratch_store_b64 off, v[2:3], off offset:216
	s_wait_xcnt 0x0
	v_cmpx_lt_u32_e32 26, v0
	s_cbranch_execz .LBB125_329
; %bb.328:
	scratch_load_b64 v[2:3], off, off offset:208
	v_mov_b64_e32 v[128:129], 0
	scratch_store_b64 off, v[128:129], off offset:208
	s_wait_loadcnt 0x0
	ds_store_b64 v1, v[2:3]
.LBB125_329:
	s_wait_xcnt 0x0
	s_or_b32 exec_lo, exec_lo, s0
	s_wait_storecnt_dscnt 0x0
	s_barrier_signal -1
	s_barrier_wait -1
	s_clause 0x5
	scratch_load_b128 v[128:131], off, off offset:208
	scratch_load_b128 v[132:135], off, off offset:224
	;; [unrolled: 1-line block ×6, first 2 shown]
	v_mov_b32_e32 v2, 0
	ds_load_2addr_b64 v[152:155], v2 offset0:89 offset1:90
	ds_load_2addr_b64 v[156:159], v2 offset0:91 offset1:92
	scratch_load_b128 v[160:163], off, off offset:304
	s_mov_b32 s0, exec_lo
	s_wait_loadcnt_dscnt 0x601
	v_fma_f64 v[164:165], v[130:131], v[152:153], 0
	s_wait_loadcnt 0x5
	s_delay_alu instid0(VALU_DEP_1) | instskip(SKIP_4) | instid1(VALU_DEP_1)
	v_fmac_f64_e32 v[164:165], v[132:133], v[154:155]
	scratch_load_b128 v[130:133], off, off offset:320
	s_wait_dscnt 0x0
	v_fmac_f64_e32 v[164:165], v[134:135], v[156:157]
	s_wait_loadcnt 0x5
	v_fmac_f64_e32 v[164:165], v[136:137], v[158:159]
	ds_load_2addr_b64 v[134:137], v2 offset0:93 offset1:94
	ds_load_2addr_b64 v[152:155], v2 offset0:95 offset1:96
	scratch_load_b128 v[156:159], off, off offset:336
	s_wait_dscnt 0x1
	v_fmac_f64_e32 v[164:165], v[138:139], v[134:135]
	s_wait_loadcnt 0x5
	s_delay_alu instid0(VALU_DEP_1) | instskip(SKIP_4) | instid1(VALU_DEP_1)
	v_fmac_f64_e32 v[164:165], v[140:141], v[136:137]
	scratch_load_b128 v[134:137], off, off offset:352
	s_wait_dscnt 0x0
	v_fmac_f64_e32 v[164:165], v[142:143], v[152:153]
	s_wait_loadcnt 0x5
	v_fmac_f64_e32 v[164:165], v[144:145], v[154:155]
	ds_load_2addr_b64 v[138:141], v2 offset0:97 offset1:98
	ds_load_2addr_b64 v[142:145], v2 offset0:99 offset1:100
	scratch_load_b128 v[152:155], off, off offset:368
	s_wait_dscnt 0x1
	v_fmac_f64_e32 v[164:165], v[146:147], v[138:139]
	s_wait_loadcnt 0x5
	s_delay_alu instid0(VALU_DEP_1) | instskip(SKIP_4) | instid1(VALU_DEP_1)
	v_fmac_f64_e32 v[164:165], v[148:149], v[140:141]
	scratch_load_b128 v[138:141], off, off offset:384
	s_wait_dscnt 0x0
	v_fmac_f64_e32 v[164:165], v[150:151], v[142:143]
	s_wait_loadcnt 0x5
	v_fmac_f64_e32 v[164:165], v[160:161], v[144:145]
	ds_load_2addr_b64 v[142:145], v2 offset0:101 offset1:102
	ds_load_2addr_b64 v[146:149], v2 offset0:103 offset1:104
	s_wait_dscnt 0x1
	v_fmac_f64_e32 v[164:165], v[162:163], v[142:143]
	scratch_load_b128 v[160:163], off, off offset:400
	s_wait_loadcnt 0x5
	v_fmac_f64_e32 v[164:165], v[130:131], v[144:145]
	s_wait_dscnt 0x0
	s_delay_alu instid0(VALU_DEP_1)
	v_fmac_f64_e32 v[164:165], v[132:133], v[146:147]
	scratch_load_b128 v[130:133], off, off offset:416
	s_wait_loadcnt 0x5
	v_fmac_f64_e32 v[164:165], v[156:157], v[148:149]
	ds_load_2addr_b64 v[142:145], v2 offset0:105 offset1:106
	ds_load_2addr_b64 v[146:149], v2 offset0:107 offset1:108
	s_wait_dscnt 0x1
	v_fmac_f64_e32 v[164:165], v[158:159], v[142:143]
	s_wait_loadcnt 0x4
	s_delay_alu instid0(VALU_DEP_1)
	v_fmac_f64_e32 v[164:165], v[134:135], v[144:145]
	scratch_load_b128 v[142:145], off, off offset:432
	s_wait_dscnt 0x0
	v_fmac_f64_e32 v[164:165], v[136:137], v[146:147]
	scratch_load_b128 v[134:137], off, off offset:448
	s_wait_loadcnt 0x5
	v_fmac_f64_e32 v[164:165], v[152:153], v[148:149]
	ds_load_2addr_b64 v[146:149], v2 offset0:109 offset1:110
	ds_load_2addr_b64 v[150:153], v2 offset0:111 offset1:112
	s_wait_dscnt 0x1
	v_fmac_f64_e32 v[164:165], v[154:155], v[146:147]
	s_wait_loadcnt 0x4
	s_delay_alu instid0(VALU_DEP_1)
	v_fmac_f64_e32 v[164:165], v[138:139], v[148:149]
	scratch_load_b128 v[146:149], off, off offset:464
	s_wait_dscnt 0x0
	v_fmac_f64_e32 v[164:165], v[140:141], v[150:151]
	scratch_load_b128 v[138:141], off, off offset:480
	s_wait_loadcnt 0x5
	v_fmac_f64_e32 v[164:165], v[160:161], v[152:153]
	ds_load_2addr_b64 v[150:153], v2 offset0:113 offset1:114
	ds_load_2addr_b64 v[154:157], v2 offset0:115 offset1:116
	s_wait_dscnt 0x1
	v_fmac_f64_e32 v[164:165], v[162:163], v[150:151]
	s_wait_loadcnt 0x4
	s_delay_alu instid0(VALU_DEP_1) | instskip(SKIP_1) | instid1(VALU_DEP_1)
	v_fmac_f64_e32 v[164:165], v[130:131], v[152:153]
	s_wait_dscnt 0x0
	v_fmac_f64_e32 v[164:165], v[132:133], v[154:155]
	ds_load_2addr_b64 v[130:133], v2 offset0:117 offset1:118
	ds_load_2addr_b64 v[150:153], v2 offset0:119 offset1:120
	s_wait_loadcnt 0x3
	v_fmac_f64_e32 v[164:165], v[142:143], v[156:157]
	s_wait_dscnt 0x1
	s_delay_alu instid0(VALU_DEP_1) | instskip(SKIP_1) | instid1(VALU_DEP_1)
	v_fmac_f64_e32 v[164:165], v[144:145], v[130:131]
	s_wait_loadcnt 0x2
	v_fmac_f64_e32 v[164:165], v[134:135], v[132:133]
	ds_load_2addr_b64 v[130:133], v2 offset0:121 offset1:122
	ds_load_b64 v[134:135], v2 offset:984
	s_wait_dscnt 0x2
	v_fmac_f64_e32 v[164:165], v[136:137], v[150:151]
	s_wait_loadcnt 0x1
	s_delay_alu instid0(VALU_DEP_1) | instskip(SKIP_1) | instid1(VALU_DEP_1)
	v_fmac_f64_e32 v[164:165], v[146:147], v[152:153]
	s_wait_dscnt 0x1
	v_fmac_f64_e32 v[164:165], v[148:149], v[130:131]
	s_wait_loadcnt 0x0
	s_delay_alu instid0(VALU_DEP_1) | instskip(SKIP_1) | instid1(VALU_DEP_1)
	v_fmac_f64_e32 v[164:165], v[138:139], v[132:133]
	s_wait_dscnt 0x0
	v_fmac_f64_e32 v[164:165], v[140:141], v[134:135]
	s_delay_alu instid0(VALU_DEP_1)
	v_add_f64_e64 v[128:129], v[128:129], -v[164:165]
	scratch_store_b64 off, v[128:129], off offset:208
	s_wait_xcnt 0x0
	v_cmpx_lt_u32_e32 25, v0
	s_cbranch_execz .LBB125_331
; %bb.330:
	scratch_load_b64 v[128:129], off, off offset:200
	v_mov_b64_e32 v[130:131], 0
	scratch_store_b64 off, v[130:131], off offset:200
	s_wait_loadcnt 0x0
	ds_store_b64 v1, v[128:129]
.LBB125_331:
	s_wait_xcnt 0x0
	s_or_b32 exec_lo, exec_lo, s0
	s_wait_storecnt_dscnt 0x0
	s_barrier_signal -1
	s_barrier_wait -1
	s_clause 0x5
	scratch_load_b128 v[128:131], off, off offset:200
	scratch_load_b128 v[132:135], off, off offset:216
	;; [unrolled: 1-line block ×6, first 2 shown]
	ds_load_b128 v[152:155], v2 offset:704
	ds_load_b128 v[156:159], v2 offset:720
	scratch_load_b128 v[160:163], off, off offset:296
	s_mov_b32 s0, exec_lo
	s_wait_loadcnt_dscnt 0x601
	v_fma_f64 v[164:165], v[130:131], v[152:153], 0
	s_wait_loadcnt 0x5
	s_delay_alu instid0(VALU_DEP_1) | instskip(SKIP_4) | instid1(VALU_DEP_1)
	v_fmac_f64_e32 v[164:165], v[132:133], v[154:155]
	scratch_load_b128 v[130:133], off, off offset:312
	s_wait_dscnt 0x0
	v_fmac_f64_e32 v[164:165], v[134:135], v[156:157]
	s_wait_loadcnt 0x5
	v_fmac_f64_e32 v[164:165], v[136:137], v[158:159]
	ds_load_b128 v[134:137], v2 offset:736
	ds_load_b128 v[152:155], v2 offset:752
	scratch_load_b128 v[156:159], off, off offset:328
	s_wait_dscnt 0x1
	v_fmac_f64_e32 v[164:165], v[138:139], v[134:135]
	s_wait_loadcnt 0x5
	s_delay_alu instid0(VALU_DEP_1) | instskip(SKIP_4) | instid1(VALU_DEP_1)
	v_fmac_f64_e32 v[164:165], v[140:141], v[136:137]
	scratch_load_b128 v[134:137], off, off offset:344
	s_wait_dscnt 0x0
	v_fmac_f64_e32 v[164:165], v[142:143], v[152:153]
	s_wait_loadcnt 0x5
	v_fmac_f64_e32 v[164:165], v[144:145], v[154:155]
	ds_load_b128 v[138:141], v2 offset:768
	ds_load_b128 v[142:145], v2 offset:784
	scratch_load_b128 v[152:155], off, off offset:360
	s_wait_dscnt 0x1
	v_fmac_f64_e32 v[164:165], v[146:147], v[138:139]
	s_wait_loadcnt 0x5
	s_delay_alu instid0(VALU_DEP_1) | instskip(SKIP_4) | instid1(VALU_DEP_1)
	v_fmac_f64_e32 v[164:165], v[148:149], v[140:141]
	scratch_load_b128 v[138:141], off, off offset:376
	s_wait_dscnt 0x0
	v_fmac_f64_e32 v[164:165], v[150:151], v[142:143]
	s_wait_loadcnt 0x5
	v_fmac_f64_e32 v[164:165], v[160:161], v[144:145]
	ds_load_b128 v[142:145], v2 offset:800
	ds_load_b128 v[146:149], v2 offset:816
	s_wait_dscnt 0x1
	v_fmac_f64_e32 v[164:165], v[162:163], v[142:143]
	scratch_load_b128 v[160:163], off, off offset:392
	s_wait_loadcnt 0x5
	v_fmac_f64_e32 v[164:165], v[130:131], v[144:145]
	s_wait_dscnt 0x0
	s_delay_alu instid0(VALU_DEP_1)
	v_fmac_f64_e32 v[164:165], v[132:133], v[146:147]
	scratch_load_b128 v[130:133], off, off offset:408
	s_wait_loadcnt 0x5
	v_fmac_f64_e32 v[164:165], v[156:157], v[148:149]
	ds_load_b128 v[142:145], v2 offset:832
	ds_load_b128 v[146:149], v2 offset:848
	s_wait_dscnt 0x1
	v_fmac_f64_e32 v[164:165], v[158:159], v[142:143]
	s_wait_loadcnt 0x4
	s_delay_alu instid0(VALU_DEP_1)
	v_fmac_f64_e32 v[164:165], v[134:135], v[144:145]
	scratch_load_b128 v[142:145], off, off offset:424
	s_wait_dscnt 0x0
	v_fmac_f64_e32 v[164:165], v[136:137], v[146:147]
	scratch_load_b128 v[134:137], off, off offset:440
	s_wait_loadcnt 0x5
	v_fmac_f64_e32 v[164:165], v[152:153], v[148:149]
	ds_load_b128 v[146:149], v2 offset:864
	ds_load_b128 v[150:153], v2 offset:880
	s_wait_dscnt 0x1
	v_fmac_f64_e32 v[164:165], v[154:155], v[146:147]
	s_wait_loadcnt 0x4
	s_delay_alu instid0(VALU_DEP_1)
	v_fmac_f64_e32 v[164:165], v[138:139], v[148:149]
	scratch_load_b128 v[146:149], off, off offset:456
	s_wait_dscnt 0x0
	v_fmac_f64_e32 v[164:165], v[140:141], v[150:151]
	scratch_load_b128 v[138:141], off, off offset:472
	s_wait_loadcnt 0x5
	v_fmac_f64_e32 v[164:165], v[160:161], v[152:153]
	ds_load_b128 v[150:153], v2 offset:896
	ds_load_b128 v[154:157], v2 offset:912
	scratch_load_b64 v[158:159], off, off offset:488
	s_wait_dscnt 0x1
	v_fmac_f64_e32 v[164:165], v[162:163], v[150:151]
	s_wait_loadcnt 0x5
	s_delay_alu instid0(VALU_DEP_1) | instskip(SKIP_1) | instid1(VALU_DEP_1)
	v_fmac_f64_e32 v[164:165], v[130:131], v[152:153]
	s_wait_dscnt 0x0
	v_fmac_f64_e32 v[164:165], v[132:133], v[154:155]
	ds_load_b128 v[130:133], v2 offset:928
	ds_load_b128 v[150:153], v2 offset:944
	s_wait_loadcnt 0x4
	v_fmac_f64_e32 v[164:165], v[142:143], v[156:157]
	s_wait_dscnt 0x1
	s_delay_alu instid0(VALU_DEP_1) | instskip(SKIP_1) | instid1(VALU_DEP_1)
	v_fmac_f64_e32 v[164:165], v[144:145], v[130:131]
	s_wait_loadcnt 0x3
	v_fmac_f64_e32 v[164:165], v[134:135], v[132:133]
	s_wait_dscnt 0x0
	s_delay_alu instid0(VALU_DEP_1)
	v_fmac_f64_e32 v[164:165], v[136:137], v[150:151]
	ds_load_b128 v[130:133], v2 offset:960
	ds_load_b128 v[134:137], v2 offset:976
	s_wait_loadcnt 0x2
	v_fmac_f64_e32 v[164:165], v[146:147], v[152:153]
	s_wait_dscnt 0x1
	s_delay_alu instid0(VALU_DEP_1) | instskip(SKIP_1) | instid1(VALU_DEP_1)
	v_fmac_f64_e32 v[164:165], v[148:149], v[130:131]
	s_wait_loadcnt 0x1
	v_fmac_f64_e32 v[164:165], v[138:139], v[132:133]
	s_wait_dscnt 0x0
	s_delay_alu instid0(VALU_DEP_1) | instskip(SKIP_1) | instid1(VALU_DEP_1)
	v_fmac_f64_e32 v[164:165], v[140:141], v[134:135]
	s_wait_loadcnt 0x0
	v_fmac_f64_e32 v[164:165], v[158:159], v[136:137]
	s_delay_alu instid0(VALU_DEP_1)
	v_add_f64_e64 v[2:3], v[128:129], -v[164:165]
	scratch_store_b64 off, v[2:3], off offset:200
	s_wait_xcnt 0x0
	v_cmpx_lt_u32_e32 24, v0
	s_cbranch_execz .LBB125_333
; %bb.332:
	scratch_load_b64 v[2:3], off, off offset:192
	v_mov_b64_e32 v[128:129], 0
	scratch_store_b64 off, v[128:129], off offset:192
	s_wait_loadcnt 0x0
	ds_store_b64 v1, v[2:3]
.LBB125_333:
	s_wait_xcnt 0x0
	s_or_b32 exec_lo, exec_lo, s0
	s_wait_storecnt_dscnt 0x0
	s_barrier_signal -1
	s_barrier_wait -1
	s_clause 0x5
	scratch_load_b128 v[128:131], off, off offset:192
	scratch_load_b128 v[132:135], off, off offset:208
	;; [unrolled: 1-line block ×6, first 2 shown]
	v_mov_b32_e32 v2, 0
	ds_load_2addr_b64 v[152:155], v2 offset0:87 offset1:88
	ds_load_2addr_b64 v[156:159], v2 offset0:89 offset1:90
	scratch_load_b128 v[160:163], off, off offset:288
	s_mov_b32 s0, exec_lo
	s_wait_loadcnt_dscnt 0x601
	v_fma_f64 v[164:165], v[130:131], v[152:153], 0
	s_wait_loadcnt 0x5
	s_delay_alu instid0(VALU_DEP_1) | instskip(SKIP_4) | instid1(VALU_DEP_1)
	v_fmac_f64_e32 v[164:165], v[132:133], v[154:155]
	scratch_load_b128 v[130:133], off, off offset:304
	s_wait_dscnt 0x0
	v_fmac_f64_e32 v[164:165], v[134:135], v[156:157]
	s_wait_loadcnt 0x5
	v_fmac_f64_e32 v[164:165], v[136:137], v[158:159]
	ds_load_2addr_b64 v[134:137], v2 offset0:91 offset1:92
	ds_load_2addr_b64 v[152:155], v2 offset0:93 offset1:94
	scratch_load_b128 v[156:159], off, off offset:320
	s_wait_dscnt 0x1
	v_fmac_f64_e32 v[164:165], v[138:139], v[134:135]
	s_wait_loadcnt 0x5
	s_delay_alu instid0(VALU_DEP_1) | instskip(SKIP_4) | instid1(VALU_DEP_1)
	v_fmac_f64_e32 v[164:165], v[140:141], v[136:137]
	scratch_load_b128 v[134:137], off, off offset:336
	s_wait_dscnt 0x0
	v_fmac_f64_e32 v[164:165], v[142:143], v[152:153]
	s_wait_loadcnt 0x5
	v_fmac_f64_e32 v[164:165], v[144:145], v[154:155]
	ds_load_2addr_b64 v[138:141], v2 offset0:95 offset1:96
	ds_load_2addr_b64 v[142:145], v2 offset0:97 offset1:98
	scratch_load_b128 v[152:155], off, off offset:352
	s_wait_dscnt 0x1
	v_fmac_f64_e32 v[164:165], v[146:147], v[138:139]
	s_wait_loadcnt 0x5
	s_delay_alu instid0(VALU_DEP_1) | instskip(SKIP_4) | instid1(VALU_DEP_1)
	v_fmac_f64_e32 v[164:165], v[148:149], v[140:141]
	scratch_load_b128 v[138:141], off, off offset:368
	s_wait_dscnt 0x0
	v_fmac_f64_e32 v[164:165], v[150:151], v[142:143]
	s_wait_loadcnt 0x5
	v_fmac_f64_e32 v[164:165], v[160:161], v[144:145]
	ds_load_2addr_b64 v[142:145], v2 offset0:99 offset1:100
	ds_load_2addr_b64 v[146:149], v2 offset0:101 offset1:102
	s_wait_dscnt 0x1
	v_fmac_f64_e32 v[164:165], v[162:163], v[142:143]
	scratch_load_b128 v[160:163], off, off offset:384
	s_wait_loadcnt 0x5
	v_fmac_f64_e32 v[164:165], v[130:131], v[144:145]
	s_wait_dscnt 0x0
	s_delay_alu instid0(VALU_DEP_1)
	v_fmac_f64_e32 v[164:165], v[132:133], v[146:147]
	scratch_load_b128 v[130:133], off, off offset:400
	s_wait_loadcnt 0x5
	v_fmac_f64_e32 v[164:165], v[156:157], v[148:149]
	ds_load_2addr_b64 v[142:145], v2 offset0:103 offset1:104
	ds_load_2addr_b64 v[146:149], v2 offset0:105 offset1:106
	s_wait_dscnt 0x1
	v_fmac_f64_e32 v[164:165], v[158:159], v[142:143]
	s_wait_loadcnt 0x4
	s_delay_alu instid0(VALU_DEP_1)
	v_fmac_f64_e32 v[164:165], v[134:135], v[144:145]
	scratch_load_b128 v[142:145], off, off offset:416
	s_wait_dscnt 0x0
	v_fmac_f64_e32 v[164:165], v[136:137], v[146:147]
	scratch_load_b128 v[134:137], off, off offset:432
	s_wait_loadcnt 0x5
	v_fmac_f64_e32 v[164:165], v[152:153], v[148:149]
	ds_load_2addr_b64 v[146:149], v2 offset0:107 offset1:108
	ds_load_2addr_b64 v[150:153], v2 offset0:109 offset1:110
	s_wait_dscnt 0x1
	v_fmac_f64_e32 v[164:165], v[154:155], v[146:147]
	s_wait_loadcnt 0x4
	s_delay_alu instid0(VALU_DEP_1)
	v_fmac_f64_e32 v[164:165], v[138:139], v[148:149]
	scratch_load_b128 v[146:149], off, off offset:448
	s_wait_dscnt 0x0
	v_fmac_f64_e32 v[164:165], v[140:141], v[150:151]
	scratch_load_b128 v[138:141], off, off offset:464
	s_wait_loadcnt 0x5
	v_fmac_f64_e32 v[164:165], v[160:161], v[152:153]
	ds_load_2addr_b64 v[150:153], v2 offset0:111 offset1:112
	ds_load_2addr_b64 v[154:157], v2 offset0:113 offset1:114
	s_wait_dscnt 0x1
	v_fmac_f64_e32 v[164:165], v[162:163], v[150:151]
	s_wait_loadcnt 0x4
	s_delay_alu instid0(VALU_DEP_1) | instskip(SKIP_4) | instid1(VALU_DEP_1)
	v_fmac_f64_e32 v[164:165], v[130:131], v[152:153]
	scratch_load_b128 v[150:153], off, off offset:480
	s_wait_dscnt 0x0
	v_fmac_f64_e32 v[164:165], v[132:133], v[154:155]
	s_wait_loadcnt 0x4
	v_fmac_f64_e32 v[164:165], v[142:143], v[156:157]
	ds_load_2addr_b64 v[130:133], v2 offset0:115 offset1:116
	ds_load_2addr_b64 v[154:157], v2 offset0:117 offset1:118
	s_wait_dscnt 0x1
	v_fmac_f64_e32 v[164:165], v[144:145], v[130:131]
	s_wait_loadcnt 0x3
	s_delay_alu instid0(VALU_DEP_1) | instskip(SKIP_1) | instid1(VALU_DEP_1)
	v_fmac_f64_e32 v[164:165], v[134:135], v[132:133]
	s_wait_dscnt 0x0
	v_fmac_f64_e32 v[164:165], v[136:137], v[154:155]
	ds_load_2addr_b64 v[130:133], v2 offset0:119 offset1:120
	ds_load_2addr_b64 v[134:137], v2 offset0:121 offset1:122
	s_wait_loadcnt 0x2
	v_fmac_f64_e32 v[164:165], v[146:147], v[156:157]
	s_wait_dscnt 0x1
	s_delay_alu instid0(VALU_DEP_1) | instskip(SKIP_4) | instid1(VALU_DEP_1)
	v_fmac_f64_e32 v[164:165], v[148:149], v[130:131]
	ds_load_b64 v[130:131], v2 offset:984
	s_wait_loadcnt 0x1
	v_fmac_f64_e32 v[164:165], v[138:139], v[132:133]
	s_wait_dscnt 0x1
	v_fmac_f64_e32 v[164:165], v[140:141], v[134:135]
	s_wait_loadcnt 0x0
	s_delay_alu instid0(VALU_DEP_1) | instskip(SKIP_1) | instid1(VALU_DEP_1)
	v_fmac_f64_e32 v[164:165], v[150:151], v[136:137]
	s_wait_dscnt 0x0
	v_fmac_f64_e32 v[164:165], v[152:153], v[130:131]
	s_delay_alu instid0(VALU_DEP_1)
	v_add_f64_e64 v[128:129], v[128:129], -v[164:165]
	scratch_store_b64 off, v[128:129], off offset:192
	s_wait_xcnt 0x0
	v_cmpx_lt_u32_e32 23, v0
	s_cbranch_execz .LBB125_335
; %bb.334:
	scratch_load_b64 v[128:129], off, off offset:184
	v_mov_b64_e32 v[130:131], 0
	scratch_store_b64 off, v[130:131], off offset:184
	s_wait_loadcnt 0x0
	ds_store_b64 v1, v[128:129]
.LBB125_335:
	s_wait_xcnt 0x0
	s_or_b32 exec_lo, exec_lo, s0
	s_wait_storecnt_dscnt 0x0
	s_barrier_signal -1
	s_barrier_wait -1
	s_clause 0x5
	scratch_load_b128 v[128:131], off, off offset:184
	scratch_load_b128 v[132:135], off, off offset:200
	;; [unrolled: 1-line block ×6, first 2 shown]
	ds_load_b128 v[152:155], v2 offset:688
	ds_load_b128 v[156:159], v2 offset:704
	scratch_load_b128 v[160:163], off, off offset:280
	s_mov_b32 s0, exec_lo
	s_wait_loadcnt_dscnt 0x601
	v_fma_f64 v[164:165], v[130:131], v[152:153], 0
	s_wait_loadcnt 0x5
	s_delay_alu instid0(VALU_DEP_1) | instskip(SKIP_4) | instid1(VALU_DEP_1)
	v_fmac_f64_e32 v[164:165], v[132:133], v[154:155]
	scratch_load_b128 v[130:133], off, off offset:296
	s_wait_dscnt 0x0
	v_fmac_f64_e32 v[164:165], v[134:135], v[156:157]
	s_wait_loadcnt 0x5
	v_fmac_f64_e32 v[164:165], v[136:137], v[158:159]
	ds_load_b128 v[134:137], v2 offset:720
	ds_load_b128 v[152:155], v2 offset:736
	scratch_load_b128 v[156:159], off, off offset:312
	s_wait_dscnt 0x1
	v_fmac_f64_e32 v[164:165], v[138:139], v[134:135]
	s_wait_loadcnt 0x5
	s_delay_alu instid0(VALU_DEP_1) | instskip(SKIP_4) | instid1(VALU_DEP_1)
	v_fmac_f64_e32 v[164:165], v[140:141], v[136:137]
	scratch_load_b128 v[134:137], off, off offset:328
	s_wait_dscnt 0x0
	v_fmac_f64_e32 v[164:165], v[142:143], v[152:153]
	s_wait_loadcnt 0x5
	v_fmac_f64_e32 v[164:165], v[144:145], v[154:155]
	ds_load_b128 v[138:141], v2 offset:752
	ds_load_b128 v[142:145], v2 offset:768
	scratch_load_b128 v[152:155], off, off offset:344
	s_wait_dscnt 0x1
	v_fmac_f64_e32 v[164:165], v[146:147], v[138:139]
	s_wait_loadcnt 0x5
	s_delay_alu instid0(VALU_DEP_1) | instskip(SKIP_4) | instid1(VALU_DEP_1)
	v_fmac_f64_e32 v[164:165], v[148:149], v[140:141]
	scratch_load_b128 v[138:141], off, off offset:360
	s_wait_dscnt 0x0
	v_fmac_f64_e32 v[164:165], v[150:151], v[142:143]
	s_wait_loadcnt 0x5
	v_fmac_f64_e32 v[164:165], v[160:161], v[144:145]
	ds_load_b128 v[142:145], v2 offset:784
	ds_load_b128 v[146:149], v2 offset:800
	s_wait_dscnt 0x1
	v_fmac_f64_e32 v[164:165], v[162:163], v[142:143]
	scratch_load_b128 v[160:163], off, off offset:376
	s_wait_loadcnt 0x5
	v_fmac_f64_e32 v[164:165], v[130:131], v[144:145]
	s_wait_dscnt 0x0
	s_delay_alu instid0(VALU_DEP_1)
	v_fmac_f64_e32 v[164:165], v[132:133], v[146:147]
	scratch_load_b128 v[130:133], off, off offset:392
	s_wait_loadcnt 0x5
	v_fmac_f64_e32 v[164:165], v[156:157], v[148:149]
	ds_load_b128 v[142:145], v2 offset:816
	ds_load_b128 v[146:149], v2 offset:832
	s_wait_dscnt 0x1
	v_fmac_f64_e32 v[164:165], v[158:159], v[142:143]
	scratch_load_b128 v[156:159], off, off offset:408
	s_wait_loadcnt 0x5
	v_fmac_f64_e32 v[164:165], v[134:135], v[144:145]
	s_wait_dscnt 0x0
	s_delay_alu instid0(VALU_DEP_1)
	v_fmac_f64_e32 v[164:165], v[136:137], v[146:147]
	scratch_load_b128 v[134:137], off, off offset:424
	s_wait_loadcnt 0x5
	v_fmac_f64_e32 v[164:165], v[152:153], v[148:149]
	ds_load_b128 v[142:145], v2 offset:848
	ds_load_b128 v[146:149], v2 offset:864
	s_wait_dscnt 0x1
	v_fmac_f64_e32 v[164:165], v[154:155], v[142:143]
	s_wait_loadcnt 0x4
	s_delay_alu instid0(VALU_DEP_1)
	v_fmac_f64_e32 v[164:165], v[138:139], v[144:145]
	scratch_load_b128 v[142:145], off, off offset:440
	s_wait_dscnt 0x0
	v_fmac_f64_e32 v[164:165], v[140:141], v[146:147]
	scratch_load_b128 v[138:141], off, off offset:456
	s_wait_loadcnt 0x5
	v_fmac_f64_e32 v[164:165], v[160:161], v[148:149]
	ds_load_b128 v[146:149], v2 offset:880
	ds_load_b128 v[150:153], v2 offset:896
	scratch_load_b64 v[154:155], off, off offset:488
	s_wait_dscnt 0x1
	v_fmac_f64_e32 v[164:165], v[162:163], v[146:147]
	s_wait_loadcnt 0x5
	s_delay_alu instid0(VALU_DEP_1) | instskip(SKIP_4) | instid1(VALU_DEP_1)
	v_fmac_f64_e32 v[164:165], v[130:131], v[148:149]
	scratch_load_b128 v[146:149], off, off offset:472
	s_wait_dscnt 0x0
	v_fmac_f64_e32 v[164:165], v[132:133], v[150:151]
	s_wait_loadcnt 0x5
	v_fmac_f64_e32 v[164:165], v[156:157], v[152:153]
	ds_load_b128 v[130:133], v2 offset:912
	ds_load_b128 v[150:153], v2 offset:928
	s_wait_dscnt 0x1
	v_fmac_f64_e32 v[164:165], v[158:159], v[130:131]
	s_wait_loadcnt 0x4
	s_delay_alu instid0(VALU_DEP_1) | instskip(SKIP_1) | instid1(VALU_DEP_1)
	v_fmac_f64_e32 v[164:165], v[134:135], v[132:133]
	s_wait_dscnt 0x0
	v_fmac_f64_e32 v[164:165], v[136:137], v[150:151]
	ds_load_b128 v[130:133], v2 offset:944
	ds_load_b128 v[134:137], v2 offset:960
	s_wait_loadcnt 0x3
	v_fmac_f64_e32 v[164:165], v[142:143], v[152:153]
	s_wait_dscnt 0x1
	s_delay_alu instid0(VALU_DEP_1) | instskip(SKIP_1) | instid1(VALU_DEP_1)
	v_fmac_f64_e32 v[164:165], v[144:145], v[130:131]
	s_wait_loadcnt 0x2
	v_fmac_f64_e32 v[164:165], v[138:139], v[132:133]
	ds_load_b128 v[130:133], v2 offset:976
	s_wait_dscnt 0x1
	v_fmac_f64_e32 v[164:165], v[140:141], v[134:135]
	s_wait_loadcnt 0x0
	s_delay_alu instid0(VALU_DEP_1) | instskip(SKIP_1) | instid1(VALU_DEP_1)
	v_fmac_f64_e32 v[164:165], v[146:147], v[136:137]
	s_wait_dscnt 0x0
	v_fmac_f64_e32 v[164:165], v[148:149], v[130:131]
	s_delay_alu instid0(VALU_DEP_1) | instskip(NEXT) | instid1(VALU_DEP_1)
	v_fmac_f64_e32 v[164:165], v[154:155], v[132:133]
	v_add_f64_e64 v[2:3], v[128:129], -v[164:165]
	scratch_store_b64 off, v[2:3], off offset:184
	s_wait_xcnt 0x0
	v_cmpx_lt_u32_e32 22, v0
	s_cbranch_execz .LBB125_337
; %bb.336:
	scratch_load_b64 v[2:3], off, off offset:176
	v_mov_b64_e32 v[128:129], 0
	scratch_store_b64 off, v[128:129], off offset:176
	s_wait_loadcnt 0x0
	ds_store_b64 v1, v[2:3]
.LBB125_337:
	s_wait_xcnt 0x0
	s_or_b32 exec_lo, exec_lo, s0
	s_wait_storecnt_dscnt 0x0
	s_barrier_signal -1
	s_barrier_wait -1
	s_clause 0x5
	scratch_load_b128 v[128:131], off, off offset:176
	scratch_load_b128 v[132:135], off, off offset:192
	;; [unrolled: 1-line block ×6, first 2 shown]
	v_mov_b32_e32 v2, 0
	ds_load_2addr_b64 v[152:155], v2 offset0:85 offset1:86
	ds_load_2addr_b64 v[156:159], v2 offset0:87 offset1:88
	scratch_load_b128 v[160:163], off, off offset:272
	s_mov_b32 s0, exec_lo
	s_wait_loadcnt_dscnt 0x601
	v_fma_f64 v[164:165], v[130:131], v[152:153], 0
	s_wait_loadcnt 0x5
	s_delay_alu instid0(VALU_DEP_1) | instskip(SKIP_4) | instid1(VALU_DEP_1)
	v_fmac_f64_e32 v[164:165], v[132:133], v[154:155]
	scratch_load_b128 v[130:133], off, off offset:288
	s_wait_dscnt 0x0
	v_fmac_f64_e32 v[164:165], v[134:135], v[156:157]
	s_wait_loadcnt 0x5
	v_fmac_f64_e32 v[164:165], v[136:137], v[158:159]
	ds_load_2addr_b64 v[134:137], v2 offset0:89 offset1:90
	ds_load_2addr_b64 v[152:155], v2 offset0:91 offset1:92
	scratch_load_b128 v[156:159], off, off offset:304
	s_wait_dscnt 0x1
	v_fmac_f64_e32 v[164:165], v[138:139], v[134:135]
	s_wait_loadcnt 0x5
	s_delay_alu instid0(VALU_DEP_1) | instskip(SKIP_4) | instid1(VALU_DEP_1)
	v_fmac_f64_e32 v[164:165], v[140:141], v[136:137]
	scratch_load_b128 v[134:137], off, off offset:320
	s_wait_dscnt 0x0
	v_fmac_f64_e32 v[164:165], v[142:143], v[152:153]
	s_wait_loadcnt 0x5
	v_fmac_f64_e32 v[164:165], v[144:145], v[154:155]
	ds_load_2addr_b64 v[138:141], v2 offset0:93 offset1:94
	ds_load_2addr_b64 v[142:145], v2 offset0:95 offset1:96
	scratch_load_b128 v[152:155], off, off offset:336
	s_wait_dscnt 0x1
	v_fmac_f64_e32 v[164:165], v[146:147], v[138:139]
	s_wait_loadcnt 0x5
	s_delay_alu instid0(VALU_DEP_1) | instskip(SKIP_4) | instid1(VALU_DEP_1)
	v_fmac_f64_e32 v[164:165], v[148:149], v[140:141]
	scratch_load_b128 v[138:141], off, off offset:352
	s_wait_dscnt 0x0
	v_fmac_f64_e32 v[164:165], v[150:151], v[142:143]
	s_wait_loadcnt 0x5
	v_fmac_f64_e32 v[164:165], v[160:161], v[144:145]
	ds_load_2addr_b64 v[142:145], v2 offset0:97 offset1:98
	ds_load_2addr_b64 v[146:149], v2 offset0:99 offset1:100
	s_wait_dscnt 0x1
	v_fmac_f64_e32 v[164:165], v[162:163], v[142:143]
	scratch_load_b128 v[160:163], off, off offset:368
	s_wait_loadcnt 0x5
	v_fmac_f64_e32 v[164:165], v[130:131], v[144:145]
	s_wait_dscnt 0x0
	s_delay_alu instid0(VALU_DEP_1)
	v_fmac_f64_e32 v[164:165], v[132:133], v[146:147]
	scratch_load_b128 v[130:133], off, off offset:384
	s_wait_loadcnt 0x5
	v_fmac_f64_e32 v[164:165], v[156:157], v[148:149]
	ds_load_2addr_b64 v[142:145], v2 offset0:101 offset1:102
	ds_load_2addr_b64 v[146:149], v2 offset0:103 offset1:104
	s_wait_dscnt 0x1
	v_fmac_f64_e32 v[164:165], v[158:159], v[142:143]
	scratch_load_b128 v[156:159], off, off offset:400
	s_wait_loadcnt 0x5
	v_fmac_f64_e32 v[164:165], v[134:135], v[144:145]
	s_wait_dscnt 0x0
	s_delay_alu instid0(VALU_DEP_1)
	v_fmac_f64_e32 v[164:165], v[136:137], v[146:147]
	scratch_load_b128 v[134:137], off, off offset:416
	s_wait_loadcnt 0x5
	v_fmac_f64_e32 v[164:165], v[152:153], v[148:149]
	ds_load_2addr_b64 v[142:145], v2 offset0:105 offset1:106
	ds_load_2addr_b64 v[146:149], v2 offset0:107 offset1:108
	s_wait_dscnt 0x1
	v_fmac_f64_e32 v[164:165], v[154:155], v[142:143]
	s_wait_loadcnt 0x4
	s_delay_alu instid0(VALU_DEP_1)
	v_fmac_f64_e32 v[164:165], v[138:139], v[144:145]
	scratch_load_b128 v[142:145], off, off offset:432
	s_wait_dscnt 0x0
	v_fmac_f64_e32 v[164:165], v[140:141], v[146:147]
	scratch_load_b128 v[138:141], off, off offset:448
	s_wait_loadcnt 0x5
	v_fmac_f64_e32 v[164:165], v[160:161], v[148:149]
	ds_load_2addr_b64 v[146:149], v2 offset0:109 offset1:110
	ds_load_2addr_b64 v[150:153], v2 offset0:111 offset1:112
	s_wait_dscnt 0x1
	v_fmac_f64_e32 v[164:165], v[162:163], v[146:147]
	s_wait_loadcnt 0x4
	s_delay_alu instid0(VALU_DEP_1)
	v_fmac_f64_e32 v[164:165], v[130:131], v[148:149]
	scratch_load_b128 v[146:149], off, off offset:464
	s_wait_dscnt 0x0
	v_fmac_f64_e32 v[164:165], v[132:133], v[150:151]
	scratch_load_b128 v[130:133], off, off offset:480
	s_wait_loadcnt 0x5
	v_fmac_f64_e32 v[164:165], v[156:157], v[152:153]
	ds_load_2addr_b64 v[150:153], v2 offset0:113 offset1:114
	ds_load_2addr_b64 v[154:157], v2 offset0:115 offset1:116
	s_wait_dscnt 0x1
	v_fmac_f64_e32 v[164:165], v[158:159], v[150:151]
	s_wait_loadcnt 0x4
	s_delay_alu instid0(VALU_DEP_1) | instskip(SKIP_1) | instid1(VALU_DEP_1)
	v_fmac_f64_e32 v[164:165], v[134:135], v[152:153]
	s_wait_dscnt 0x0
	v_fmac_f64_e32 v[164:165], v[136:137], v[154:155]
	ds_load_2addr_b64 v[134:137], v2 offset0:117 offset1:118
	ds_load_2addr_b64 v[150:153], v2 offset0:119 offset1:120
	s_wait_loadcnt 0x3
	v_fmac_f64_e32 v[164:165], v[142:143], v[156:157]
	s_wait_dscnt 0x1
	s_delay_alu instid0(VALU_DEP_1) | instskip(SKIP_1) | instid1(VALU_DEP_1)
	v_fmac_f64_e32 v[164:165], v[144:145], v[134:135]
	s_wait_loadcnt 0x2
	v_fmac_f64_e32 v[164:165], v[138:139], v[136:137]
	ds_load_2addr_b64 v[134:137], v2 offset0:121 offset1:122
	ds_load_b64 v[138:139], v2 offset:984
	s_wait_dscnt 0x2
	v_fmac_f64_e32 v[164:165], v[140:141], v[150:151]
	s_wait_loadcnt 0x1
	s_delay_alu instid0(VALU_DEP_1) | instskip(SKIP_1) | instid1(VALU_DEP_1)
	v_fmac_f64_e32 v[164:165], v[146:147], v[152:153]
	s_wait_dscnt 0x1
	v_fmac_f64_e32 v[164:165], v[148:149], v[134:135]
	s_wait_loadcnt 0x0
	s_delay_alu instid0(VALU_DEP_1) | instskip(SKIP_1) | instid1(VALU_DEP_1)
	v_fmac_f64_e32 v[164:165], v[130:131], v[136:137]
	s_wait_dscnt 0x0
	v_fmac_f64_e32 v[164:165], v[132:133], v[138:139]
	s_delay_alu instid0(VALU_DEP_1)
	v_add_f64_e64 v[128:129], v[128:129], -v[164:165]
	scratch_store_b64 off, v[128:129], off offset:176
	s_wait_xcnt 0x0
	v_cmpx_lt_u32_e32 21, v0
	s_cbranch_execz .LBB125_339
; %bb.338:
	scratch_load_b64 v[128:129], off, off offset:168
	v_mov_b64_e32 v[130:131], 0
	scratch_store_b64 off, v[130:131], off offset:168
	s_wait_loadcnt 0x0
	ds_store_b64 v1, v[128:129]
.LBB125_339:
	s_wait_xcnt 0x0
	s_or_b32 exec_lo, exec_lo, s0
	s_wait_storecnt_dscnt 0x0
	s_barrier_signal -1
	s_barrier_wait -1
	s_clause 0x5
	scratch_load_b128 v[128:131], off, off offset:168
	scratch_load_b128 v[132:135], off, off offset:184
	scratch_load_b128 v[136:139], off, off offset:200
	scratch_load_b128 v[140:143], off, off offset:216
	scratch_load_b128 v[144:147], off, off offset:232
	scratch_load_b128 v[148:151], off, off offset:248
	ds_load_b128 v[152:155], v2 offset:672
	ds_load_b128 v[156:159], v2 offset:688
	scratch_load_b128 v[160:163], off, off offset:264
	s_mov_b32 s0, exec_lo
	s_wait_loadcnt_dscnt 0x601
	v_fma_f64 v[164:165], v[130:131], v[152:153], 0
	s_wait_loadcnt 0x5
	s_delay_alu instid0(VALU_DEP_1) | instskip(SKIP_4) | instid1(VALU_DEP_1)
	v_fmac_f64_e32 v[164:165], v[132:133], v[154:155]
	scratch_load_b128 v[130:133], off, off offset:280
	s_wait_dscnt 0x0
	v_fmac_f64_e32 v[164:165], v[134:135], v[156:157]
	s_wait_loadcnt 0x5
	v_fmac_f64_e32 v[164:165], v[136:137], v[158:159]
	ds_load_b128 v[134:137], v2 offset:704
	ds_load_b128 v[152:155], v2 offset:720
	scratch_load_b128 v[156:159], off, off offset:296
	s_wait_dscnt 0x1
	v_fmac_f64_e32 v[164:165], v[138:139], v[134:135]
	s_wait_loadcnt 0x5
	s_delay_alu instid0(VALU_DEP_1) | instskip(SKIP_4) | instid1(VALU_DEP_1)
	v_fmac_f64_e32 v[164:165], v[140:141], v[136:137]
	scratch_load_b128 v[134:137], off, off offset:312
	s_wait_dscnt 0x0
	v_fmac_f64_e32 v[164:165], v[142:143], v[152:153]
	s_wait_loadcnt 0x5
	v_fmac_f64_e32 v[164:165], v[144:145], v[154:155]
	ds_load_b128 v[138:141], v2 offset:736
	ds_load_b128 v[142:145], v2 offset:752
	scratch_load_b128 v[152:155], off, off offset:328
	s_wait_dscnt 0x1
	v_fmac_f64_e32 v[164:165], v[146:147], v[138:139]
	s_wait_loadcnt 0x5
	s_delay_alu instid0(VALU_DEP_1) | instskip(SKIP_4) | instid1(VALU_DEP_1)
	v_fmac_f64_e32 v[164:165], v[148:149], v[140:141]
	scratch_load_b128 v[138:141], off, off offset:344
	s_wait_dscnt 0x0
	v_fmac_f64_e32 v[164:165], v[150:151], v[142:143]
	s_wait_loadcnt 0x5
	v_fmac_f64_e32 v[164:165], v[160:161], v[144:145]
	ds_load_b128 v[142:145], v2 offset:768
	ds_load_b128 v[146:149], v2 offset:784
	s_wait_dscnt 0x1
	v_fmac_f64_e32 v[164:165], v[162:163], v[142:143]
	scratch_load_b128 v[160:163], off, off offset:360
	s_wait_loadcnt 0x5
	v_fmac_f64_e32 v[164:165], v[130:131], v[144:145]
	s_wait_dscnt 0x0
	s_delay_alu instid0(VALU_DEP_1)
	v_fmac_f64_e32 v[164:165], v[132:133], v[146:147]
	scratch_load_b128 v[130:133], off, off offset:376
	s_wait_loadcnt 0x5
	v_fmac_f64_e32 v[164:165], v[156:157], v[148:149]
	ds_load_b128 v[142:145], v2 offset:800
	ds_load_b128 v[146:149], v2 offset:816
	s_wait_dscnt 0x1
	v_fmac_f64_e32 v[164:165], v[158:159], v[142:143]
	scratch_load_b128 v[156:159], off, off offset:392
	s_wait_loadcnt 0x5
	v_fmac_f64_e32 v[164:165], v[134:135], v[144:145]
	s_wait_dscnt 0x0
	s_delay_alu instid0(VALU_DEP_1)
	v_fmac_f64_e32 v[164:165], v[136:137], v[146:147]
	scratch_load_b128 v[134:137], off, off offset:408
	s_wait_loadcnt 0x5
	v_fmac_f64_e32 v[164:165], v[152:153], v[148:149]
	ds_load_b128 v[142:145], v2 offset:832
	ds_load_b128 v[146:149], v2 offset:848
	s_wait_dscnt 0x1
	v_fmac_f64_e32 v[164:165], v[154:155], v[142:143]
	s_wait_loadcnt 0x4
	s_delay_alu instid0(VALU_DEP_1)
	v_fmac_f64_e32 v[164:165], v[138:139], v[144:145]
	scratch_load_b128 v[142:145], off, off offset:424
	s_wait_dscnt 0x0
	v_fmac_f64_e32 v[164:165], v[140:141], v[146:147]
	scratch_load_b128 v[138:141], off, off offset:440
	s_wait_loadcnt 0x5
	v_fmac_f64_e32 v[164:165], v[160:161], v[148:149]
	ds_load_b128 v[146:149], v2 offset:864
	ds_load_b128 v[150:153], v2 offset:880
	s_wait_dscnt 0x1
	v_fmac_f64_e32 v[164:165], v[162:163], v[146:147]
	s_wait_loadcnt 0x4
	s_delay_alu instid0(VALU_DEP_1)
	v_fmac_f64_e32 v[164:165], v[130:131], v[148:149]
	scratch_load_b128 v[146:149], off, off offset:456
	s_wait_dscnt 0x0
	v_fmac_f64_e32 v[164:165], v[132:133], v[150:151]
	scratch_load_b128 v[130:133], off, off offset:472
	s_wait_loadcnt 0x5
	v_fmac_f64_e32 v[164:165], v[156:157], v[152:153]
	ds_load_b128 v[150:153], v2 offset:896
	ds_load_b128 v[154:157], v2 offset:912
	s_wait_dscnt 0x1
	v_fmac_f64_e32 v[164:165], v[158:159], v[150:151]
	scratch_load_b64 v[158:159], off, off offset:488
	s_wait_loadcnt 0x5
	v_fmac_f64_e32 v[164:165], v[134:135], v[152:153]
	s_wait_dscnt 0x0
	s_delay_alu instid0(VALU_DEP_1)
	v_fmac_f64_e32 v[164:165], v[136:137], v[154:155]
	ds_load_b128 v[134:137], v2 offset:928
	ds_load_b128 v[150:153], v2 offset:944
	s_wait_loadcnt 0x4
	v_fmac_f64_e32 v[164:165], v[142:143], v[156:157]
	s_wait_dscnt 0x1
	s_delay_alu instid0(VALU_DEP_1) | instskip(SKIP_1) | instid1(VALU_DEP_1)
	v_fmac_f64_e32 v[164:165], v[144:145], v[134:135]
	s_wait_loadcnt 0x3
	v_fmac_f64_e32 v[164:165], v[138:139], v[136:137]
	s_wait_dscnt 0x0
	s_delay_alu instid0(VALU_DEP_1)
	v_fmac_f64_e32 v[164:165], v[140:141], v[150:151]
	ds_load_b128 v[134:137], v2 offset:960
	ds_load_b128 v[138:141], v2 offset:976
	s_wait_loadcnt 0x2
	v_fmac_f64_e32 v[164:165], v[146:147], v[152:153]
	s_wait_dscnt 0x1
	s_delay_alu instid0(VALU_DEP_1) | instskip(SKIP_1) | instid1(VALU_DEP_1)
	v_fmac_f64_e32 v[164:165], v[148:149], v[134:135]
	s_wait_loadcnt 0x1
	v_fmac_f64_e32 v[164:165], v[130:131], v[136:137]
	s_wait_dscnt 0x0
	s_delay_alu instid0(VALU_DEP_1) | instskip(SKIP_1) | instid1(VALU_DEP_1)
	v_fmac_f64_e32 v[164:165], v[132:133], v[138:139]
	s_wait_loadcnt 0x0
	v_fmac_f64_e32 v[164:165], v[158:159], v[140:141]
	s_delay_alu instid0(VALU_DEP_1)
	v_add_f64_e64 v[2:3], v[128:129], -v[164:165]
	scratch_store_b64 off, v[2:3], off offset:168
	s_wait_xcnt 0x0
	v_cmpx_lt_u32_e32 20, v0
	s_cbranch_execz .LBB125_341
; %bb.340:
	scratch_load_b64 v[2:3], off, off offset:160
	v_mov_b64_e32 v[128:129], 0
	scratch_store_b64 off, v[128:129], off offset:160
	s_wait_loadcnt 0x0
	ds_store_b64 v1, v[2:3]
.LBB125_341:
	s_wait_xcnt 0x0
	s_or_b32 exec_lo, exec_lo, s0
	s_wait_storecnt_dscnt 0x0
	s_barrier_signal -1
	s_barrier_wait -1
	s_clause 0x5
	scratch_load_b128 v[128:131], off, off offset:160
	scratch_load_b128 v[132:135], off, off offset:176
	;; [unrolled: 1-line block ×6, first 2 shown]
	v_mov_b32_e32 v2, 0
	ds_load_2addr_b64 v[152:155], v2 offset0:83 offset1:84
	ds_load_2addr_b64 v[156:159], v2 offset0:85 offset1:86
	scratch_load_b128 v[160:163], off, off offset:256
	s_mov_b32 s0, exec_lo
	s_wait_loadcnt_dscnt 0x601
	v_fma_f64 v[164:165], v[130:131], v[152:153], 0
	s_wait_loadcnt 0x5
	s_delay_alu instid0(VALU_DEP_1) | instskip(SKIP_4) | instid1(VALU_DEP_1)
	v_fmac_f64_e32 v[164:165], v[132:133], v[154:155]
	scratch_load_b128 v[130:133], off, off offset:272
	s_wait_dscnt 0x0
	v_fmac_f64_e32 v[164:165], v[134:135], v[156:157]
	s_wait_loadcnt 0x5
	v_fmac_f64_e32 v[164:165], v[136:137], v[158:159]
	ds_load_2addr_b64 v[134:137], v2 offset0:87 offset1:88
	ds_load_2addr_b64 v[152:155], v2 offset0:89 offset1:90
	scratch_load_b128 v[156:159], off, off offset:288
	s_wait_dscnt 0x1
	v_fmac_f64_e32 v[164:165], v[138:139], v[134:135]
	s_wait_loadcnt 0x5
	s_delay_alu instid0(VALU_DEP_1) | instskip(SKIP_4) | instid1(VALU_DEP_1)
	v_fmac_f64_e32 v[164:165], v[140:141], v[136:137]
	scratch_load_b128 v[134:137], off, off offset:304
	s_wait_dscnt 0x0
	v_fmac_f64_e32 v[164:165], v[142:143], v[152:153]
	s_wait_loadcnt 0x5
	v_fmac_f64_e32 v[164:165], v[144:145], v[154:155]
	ds_load_2addr_b64 v[138:141], v2 offset0:91 offset1:92
	ds_load_2addr_b64 v[142:145], v2 offset0:93 offset1:94
	scratch_load_b128 v[152:155], off, off offset:320
	s_wait_dscnt 0x1
	v_fmac_f64_e32 v[164:165], v[146:147], v[138:139]
	s_wait_loadcnt 0x5
	s_delay_alu instid0(VALU_DEP_1) | instskip(SKIP_4) | instid1(VALU_DEP_1)
	v_fmac_f64_e32 v[164:165], v[148:149], v[140:141]
	scratch_load_b128 v[138:141], off, off offset:336
	s_wait_dscnt 0x0
	v_fmac_f64_e32 v[164:165], v[150:151], v[142:143]
	s_wait_loadcnt 0x5
	v_fmac_f64_e32 v[164:165], v[160:161], v[144:145]
	ds_load_2addr_b64 v[142:145], v2 offset0:95 offset1:96
	ds_load_2addr_b64 v[146:149], v2 offset0:97 offset1:98
	s_wait_dscnt 0x1
	v_fmac_f64_e32 v[164:165], v[162:163], v[142:143]
	scratch_load_b128 v[160:163], off, off offset:352
	s_wait_loadcnt 0x5
	v_fmac_f64_e32 v[164:165], v[130:131], v[144:145]
	s_wait_dscnt 0x0
	s_delay_alu instid0(VALU_DEP_1)
	v_fmac_f64_e32 v[164:165], v[132:133], v[146:147]
	scratch_load_b128 v[130:133], off, off offset:368
	s_wait_loadcnt 0x5
	v_fmac_f64_e32 v[164:165], v[156:157], v[148:149]
	ds_load_2addr_b64 v[142:145], v2 offset0:99 offset1:100
	ds_load_2addr_b64 v[146:149], v2 offset0:101 offset1:102
	s_wait_dscnt 0x1
	v_fmac_f64_e32 v[164:165], v[158:159], v[142:143]
	scratch_load_b128 v[156:159], off, off offset:384
	s_wait_loadcnt 0x5
	v_fmac_f64_e32 v[164:165], v[134:135], v[144:145]
	s_wait_dscnt 0x0
	s_delay_alu instid0(VALU_DEP_1)
	v_fmac_f64_e32 v[164:165], v[136:137], v[146:147]
	scratch_load_b128 v[134:137], off, off offset:400
	s_wait_loadcnt 0x5
	v_fmac_f64_e32 v[164:165], v[152:153], v[148:149]
	ds_load_2addr_b64 v[142:145], v2 offset0:103 offset1:104
	ds_load_2addr_b64 v[146:149], v2 offset0:105 offset1:106
	s_wait_dscnt 0x1
	v_fmac_f64_e32 v[164:165], v[154:155], v[142:143]
	s_wait_loadcnt 0x4
	s_delay_alu instid0(VALU_DEP_1)
	v_fmac_f64_e32 v[164:165], v[138:139], v[144:145]
	scratch_load_b128 v[142:145], off, off offset:416
	s_wait_dscnt 0x0
	v_fmac_f64_e32 v[164:165], v[140:141], v[146:147]
	scratch_load_b128 v[138:141], off, off offset:432
	s_wait_loadcnt 0x5
	v_fmac_f64_e32 v[164:165], v[160:161], v[148:149]
	ds_load_2addr_b64 v[146:149], v2 offset0:107 offset1:108
	ds_load_2addr_b64 v[150:153], v2 offset0:109 offset1:110
	s_wait_dscnt 0x1
	v_fmac_f64_e32 v[164:165], v[162:163], v[146:147]
	s_wait_loadcnt 0x4
	s_delay_alu instid0(VALU_DEP_1)
	v_fmac_f64_e32 v[164:165], v[130:131], v[148:149]
	scratch_load_b128 v[146:149], off, off offset:448
	s_wait_dscnt 0x0
	v_fmac_f64_e32 v[164:165], v[132:133], v[150:151]
	scratch_load_b128 v[130:133], off, off offset:464
	s_wait_loadcnt 0x5
	v_fmac_f64_e32 v[164:165], v[156:157], v[152:153]
	ds_load_2addr_b64 v[150:153], v2 offset0:111 offset1:112
	ds_load_2addr_b64 v[154:157], v2 offset0:113 offset1:114
	s_wait_dscnt 0x1
	v_fmac_f64_e32 v[164:165], v[158:159], v[150:151]
	s_wait_loadcnt 0x4
	s_delay_alu instid0(VALU_DEP_1) | instskip(SKIP_4) | instid1(VALU_DEP_1)
	v_fmac_f64_e32 v[164:165], v[134:135], v[152:153]
	scratch_load_b128 v[150:153], off, off offset:480
	s_wait_dscnt 0x0
	v_fmac_f64_e32 v[164:165], v[136:137], v[154:155]
	s_wait_loadcnt 0x4
	v_fmac_f64_e32 v[164:165], v[142:143], v[156:157]
	ds_load_2addr_b64 v[134:137], v2 offset0:115 offset1:116
	ds_load_2addr_b64 v[154:157], v2 offset0:117 offset1:118
	s_wait_dscnt 0x1
	v_fmac_f64_e32 v[164:165], v[144:145], v[134:135]
	s_wait_loadcnt 0x3
	s_delay_alu instid0(VALU_DEP_1) | instskip(SKIP_1) | instid1(VALU_DEP_1)
	v_fmac_f64_e32 v[164:165], v[138:139], v[136:137]
	s_wait_dscnt 0x0
	v_fmac_f64_e32 v[164:165], v[140:141], v[154:155]
	ds_load_2addr_b64 v[134:137], v2 offset0:119 offset1:120
	ds_load_2addr_b64 v[138:141], v2 offset0:121 offset1:122
	s_wait_loadcnt 0x2
	v_fmac_f64_e32 v[164:165], v[146:147], v[156:157]
	s_wait_dscnt 0x1
	s_delay_alu instid0(VALU_DEP_1) | instskip(SKIP_1) | instid1(VALU_DEP_1)
	v_fmac_f64_e32 v[164:165], v[148:149], v[134:135]
	s_wait_loadcnt 0x1
	v_fmac_f64_e32 v[164:165], v[130:131], v[136:137]
	ds_load_b64 v[130:131], v2 offset:984
	s_wait_dscnt 0x1
	v_fmac_f64_e32 v[164:165], v[132:133], v[138:139]
	s_wait_loadcnt 0x0
	s_delay_alu instid0(VALU_DEP_1) | instskip(SKIP_1) | instid1(VALU_DEP_1)
	v_fmac_f64_e32 v[164:165], v[150:151], v[140:141]
	s_wait_dscnt 0x0
	v_fmac_f64_e32 v[164:165], v[152:153], v[130:131]
	s_delay_alu instid0(VALU_DEP_1)
	v_add_f64_e64 v[128:129], v[128:129], -v[164:165]
	scratch_store_b64 off, v[128:129], off offset:160
	s_wait_xcnt 0x0
	v_cmpx_lt_u32_e32 19, v0
	s_cbranch_execz .LBB125_343
; %bb.342:
	scratch_load_b64 v[128:129], off, off offset:152
	v_mov_b64_e32 v[130:131], 0
	scratch_store_b64 off, v[130:131], off offset:152
	s_wait_loadcnt 0x0
	ds_store_b64 v1, v[128:129]
.LBB125_343:
	s_wait_xcnt 0x0
	s_or_b32 exec_lo, exec_lo, s0
	s_wait_storecnt_dscnt 0x0
	s_barrier_signal -1
	s_barrier_wait -1
	s_clause 0x5
	scratch_load_b128 v[128:131], off, off offset:152
	scratch_load_b128 v[132:135], off, off offset:168
	;; [unrolled: 1-line block ×6, first 2 shown]
	ds_load_b128 v[152:155], v2 offset:656
	ds_load_b128 v[156:159], v2 offset:672
	scratch_load_b128 v[160:163], off, off offset:248
	s_mov_b32 s0, exec_lo
	s_wait_loadcnt_dscnt 0x601
	v_fma_f64 v[164:165], v[130:131], v[152:153], 0
	s_wait_loadcnt 0x5
	s_delay_alu instid0(VALU_DEP_1) | instskip(SKIP_4) | instid1(VALU_DEP_1)
	v_fmac_f64_e32 v[164:165], v[132:133], v[154:155]
	scratch_load_b128 v[130:133], off, off offset:264
	s_wait_dscnt 0x0
	v_fmac_f64_e32 v[164:165], v[134:135], v[156:157]
	s_wait_loadcnt 0x5
	v_fmac_f64_e32 v[164:165], v[136:137], v[158:159]
	ds_load_b128 v[134:137], v2 offset:688
	ds_load_b128 v[152:155], v2 offset:704
	scratch_load_b128 v[156:159], off, off offset:280
	s_wait_dscnt 0x1
	v_fmac_f64_e32 v[164:165], v[138:139], v[134:135]
	s_wait_loadcnt 0x5
	s_delay_alu instid0(VALU_DEP_1) | instskip(SKIP_4) | instid1(VALU_DEP_1)
	v_fmac_f64_e32 v[164:165], v[140:141], v[136:137]
	scratch_load_b128 v[134:137], off, off offset:296
	s_wait_dscnt 0x0
	v_fmac_f64_e32 v[164:165], v[142:143], v[152:153]
	s_wait_loadcnt 0x5
	v_fmac_f64_e32 v[164:165], v[144:145], v[154:155]
	ds_load_b128 v[138:141], v2 offset:720
	ds_load_b128 v[142:145], v2 offset:736
	scratch_load_b128 v[152:155], off, off offset:312
	s_wait_dscnt 0x1
	v_fmac_f64_e32 v[164:165], v[146:147], v[138:139]
	s_wait_loadcnt 0x5
	s_delay_alu instid0(VALU_DEP_1) | instskip(SKIP_4) | instid1(VALU_DEP_1)
	v_fmac_f64_e32 v[164:165], v[148:149], v[140:141]
	scratch_load_b128 v[138:141], off, off offset:328
	s_wait_dscnt 0x0
	v_fmac_f64_e32 v[164:165], v[150:151], v[142:143]
	s_wait_loadcnt 0x5
	v_fmac_f64_e32 v[164:165], v[160:161], v[144:145]
	ds_load_b128 v[142:145], v2 offset:752
	ds_load_b128 v[146:149], v2 offset:768
	s_wait_dscnt 0x1
	v_fmac_f64_e32 v[164:165], v[162:163], v[142:143]
	scratch_load_b128 v[160:163], off, off offset:344
	s_wait_loadcnt 0x5
	v_fmac_f64_e32 v[164:165], v[130:131], v[144:145]
	s_wait_dscnt 0x0
	s_delay_alu instid0(VALU_DEP_1)
	v_fmac_f64_e32 v[164:165], v[132:133], v[146:147]
	scratch_load_b128 v[130:133], off, off offset:360
	s_wait_loadcnt 0x5
	v_fmac_f64_e32 v[164:165], v[156:157], v[148:149]
	ds_load_b128 v[142:145], v2 offset:784
	ds_load_b128 v[146:149], v2 offset:800
	s_wait_dscnt 0x1
	v_fmac_f64_e32 v[164:165], v[158:159], v[142:143]
	scratch_load_b128 v[156:159], off, off offset:376
	s_wait_loadcnt 0x5
	v_fmac_f64_e32 v[164:165], v[134:135], v[144:145]
	s_wait_dscnt 0x0
	s_delay_alu instid0(VALU_DEP_1)
	v_fmac_f64_e32 v[164:165], v[136:137], v[146:147]
	scratch_load_b128 v[134:137], off, off offset:392
	s_wait_loadcnt 0x5
	v_fmac_f64_e32 v[164:165], v[152:153], v[148:149]
	ds_load_b128 v[142:145], v2 offset:816
	ds_load_b128 v[146:149], v2 offset:832
	scratch_load_b128 v[150:153], off, off offset:408
	s_wait_dscnt 0x1
	v_fmac_f64_e32 v[164:165], v[154:155], v[142:143]
	s_wait_loadcnt 0x5
	s_delay_alu instid0(VALU_DEP_1) | instskip(SKIP_1) | instid1(VALU_DEP_1)
	v_fmac_f64_e32 v[164:165], v[138:139], v[144:145]
	s_wait_dscnt 0x0
	v_fmac_f64_e32 v[164:165], v[140:141], v[146:147]
	scratch_load_b128 v[138:141], off, off offset:424
	s_wait_loadcnt 0x5
	v_fmac_f64_e32 v[164:165], v[160:161], v[148:149]
	ds_load_b128 v[142:145], v2 offset:848
	ds_load_b128 v[146:149], v2 offset:864
	s_wait_dscnt 0x1
	v_fmac_f64_e32 v[164:165], v[162:163], v[142:143]
	s_wait_loadcnt 0x4
	s_delay_alu instid0(VALU_DEP_1)
	v_fmac_f64_e32 v[164:165], v[130:131], v[144:145]
	scratch_load_b128 v[142:145], off, off offset:440
	s_wait_dscnt 0x0
	v_fmac_f64_e32 v[164:165], v[132:133], v[146:147]
	scratch_load_b128 v[130:133], off, off offset:456
	s_wait_loadcnt 0x5
	v_fmac_f64_e32 v[164:165], v[156:157], v[148:149]
	ds_load_b128 v[146:149], v2 offset:880
	ds_load_b128 v[154:157], v2 offset:896
	s_wait_dscnt 0x1
	v_fmac_f64_e32 v[164:165], v[158:159], v[146:147]
	s_wait_loadcnt 0x4
	s_delay_alu instid0(VALU_DEP_1) | instskip(SKIP_4) | instid1(VALU_DEP_1)
	v_fmac_f64_e32 v[164:165], v[134:135], v[148:149]
	scratch_load_b128 v[146:149], off, off offset:472
	s_wait_dscnt 0x0
	v_fmac_f64_e32 v[164:165], v[136:137], v[154:155]
	s_wait_loadcnt 0x4
	v_fmac_f64_e32 v[164:165], v[150:151], v[156:157]
	scratch_load_b64 v[150:151], off, off offset:488
	ds_load_b128 v[134:137], v2 offset:912
	ds_load_b128 v[154:157], v2 offset:928
	s_wait_dscnt 0x1
	v_fmac_f64_e32 v[164:165], v[152:153], v[134:135]
	s_wait_loadcnt 0x4
	s_delay_alu instid0(VALU_DEP_1) | instskip(SKIP_1) | instid1(VALU_DEP_1)
	v_fmac_f64_e32 v[164:165], v[138:139], v[136:137]
	s_wait_dscnt 0x0
	v_fmac_f64_e32 v[164:165], v[140:141], v[154:155]
	ds_load_b128 v[134:137], v2 offset:944
	ds_load_b128 v[138:141], v2 offset:960
	s_wait_loadcnt 0x3
	v_fmac_f64_e32 v[164:165], v[142:143], v[156:157]
	s_wait_dscnt 0x1
	s_delay_alu instid0(VALU_DEP_1) | instskip(SKIP_1) | instid1(VALU_DEP_1)
	v_fmac_f64_e32 v[164:165], v[144:145], v[134:135]
	s_wait_loadcnt 0x2
	v_fmac_f64_e32 v[164:165], v[130:131], v[136:137]
	s_wait_dscnt 0x0
	s_delay_alu instid0(VALU_DEP_1) | instskip(SKIP_4) | instid1(VALU_DEP_1)
	v_fmac_f64_e32 v[164:165], v[132:133], v[138:139]
	ds_load_b128 v[130:133], v2 offset:976
	s_wait_loadcnt 0x1
	v_fmac_f64_e32 v[164:165], v[146:147], v[140:141]
	s_wait_dscnt 0x0
	v_fmac_f64_e32 v[164:165], v[148:149], v[130:131]
	s_wait_loadcnt 0x0
	s_delay_alu instid0(VALU_DEP_1) | instskip(NEXT) | instid1(VALU_DEP_1)
	v_fmac_f64_e32 v[164:165], v[150:151], v[132:133]
	v_add_f64_e64 v[2:3], v[128:129], -v[164:165]
	scratch_store_b64 off, v[2:3], off offset:152
	s_wait_xcnt 0x0
	v_cmpx_lt_u32_e32 18, v0
	s_cbranch_execz .LBB125_345
; %bb.344:
	scratch_load_b64 v[2:3], off, off offset:144
	v_mov_b64_e32 v[128:129], 0
	scratch_store_b64 off, v[128:129], off offset:144
	s_wait_loadcnt 0x0
	ds_store_b64 v1, v[2:3]
.LBB125_345:
	s_wait_xcnt 0x0
	s_or_b32 exec_lo, exec_lo, s0
	s_wait_storecnt_dscnt 0x0
	s_barrier_signal -1
	s_barrier_wait -1
	s_clause 0x5
	scratch_load_b128 v[128:131], off, off offset:144
	scratch_load_b128 v[132:135], off, off offset:160
	;; [unrolled: 1-line block ×6, first 2 shown]
	v_mov_b32_e32 v2, 0
	ds_load_2addr_b64 v[152:155], v2 offset0:81 offset1:82
	ds_load_2addr_b64 v[156:159], v2 offset0:83 offset1:84
	scratch_load_b128 v[160:163], off, off offset:240
	s_mov_b32 s0, exec_lo
	s_wait_loadcnt_dscnt 0x601
	v_fma_f64 v[164:165], v[130:131], v[152:153], 0
	s_wait_loadcnt 0x5
	s_delay_alu instid0(VALU_DEP_1) | instskip(SKIP_4) | instid1(VALU_DEP_1)
	v_fmac_f64_e32 v[164:165], v[132:133], v[154:155]
	scratch_load_b128 v[130:133], off, off offset:256
	s_wait_dscnt 0x0
	v_fmac_f64_e32 v[164:165], v[134:135], v[156:157]
	s_wait_loadcnt 0x5
	v_fmac_f64_e32 v[164:165], v[136:137], v[158:159]
	ds_load_2addr_b64 v[134:137], v2 offset0:85 offset1:86
	ds_load_2addr_b64 v[152:155], v2 offset0:87 offset1:88
	scratch_load_b128 v[156:159], off, off offset:272
	s_wait_dscnt 0x1
	v_fmac_f64_e32 v[164:165], v[138:139], v[134:135]
	s_wait_loadcnt 0x5
	s_delay_alu instid0(VALU_DEP_1) | instskip(SKIP_4) | instid1(VALU_DEP_1)
	v_fmac_f64_e32 v[164:165], v[140:141], v[136:137]
	scratch_load_b128 v[134:137], off, off offset:288
	s_wait_dscnt 0x0
	v_fmac_f64_e32 v[164:165], v[142:143], v[152:153]
	s_wait_loadcnt 0x5
	v_fmac_f64_e32 v[164:165], v[144:145], v[154:155]
	ds_load_2addr_b64 v[138:141], v2 offset0:89 offset1:90
	ds_load_2addr_b64 v[142:145], v2 offset0:91 offset1:92
	scratch_load_b128 v[152:155], off, off offset:304
	s_wait_dscnt 0x1
	v_fmac_f64_e32 v[164:165], v[146:147], v[138:139]
	s_wait_loadcnt 0x5
	s_delay_alu instid0(VALU_DEP_1) | instskip(SKIP_4) | instid1(VALU_DEP_1)
	v_fmac_f64_e32 v[164:165], v[148:149], v[140:141]
	scratch_load_b128 v[138:141], off, off offset:320
	s_wait_dscnt 0x0
	v_fmac_f64_e32 v[164:165], v[150:151], v[142:143]
	s_wait_loadcnt 0x5
	v_fmac_f64_e32 v[164:165], v[160:161], v[144:145]
	ds_load_2addr_b64 v[142:145], v2 offset0:93 offset1:94
	ds_load_2addr_b64 v[146:149], v2 offset0:95 offset1:96
	s_wait_dscnt 0x1
	v_fmac_f64_e32 v[164:165], v[162:163], v[142:143]
	scratch_load_b128 v[160:163], off, off offset:336
	s_wait_loadcnt 0x5
	v_fmac_f64_e32 v[164:165], v[130:131], v[144:145]
	s_wait_dscnt 0x0
	s_delay_alu instid0(VALU_DEP_1)
	v_fmac_f64_e32 v[164:165], v[132:133], v[146:147]
	scratch_load_b128 v[130:133], off, off offset:352
	s_wait_loadcnt 0x5
	v_fmac_f64_e32 v[164:165], v[156:157], v[148:149]
	ds_load_2addr_b64 v[142:145], v2 offset0:97 offset1:98
	ds_load_2addr_b64 v[146:149], v2 offset0:99 offset1:100
	s_wait_dscnt 0x1
	v_fmac_f64_e32 v[164:165], v[158:159], v[142:143]
	scratch_load_b128 v[156:159], off, off offset:368
	s_wait_loadcnt 0x5
	v_fmac_f64_e32 v[164:165], v[134:135], v[144:145]
	s_wait_dscnt 0x0
	s_delay_alu instid0(VALU_DEP_1)
	v_fmac_f64_e32 v[164:165], v[136:137], v[146:147]
	scratch_load_b128 v[134:137], off, off offset:384
	s_wait_loadcnt 0x5
	v_fmac_f64_e32 v[164:165], v[152:153], v[148:149]
	ds_load_2addr_b64 v[142:145], v2 offset0:101 offset1:102
	ds_load_2addr_b64 v[146:149], v2 offset0:103 offset1:104
	scratch_load_b128 v[150:153], off, off offset:400
	s_wait_dscnt 0x1
	v_fmac_f64_e32 v[164:165], v[154:155], v[142:143]
	s_wait_loadcnt 0x5
	s_delay_alu instid0(VALU_DEP_1) | instskip(SKIP_1) | instid1(VALU_DEP_1)
	v_fmac_f64_e32 v[164:165], v[138:139], v[144:145]
	s_wait_dscnt 0x0
	v_fmac_f64_e32 v[164:165], v[140:141], v[146:147]
	scratch_load_b128 v[138:141], off, off offset:416
	s_wait_loadcnt 0x5
	v_fmac_f64_e32 v[164:165], v[160:161], v[148:149]
	ds_load_2addr_b64 v[142:145], v2 offset0:105 offset1:106
	ds_load_2addr_b64 v[146:149], v2 offset0:107 offset1:108
	s_wait_dscnt 0x1
	v_fmac_f64_e32 v[164:165], v[162:163], v[142:143]
	s_wait_loadcnt 0x4
	s_delay_alu instid0(VALU_DEP_1)
	v_fmac_f64_e32 v[164:165], v[130:131], v[144:145]
	scratch_load_b128 v[142:145], off, off offset:432
	s_wait_dscnt 0x0
	v_fmac_f64_e32 v[164:165], v[132:133], v[146:147]
	scratch_load_b128 v[130:133], off, off offset:448
	s_wait_loadcnt 0x5
	v_fmac_f64_e32 v[164:165], v[156:157], v[148:149]
	ds_load_2addr_b64 v[146:149], v2 offset0:109 offset1:110
	ds_load_2addr_b64 v[154:157], v2 offset0:111 offset1:112
	s_wait_dscnt 0x1
	v_fmac_f64_e32 v[164:165], v[158:159], v[146:147]
	s_wait_loadcnt 0x4
	s_delay_alu instid0(VALU_DEP_1)
	v_fmac_f64_e32 v[164:165], v[134:135], v[148:149]
	scratch_load_b128 v[146:149], off, off offset:464
	s_wait_dscnt 0x0
	v_fmac_f64_e32 v[164:165], v[136:137], v[154:155]
	scratch_load_b128 v[134:137], off, off offset:480
	s_wait_loadcnt 0x5
	v_fmac_f64_e32 v[164:165], v[150:151], v[156:157]
	ds_load_2addr_b64 v[154:157], v2 offset0:113 offset1:114
	ds_load_2addr_b64 v[158:161], v2 offset0:115 offset1:116
	s_wait_dscnt 0x1
	v_fmac_f64_e32 v[164:165], v[152:153], v[154:155]
	s_wait_loadcnt 0x4
	s_delay_alu instid0(VALU_DEP_1) | instskip(SKIP_1) | instid1(VALU_DEP_1)
	v_fmac_f64_e32 v[164:165], v[138:139], v[156:157]
	s_wait_dscnt 0x0
	v_fmac_f64_e32 v[164:165], v[140:141], v[158:159]
	ds_load_2addr_b64 v[138:141], v2 offset0:117 offset1:118
	ds_load_2addr_b64 v[150:153], v2 offset0:119 offset1:120
	s_wait_loadcnt 0x3
	v_fmac_f64_e32 v[164:165], v[142:143], v[160:161]
	s_wait_dscnt 0x1
	s_delay_alu instid0(VALU_DEP_1) | instskip(SKIP_1) | instid1(VALU_DEP_1)
	v_fmac_f64_e32 v[164:165], v[144:145], v[138:139]
	s_wait_loadcnt 0x2
	v_fmac_f64_e32 v[164:165], v[130:131], v[140:141]
	s_wait_dscnt 0x0
	s_delay_alu instid0(VALU_DEP_1)
	v_fmac_f64_e32 v[164:165], v[132:133], v[150:151]
	ds_load_2addr_b64 v[130:133], v2 offset0:121 offset1:122
	ds_load_b64 v[138:139], v2 offset:984
	s_wait_loadcnt 0x1
	v_fmac_f64_e32 v[164:165], v[146:147], v[152:153]
	s_wait_dscnt 0x1
	s_delay_alu instid0(VALU_DEP_1) | instskip(SKIP_1) | instid1(VALU_DEP_1)
	v_fmac_f64_e32 v[164:165], v[148:149], v[130:131]
	s_wait_loadcnt 0x0
	v_fmac_f64_e32 v[164:165], v[134:135], v[132:133]
	s_wait_dscnt 0x0
	s_delay_alu instid0(VALU_DEP_1) | instskip(NEXT) | instid1(VALU_DEP_1)
	v_fmac_f64_e32 v[164:165], v[136:137], v[138:139]
	v_add_f64_e64 v[128:129], v[128:129], -v[164:165]
	scratch_store_b64 off, v[128:129], off offset:144
	s_wait_xcnt 0x0
	v_cmpx_lt_u32_e32 17, v0
	s_cbranch_execz .LBB125_347
; %bb.346:
	scratch_load_b64 v[128:129], off, off offset:136
	v_mov_b64_e32 v[130:131], 0
	scratch_store_b64 off, v[130:131], off offset:136
	s_wait_loadcnt 0x0
	ds_store_b64 v1, v[128:129]
.LBB125_347:
	s_wait_xcnt 0x0
	s_or_b32 exec_lo, exec_lo, s0
	s_wait_storecnt_dscnt 0x0
	s_barrier_signal -1
	s_barrier_wait -1
	s_clause 0x5
	scratch_load_b128 v[128:131], off, off offset:136
	scratch_load_b128 v[132:135], off, off offset:152
	;; [unrolled: 1-line block ×6, first 2 shown]
	ds_load_b128 v[152:155], v2 offset:640
	ds_load_b128 v[156:159], v2 offset:656
	scratch_load_b128 v[160:163], off, off offset:232
	s_mov_b32 s0, exec_lo
	s_wait_loadcnt_dscnt 0x601
	v_fma_f64 v[164:165], v[130:131], v[152:153], 0
	s_wait_loadcnt 0x5
	s_delay_alu instid0(VALU_DEP_1) | instskip(SKIP_4) | instid1(VALU_DEP_1)
	v_fmac_f64_e32 v[164:165], v[132:133], v[154:155]
	scratch_load_b128 v[130:133], off, off offset:248
	s_wait_dscnt 0x0
	v_fmac_f64_e32 v[164:165], v[134:135], v[156:157]
	s_wait_loadcnt 0x5
	v_fmac_f64_e32 v[164:165], v[136:137], v[158:159]
	ds_load_b128 v[134:137], v2 offset:672
	ds_load_b128 v[152:155], v2 offset:688
	scratch_load_b128 v[156:159], off, off offset:264
	s_wait_dscnt 0x1
	v_fmac_f64_e32 v[164:165], v[138:139], v[134:135]
	s_wait_loadcnt 0x5
	s_delay_alu instid0(VALU_DEP_1) | instskip(SKIP_4) | instid1(VALU_DEP_1)
	v_fmac_f64_e32 v[164:165], v[140:141], v[136:137]
	scratch_load_b128 v[134:137], off, off offset:280
	s_wait_dscnt 0x0
	v_fmac_f64_e32 v[164:165], v[142:143], v[152:153]
	s_wait_loadcnt 0x5
	v_fmac_f64_e32 v[164:165], v[144:145], v[154:155]
	ds_load_b128 v[138:141], v2 offset:704
	ds_load_b128 v[142:145], v2 offset:720
	scratch_load_b128 v[152:155], off, off offset:296
	s_wait_dscnt 0x1
	v_fmac_f64_e32 v[164:165], v[146:147], v[138:139]
	s_wait_loadcnt 0x5
	s_delay_alu instid0(VALU_DEP_1) | instskip(SKIP_4) | instid1(VALU_DEP_1)
	v_fmac_f64_e32 v[164:165], v[148:149], v[140:141]
	scratch_load_b128 v[138:141], off, off offset:312
	s_wait_dscnt 0x0
	v_fmac_f64_e32 v[164:165], v[150:151], v[142:143]
	s_wait_loadcnt 0x5
	v_fmac_f64_e32 v[164:165], v[160:161], v[144:145]
	ds_load_b128 v[142:145], v2 offset:736
	ds_load_b128 v[146:149], v2 offset:752
	s_wait_dscnt 0x1
	v_fmac_f64_e32 v[164:165], v[162:163], v[142:143]
	scratch_load_b128 v[160:163], off, off offset:328
	s_wait_loadcnt 0x5
	v_fmac_f64_e32 v[164:165], v[130:131], v[144:145]
	s_wait_dscnt 0x0
	s_delay_alu instid0(VALU_DEP_1)
	v_fmac_f64_e32 v[164:165], v[132:133], v[146:147]
	scratch_load_b128 v[130:133], off, off offset:344
	s_wait_loadcnt 0x5
	v_fmac_f64_e32 v[164:165], v[156:157], v[148:149]
	ds_load_b128 v[142:145], v2 offset:768
	ds_load_b128 v[146:149], v2 offset:784
	s_wait_dscnt 0x1
	v_fmac_f64_e32 v[164:165], v[158:159], v[142:143]
	scratch_load_b128 v[156:159], off, off offset:360
	s_wait_loadcnt 0x5
	v_fmac_f64_e32 v[164:165], v[134:135], v[144:145]
	s_wait_dscnt 0x0
	s_delay_alu instid0(VALU_DEP_1)
	v_fmac_f64_e32 v[164:165], v[136:137], v[146:147]
	scratch_load_b128 v[134:137], off, off offset:376
	s_wait_loadcnt 0x5
	v_fmac_f64_e32 v[164:165], v[152:153], v[148:149]
	ds_load_b128 v[142:145], v2 offset:800
	ds_load_b128 v[146:149], v2 offset:816
	scratch_load_b128 v[150:153], off, off offset:392
	s_wait_dscnt 0x1
	v_fmac_f64_e32 v[164:165], v[154:155], v[142:143]
	s_wait_loadcnt 0x5
	s_delay_alu instid0(VALU_DEP_1) | instskip(SKIP_1) | instid1(VALU_DEP_1)
	v_fmac_f64_e32 v[164:165], v[138:139], v[144:145]
	s_wait_dscnt 0x0
	v_fmac_f64_e32 v[164:165], v[140:141], v[146:147]
	scratch_load_b128 v[138:141], off, off offset:408
	s_wait_loadcnt 0x5
	v_fmac_f64_e32 v[164:165], v[160:161], v[148:149]
	ds_load_b128 v[142:145], v2 offset:832
	ds_load_b128 v[146:149], v2 offset:848
	s_wait_dscnt 0x1
	v_fmac_f64_e32 v[164:165], v[162:163], v[142:143]
	s_wait_loadcnt 0x4
	s_delay_alu instid0(VALU_DEP_1)
	v_fmac_f64_e32 v[164:165], v[130:131], v[144:145]
	scratch_load_b128 v[142:145], off, off offset:424
	s_wait_dscnt 0x0
	v_fmac_f64_e32 v[164:165], v[132:133], v[146:147]
	scratch_load_b128 v[130:133], off, off offset:440
	s_wait_loadcnt 0x5
	v_fmac_f64_e32 v[164:165], v[156:157], v[148:149]
	ds_load_b128 v[146:149], v2 offset:864
	ds_load_b128 v[154:157], v2 offset:880
	s_wait_dscnt 0x1
	v_fmac_f64_e32 v[164:165], v[158:159], v[146:147]
	s_wait_loadcnt 0x4
	s_delay_alu instid0(VALU_DEP_1)
	v_fmac_f64_e32 v[164:165], v[134:135], v[148:149]
	scratch_load_b128 v[146:149], off, off offset:456
	s_wait_dscnt 0x0
	v_fmac_f64_e32 v[164:165], v[136:137], v[154:155]
	scratch_load_b128 v[134:137], off, off offset:472
	s_wait_loadcnt 0x5
	v_fmac_f64_e32 v[164:165], v[150:151], v[156:157]
	ds_load_b128 v[154:157], v2 offset:896
	ds_load_b128 v[158:161], v2 offset:912
	s_wait_dscnt 0x1
	v_fmac_f64_e32 v[164:165], v[152:153], v[154:155]
	scratch_load_b64 v[154:155], off, off offset:488
	s_wait_loadcnt 0x5
	v_fmac_f64_e32 v[164:165], v[138:139], v[156:157]
	s_wait_dscnt 0x0
	s_delay_alu instid0(VALU_DEP_1)
	v_fmac_f64_e32 v[164:165], v[140:141], v[158:159]
	ds_load_b128 v[138:141], v2 offset:928
	ds_load_b128 v[150:153], v2 offset:944
	s_wait_loadcnt 0x4
	v_fmac_f64_e32 v[164:165], v[142:143], v[160:161]
	s_wait_dscnt 0x1
	s_delay_alu instid0(VALU_DEP_1) | instskip(SKIP_1) | instid1(VALU_DEP_1)
	v_fmac_f64_e32 v[164:165], v[144:145], v[138:139]
	s_wait_loadcnt 0x3
	v_fmac_f64_e32 v[164:165], v[130:131], v[140:141]
	s_wait_dscnt 0x0
	s_delay_alu instid0(VALU_DEP_1)
	v_fmac_f64_e32 v[164:165], v[132:133], v[150:151]
	ds_load_b128 v[130:133], v2 offset:960
	ds_load_b128 v[138:141], v2 offset:976
	s_wait_loadcnt 0x2
	v_fmac_f64_e32 v[164:165], v[146:147], v[152:153]
	s_wait_dscnt 0x1
	s_delay_alu instid0(VALU_DEP_1) | instskip(SKIP_1) | instid1(VALU_DEP_1)
	v_fmac_f64_e32 v[164:165], v[148:149], v[130:131]
	s_wait_loadcnt 0x1
	v_fmac_f64_e32 v[164:165], v[134:135], v[132:133]
	s_wait_dscnt 0x0
	s_delay_alu instid0(VALU_DEP_1) | instskip(SKIP_1) | instid1(VALU_DEP_1)
	v_fmac_f64_e32 v[164:165], v[136:137], v[138:139]
	s_wait_loadcnt 0x0
	v_fmac_f64_e32 v[164:165], v[154:155], v[140:141]
	s_delay_alu instid0(VALU_DEP_1)
	v_add_f64_e64 v[2:3], v[128:129], -v[164:165]
	scratch_store_b64 off, v[2:3], off offset:136
	s_wait_xcnt 0x0
	v_cmpx_lt_u32_e32 16, v0
	s_cbranch_execz .LBB125_349
; %bb.348:
	scratch_load_b64 v[2:3], off, off offset:128
	v_mov_b64_e32 v[128:129], 0
	scratch_store_b64 off, v[128:129], off offset:128
	s_wait_loadcnt 0x0
	ds_store_b64 v1, v[2:3]
.LBB125_349:
	s_wait_xcnt 0x0
	s_or_b32 exec_lo, exec_lo, s0
	s_wait_storecnt_dscnt 0x0
	s_barrier_signal -1
	s_barrier_wait -1
	s_clause 0x5
	scratch_load_b128 v[128:131], off, off offset:128
	scratch_load_b128 v[132:135], off, off offset:144
	;; [unrolled: 1-line block ×6, first 2 shown]
	v_mov_b32_e32 v2, 0
	ds_load_2addr_b64 v[152:155], v2 offset0:79 offset1:80
	ds_load_2addr_b64 v[156:159], v2 offset0:81 offset1:82
	scratch_load_b128 v[160:163], off, off offset:224
	s_mov_b32 s0, exec_lo
	s_wait_loadcnt_dscnt 0x601
	v_fma_f64 v[164:165], v[130:131], v[152:153], 0
	s_wait_loadcnt 0x5
	s_delay_alu instid0(VALU_DEP_1) | instskip(SKIP_4) | instid1(VALU_DEP_1)
	v_fmac_f64_e32 v[164:165], v[132:133], v[154:155]
	scratch_load_b128 v[130:133], off, off offset:240
	s_wait_dscnt 0x0
	v_fmac_f64_e32 v[164:165], v[134:135], v[156:157]
	s_wait_loadcnt 0x5
	v_fmac_f64_e32 v[164:165], v[136:137], v[158:159]
	ds_load_2addr_b64 v[134:137], v2 offset0:83 offset1:84
	ds_load_2addr_b64 v[152:155], v2 offset0:85 offset1:86
	scratch_load_b128 v[156:159], off, off offset:256
	s_wait_dscnt 0x1
	v_fmac_f64_e32 v[164:165], v[138:139], v[134:135]
	s_wait_loadcnt 0x5
	s_delay_alu instid0(VALU_DEP_1) | instskip(SKIP_4) | instid1(VALU_DEP_1)
	v_fmac_f64_e32 v[164:165], v[140:141], v[136:137]
	scratch_load_b128 v[134:137], off, off offset:272
	s_wait_dscnt 0x0
	v_fmac_f64_e32 v[164:165], v[142:143], v[152:153]
	s_wait_loadcnt 0x5
	v_fmac_f64_e32 v[164:165], v[144:145], v[154:155]
	ds_load_2addr_b64 v[138:141], v2 offset0:87 offset1:88
	ds_load_2addr_b64 v[142:145], v2 offset0:89 offset1:90
	scratch_load_b128 v[152:155], off, off offset:288
	s_wait_dscnt 0x1
	v_fmac_f64_e32 v[164:165], v[146:147], v[138:139]
	s_wait_loadcnt 0x5
	s_delay_alu instid0(VALU_DEP_1) | instskip(SKIP_4) | instid1(VALU_DEP_1)
	v_fmac_f64_e32 v[164:165], v[148:149], v[140:141]
	scratch_load_b128 v[138:141], off, off offset:304
	s_wait_dscnt 0x0
	v_fmac_f64_e32 v[164:165], v[150:151], v[142:143]
	s_wait_loadcnt 0x5
	v_fmac_f64_e32 v[164:165], v[160:161], v[144:145]
	ds_load_2addr_b64 v[142:145], v2 offset0:91 offset1:92
	ds_load_2addr_b64 v[146:149], v2 offset0:93 offset1:94
	s_wait_dscnt 0x1
	v_fmac_f64_e32 v[164:165], v[162:163], v[142:143]
	scratch_load_b128 v[160:163], off, off offset:320
	s_wait_loadcnt 0x5
	v_fmac_f64_e32 v[164:165], v[130:131], v[144:145]
	s_wait_dscnt 0x0
	s_delay_alu instid0(VALU_DEP_1)
	v_fmac_f64_e32 v[164:165], v[132:133], v[146:147]
	scratch_load_b128 v[130:133], off, off offset:336
	s_wait_loadcnt 0x5
	v_fmac_f64_e32 v[164:165], v[156:157], v[148:149]
	ds_load_2addr_b64 v[142:145], v2 offset0:95 offset1:96
	ds_load_2addr_b64 v[146:149], v2 offset0:97 offset1:98
	s_wait_dscnt 0x1
	v_fmac_f64_e32 v[164:165], v[158:159], v[142:143]
	scratch_load_b128 v[156:159], off, off offset:352
	s_wait_loadcnt 0x5
	v_fmac_f64_e32 v[164:165], v[134:135], v[144:145]
	s_wait_dscnt 0x0
	s_delay_alu instid0(VALU_DEP_1)
	v_fmac_f64_e32 v[164:165], v[136:137], v[146:147]
	scratch_load_b128 v[134:137], off, off offset:368
	s_wait_loadcnt 0x5
	v_fmac_f64_e32 v[164:165], v[152:153], v[148:149]
	ds_load_2addr_b64 v[142:145], v2 offset0:99 offset1:100
	ds_load_2addr_b64 v[146:149], v2 offset0:101 offset1:102
	scratch_load_b128 v[150:153], off, off offset:384
	s_wait_dscnt 0x1
	v_fmac_f64_e32 v[164:165], v[154:155], v[142:143]
	s_wait_loadcnt 0x5
	s_delay_alu instid0(VALU_DEP_1) | instskip(SKIP_1) | instid1(VALU_DEP_1)
	v_fmac_f64_e32 v[164:165], v[138:139], v[144:145]
	s_wait_dscnt 0x0
	v_fmac_f64_e32 v[164:165], v[140:141], v[146:147]
	scratch_load_b128 v[138:141], off, off offset:400
	s_wait_loadcnt 0x5
	v_fmac_f64_e32 v[164:165], v[160:161], v[148:149]
	ds_load_2addr_b64 v[142:145], v2 offset0:103 offset1:104
	ds_load_2addr_b64 v[146:149], v2 offset0:105 offset1:106
	s_wait_dscnt 0x1
	v_fmac_f64_e32 v[164:165], v[162:163], v[142:143]
	s_wait_loadcnt 0x4
	s_delay_alu instid0(VALU_DEP_1)
	v_fmac_f64_e32 v[164:165], v[130:131], v[144:145]
	scratch_load_b128 v[142:145], off, off offset:416
	s_wait_dscnt 0x0
	v_fmac_f64_e32 v[164:165], v[132:133], v[146:147]
	scratch_load_b128 v[130:133], off, off offset:432
	s_wait_loadcnt 0x5
	v_fmac_f64_e32 v[164:165], v[156:157], v[148:149]
	ds_load_2addr_b64 v[146:149], v2 offset0:107 offset1:108
	ds_load_2addr_b64 v[154:157], v2 offset0:109 offset1:110
	s_wait_dscnt 0x1
	v_fmac_f64_e32 v[164:165], v[158:159], v[146:147]
	s_wait_loadcnt 0x4
	s_delay_alu instid0(VALU_DEP_1)
	v_fmac_f64_e32 v[164:165], v[134:135], v[148:149]
	scratch_load_b128 v[146:149], off, off offset:448
	s_wait_dscnt 0x0
	v_fmac_f64_e32 v[164:165], v[136:137], v[154:155]
	scratch_load_b128 v[134:137], off, off offset:464
	s_wait_loadcnt 0x5
	v_fmac_f64_e32 v[164:165], v[150:151], v[156:157]
	ds_load_2addr_b64 v[154:157], v2 offset0:111 offset1:112
	ds_load_2addr_b64 v[158:161], v2 offset0:113 offset1:114
	s_wait_dscnt 0x1
	v_fmac_f64_e32 v[164:165], v[152:153], v[154:155]
	scratch_load_b128 v[150:153], off, off offset:480
	s_wait_loadcnt 0x5
	v_fmac_f64_e32 v[164:165], v[138:139], v[156:157]
	s_wait_dscnt 0x0
	s_delay_alu instid0(VALU_DEP_1)
	v_fmac_f64_e32 v[164:165], v[140:141], v[158:159]
	ds_load_2addr_b64 v[138:141], v2 offset0:115 offset1:116
	ds_load_2addr_b64 v[154:157], v2 offset0:117 offset1:118
	s_wait_loadcnt 0x4
	v_fmac_f64_e32 v[164:165], v[142:143], v[160:161]
	s_wait_dscnt 0x1
	s_delay_alu instid0(VALU_DEP_1) | instskip(SKIP_1) | instid1(VALU_DEP_1)
	v_fmac_f64_e32 v[164:165], v[144:145], v[138:139]
	s_wait_loadcnt 0x3
	v_fmac_f64_e32 v[164:165], v[130:131], v[140:141]
	s_wait_dscnt 0x0
	s_delay_alu instid0(VALU_DEP_1)
	v_fmac_f64_e32 v[164:165], v[132:133], v[154:155]
	ds_load_2addr_b64 v[130:133], v2 offset0:119 offset1:120
	ds_load_2addr_b64 v[138:141], v2 offset0:121 offset1:122
	s_wait_loadcnt 0x2
	v_fmac_f64_e32 v[164:165], v[146:147], v[156:157]
	s_wait_dscnt 0x1
	s_delay_alu instid0(VALU_DEP_1) | instskip(SKIP_4) | instid1(VALU_DEP_1)
	v_fmac_f64_e32 v[164:165], v[148:149], v[130:131]
	ds_load_b64 v[130:131], v2 offset:984
	s_wait_loadcnt 0x1
	v_fmac_f64_e32 v[164:165], v[134:135], v[132:133]
	s_wait_dscnt 0x1
	v_fmac_f64_e32 v[164:165], v[136:137], v[138:139]
	s_wait_loadcnt 0x0
	s_delay_alu instid0(VALU_DEP_1) | instskip(SKIP_1) | instid1(VALU_DEP_1)
	v_fmac_f64_e32 v[164:165], v[150:151], v[140:141]
	s_wait_dscnt 0x0
	v_fmac_f64_e32 v[164:165], v[152:153], v[130:131]
	s_delay_alu instid0(VALU_DEP_1)
	v_add_f64_e64 v[128:129], v[128:129], -v[164:165]
	scratch_store_b64 off, v[128:129], off offset:128
	s_wait_xcnt 0x0
	v_cmpx_lt_u32_e32 15, v0
	s_cbranch_execz .LBB125_351
; %bb.350:
	scratch_load_b64 v[128:129], off, off offset:120
	v_mov_b64_e32 v[130:131], 0
	scratch_store_b64 off, v[130:131], off offset:120
	s_wait_loadcnt 0x0
	ds_store_b64 v1, v[128:129]
.LBB125_351:
	s_wait_xcnt 0x0
	s_or_b32 exec_lo, exec_lo, s0
	s_wait_storecnt_dscnt 0x0
	s_barrier_signal -1
	s_barrier_wait -1
	s_clause 0x5
	scratch_load_b128 v[128:131], off, off offset:120
	scratch_load_b128 v[132:135], off, off offset:136
	;; [unrolled: 1-line block ×6, first 2 shown]
	ds_load_b128 v[152:155], v2 offset:624
	ds_load_b128 v[156:159], v2 offset:640
	scratch_load_b128 v[160:163], off, off offset:216
	s_mov_b32 s0, exec_lo
	s_wait_loadcnt_dscnt 0x601
	v_fma_f64 v[164:165], v[130:131], v[152:153], 0
	s_wait_loadcnt 0x5
	s_delay_alu instid0(VALU_DEP_1) | instskip(SKIP_4) | instid1(VALU_DEP_1)
	v_fmac_f64_e32 v[164:165], v[132:133], v[154:155]
	scratch_load_b128 v[130:133], off, off offset:232
	s_wait_dscnt 0x0
	v_fmac_f64_e32 v[164:165], v[134:135], v[156:157]
	s_wait_loadcnt 0x5
	v_fmac_f64_e32 v[164:165], v[136:137], v[158:159]
	ds_load_b128 v[134:137], v2 offset:656
	ds_load_b128 v[152:155], v2 offset:672
	scratch_load_b128 v[156:159], off, off offset:248
	s_wait_dscnt 0x1
	v_fmac_f64_e32 v[164:165], v[138:139], v[134:135]
	s_wait_loadcnt 0x5
	s_delay_alu instid0(VALU_DEP_1) | instskip(SKIP_4) | instid1(VALU_DEP_1)
	v_fmac_f64_e32 v[164:165], v[140:141], v[136:137]
	scratch_load_b128 v[134:137], off, off offset:264
	s_wait_dscnt 0x0
	v_fmac_f64_e32 v[164:165], v[142:143], v[152:153]
	s_wait_loadcnt 0x5
	v_fmac_f64_e32 v[164:165], v[144:145], v[154:155]
	ds_load_b128 v[138:141], v2 offset:688
	ds_load_b128 v[142:145], v2 offset:704
	scratch_load_b128 v[152:155], off, off offset:280
	s_wait_dscnt 0x1
	v_fmac_f64_e32 v[164:165], v[146:147], v[138:139]
	s_wait_loadcnt 0x5
	s_delay_alu instid0(VALU_DEP_1) | instskip(SKIP_4) | instid1(VALU_DEP_1)
	v_fmac_f64_e32 v[164:165], v[148:149], v[140:141]
	scratch_load_b128 v[138:141], off, off offset:296
	s_wait_dscnt 0x0
	v_fmac_f64_e32 v[164:165], v[150:151], v[142:143]
	s_wait_loadcnt 0x5
	v_fmac_f64_e32 v[164:165], v[160:161], v[144:145]
	ds_load_b128 v[142:145], v2 offset:720
	ds_load_b128 v[146:149], v2 offset:736
	s_wait_dscnt 0x1
	v_fmac_f64_e32 v[164:165], v[162:163], v[142:143]
	scratch_load_b128 v[160:163], off, off offset:312
	s_wait_loadcnt 0x5
	v_fmac_f64_e32 v[164:165], v[130:131], v[144:145]
	s_wait_dscnt 0x0
	s_delay_alu instid0(VALU_DEP_1)
	v_fmac_f64_e32 v[164:165], v[132:133], v[146:147]
	scratch_load_b128 v[130:133], off, off offset:328
	s_wait_loadcnt 0x5
	v_fmac_f64_e32 v[164:165], v[156:157], v[148:149]
	ds_load_b128 v[142:145], v2 offset:752
	ds_load_b128 v[146:149], v2 offset:768
	s_wait_dscnt 0x1
	v_fmac_f64_e32 v[164:165], v[158:159], v[142:143]
	scratch_load_b128 v[156:159], off, off offset:344
	s_wait_loadcnt 0x5
	v_fmac_f64_e32 v[164:165], v[134:135], v[144:145]
	s_wait_dscnt 0x0
	s_delay_alu instid0(VALU_DEP_1)
	v_fmac_f64_e32 v[164:165], v[136:137], v[146:147]
	scratch_load_b128 v[134:137], off, off offset:360
	s_wait_loadcnt 0x5
	v_fmac_f64_e32 v[164:165], v[152:153], v[148:149]
	ds_load_b128 v[142:145], v2 offset:784
	ds_load_b128 v[146:149], v2 offset:800
	scratch_load_b128 v[150:153], off, off offset:376
	s_wait_dscnt 0x1
	v_fmac_f64_e32 v[164:165], v[154:155], v[142:143]
	s_wait_loadcnt 0x5
	s_delay_alu instid0(VALU_DEP_1) | instskip(SKIP_1) | instid1(VALU_DEP_1)
	v_fmac_f64_e32 v[164:165], v[138:139], v[144:145]
	s_wait_dscnt 0x0
	v_fmac_f64_e32 v[164:165], v[140:141], v[146:147]
	scratch_load_b128 v[138:141], off, off offset:392
	s_wait_loadcnt 0x5
	v_fmac_f64_e32 v[164:165], v[160:161], v[148:149]
	ds_load_b128 v[142:145], v2 offset:816
	ds_load_b128 v[146:149], v2 offset:832
	s_wait_dscnt 0x1
	v_fmac_f64_e32 v[164:165], v[162:163], v[142:143]
	scratch_load_b128 v[160:163], off, off offset:408
	s_wait_loadcnt 0x5
	v_fmac_f64_e32 v[164:165], v[130:131], v[144:145]
	s_wait_dscnt 0x0
	s_delay_alu instid0(VALU_DEP_1)
	v_fmac_f64_e32 v[164:165], v[132:133], v[146:147]
	scratch_load_b128 v[130:133], off, off offset:424
	s_wait_loadcnt 0x5
	v_fmac_f64_e32 v[164:165], v[156:157], v[148:149]
	ds_load_b128 v[142:145], v2 offset:848
	ds_load_b128 v[146:149], v2 offset:864
	s_wait_dscnt 0x1
	v_fmac_f64_e32 v[164:165], v[158:159], v[142:143]
	s_wait_loadcnt 0x4
	s_delay_alu instid0(VALU_DEP_1)
	v_fmac_f64_e32 v[164:165], v[134:135], v[144:145]
	scratch_load_b128 v[142:145], off, off offset:440
	s_wait_dscnt 0x0
	v_fmac_f64_e32 v[164:165], v[136:137], v[146:147]
	scratch_load_b128 v[134:137], off, off offset:456
	s_wait_loadcnt 0x5
	v_fmac_f64_e32 v[164:165], v[150:151], v[148:149]
	ds_load_b128 v[146:149], v2 offset:880
	ds_load_b128 v[154:157], v2 offset:896
	s_wait_dscnt 0x1
	v_fmac_f64_e32 v[164:165], v[152:153], v[146:147]
	s_wait_loadcnt 0x4
	s_delay_alu instid0(VALU_DEP_1)
	v_fmac_f64_e32 v[164:165], v[138:139], v[148:149]
	scratch_load_b128 v[146:149], off, off offset:472
	s_wait_dscnt 0x0
	v_fmac_f64_e32 v[164:165], v[140:141], v[154:155]
	scratch_load_b64 v[154:155], off, off offset:488
	ds_load_b128 v[138:141], v2 offset:912
	ds_load_b128 v[150:153], v2 offset:928
	s_wait_loadcnt 0x5
	v_fmac_f64_e32 v[164:165], v[160:161], v[156:157]
	s_wait_dscnt 0x1
	s_delay_alu instid0(VALU_DEP_1) | instskip(SKIP_1) | instid1(VALU_DEP_1)
	v_fmac_f64_e32 v[164:165], v[162:163], v[138:139]
	s_wait_loadcnt 0x4
	v_fmac_f64_e32 v[164:165], v[130:131], v[140:141]
	s_wait_dscnt 0x0
	s_delay_alu instid0(VALU_DEP_1)
	v_fmac_f64_e32 v[164:165], v[132:133], v[150:151]
	ds_load_b128 v[130:133], v2 offset:944
	ds_load_b128 v[138:141], v2 offset:960
	s_wait_loadcnt 0x3
	v_fmac_f64_e32 v[164:165], v[142:143], v[152:153]
	s_wait_dscnt 0x1
	s_delay_alu instid0(VALU_DEP_1) | instskip(SKIP_1) | instid1(VALU_DEP_1)
	v_fmac_f64_e32 v[164:165], v[144:145], v[130:131]
	s_wait_loadcnt 0x2
	v_fmac_f64_e32 v[164:165], v[134:135], v[132:133]
	ds_load_b128 v[130:133], v2 offset:976
	s_wait_dscnt 0x1
	v_fmac_f64_e32 v[164:165], v[136:137], v[138:139]
	s_wait_loadcnt 0x1
	s_delay_alu instid0(VALU_DEP_1) | instskip(SKIP_1) | instid1(VALU_DEP_1)
	v_fmac_f64_e32 v[164:165], v[146:147], v[140:141]
	s_wait_dscnt 0x0
	v_fmac_f64_e32 v[164:165], v[148:149], v[130:131]
	s_wait_loadcnt 0x0
	s_delay_alu instid0(VALU_DEP_1) | instskip(NEXT) | instid1(VALU_DEP_1)
	v_fmac_f64_e32 v[164:165], v[154:155], v[132:133]
	v_add_f64_e64 v[2:3], v[128:129], -v[164:165]
	scratch_store_b64 off, v[2:3], off offset:120
	s_wait_xcnt 0x0
	v_cmpx_lt_u32_e32 14, v0
	s_cbranch_execz .LBB125_353
; %bb.352:
	scratch_load_b64 v[2:3], off, off offset:112
	v_mov_b64_e32 v[128:129], 0
	scratch_store_b64 off, v[128:129], off offset:112
	s_wait_loadcnt 0x0
	ds_store_b64 v1, v[2:3]
.LBB125_353:
	s_wait_xcnt 0x0
	s_or_b32 exec_lo, exec_lo, s0
	s_wait_storecnt_dscnt 0x0
	s_barrier_signal -1
	s_barrier_wait -1
	s_clause 0x5
	scratch_load_b128 v[128:131], off, off offset:112
	scratch_load_b128 v[132:135], off, off offset:128
	;; [unrolled: 1-line block ×6, first 2 shown]
	v_mov_b32_e32 v2, 0
	ds_load_2addr_b64 v[152:155], v2 offset0:77 offset1:78
	ds_load_2addr_b64 v[156:159], v2 offset0:79 offset1:80
	scratch_load_b128 v[160:163], off, off offset:208
	s_mov_b32 s0, exec_lo
	s_wait_loadcnt_dscnt 0x601
	v_fma_f64 v[164:165], v[130:131], v[152:153], 0
	s_wait_loadcnt 0x5
	s_delay_alu instid0(VALU_DEP_1) | instskip(SKIP_4) | instid1(VALU_DEP_1)
	v_fmac_f64_e32 v[164:165], v[132:133], v[154:155]
	scratch_load_b128 v[130:133], off, off offset:224
	s_wait_dscnt 0x0
	v_fmac_f64_e32 v[164:165], v[134:135], v[156:157]
	s_wait_loadcnt 0x5
	v_fmac_f64_e32 v[164:165], v[136:137], v[158:159]
	ds_load_2addr_b64 v[134:137], v2 offset0:81 offset1:82
	ds_load_2addr_b64 v[152:155], v2 offset0:83 offset1:84
	scratch_load_b128 v[156:159], off, off offset:240
	s_wait_dscnt 0x1
	v_fmac_f64_e32 v[164:165], v[138:139], v[134:135]
	s_wait_loadcnt 0x5
	s_delay_alu instid0(VALU_DEP_1) | instskip(SKIP_4) | instid1(VALU_DEP_1)
	v_fmac_f64_e32 v[164:165], v[140:141], v[136:137]
	scratch_load_b128 v[134:137], off, off offset:256
	s_wait_dscnt 0x0
	v_fmac_f64_e32 v[164:165], v[142:143], v[152:153]
	s_wait_loadcnt 0x5
	v_fmac_f64_e32 v[164:165], v[144:145], v[154:155]
	ds_load_2addr_b64 v[138:141], v2 offset0:85 offset1:86
	ds_load_2addr_b64 v[142:145], v2 offset0:87 offset1:88
	scratch_load_b128 v[152:155], off, off offset:272
	s_wait_dscnt 0x1
	v_fmac_f64_e32 v[164:165], v[146:147], v[138:139]
	s_wait_loadcnt 0x5
	s_delay_alu instid0(VALU_DEP_1) | instskip(SKIP_4) | instid1(VALU_DEP_1)
	v_fmac_f64_e32 v[164:165], v[148:149], v[140:141]
	scratch_load_b128 v[138:141], off, off offset:288
	s_wait_dscnt 0x0
	v_fmac_f64_e32 v[164:165], v[150:151], v[142:143]
	s_wait_loadcnt 0x5
	v_fmac_f64_e32 v[164:165], v[160:161], v[144:145]
	ds_load_2addr_b64 v[142:145], v2 offset0:89 offset1:90
	ds_load_2addr_b64 v[146:149], v2 offset0:91 offset1:92
	s_wait_dscnt 0x1
	v_fmac_f64_e32 v[164:165], v[162:163], v[142:143]
	scratch_load_b128 v[160:163], off, off offset:304
	s_wait_loadcnt 0x5
	v_fmac_f64_e32 v[164:165], v[130:131], v[144:145]
	s_wait_dscnt 0x0
	s_delay_alu instid0(VALU_DEP_1)
	v_fmac_f64_e32 v[164:165], v[132:133], v[146:147]
	scratch_load_b128 v[130:133], off, off offset:320
	s_wait_loadcnt 0x5
	v_fmac_f64_e32 v[164:165], v[156:157], v[148:149]
	ds_load_2addr_b64 v[142:145], v2 offset0:93 offset1:94
	ds_load_2addr_b64 v[146:149], v2 offset0:95 offset1:96
	s_wait_dscnt 0x1
	v_fmac_f64_e32 v[164:165], v[158:159], v[142:143]
	scratch_load_b128 v[156:159], off, off offset:336
	s_wait_loadcnt 0x5
	v_fmac_f64_e32 v[164:165], v[134:135], v[144:145]
	s_wait_dscnt 0x0
	s_delay_alu instid0(VALU_DEP_1)
	v_fmac_f64_e32 v[164:165], v[136:137], v[146:147]
	scratch_load_b128 v[134:137], off, off offset:352
	s_wait_loadcnt 0x5
	v_fmac_f64_e32 v[164:165], v[152:153], v[148:149]
	ds_load_2addr_b64 v[142:145], v2 offset0:97 offset1:98
	ds_load_2addr_b64 v[146:149], v2 offset0:99 offset1:100
	scratch_load_b128 v[150:153], off, off offset:368
	s_wait_dscnt 0x1
	v_fmac_f64_e32 v[164:165], v[154:155], v[142:143]
	s_wait_loadcnt 0x5
	s_delay_alu instid0(VALU_DEP_1) | instskip(SKIP_1) | instid1(VALU_DEP_1)
	v_fmac_f64_e32 v[164:165], v[138:139], v[144:145]
	s_wait_dscnt 0x0
	v_fmac_f64_e32 v[164:165], v[140:141], v[146:147]
	scratch_load_b128 v[138:141], off, off offset:384
	s_wait_loadcnt 0x5
	v_fmac_f64_e32 v[164:165], v[160:161], v[148:149]
	ds_load_2addr_b64 v[142:145], v2 offset0:101 offset1:102
	ds_load_2addr_b64 v[146:149], v2 offset0:103 offset1:104
	s_wait_dscnt 0x1
	v_fmac_f64_e32 v[164:165], v[162:163], v[142:143]
	scratch_load_b128 v[160:163], off, off offset:400
	s_wait_loadcnt 0x5
	v_fmac_f64_e32 v[164:165], v[130:131], v[144:145]
	s_wait_dscnt 0x0
	s_delay_alu instid0(VALU_DEP_1)
	v_fmac_f64_e32 v[164:165], v[132:133], v[146:147]
	scratch_load_b128 v[130:133], off, off offset:416
	s_wait_loadcnt 0x5
	v_fmac_f64_e32 v[164:165], v[156:157], v[148:149]
	ds_load_2addr_b64 v[142:145], v2 offset0:105 offset1:106
	ds_load_2addr_b64 v[146:149], v2 offset0:107 offset1:108
	s_wait_dscnt 0x1
	v_fmac_f64_e32 v[164:165], v[158:159], v[142:143]
	s_wait_loadcnt 0x4
	s_delay_alu instid0(VALU_DEP_1)
	v_fmac_f64_e32 v[164:165], v[134:135], v[144:145]
	scratch_load_b128 v[142:145], off, off offset:432
	s_wait_dscnt 0x0
	v_fmac_f64_e32 v[164:165], v[136:137], v[146:147]
	scratch_load_b128 v[134:137], off, off offset:448
	s_wait_loadcnt 0x5
	v_fmac_f64_e32 v[164:165], v[150:151], v[148:149]
	ds_load_2addr_b64 v[146:149], v2 offset0:109 offset1:110
	ds_load_2addr_b64 v[154:157], v2 offset0:111 offset1:112
	s_wait_dscnt 0x1
	v_fmac_f64_e32 v[164:165], v[152:153], v[146:147]
	s_wait_loadcnt 0x4
	s_delay_alu instid0(VALU_DEP_1)
	v_fmac_f64_e32 v[164:165], v[138:139], v[148:149]
	scratch_load_b128 v[146:149], off, off offset:464
	s_wait_dscnt 0x0
	v_fmac_f64_e32 v[164:165], v[140:141], v[154:155]
	scratch_load_b128 v[138:141], off, off offset:480
	s_wait_loadcnt 0x5
	v_fmac_f64_e32 v[164:165], v[160:161], v[156:157]
	ds_load_2addr_b64 v[150:153], v2 offset0:113 offset1:114
	ds_load_2addr_b64 v[154:157], v2 offset0:115 offset1:116
	s_wait_dscnt 0x1
	v_fmac_f64_e32 v[164:165], v[162:163], v[150:151]
	s_wait_loadcnt 0x4
	s_delay_alu instid0(VALU_DEP_1) | instskip(SKIP_1) | instid1(VALU_DEP_1)
	v_fmac_f64_e32 v[164:165], v[130:131], v[152:153]
	s_wait_dscnt 0x0
	v_fmac_f64_e32 v[164:165], v[132:133], v[154:155]
	ds_load_2addr_b64 v[130:133], v2 offset0:117 offset1:118
	ds_load_2addr_b64 v[150:153], v2 offset0:119 offset1:120
	s_wait_loadcnt 0x3
	v_fmac_f64_e32 v[164:165], v[142:143], v[156:157]
	s_wait_dscnt 0x1
	s_delay_alu instid0(VALU_DEP_1) | instskip(SKIP_1) | instid1(VALU_DEP_1)
	v_fmac_f64_e32 v[164:165], v[144:145], v[130:131]
	s_wait_loadcnt 0x2
	v_fmac_f64_e32 v[164:165], v[134:135], v[132:133]
	ds_load_2addr_b64 v[130:133], v2 offset0:121 offset1:122
	ds_load_b64 v[134:135], v2 offset:984
	s_wait_dscnt 0x2
	v_fmac_f64_e32 v[164:165], v[136:137], v[150:151]
	s_wait_loadcnt 0x1
	s_delay_alu instid0(VALU_DEP_1) | instskip(SKIP_1) | instid1(VALU_DEP_1)
	v_fmac_f64_e32 v[164:165], v[146:147], v[152:153]
	s_wait_dscnt 0x1
	v_fmac_f64_e32 v[164:165], v[148:149], v[130:131]
	s_wait_loadcnt 0x0
	s_delay_alu instid0(VALU_DEP_1) | instskip(SKIP_1) | instid1(VALU_DEP_1)
	v_fmac_f64_e32 v[164:165], v[138:139], v[132:133]
	s_wait_dscnt 0x0
	v_fmac_f64_e32 v[164:165], v[140:141], v[134:135]
	s_delay_alu instid0(VALU_DEP_1)
	v_add_f64_e64 v[128:129], v[128:129], -v[164:165]
	scratch_store_b64 off, v[128:129], off offset:112
	s_wait_xcnt 0x0
	v_cmpx_lt_u32_e32 13, v0
	s_cbranch_execz .LBB125_355
; %bb.354:
	scratch_load_b64 v[128:129], off, off offset:104
	v_mov_b64_e32 v[130:131], 0
	scratch_store_b64 off, v[130:131], off offset:104
	s_wait_loadcnt 0x0
	ds_store_b64 v1, v[128:129]
.LBB125_355:
	s_wait_xcnt 0x0
	s_or_b32 exec_lo, exec_lo, s0
	s_wait_storecnt_dscnt 0x0
	s_barrier_signal -1
	s_barrier_wait -1
	s_clause 0x5
	scratch_load_b128 v[128:131], off, off offset:104
	scratch_load_b128 v[132:135], off, off offset:120
	;; [unrolled: 1-line block ×6, first 2 shown]
	ds_load_b128 v[152:155], v2 offset:608
	ds_load_b128 v[156:159], v2 offset:624
	scratch_load_b128 v[160:163], off, off offset:200
	s_mov_b32 s0, exec_lo
	s_wait_loadcnt_dscnt 0x601
	v_fma_f64 v[164:165], v[130:131], v[152:153], 0
	s_wait_loadcnt 0x5
	s_delay_alu instid0(VALU_DEP_1) | instskip(SKIP_4) | instid1(VALU_DEP_1)
	v_fmac_f64_e32 v[164:165], v[132:133], v[154:155]
	scratch_load_b128 v[130:133], off, off offset:216
	s_wait_dscnt 0x0
	v_fmac_f64_e32 v[164:165], v[134:135], v[156:157]
	s_wait_loadcnt 0x5
	v_fmac_f64_e32 v[164:165], v[136:137], v[158:159]
	ds_load_b128 v[134:137], v2 offset:640
	ds_load_b128 v[152:155], v2 offset:656
	scratch_load_b128 v[156:159], off, off offset:232
	s_wait_dscnt 0x1
	v_fmac_f64_e32 v[164:165], v[138:139], v[134:135]
	s_wait_loadcnt 0x5
	s_delay_alu instid0(VALU_DEP_1) | instskip(SKIP_4) | instid1(VALU_DEP_1)
	v_fmac_f64_e32 v[164:165], v[140:141], v[136:137]
	scratch_load_b128 v[134:137], off, off offset:248
	s_wait_dscnt 0x0
	v_fmac_f64_e32 v[164:165], v[142:143], v[152:153]
	s_wait_loadcnt 0x5
	v_fmac_f64_e32 v[164:165], v[144:145], v[154:155]
	ds_load_b128 v[138:141], v2 offset:672
	ds_load_b128 v[142:145], v2 offset:688
	scratch_load_b128 v[152:155], off, off offset:264
	s_wait_dscnt 0x1
	v_fmac_f64_e32 v[164:165], v[146:147], v[138:139]
	s_wait_loadcnt 0x5
	s_delay_alu instid0(VALU_DEP_1) | instskip(SKIP_4) | instid1(VALU_DEP_1)
	v_fmac_f64_e32 v[164:165], v[148:149], v[140:141]
	scratch_load_b128 v[138:141], off, off offset:280
	s_wait_dscnt 0x0
	v_fmac_f64_e32 v[164:165], v[150:151], v[142:143]
	s_wait_loadcnt 0x5
	v_fmac_f64_e32 v[164:165], v[160:161], v[144:145]
	ds_load_b128 v[142:145], v2 offset:704
	ds_load_b128 v[146:149], v2 offset:720
	s_wait_dscnt 0x1
	v_fmac_f64_e32 v[164:165], v[162:163], v[142:143]
	scratch_load_b128 v[160:163], off, off offset:296
	s_wait_loadcnt 0x5
	v_fmac_f64_e32 v[164:165], v[130:131], v[144:145]
	s_wait_dscnt 0x0
	s_delay_alu instid0(VALU_DEP_1)
	v_fmac_f64_e32 v[164:165], v[132:133], v[146:147]
	scratch_load_b128 v[130:133], off, off offset:312
	s_wait_loadcnt 0x5
	v_fmac_f64_e32 v[164:165], v[156:157], v[148:149]
	ds_load_b128 v[142:145], v2 offset:736
	ds_load_b128 v[146:149], v2 offset:752
	s_wait_dscnt 0x1
	v_fmac_f64_e32 v[164:165], v[158:159], v[142:143]
	scratch_load_b128 v[156:159], off, off offset:328
	s_wait_loadcnt 0x5
	v_fmac_f64_e32 v[164:165], v[134:135], v[144:145]
	s_wait_dscnt 0x0
	s_delay_alu instid0(VALU_DEP_1)
	v_fmac_f64_e32 v[164:165], v[136:137], v[146:147]
	scratch_load_b128 v[134:137], off, off offset:344
	s_wait_loadcnt 0x5
	v_fmac_f64_e32 v[164:165], v[152:153], v[148:149]
	ds_load_b128 v[142:145], v2 offset:768
	ds_load_b128 v[146:149], v2 offset:784
	scratch_load_b128 v[150:153], off, off offset:360
	s_wait_dscnt 0x1
	v_fmac_f64_e32 v[164:165], v[154:155], v[142:143]
	s_wait_loadcnt 0x5
	s_delay_alu instid0(VALU_DEP_1) | instskip(SKIP_1) | instid1(VALU_DEP_1)
	v_fmac_f64_e32 v[164:165], v[138:139], v[144:145]
	s_wait_dscnt 0x0
	v_fmac_f64_e32 v[164:165], v[140:141], v[146:147]
	scratch_load_b128 v[138:141], off, off offset:376
	s_wait_loadcnt 0x5
	v_fmac_f64_e32 v[164:165], v[160:161], v[148:149]
	ds_load_b128 v[142:145], v2 offset:800
	ds_load_b128 v[146:149], v2 offset:816
	s_wait_dscnt 0x1
	v_fmac_f64_e32 v[164:165], v[162:163], v[142:143]
	scratch_load_b128 v[160:163], off, off offset:392
	s_wait_loadcnt 0x5
	v_fmac_f64_e32 v[164:165], v[130:131], v[144:145]
	s_wait_dscnt 0x0
	s_delay_alu instid0(VALU_DEP_1)
	v_fmac_f64_e32 v[164:165], v[132:133], v[146:147]
	scratch_load_b128 v[130:133], off, off offset:408
	s_wait_loadcnt 0x5
	v_fmac_f64_e32 v[164:165], v[156:157], v[148:149]
	ds_load_b128 v[142:145], v2 offset:832
	ds_load_b128 v[146:149], v2 offset:848
	s_wait_dscnt 0x1
	v_fmac_f64_e32 v[164:165], v[158:159], v[142:143]
	s_wait_loadcnt 0x4
	s_delay_alu instid0(VALU_DEP_1)
	v_fmac_f64_e32 v[164:165], v[134:135], v[144:145]
	scratch_load_b128 v[142:145], off, off offset:424
	s_wait_dscnt 0x0
	v_fmac_f64_e32 v[164:165], v[136:137], v[146:147]
	scratch_load_b128 v[134:137], off, off offset:440
	s_wait_loadcnt 0x5
	v_fmac_f64_e32 v[164:165], v[150:151], v[148:149]
	ds_load_b128 v[146:149], v2 offset:864
	ds_load_b128 v[154:157], v2 offset:880
	s_wait_dscnt 0x1
	v_fmac_f64_e32 v[164:165], v[152:153], v[146:147]
	s_wait_loadcnt 0x4
	s_delay_alu instid0(VALU_DEP_1)
	v_fmac_f64_e32 v[164:165], v[138:139], v[148:149]
	scratch_load_b128 v[146:149], off, off offset:456
	s_wait_dscnt 0x0
	v_fmac_f64_e32 v[164:165], v[140:141], v[154:155]
	scratch_load_b128 v[138:141], off, off offset:472
	s_wait_loadcnt 0x5
	v_fmac_f64_e32 v[164:165], v[160:161], v[156:157]
	ds_load_b128 v[150:153], v2 offset:896
	ds_load_b128 v[154:157], v2 offset:912
	scratch_load_b64 v[158:159], off, off offset:488
	s_wait_dscnt 0x1
	v_fmac_f64_e32 v[164:165], v[162:163], v[150:151]
	s_wait_loadcnt 0x5
	s_delay_alu instid0(VALU_DEP_1) | instskip(SKIP_1) | instid1(VALU_DEP_1)
	v_fmac_f64_e32 v[164:165], v[130:131], v[152:153]
	s_wait_dscnt 0x0
	v_fmac_f64_e32 v[164:165], v[132:133], v[154:155]
	ds_load_b128 v[130:133], v2 offset:928
	ds_load_b128 v[150:153], v2 offset:944
	s_wait_loadcnt 0x4
	v_fmac_f64_e32 v[164:165], v[142:143], v[156:157]
	s_wait_dscnt 0x1
	s_delay_alu instid0(VALU_DEP_1) | instskip(SKIP_1) | instid1(VALU_DEP_1)
	v_fmac_f64_e32 v[164:165], v[144:145], v[130:131]
	s_wait_loadcnt 0x3
	v_fmac_f64_e32 v[164:165], v[134:135], v[132:133]
	s_wait_dscnt 0x0
	s_delay_alu instid0(VALU_DEP_1)
	v_fmac_f64_e32 v[164:165], v[136:137], v[150:151]
	ds_load_b128 v[130:133], v2 offset:960
	ds_load_b128 v[134:137], v2 offset:976
	s_wait_loadcnt 0x2
	v_fmac_f64_e32 v[164:165], v[146:147], v[152:153]
	s_wait_dscnt 0x1
	s_delay_alu instid0(VALU_DEP_1) | instskip(SKIP_1) | instid1(VALU_DEP_1)
	v_fmac_f64_e32 v[164:165], v[148:149], v[130:131]
	s_wait_loadcnt 0x1
	v_fmac_f64_e32 v[164:165], v[138:139], v[132:133]
	s_wait_dscnt 0x0
	s_delay_alu instid0(VALU_DEP_1) | instskip(SKIP_1) | instid1(VALU_DEP_1)
	v_fmac_f64_e32 v[164:165], v[140:141], v[134:135]
	s_wait_loadcnt 0x0
	v_fmac_f64_e32 v[164:165], v[158:159], v[136:137]
	s_delay_alu instid0(VALU_DEP_1)
	v_add_f64_e64 v[2:3], v[128:129], -v[164:165]
	scratch_store_b64 off, v[2:3], off offset:104
	s_wait_xcnt 0x0
	v_cmpx_lt_u32_e32 12, v0
	s_cbranch_execz .LBB125_357
; %bb.356:
	scratch_load_b64 v[2:3], off, off offset:96
	v_mov_b64_e32 v[128:129], 0
	scratch_store_b64 off, v[128:129], off offset:96
	s_wait_loadcnt 0x0
	ds_store_b64 v1, v[2:3]
.LBB125_357:
	s_wait_xcnt 0x0
	s_or_b32 exec_lo, exec_lo, s0
	s_wait_storecnt_dscnt 0x0
	s_barrier_signal -1
	s_barrier_wait -1
	s_clause 0x5
	scratch_load_b128 v[128:131], off, off offset:96
	scratch_load_b128 v[132:135], off, off offset:112
	;; [unrolled: 1-line block ×6, first 2 shown]
	v_mov_b32_e32 v2, 0
	ds_load_2addr_b64 v[152:155], v2 offset0:75 offset1:76
	ds_load_2addr_b64 v[156:159], v2 offset0:77 offset1:78
	scratch_load_b128 v[160:163], off, off offset:192
	s_mov_b32 s0, exec_lo
	s_wait_loadcnt_dscnt 0x601
	v_fma_f64 v[164:165], v[130:131], v[152:153], 0
	s_wait_loadcnt 0x5
	s_delay_alu instid0(VALU_DEP_1) | instskip(SKIP_4) | instid1(VALU_DEP_1)
	v_fmac_f64_e32 v[164:165], v[132:133], v[154:155]
	scratch_load_b128 v[130:133], off, off offset:208
	s_wait_dscnt 0x0
	v_fmac_f64_e32 v[164:165], v[134:135], v[156:157]
	s_wait_loadcnt 0x5
	v_fmac_f64_e32 v[164:165], v[136:137], v[158:159]
	ds_load_2addr_b64 v[134:137], v2 offset0:79 offset1:80
	ds_load_2addr_b64 v[152:155], v2 offset0:81 offset1:82
	scratch_load_b128 v[156:159], off, off offset:224
	s_wait_dscnt 0x1
	v_fmac_f64_e32 v[164:165], v[138:139], v[134:135]
	s_wait_loadcnt 0x5
	s_delay_alu instid0(VALU_DEP_1) | instskip(SKIP_4) | instid1(VALU_DEP_1)
	v_fmac_f64_e32 v[164:165], v[140:141], v[136:137]
	scratch_load_b128 v[134:137], off, off offset:240
	s_wait_dscnt 0x0
	v_fmac_f64_e32 v[164:165], v[142:143], v[152:153]
	s_wait_loadcnt 0x5
	v_fmac_f64_e32 v[164:165], v[144:145], v[154:155]
	ds_load_2addr_b64 v[138:141], v2 offset0:83 offset1:84
	ds_load_2addr_b64 v[142:145], v2 offset0:85 offset1:86
	scratch_load_b128 v[152:155], off, off offset:256
	s_wait_dscnt 0x1
	v_fmac_f64_e32 v[164:165], v[146:147], v[138:139]
	s_wait_loadcnt 0x5
	s_delay_alu instid0(VALU_DEP_1) | instskip(SKIP_4) | instid1(VALU_DEP_1)
	v_fmac_f64_e32 v[164:165], v[148:149], v[140:141]
	scratch_load_b128 v[138:141], off, off offset:272
	s_wait_dscnt 0x0
	v_fmac_f64_e32 v[164:165], v[150:151], v[142:143]
	s_wait_loadcnt 0x5
	v_fmac_f64_e32 v[164:165], v[160:161], v[144:145]
	ds_load_2addr_b64 v[142:145], v2 offset0:87 offset1:88
	ds_load_2addr_b64 v[146:149], v2 offset0:89 offset1:90
	s_wait_dscnt 0x1
	v_fmac_f64_e32 v[164:165], v[162:163], v[142:143]
	scratch_load_b128 v[160:163], off, off offset:288
	s_wait_loadcnt 0x5
	v_fmac_f64_e32 v[164:165], v[130:131], v[144:145]
	s_wait_dscnt 0x0
	s_delay_alu instid0(VALU_DEP_1)
	v_fmac_f64_e32 v[164:165], v[132:133], v[146:147]
	scratch_load_b128 v[130:133], off, off offset:304
	s_wait_loadcnt 0x5
	v_fmac_f64_e32 v[164:165], v[156:157], v[148:149]
	ds_load_2addr_b64 v[142:145], v2 offset0:91 offset1:92
	ds_load_2addr_b64 v[146:149], v2 offset0:93 offset1:94
	s_wait_dscnt 0x1
	v_fmac_f64_e32 v[164:165], v[158:159], v[142:143]
	scratch_load_b128 v[156:159], off, off offset:320
	s_wait_loadcnt 0x5
	v_fmac_f64_e32 v[164:165], v[134:135], v[144:145]
	s_wait_dscnt 0x0
	s_delay_alu instid0(VALU_DEP_1)
	v_fmac_f64_e32 v[164:165], v[136:137], v[146:147]
	scratch_load_b128 v[134:137], off, off offset:336
	s_wait_loadcnt 0x5
	v_fmac_f64_e32 v[164:165], v[152:153], v[148:149]
	ds_load_2addr_b64 v[142:145], v2 offset0:95 offset1:96
	ds_load_2addr_b64 v[146:149], v2 offset0:97 offset1:98
	scratch_load_b128 v[150:153], off, off offset:352
	s_wait_dscnt 0x1
	v_fmac_f64_e32 v[164:165], v[154:155], v[142:143]
	s_wait_loadcnt 0x5
	s_delay_alu instid0(VALU_DEP_1) | instskip(SKIP_1) | instid1(VALU_DEP_1)
	v_fmac_f64_e32 v[164:165], v[138:139], v[144:145]
	s_wait_dscnt 0x0
	v_fmac_f64_e32 v[164:165], v[140:141], v[146:147]
	scratch_load_b128 v[138:141], off, off offset:368
	s_wait_loadcnt 0x5
	v_fmac_f64_e32 v[164:165], v[160:161], v[148:149]
	ds_load_2addr_b64 v[142:145], v2 offset0:99 offset1:100
	ds_load_2addr_b64 v[146:149], v2 offset0:101 offset1:102
	s_wait_dscnt 0x1
	v_fmac_f64_e32 v[164:165], v[162:163], v[142:143]
	scratch_load_b128 v[160:163], off, off offset:384
	s_wait_loadcnt 0x5
	v_fmac_f64_e32 v[164:165], v[130:131], v[144:145]
	s_wait_dscnt 0x0
	s_delay_alu instid0(VALU_DEP_1)
	v_fmac_f64_e32 v[164:165], v[132:133], v[146:147]
	scratch_load_b128 v[130:133], off, off offset:400
	s_wait_loadcnt 0x5
	v_fmac_f64_e32 v[164:165], v[156:157], v[148:149]
	ds_load_2addr_b64 v[142:145], v2 offset0:103 offset1:104
	ds_load_2addr_b64 v[146:149], v2 offset0:105 offset1:106
	s_wait_dscnt 0x1
	v_fmac_f64_e32 v[164:165], v[158:159], v[142:143]
	s_wait_loadcnt 0x4
	s_delay_alu instid0(VALU_DEP_1)
	v_fmac_f64_e32 v[164:165], v[134:135], v[144:145]
	scratch_load_b128 v[142:145], off, off offset:416
	s_wait_dscnt 0x0
	v_fmac_f64_e32 v[164:165], v[136:137], v[146:147]
	scratch_load_b128 v[134:137], off, off offset:432
	s_wait_loadcnt 0x5
	v_fmac_f64_e32 v[164:165], v[150:151], v[148:149]
	ds_load_2addr_b64 v[146:149], v2 offset0:107 offset1:108
	ds_load_2addr_b64 v[154:157], v2 offset0:109 offset1:110
	s_wait_dscnt 0x1
	v_fmac_f64_e32 v[164:165], v[152:153], v[146:147]
	s_wait_loadcnt 0x4
	s_delay_alu instid0(VALU_DEP_1)
	v_fmac_f64_e32 v[164:165], v[138:139], v[148:149]
	scratch_load_b128 v[146:149], off, off offset:448
	s_wait_dscnt 0x0
	v_fmac_f64_e32 v[164:165], v[140:141], v[154:155]
	scratch_load_b128 v[138:141], off, off offset:464
	s_wait_loadcnt 0x5
	v_fmac_f64_e32 v[164:165], v[160:161], v[156:157]
	ds_load_2addr_b64 v[150:153], v2 offset0:111 offset1:112
	ds_load_2addr_b64 v[154:157], v2 offset0:113 offset1:114
	s_wait_dscnt 0x1
	v_fmac_f64_e32 v[164:165], v[162:163], v[150:151]
	s_wait_loadcnt 0x4
	s_delay_alu instid0(VALU_DEP_1) | instskip(SKIP_4) | instid1(VALU_DEP_1)
	v_fmac_f64_e32 v[164:165], v[130:131], v[152:153]
	scratch_load_b128 v[150:153], off, off offset:480
	s_wait_dscnt 0x0
	v_fmac_f64_e32 v[164:165], v[132:133], v[154:155]
	s_wait_loadcnt 0x4
	v_fmac_f64_e32 v[164:165], v[142:143], v[156:157]
	ds_load_2addr_b64 v[130:133], v2 offset0:115 offset1:116
	ds_load_2addr_b64 v[154:157], v2 offset0:117 offset1:118
	s_wait_dscnt 0x1
	v_fmac_f64_e32 v[164:165], v[144:145], v[130:131]
	s_wait_loadcnt 0x3
	s_delay_alu instid0(VALU_DEP_1) | instskip(SKIP_1) | instid1(VALU_DEP_1)
	v_fmac_f64_e32 v[164:165], v[134:135], v[132:133]
	s_wait_dscnt 0x0
	v_fmac_f64_e32 v[164:165], v[136:137], v[154:155]
	ds_load_2addr_b64 v[130:133], v2 offset0:119 offset1:120
	ds_load_2addr_b64 v[134:137], v2 offset0:121 offset1:122
	s_wait_loadcnt 0x2
	v_fmac_f64_e32 v[164:165], v[146:147], v[156:157]
	s_wait_dscnt 0x1
	s_delay_alu instid0(VALU_DEP_1) | instskip(SKIP_4) | instid1(VALU_DEP_1)
	v_fmac_f64_e32 v[164:165], v[148:149], v[130:131]
	ds_load_b64 v[130:131], v2 offset:984
	s_wait_loadcnt 0x1
	v_fmac_f64_e32 v[164:165], v[138:139], v[132:133]
	s_wait_dscnt 0x1
	v_fmac_f64_e32 v[164:165], v[140:141], v[134:135]
	s_wait_loadcnt 0x0
	s_delay_alu instid0(VALU_DEP_1) | instskip(SKIP_1) | instid1(VALU_DEP_1)
	v_fmac_f64_e32 v[164:165], v[150:151], v[136:137]
	s_wait_dscnt 0x0
	v_fmac_f64_e32 v[164:165], v[152:153], v[130:131]
	s_delay_alu instid0(VALU_DEP_1)
	v_add_f64_e64 v[128:129], v[128:129], -v[164:165]
	scratch_store_b64 off, v[128:129], off offset:96
	s_wait_xcnt 0x0
	v_cmpx_lt_u32_e32 11, v0
	s_cbranch_execz .LBB125_359
; %bb.358:
	scratch_load_b64 v[128:129], off, off offset:88
	v_mov_b64_e32 v[130:131], 0
	scratch_store_b64 off, v[130:131], off offset:88
	s_wait_loadcnt 0x0
	ds_store_b64 v1, v[128:129]
.LBB125_359:
	s_wait_xcnt 0x0
	s_or_b32 exec_lo, exec_lo, s0
	s_wait_storecnt_dscnt 0x0
	s_barrier_signal -1
	s_barrier_wait -1
	s_clause 0x5
	scratch_load_b128 v[128:131], off, off offset:88
	scratch_load_b128 v[132:135], off, off offset:104
	;; [unrolled: 1-line block ×6, first 2 shown]
	ds_load_b128 v[152:155], v2 offset:592
	ds_load_b128 v[156:159], v2 offset:608
	scratch_load_b128 v[160:163], off, off offset:184
	s_mov_b32 s0, exec_lo
	s_wait_loadcnt_dscnt 0x601
	v_fma_f64 v[164:165], v[130:131], v[152:153], 0
	s_wait_loadcnt 0x5
	s_delay_alu instid0(VALU_DEP_1) | instskip(SKIP_4) | instid1(VALU_DEP_1)
	v_fmac_f64_e32 v[164:165], v[132:133], v[154:155]
	scratch_load_b128 v[130:133], off, off offset:200
	s_wait_dscnt 0x0
	v_fmac_f64_e32 v[164:165], v[134:135], v[156:157]
	s_wait_loadcnt 0x5
	v_fmac_f64_e32 v[164:165], v[136:137], v[158:159]
	ds_load_b128 v[134:137], v2 offset:624
	ds_load_b128 v[152:155], v2 offset:640
	scratch_load_b128 v[156:159], off, off offset:216
	s_wait_dscnt 0x1
	v_fmac_f64_e32 v[164:165], v[138:139], v[134:135]
	s_wait_loadcnt 0x5
	s_delay_alu instid0(VALU_DEP_1) | instskip(SKIP_4) | instid1(VALU_DEP_1)
	v_fmac_f64_e32 v[164:165], v[140:141], v[136:137]
	scratch_load_b128 v[134:137], off, off offset:232
	s_wait_dscnt 0x0
	v_fmac_f64_e32 v[164:165], v[142:143], v[152:153]
	s_wait_loadcnt 0x5
	v_fmac_f64_e32 v[164:165], v[144:145], v[154:155]
	ds_load_b128 v[138:141], v2 offset:656
	ds_load_b128 v[142:145], v2 offset:672
	scratch_load_b128 v[152:155], off, off offset:248
	s_wait_dscnt 0x1
	v_fmac_f64_e32 v[164:165], v[146:147], v[138:139]
	s_wait_loadcnt 0x5
	s_delay_alu instid0(VALU_DEP_1) | instskip(SKIP_4) | instid1(VALU_DEP_1)
	v_fmac_f64_e32 v[164:165], v[148:149], v[140:141]
	scratch_load_b128 v[138:141], off, off offset:264
	s_wait_dscnt 0x0
	v_fmac_f64_e32 v[164:165], v[150:151], v[142:143]
	s_wait_loadcnt 0x5
	v_fmac_f64_e32 v[164:165], v[160:161], v[144:145]
	ds_load_b128 v[142:145], v2 offset:688
	ds_load_b128 v[146:149], v2 offset:704
	s_wait_dscnt 0x1
	v_fmac_f64_e32 v[164:165], v[162:163], v[142:143]
	scratch_load_b128 v[160:163], off, off offset:280
	s_wait_loadcnt 0x5
	v_fmac_f64_e32 v[164:165], v[130:131], v[144:145]
	s_wait_dscnt 0x0
	s_delay_alu instid0(VALU_DEP_1)
	v_fmac_f64_e32 v[164:165], v[132:133], v[146:147]
	scratch_load_b128 v[130:133], off, off offset:296
	s_wait_loadcnt 0x5
	v_fmac_f64_e32 v[164:165], v[156:157], v[148:149]
	ds_load_b128 v[142:145], v2 offset:720
	ds_load_b128 v[146:149], v2 offset:736
	s_wait_dscnt 0x1
	v_fmac_f64_e32 v[164:165], v[158:159], v[142:143]
	scratch_load_b128 v[156:159], off, off offset:312
	s_wait_loadcnt 0x5
	v_fmac_f64_e32 v[164:165], v[134:135], v[144:145]
	s_wait_dscnt 0x0
	s_delay_alu instid0(VALU_DEP_1)
	v_fmac_f64_e32 v[164:165], v[136:137], v[146:147]
	scratch_load_b128 v[134:137], off, off offset:328
	s_wait_loadcnt 0x5
	v_fmac_f64_e32 v[164:165], v[152:153], v[148:149]
	ds_load_b128 v[142:145], v2 offset:752
	ds_load_b128 v[146:149], v2 offset:768
	scratch_load_b128 v[150:153], off, off offset:344
	s_wait_dscnt 0x1
	v_fmac_f64_e32 v[164:165], v[154:155], v[142:143]
	s_wait_loadcnt 0x5
	s_delay_alu instid0(VALU_DEP_1) | instskip(SKIP_1) | instid1(VALU_DEP_1)
	v_fmac_f64_e32 v[164:165], v[138:139], v[144:145]
	s_wait_dscnt 0x0
	v_fmac_f64_e32 v[164:165], v[140:141], v[146:147]
	scratch_load_b128 v[138:141], off, off offset:360
	s_wait_loadcnt 0x5
	v_fmac_f64_e32 v[164:165], v[160:161], v[148:149]
	ds_load_b128 v[142:145], v2 offset:784
	ds_load_b128 v[146:149], v2 offset:800
	s_wait_dscnt 0x1
	v_fmac_f64_e32 v[164:165], v[162:163], v[142:143]
	scratch_load_b128 v[160:163], off, off offset:376
	s_wait_loadcnt 0x5
	v_fmac_f64_e32 v[164:165], v[130:131], v[144:145]
	s_wait_dscnt 0x0
	s_delay_alu instid0(VALU_DEP_1)
	v_fmac_f64_e32 v[164:165], v[132:133], v[146:147]
	scratch_load_b128 v[130:133], off, off offset:392
	s_wait_loadcnt 0x5
	v_fmac_f64_e32 v[164:165], v[156:157], v[148:149]
	ds_load_b128 v[142:145], v2 offset:816
	ds_load_b128 v[146:149], v2 offset:832
	scratch_load_b128 v[154:157], off, off offset:408
	s_wait_dscnt 0x1
	v_fmac_f64_e32 v[164:165], v[158:159], v[142:143]
	s_wait_loadcnt 0x5
	s_delay_alu instid0(VALU_DEP_1) | instskip(SKIP_1) | instid1(VALU_DEP_1)
	v_fmac_f64_e32 v[164:165], v[134:135], v[144:145]
	s_wait_dscnt 0x0
	v_fmac_f64_e32 v[164:165], v[136:137], v[146:147]
	scratch_load_b128 v[134:137], off, off offset:424
	s_wait_loadcnt 0x5
	v_fmac_f64_e32 v[164:165], v[150:151], v[148:149]
	ds_load_b128 v[142:145], v2 offset:848
	ds_load_b128 v[146:149], v2 offset:864
	s_wait_dscnt 0x1
	v_fmac_f64_e32 v[164:165], v[152:153], v[142:143]
	s_wait_loadcnt 0x4
	s_delay_alu instid0(VALU_DEP_1)
	v_fmac_f64_e32 v[164:165], v[138:139], v[144:145]
	scratch_load_b128 v[142:145], off, off offset:440
	s_wait_dscnt 0x0
	v_fmac_f64_e32 v[164:165], v[140:141], v[146:147]
	scratch_load_b128 v[138:141], off, off offset:456
	s_wait_loadcnt 0x5
	v_fmac_f64_e32 v[164:165], v[160:161], v[148:149]
	ds_load_b128 v[146:149], v2 offset:880
	ds_load_b128 v[150:153], v2 offset:896
	s_wait_dscnt 0x1
	v_fmac_f64_e32 v[164:165], v[162:163], v[146:147]
	s_wait_loadcnt 0x4
	s_delay_alu instid0(VALU_DEP_1) | instskip(SKIP_4) | instid1(VALU_DEP_1)
	v_fmac_f64_e32 v[164:165], v[130:131], v[148:149]
	scratch_load_b128 v[146:149], off, off offset:472
	s_wait_dscnt 0x0
	v_fmac_f64_e32 v[164:165], v[132:133], v[150:151]
	s_wait_loadcnt 0x4
	v_fmac_f64_e32 v[164:165], v[154:155], v[152:153]
	scratch_load_b64 v[154:155], off, off offset:488
	ds_load_b128 v[130:133], v2 offset:912
	ds_load_b128 v[150:153], v2 offset:928
	s_wait_dscnt 0x1
	v_fmac_f64_e32 v[164:165], v[156:157], v[130:131]
	s_wait_loadcnt 0x4
	s_delay_alu instid0(VALU_DEP_1) | instskip(SKIP_1) | instid1(VALU_DEP_1)
	v_fmac_f64_e32 v[164:165], v[134:135], v[132:133]
	s_wait_dscnt 0x0
	v_fmac_f64_e32 v[164:165], v[136:137], v[150:151]
	ds_load_b128 v[130:133], v2 offset:944
	ds_load_b128 v[134:137], v2 offset:960
	s_wait_loadcnt 0x3
	v_fmac_f64_e32 v[164:165], v[142:143], v[152:153]
	s_wait_dscnt 0x1
	s_delay_alu instid0(VALU_DEP_1) | instskip(SKIP_1) | instid1(VALU_DEP_1)
	v_fmac_f64_e32 v[164:165], v[144:145], v[130:131]
	s_wait_loadcnt 0x2
	v_fmac_f64_e32 v[164:165], v[138:139], v[132:133]
	ds_load_b128 v[130:133], v2 offset:976
	s_wait_dscnt 0x1
	v_fmac_f64_e32 v[164:165], v[140:141], v[134:135]
	s_wait_loadcnt 0x1
	s_delay_alu instid0(VALU_DEP_1) | instskip(SKIP_1) | instid1(VALU_DEP_1)
	v_fmac_f64_e32 v[164:165], v[146:147], v[136:137]
	s_wait_dscnt 0x0
	v_fmac_f64_e32 v[164:165], v[148:149], v[130:131]
	s_wait_loadcnt 0x0
	s_delay_alu instid0(VALU_DEP_1) | instskip(NEXT) | instid1(VALU_DEP_1)
	v_fmac_f64_e32 v[164:165], v[154:155], v[132:133]
	v_add_f64_e64 v[2:3], v[128:129], -v[164:165]
	scratch_store_b64 off, v[2:3], off offset:88
	s_wait_xcnt 0x0
	v_cmpx_lt_u32_e32 10, v0
	s_cbranch_execz .LBB125_361
; %bb.360:
	scratch_load_b64 v[2:3], off, off offset:80
	v_mov_b64_e32 v[128:129], 0
	scratch_store_b64 off, v[128:129], off offset:80
	s_wait_loadcnt 0x0
	ds_store_b64 v1, v[2:3]
.LBB125_361:
	s_wait_xcnt 0x0
	s_or_b32 exec_lo, exec_lo, s0
	s_wait_storecnt_dscnt 0x0
	s_barrier_signal -1
	s_barrier_wait -1
	s_clause 0x5
	scratch_load_b128 v[128:131], off, off offset:80
	scratch_load_b128 v[132:135], off, off offset:96
	;; [unrolled: 1-line block ×6, first 2 shown]
	v_mov_b32_e32 v2, 0
	ds_load_2addr_b64 v[152:155], v2 offset0:73 offset1:74
	ds_load_2addr_b64 v[156:159], v2 offset0:75 offset1:76
	scratch_load_b128 v[160:163], off, off offset:176
	s_mov_b32 s0, exec_lo
	s_wait_loadcnt_dscnt 0x601
	v_fma_f64 v[164:165], v[130:131], v[152:153], 0
	s_wait_loadcnt 0x5
	s_delay_alu instid0(VALU_DEP_1) | instskip(SKIP_4) | instid1(VALU_DEP_1)
	v_fmac_f64_e32 v[164:165], v[132:133], v[154:155]
	scratch_load_b128 v[130:133], off, off offset:192
	s_wait_dscnt 0x0
	v_fmac_f64_e32 v[164:165], v[134:135], v[156:157]
	s_wait_loadcnt 0x5
	v_fmac_f64_e32 v[164:165], v[136:137], v[158:159]
	ds_load_2addr_b64 v[134:137], v2 offset0:77 offset1:78
	ds_load_2addr_b64 v[152:155], v2 offset0:79 offset1:80
	scratch_load_b128 v[156:159], off, off offset:208
	s_wait_dscnt 0x1
	v_fmac_f64_e32 v[164:165], v[138:139], v[134:135]
	s_wait_loadcnt 0x5
	s_delay_alu instid0(VALU_DEP_1) | instskip(SKIP_4) | instid1(VALU_DEP_1)
	v_fmac_f64_e32 v[164:165], v[140:141], v[136:137]
	scratch_load_b128 v[134:137], off, off offset:224
	s_wait_dscnt 0x0
	v_fmac_f64_e32 v[164:165], v[142:143], v[152:153]
	s_wait_loadcnt 0x5
	v_fmac_f64_e32 v[164:165], v[144:145], v[154:155]
	ds_load_2addr_b64 v[138:141], v2 offset0:81 offset1:82
	ds_load_2addr_b64 v[142:145], v2 offset0:83 offset1:84
	scratch_load_b128 v[152:155], off, off offset:240
	s_wait_dscnt 0x1
	v_fmac_f64_e32 v[164:165], v[146:147], v[138:139]
	s_wait_loadcnt 0x5
	s_delay_alu instid0(VALU_DEP_1) | instskip(SKIP_4) | instid1(VALU_DEP_1)
	v_fmac_f64_e32 v[164:165], v[148:149], v[140:141]
	scratch_load_b128 v[138:141], off, off offset:256
	s_wait_dscnt 0x0
	v_fmac_f64_e32 v[164:165], v[150:151], v[142:143]
	s_wait_loadcnt 0x5
	v_fmac_f64_e32 v[164:165], v[160:161], v[144:145]
	ds_load_2addr_b64 v[142:145], v2 offset0:85 offset1:86
	ds_load_2addr_b64 v[146:149], v2 offset0:87 offset1:88
	s_wait_dscnt 0x1
	v_fmac_f64_e32 v[164:165], v[162:163], v[142:143]
	scratch_load_b128 v[160:163], off, off offset:272
	s_wait_loadcnt 0x5
	v_fmac_f64_e32 v[164:165], v[130:131], v[144:145]
	s_wait_dscnt 0x0
	s_delay_alu instid0(VALU_DEP_1)
	v_fmac_f64_e32 v[164:165], v[132:133], v[146:147]
	scratch_load_b128 v[130:133], off, off offset:288
	s_wait_loadcnt 0x5
	v_fmac_f64_e32 v[164:165], v[156:157], v[148:149]
	ds_load_2addr_b64 v[142:145], v2 offset0:89 offset1:90
	ds_load_2addr_b64 v[146:149], v2 offset0:91 offset1:92
	s_wait_dscnt 0x1
	v_fmac_f64_e32 v[164:165], v[158:159], v[142:143]
	scratch_load_b128 v[156:159], off, off offset:304
	s_wait_loadcnt 0x5
	v_fmac_f64_e32 v[164:165], v[134:135], v[144:145]
	s_wait_dscnt 0x0
	s_delay_alu instid0(VALU_DEP_1)
	v_fmac_f64_e32 v[164:165], v[136:137], v[146:147]
	scratch_load_b128 v[134:137], off, off offset:320
	s_wait_loadcnt 0x5
	v_fmac_f64_e32 v[164:165], v[152:153], v[148:149]
	ds_load_2addr_b64 v[142:145], v2 offset0:93 offset1:94
	ds_load_2addr_b64 v[146:149], v2 offset0:95 offset1:96
	scratch_load_b128 v[150:153], off, off offset:336
	s_wait_dscnt 0x1
	v_fmac_f64_e32 v[164:165], v[154:155], v[142:143]
	s_wait_loadcnt 0x5
	s_delay_alu instid0(VALU_DEP_1) | instskip(SKIP_1) | instid1(VALU_DEP_1)
	v_fmac_f64_e32 v[164:165], v[138:139], v[144:145]
	s_wait_dscnt 0x0
	v_fmac_f64_e32 v[164:165], v[140:141], v[146:147]
	scratch_load_b128 v[138:141], off, off offset:352
	s_wait_loadcnt 0x5
	v_fmac_f64_e32 v[164:165], v[160:161], v[148:149]
	ds_load_2addr_b64 v[142:145], v2 offset0:97 offset1:98
	ds_load_2addr_b64 v[146:149], v2 offset0:99 offset1:100
	s_wait_dscnt 0x1
	v_fmac_f64_e32 v[164:165], v[162:163], v[142:143]
	scratch_load_b128 v[160:163], off, off offset:368
	s_wait_loadcnt 0x5
	v_fmac_f64_e32 v[164:165], v[130:131], v[144:145]
	s_wait_dscnt 0x0
	s_delay_alu instid0(VALU_DEP_1)
	v_fmac_f64_e32 v[164:165], v[132:133], v[146:147]
	scratch_load_b128 v[130:133], off, off offset:384
	s_wait_loadcnt 0x5
	v_fmac_f64_e32 v[164:165], v[156:157], v[148:149]
	ds_load_2addr_b64 v[142:145], v2 offset0:101 offset1:102
	ds_load_2addr_b64 v[146:149], v2 offset0:103 offset1:104
	scratch_load_b128 v[154:157], off, off offset:400
	s_wait_dscnt 0x1
	v_fmac_f64_e32 v[164:165], v[158:159], v[142:143]
	s_wait_loadcnt 0x5
	s_delay_alu instid0(VALU_DEP_1) | instskip(SKIP_1) | instid1(VALU_DEP_1)
	v_fmac_f64_e32 v[164:165], v[134:135], v[144:145]
	s_wait_dscnt 0x0
	v_fmac_f64_e32 v[164:165], v[136:137], v[146:147]
	scratch_load_b128 v[134:137], off, off offset:416
	s_wait_loadcnt 0x5
	v_fmac_f64_e32 v[164:165], v[150:151], v[148:149]
	ds_load_2addr_b64 v[142:145], v2 offset0:105 offset1:106
	ds_load_2addr_b64 v[146:149], v2 offset0:107 offset1:108
	s_wait_dscnt 0x1
	v_fmac_f64_e32 v[164:165], v[152:153], v[142:143]
	s_wait_loadcnt 0x4
	s_delay_alu instid0(VALU_DEP_1)
	v_fmac_f64_e32 v[164:165], v[138:139], v[144:145]
	scratch_load_b128 v[142:145], off, off offset:432
	s_wait_dscnt 0x0
	v_fmac_f64_e32 v[164:165], v[140:141], v[146:147]
	scratch_load_b128 v[138:141], off, off offset:448
	s_wait_loadcnt 0x5
	v_fmac_f64_e32 v[164:165], v[160:161], v[148:149]
	ds_load_2addr_b64 v[146:149], v2 offset0:109 offset1:110
	ds_load_2addr_b64 v[150:153], v2 offset0:111 offset1:112
	s_wait_dscnt 0x1
	v_fmac_f64_e32 v[164:165], v[162:163], v[146:147]
	s_wait_loadcnt 0x4
	s_delay_alu instid0(VALU_DEP_1)
	v_fmac_f64_e32 v[164:165], v[130:131], v[148:149]
	scratch_load_b128 v[146:149], off, off offset:464
	s_wait_dscnt 0x0
	v_fmac_f64_e32 v[164:165], v[132:133], v[150:151]
	scratch_load_b128 v[130:133], off, off offset:480
	s_wait_loadcnt 0x5
	v_fmac_f64_e32 v[164:165], v[154:155], v[152:153]
	ds_load_2addr_b64 v[150:153], v2 offset0:113 offset1:114
	ds_load_2addr_b64 v[158:161], v2 offset0:115 offset1:116
	s_wait_dscnt 0x1
	v_fmac_f64_e32 v[164:165], v[156:157], v[150:151]
	s_wait_loadcnt 0x4
	s_delay_alu instid0(VALU_DEP_1) | instskip(SKIP_1) | instid1(VALU_DEP_1)
	v_fmac_f64_e32 v[164:165], v[134:135], v[152:153]
	s_wait_dscnt 0x0
	v_fmac_f64_e32 v[164:165], v[136:137], v[158:159]
	ds_load_2addr_b64 v[134:137], v2 offset0:117 offset1:118
	ds_load_2addr_b64 v[150:153], v2 offset0:119 offset1:120
	s_wait_loadcnt 0x3
	v_fmac_f64_e32 v[164:165], v[142:143], v[160:161]
	s_wait_dscnt 0x1
	s_delay_alu instid0(VALU_DEP_1) | instskip(SKIP_1) | instid1(VALU_DEP_1)
	v_fmac_f64_e32 v[164:165], v[144:145], v[134:135]
	s_wait_loadcnt 0x2
	v_fmac_f64_e32 v[164:165], v[138:139], v[136:137]
	ds_load_2addr_b64 v[134:137], v2 offset0:121 offset1:122
	ds_load_b64 v[138:139], v2 offset:984
	s_wait_dscnt 0x2
	v_fmac_f64_e32 v[164:165], v[140:141], v[150:151]
	s_wait_loadcnt 0x1
	s_delay_alu instid0(VALU_DEP_1) | instskip(SKIP_1) | instid1(VALU_DEP_1)
	v_fmac_f64_e32 v[164:165], v[146:147], v[152:153]
	s_wait_dscnt 0x1
	v_fmac_f64_e32 v[164:165], v[148:149], v[134:135]
	s_wait_loadcnt 0x0
	s_delay_alu instid0(VALU_DEP_1) | instskip(SKIP_1) | instid1(VALU_DEP_1)
	v_fmac_f64_e32 v[164:165], v[130:131], v[136:137]
	s_wait_dscnt 0x0
	v_fmac_f64_e32 v[164:165], v[132:133], v[138:139]
	s_delay_alu instid0(VALU_DEP_1)
	v_add_f64_e64 v[128:129], v[128:129], -v[164:165]
	scratch_store_b64 off, v[128:129], off offset:80
	s_wait_xcnt 0x0
	v_cmpx_lt_u32_e32 9, v0
	s_cbranch_execz .LBB125_363
; %bb.362:
	scratch_load_b64 v[128:129], off, off offset:72
	v_mov_b64_e32 v[130:131], 0
	scratch_store_b64 off, v[130:131], off offset:72
	s_wait_loadcnt 0x0
	ds_store_b64 v1, v[128:129]
.LBB125_363:
	s_wait_xcnt 0x0
	s_or_b32 exec_lo, exec_lo, s0
	s_wait_storecnt_dscnt 0x0
	s_barrier_signal -1
	s_barrier_wait -1
	s_clause 0x5
	scratch_load_b128 v[128:131], off, off offset:72
	scratch_load_b128 v[132:135], off, off offset:88
	;; [unrolled: 1-line block ×6, first 2 shown]
	ds_load_b128 v[152:155], v2 offset:576
	ds_load_b128 v[156:159], v2 offset:592
	scratch_load_b128 v[160:163], off, off offset:168
	s_mov_b32 s0, exec_lo
	s_wait_loadcnt_dscnt 0x601
	v_fma_f64 v[164:165], v[130:131], v[152:153], 0
	s_wait_loadcnt 0x5
	s_delay_alu instid0(VALU_DEP_1) | instskip(SKIP_4) | instid1(VALU_DEP_1)
	v_fmac_f64_e32 v[164:165], v[132:133], v[154:155]
	scratch_load_b128 v[130:133], off, off offset:184
	s_wait_dscnt 0x0
	v_fmac_f64_e32 v[164:165], v[134:135], v[156:157]
	s_wait_loadcnt 0x5
	v_fmac_f64_e32 v[164:165], v[136:137], v[158:159]
	ds_load_b128 v[134:137], v2 offset:608
	ds_load_b128 v[152:155], v2 offset:624
	scratch_load_b128 v[156:159], off, off offset:200
	s_wait_dscnt 0x1
	v_fmac_f64_e32 v[164:165], v[138:139], v[134:135]
	s_wait_loadcnt 0x5
	s_delay_alu instid0(VALU_DEP_1) | instskip(SKIP_4) | instid1(VALU_DEP_1)
	v_fmac_f64_e32 v[164:165], v[140:141], v[136:137]
	scratch_load_b128 v[134:137], off, off offset:216
	s_wait_dscnt 0x0
	v_fmac_f64_e32 v[164:165], v[142:143], v[152:153]
	s_wait_loadcnt 0x5
	v_fmac_f64_e32 v[164:165], v[144:145], v[154:155]
	ds_load_b128 v[138:141], v2 offset:640
	ds_load_b128 v[142:145], v2 offset:656
	scratch_load_b128 v[152:155], off, off offset:232
	s_wait_dscnt 0x1
	v_fmac_f64_e32 v[164:165], v[146:147], v[138:139]
	s_wait_loadcnt 0x5
	s_delay_alu instid0(VALU_DEP_1) | instskip(SKIP_4) | instid1(VALU_DEP_1)
	v_fmac_f64_e32 v[164:165], v[148:149], v[140:141]
	scratch_load_b128 v[138:141], off, off offset:248
	s_wait_dscnt 0x0
	v_fmac_f64_e32 v[164:165], v[150:151], v[142:143]
	s_wait_loadcnt 0x5
	v_fmac_f64_e32 v[164:165], v[160:161], v[144:145]
	ds_load_b128 v[142:145], v2 offset:672
	ds_load_b128 v[146:149], v2 offset:688
	s_wait_dscnt 0x1
	v_fmac_f64_e32 v[164:165], v[162:163], v[142:143]
	scratch_load_b128 v[160:163], off, off offset:264
	s_wait_loadcnt 0x5
	v_fmac_f64_e32 v[164:165], v[130:131], v[144:145]
	s_wait_dscnt 0x0
	s_delay_alu instid0(VALU_DEP_1)
	v_fmac_f64_e32 v[164:165], v[132:133], v[146:147]
	scratch_load_b128 v[130:133], off, off offset:280
	s_wait_loadcnt 0x5
	v_fmac_f64_e32 v[164:165], v[156:157], v[148:149]
	ds_load_b128 v[142:145], v2 offset:704
	ds_load_b128 v[146:149], v2 offset:720
	s_wait_dscnt 0x1
	v_fmac_f64_e32 v[164:165], v[158:159], v[142:143]
	scratch_load_b128 v[156:159], off, off offset:296
	s_wait_loadcnt 0x5
	v_fmac_f64_e32 v[164:165], v[134:135], v[144:145]
	s_wait_dscnt 0x0
	s_delay_alu instid0(VALU_DEP_1)
	v_fmac_f64_e32 v[164:165], v[136:137], v[146:147]
	scratch_load_b128 v[134:137], off, off offset:312
	s_wait_loadcnt 0x5
	v_fmac_f64_e32 v[164:165], v[152:153], v[148:149]
	ds_load_b128 v[142:145], v2 offset:736
	ds_load_b128 v[146:149], v2 offset:752
	scratch_load_b128 v[150:153], off, off offset:328
	s_wait_dscnt 0x1
	v_fmac_f64_e32 v[164:165], v[154:155], v[142:143]
	s_wait_loadcnt 0x5
	s_delay_alu instid0(VALU_DEP_1) | instskip(SKIP_1) | instid1(VALU_DEP_1)
	v_fmac_f64_e32 v[164:165], v[138:139], v[144:145]
	s_wait_dscnt 0x0
	v_fmac_f64_e32 v[164:165], v[140:141], v[146:147]
	scratch_load_b128 v[138:141], off, off offset:344
	s_wait_loadcnt 0x5
	v_fmac_f64_e32 v[164:165], v[160:161], v[148:149]
	ds_load_b128 v[142:145], v2 offset:768
	ds_load_b128 v[146:149], v2 offset:784
	s_wait_dscnt 0x1
	v_fmac_f64_e32 v[164:165], v[162:163], v[142:143]
	scratch_load_b128 v[160:163], off, off offset:360
	s_wait_loadcnt 0x5
	v_fmac_f64_e32 v[164:165], v[130:131], v[144:145]
	s_wait_dscnt 0x0
	s_delay_alu instid0(VALU_DEP_1)
	v_fmac_f64_e32 v[164:165], v[132:133], v[146:147]
	scratch_load_b128 v[130:133], off, off offset:376
	s_wait_loadcnt 0x5
	v_fmac_f64_e32 v[164:165], v[156:157], v[148:149]
	ds_load_b128 v[142:145], v2 offset:800
	ds_load_b128 v[146:149], v2 offset:816
	scratch_load_b128 v[154:157], off, off offset:392
	s_wait_dscnt 0x1
	v_fmac_f64_e32 v[164:165], v[158:159], v[142:143]
	s_wait_loadcnt 0x5
	s_delay_alu instid0(VALU_DEP_1) | instskip(SKIP_1) | instid1(VALU_DEP_1)
	v_fmac_f64_e32 v[164:165], v[134:135], v[144:145]
	s_wait_dscnt 0x0
	v_fmac_f64_e32 v[164:165], v[136:137], v[146:147]
	scratch_load_b128 v[134:137], off, off offset:408
	s_wait_loadcnt 0x5
	v_fmac_f64_e32 v[164:165], v[150:151], v[148:149]
	ds_load_b128 v[142:145], v2 offset:832
	ds_load_b128 v[146:149], v2 offset:848
	s_wait_dscnt 0x1
	v_fmac_f64_e32 v[164:165], v[152:153], v[142:143]
	s_wait_loadcnt 0x4
	s_delay_alu instid0(VALU_DEP_1)
	v_fmac_f64_e32 v[164:165], v[138:139], v[144:145]
	scratch_load_b128 v[142:145], off, off offset:424
	s_wait_dscnt 0x0
	v_fmac_f64_e32 v[164:165], v[140:141], v[146:147]
	scratch_load_b128 v[138:141], off, off offset:440
	s_wait_loadcnt 0x5
	v_fmac_f64_e32 v[164:165], v[160:161], v[148:149]
	ds_load_b128 v[146:149], v2 offset:864
	ds_load_b128 v[150:153], v2 offset:880
	s_wait_dscnt 0x1
	v_fmac_f64_e32 v[164:165], v[162:163], v[146:147]
	s_wait_loadcnt 0x4
	s_delay_alu instid0(VALU_DEP_1)
	v_fmac_f64_e32 v[164:165], v[130:131], v[148:149]
	scratch_load_b128 v[146:149], off, off offset:456
	s_wait_dscnt 0x0
	v_fmac_f64_e32 v[164:165], v[132:133], v[150:151]
	scratch_load_b128 v[130:133], off, off offset:472
	s_wait_loadcnt 0x5
	v_fmac_f64_e32 v[164:165], v[154:155], v[152:153]
	ds_load_b128 v[150:153], v2 offset:896
	ds_load_b128 v[158:161], v2 offset:912
	scratch_load_b64 v[154:155], off, off offset:488
	s_wait_dscnt 0x1
	v_fmac_f64_e32 v[164:165], v[156:157], v[150:151]
	s_wait_loadcnt 0x5
	s_delay_alu instid0(VALU_DEP_1) | instskip(SKIP_1) | instid1(VALU_DEP_1)
	v_fmac_f64_e32 v[164:165], v[134:135], v[152:153]
	s_wait_dscnt 0x0
	v_fmac_f64_e32 v[164:165], v[136:137], v[158:159]
	ds_load_b128 v[134:137], v2 offset:928
	ds_load_b128 v[150:153], v2 offset:944
	s_wait_loadcnt 0x4
	v_fmac_f64_e32 v[164:165], v[142:143], v[160:161]
	s_wait_dscnt 0x1
	s_delay_alu instid0(VALU_DEP_1) | instskip(SKIP_1) | instid1(VALU_DEP_1)
	v_fmac_f64_e32 v[164:165], v[144:145], v[134:135]
	s_wait_loadcnt 0x3
	v_fmac_f64_e32 v[164:165], v[138:139], v[136:137]
	s_wait_dscnt 0x0
	s_delay_alu instid0(VALU_DEP_1)
	v_fmac_f64_e32 v[164:165], v[140:141], v[150:151]
	ds_load_b128 v[134:137], v2 offset:960
	ds_load_b128 v[138:141], v2 offset:976
	s_wait_loadcnt 0x2
	v_fmac_f64_e32 v[164:165], v[146:147], v[152:153]
	s_wait_dscnt 0x1
	s_delay_alu instid0(VALU_DEP_1) | instskip(SKIP_1) | instid1(VALU_DEP_1)
	v_fmac_f64_e32 v[164:165], v[148:149], v[134:135]
	s_wait_loadcnt 0x1
	v_fmac_f64_e32 v[164:165], v[130:131], v[136:137]
	s_wait_dscnt 0x0
	s_delay_alu instid0(VALU_DEP_1) | instskip(SKIP_1) | instid1(VALU_DEP_1)
	v_fmac_f64_e32 v[164:165], v[132:133], v[138:139]
	s_wait_loadcnt 0x0
	v_fmac_f64_e32 v[164:165], v[154:155], v[140:141]
	s_delay_alu instid0(VALU_DEP_1)
	v_add_f64_e64 v[2:3], v[128:129], -v[164:165]
	scratch_store_b64 off, v[2:3], off offset:72
	s_wait_xcnt 0x0
	v_cmpx_lt_u32_e32 8, v0
	s_cbranch_execz .LBB125_365
; %bb.364:
	scratch_load_b64 v[2:3], off, off offset:64
	v_mov_b64_e32 v[128:129], 0
	scratch_store_b64 off, v[128:129], off offset:64
	s_wait_loadcnt 0x0
	ds_store_b64 v1, v[2:3]
.LBB125_365:
	s_wait_xcnt 0x0
	s_or_b32 exec_lo, exec_lo, s0
	s_wait_storecnt_dscnt 0x0
	s_barrier_signal -1
	s_barrier_wait -1
	s_clause 0x5
	scratch_load_b128 v[128:131], off, off offset:64
	scratch_load_b128 v[132:135], off, off offset:80
	;; [unrolled: 1-line block ×6, first 2 shown]
	v_mov_b32_e32 v2, 0
	ds_load_2addr_b64 v[152:155], v2 offset0:71 offset1:72
	ds_load_2addr_b64 v[156:159], v2 offset0:73 offset1:74
	scratch_load_b128 v[160:163], off, off offset:160
	s_mov_b32 s0, exec_lo
	s_wait_loadcnt_dscnt 0x601
	v_fma_f64 v[164:165], v[130:131], v[152:153], 0
	s_wait_loadcnt 0x5
	s_delay_alu instid0(VALU_DEP_1) | instskip(SKIP_4) | instid1(VALU_DEP_1)
	v_fmac_f64_e32 v[164:165], v[132:133], v[154:155]
	scratch_load_b128 v[130:133], off, off offset:176
	s_wait_dscnt 0x0
	v_fmac_f64_e32 v[164:165], v[134:135], v[156:157]
	s_wait_loadcnt 0x5
	v_fmac_f64_e32 v[164:165], v[136:137], v[158:159]
	ds_load_2addr_b64 v[134:137], v2 offset0:75 offset1:76
	ds_load_2addr_b64 v[152:155], v2 offset0:77 offset1:78
	scratch_load_b128 v[156:159], off, off offset:192
	s_wait_dscnt 0x1
	v_fmac_f64_e32 v[164:165], v[138:139], v[134:135]
	s_wait_loadcnt 0x5
	s_delay_alu instid0(VALU_DEP_1) | instskip(SKIP_4) | instid1(VALU_DEP_1)
	v_fmac_f64_e32 v[164:165], v[140:141], v[136:137]
	scratch_load_b128 v[134:137], off, off offset:208
	s_wait_dscnt 0x0
	v_fmac_f64_e32 v[164:165], v[142:143], v[152:153]
	s_wait_loadcnt 0x5
	v_fmac_f64_e32 v[164:165], v[144:145], v[154:155]
	ds_load_2addr_b64 v[138:141], v2 offset0:79 offset1:80
	ds_load_2addr_b64 v[142:145], v2 offset0:81 offset1:82
	scratch_load_b128 v[152:155], off, off offset:224
	s_wait_dscnt 0x1
	v_fmac_f64_e32 v[164:165], v[146:147], v[138:139]
	s_wait_loadcnt 0x5
	s_delay_alu instid0(VALU_DEP_1) | instskip(SKIP_4) | instid1(VALU_DEP_1)
	v_fmac_f64_e32 v[164:165], v[148:149], v[140:141]
	scratch_load_b128 v[138:141], off, off offset:240
	s_wait_dscnt 0x0
	v_fmac_f64_e32 v[164:165], v[150:151], v[142:143]
	s_wait_loadcnt 0x5
	v_fmac_f64_e32 v[164:165], v[160:161], v[144:145]
	ds_load_2addr_b64 v[142:145], v2 offset0:83 offset1:84
	ds_load_2addr_b64 v[146:149], v2 offset0:85 offset1:86
	s_wait_dscnt 0x1
	v_fmac_f64_e32 v[164:165], v[162:163], v[142:143]
	scratch_load_b128 v[160:163], off, off offset:256
	s_wait_loadcnt 0x5
	v_fmac_f64_e32 v[164:165], v[130:131], v[144:145]
	s_wait_dscnt 0x0
	s_delay_alu instid0(VALU_DEP_1)
	v_fmac_f64_e32 v[164:165], v[132:133], v[146:147]
	scratch_load_b128 v[130:133], off, off offset:272
	s_wait_loadcnt 0x5
	v_fmac_f64_e32 v[164:165], v[156:157], v[148:149]
	ds_load_2addr_b64 v[142:145], v2 offset0:87 offset1:88
	ds_load_2addr_b64 v[146:149], v2 offset0:89 offset1:90
	s_wait_dscnt 0x1
	v_fmac_f64_e32 v[164:165], v[158:159], v[142:143]
	scratch_load_b128 v[156:159], off, off offset:288
	s_wait_loadcnt 0x5
	v_fmac_f64_e32 v[164:165], v[134:135], v[144:145]
	s_wait_dscnt 0x0
	s_delay_alu instid0(VALU_DEP_1)
	v_fmac_f64_e32 v[164:165], v[136:137], v[146:147]
	scratch_load_b128 v[134:137], off, off offset:304
	s_wait_loadcnt 0x5
	v_fmac_f64_e32 v[164:165], v[152:153], v[148:149]
	ds_load_2addr_b64 v[142:145], v2 offset0:91 offset1:92
	ds_load_2addr_b64 v[146:149], v2 offset0:93 offset1:94
	scratch_load_b128 v[150:153], off, off offset:320
	s_wait_dscnt 0x1
	v_fmac_f64_e32 v[164:165], v[154:155], v[142:143]
	s_wait_loadcnt 0x5
	s_delay_alu instid0(VALU_DEP_1) | instskip(SKIP_1) | instid1(VALU_DEP_1)
	v_fmac_f64_e32 v[164:165], v[138:139], v[144:145]
	s_wait_dscnt 0x0
	v_fmac_f64_e32 v[164:165], v[140:141], v[146:147]
	scratch_load_b128 v[138:141], off, off offset:336
	s_wait_loadcnt 0x5
	v_fmac_f64_e32 v[164:165], v[160:161], v[148:149]
	ds_load_2addr_b64 v[142:145], v2 offset0:95 offset1:96
	ds_load_2addr_b64 v[146:149], v2 offset0:97 offset1:98
	s_wait_dscnt 0x1
	v_fmac_f64_e32 v[164:165], v[162:163], v[142:143]
	scratch_load_b128 v[160:163], off, off offset:352
	s_wait_loadcnt 0x5
	v_fmac_f64_e32 v[164:165], v[130:131], v[144:145]
	s_wait_dscnt 0x0
	s_delay_alu instid0(VALU_DEP_1)
	v_fmac_f64_e32 v[164:165], v[132:133], v[146:147]
	scratch_load_b128 v[130:133], off, off offset:368
	s_wait_loadcnt 0x5
	v_fmac_f64_e32 v[164:165], v[156:157], v[148:149]
	ds_load_2addr_b64 v[142:145], v2 offset0:99 offset1:100
	ds_load_2addr_b64 v[146:149], v2 offset0:101 offset1:102
	scratch_load_b128 v[154:157], off, off offset:384
	s_wait_dscnt 0x1
	v_fmac_f64_e32 v[164:165], v[158:159], v[142:143]
	s_wait_loadcnt 0x5
	s_delay_alu instid0(VALU_DEP_1) | instskip(SKIP_1) | instid1(VALU_DEP_1)
	v_fmac_f64_e32 v[164:165], v[134:135], v[144:145]
	s_wait_dscnt 0x0
	v_fmac_f64_e32 v[164:165], v[136:137], v[146:147]
	scratch_load_b128 v[134:137], off, off offset:400
	s_wait_loadcnt 0x5
	v_fmac_f64_e32 v[164:165], v[150:151], v[148:149]
	ds_load_2addr_b64 v[142:145], v2 offset0:103 offset1:104
	ds_load_2addr_b64 v[146:149], v2 offset0:105 offset1:106
	s_wait_dscnt 0x1
	v_fmac_f64_e32 v[164:165], v[152:153], v[142:143]
	s_wait_loadcnt 0x4
	s_delay_alu instid0(VALU_DEP_1)
	v_fmac_f64_e32 v[164:165], v[138:139], v[144:145]
	scratch_load_b128 v[142:145], off, off offset:416
	s_wait_dscnt 0x0
	v_fmac_f64_e32 v[164:165], v[140:141], v[146:147]
	scratch_load_b128 v[138:141], off, off offset:432
	s_wait_loadcnt 0x5
	v_fmac_f64_e32 v[164:165], v[160:161], v[148:149]
	ds_load_2addr_b64 v[146:149], v2 offset0:107 offset1:108
	ds_load_2addr_b64 v[150:153], v2 offset0:109 offset1:110
	s_wait_dscnt 0x1
	v_fmac_f64_e32 v[164:165], v[162:163], v[146:147]
	s_wait_loadcnt 0x4
	s_delay_alu instid0(VALU_DEP_1)
	v_fmac_f64_e32 v[164:165], v[130:131], v[148:149]
	scratch_load_b128 v[146:149], off, off offset:448
	s_wait_dscnt 0x0
	v_fmac_f64_e32 v[164:165], v[132:133], v[150:151]
	scratch_load_b128 v[130:133], off, off offset:464
	s_wait_loadcnt 0x5
	v_fmac_f64_e32 v[164:165], v[154:155], v[152:153]
	ds_load_2addr_b64 v[150:153], v2 offset0:111 offset1:112
	ds_load_2addr_b64 v[158:161], v2 offset0:113 offset1:114
	s_wait_dscnt 0x1
	v_fmac_f64_e32 v[164:165], v[156:157], v[150:151]
	s_wait_loadcnt 0x4
	s_delay_alu instid0(VALU_DEP_1)
	v_fmac_f64_e32 v[164:165], v[134:135], v[152:153]
	scratch_load_b128 v[150:153], off, off offset:480
	s_wait_dscnt 0x0
	v_fmac_f64_e32 v[164:165], v[136:137], v[158:159]
	ds_load_2addr_b64 v[134:137], v2 offset0:115 offset1:116
	ds_load_2addr_b64 v[154:157], v2 offset0:117 offset1:118
	s_wait_loadcnt 0x4
	v_fmac_f64_e32 v[164:165], v[142:143], v[160:161]
	s_wait_dscnt 0x1
	s_delay_alu instid0(VALU_DEP_1) | instskip(SKIP_1) | instid1(VALU_DEP_1)
	v_fmac_f64_e32 v[164:165], v[144:145], v[134:135]
	s_wait_loadcnt 0x3
	v_fmac_f64_e32 v[164:165], v[138:139], v[136:137]
	s_wait_dscnt 0x0
	s_delay_alu instid0(VALU_DEP_1)
	v_fmac_f64_e32 v[164:165], v[140:141], v[154:155]
	ds_load_2addr_b64 v[134:137], v2 offset0:119 offset1:120
	ds_load_2addr_b64 v[138:141], v2 offset0:121 offset1:122
	s_wait_loadcnt 0x2
	v_fmac_f64_e32 v[164:165], v[146:147], v[156:157]
	s_wait_dscnt 0x1
	s_delay_alu instid0(VALU_DEP_1) | instskip(SKIP_1) | instid1(VALU_DEP_1)
	v_fmac_f64_e32 v[164:165], v[148:149], v[134:135]
	s_wait_loadcnt 0x1
	v_fmac_f64_e32 v[164:165], v[130:131], v[136:137]
	ds_load_b64 v[130:131], v2 offset:984
	s_wait_dscnt 0x1
	v_fmac_f64_e32 v[164:165], v[132:133], v[138:139]
	s_wait_loadcnt 0x0
	s_delay_alu instid0(VALU_DEP_1) | instskip(SKIP_1) | instid1(VALU_DEP_1)
	v_fmac_f64_e32 v[164:165], v[150:151], v[140:141]
	s_wait_dscnt 0x0
	v_fmac_f64_e32 v[164:165], v[152:153], v[130:131]
	s_delay_alu instid0(VALU_DEP_1)
	v_add_f64_e64 v[128:129], v[128:129], -v[164:165]
	scratch_store_b64 off, v[128:129], off offset:64
	s_wait_xcnt 0x0
	v_cmpx_lt_u32_e32 7, v0
	s_cbranch_execz .LBB125_367
; %bb.366:
	scratch_load_b64 v[128:129], off, off offset:56
	v_mov_b64_e32 v[130:131], 0
	scratch_store_b64 off, v[130:131], off offset:56
	s_wait_loadcnt 0x0
	ds_store_b64 v1, v[128:129]
.LBB125_367:
	s_wait_xcnt 0x0
	s_or_b32 exec_lo, exec_lo, s0
	s_wait_storecnt_dscnt 0x0
	s_barrier_signal -1
	s_barrier_wait -1
	s_clause 0x5
	scratch_load_b128 v[128:131], off, off offset:56
	scratch_load_b128 v[132:135], off, off offset:72
	;; [unrolled: 1-line block ×6, first 2 shown]
	ds_load_b128 v[152:155], v2 offset:560
	ds_load_b128 v[156:159], v2 offset:576
	scratch_load_b128 v[160:163], off, off offset:152
	s_mov_b32 s0, exec_lo
	s_wait_loadcnt_dscnt 0x601
	v_fma_f64 v[164:165], v[130:131], v[152:153], 0
	s_wait_loadcnt 0x5
	s_delay_alu instid0(VALU_DEP_1) | instskip(SKIP_4) | instid1(VALU_DEP_1)
	v_fmac_f64_e32 v[164:165], v[132:133], v[154:155]
	scratch_load_b128 v[130:133], off, off offset:168
	s_wait_dscnt 0x0
	v_fmac_f64_e32 v[164:165], v[134:135], v[156:157]
	s_wait_loadcnt 0x5
	v_fmac_f64_e32 v[164:165], v[136:137], v[158:159]
	ds_load_b128 v[134:137], v2 offset:592
	ds_load_b128 v[152:155], v2 offset:608
	scratch_load_b128 v[156:159], off, off offset:184
	s_wait_dscnt 0x1
	v_fmac_f64_e32 v[164:165], v[138:139], v[134:135]
	s_wait_loadcnt 0x5
	s_delay_alu instid0(VALU_DEP_1) | instskip(SKIP_4) | instid1(VALU_DEP_1)
	v_fmac_f64_e32 v[164:165], v[140:141], v[136:137]
	scratch_load_b128 v[134:137], off, off offset:200
	s_wait_dscnt 0x0
	v_fmac_f64_e32 v[164:165], v[142:143], v[152:153]
	s_wait_loadcnt 0x5
	v_fmac_f64_e32 v[164:165], v[144:145], v[154:155]
	ds_load_b128 v[138:141], v2 offset:624
	ds_load_b128 v[142:145], v2 offset:640
	scratch_load_b128 v[152:155], off, off offset:216
	s_wait_dscnt 0x1
	v_fmac_f64_e32 v[164:165], v[146:147], v[138:139]
	s_wait_loadcnt 0x5
	s_delay_alu instid0(VALU_DEP_1) | instskip(SKIP_4) | instid1(VALU_DEP_1)
	v_fmac_f64_e32 v[164:165], v[148:149], v[140:141]
	scratch_load_b128 v[138:141], off, off offset:232
	s_wait_dscnt 0x0
	v_fmac_f64_e32 v[164:165], v[150:151], v[142:143]
	s_wait_loadcnt 0x5
	v_fmac_f64_e32 v[164:165], v[160:161], v[144:145]
	ds_load_b128 v[142:145], v2 offset:656
	ds_load_b128 v[146:149], v2 offset:672
	s_wait_dscnt 0x1
	v_fmac_f64_e32 v[164:165], v[162:163], v[142:143]
	scratch_load_b128 v[160:163], off, off offset:248
	s_wait_loadcnt 0x5
	v_fmac_f64_e32 v[164:165], v[130:131], v[144:145]
	s_wait_dscnt 0x0
	s_delay_alu instid0(VALU_DEP_1)
	v_fmac_f64_e32 v[164:165], v[132:133], v[146:147]
	scratch_load_b128 v[130:133], off, off offset:264
	s_wait_loadcnt 0x5
	v_fmac_f64_e32 v[164:165], v[156:157], v[148:149]
	ds_load_b128 v[142:145], v2 offset:688
	ds_load_b128 v[146:149], v2 offset:704
	s_wait_dscnt 0x1
	v_fmac_f64_e32 v[164:165], v[158:159], v[142:143]
	scratch_load_b128 v[156:159], off, off offset:280
	s_wait_loadcnt 0x5
	v_fmac_f64_e32 v[164:165], v[134:135], v[144:145]
	s_wait_dscnt 0x0
	s_delay_alu instid0(VALU_DEP_1)
	v_fmac_f64_e32 v[164:165], v[136:137], v[146:147]
	scratch_load_b128 v[134:137], off, off offset:296
	s_wait_loadcnt 0x5
	v_fmac_f64_e32 v[164:165], v[152:153], v[148:149]
	ds_load_b128 v[142:145], v2 offset:720
	ds_load_b128 v[146:149], v2 offset:736
	scratch_load_b128 v[150:153], off, off offset:312
	s_wait_dscnt 0x1
	v_fmac_f64_e32 v[164:165], v[154:155], v[142:143]
	s_wait_loadcnt 0x5
	s_delay_alu instid0(VALU_DEP_1) | instskip(SKIP_1) | instid1(VALU_DEP_1)
	v_fmac_f64_e32 v[164:165], v[138:139], v[144:145]
	s_wait_dscnt 0x0
	v_fmac_f64_e32 v[164:165], v[140:141], v[146:147]
	scratch_load_b128 v[138:141], off, off offset:328
	s_wait_loadcnt 0x5
	v_fmac_f64_e32 v[164:165], v[160:161], v[148:149]
	ds_load_b128 v[142:145], v2 offset:752
	ds_load_b128 v[146:149], v2 offset:768
	s_wait_dscnt 0x1
	v_fmac_f64_e32 v[164:165], v[162:163], v[142:143]
	scratch_load_b128 v[160:163], off, off offset:344
	s_wait_loadcnt 0x5
	v_fmac_f64_e32 v[164:165], v[130:131], v[144:145]
	s_wait_dscnt 0x0
	s_delay_alu instid0(VALU_DEP_1)
	v_fmac_f64_e32 v[164:165], v[132:133], v[146:147]
	scratch_load_b128 v[130:133], off, off offset:360
	s_wait_loadcnt 0x5
	v_fmac_f64_e32 v[164:165], v[156:157], v[148:149]
	ds_load_b128 v[142:145], v2 offset:784
	ds_load_b128 v[146:149], v2 offset:800
	scratch_load_b128 v[154:157], off, off offset:376
	s_wait_dscnt 0x1
	v_fmac_f64_e32 v[164:165], v[158:159], v[142:143]
	s_wait_loadcnt 0x5
	s_delay_alu instid0(VALU_DEP_1) | instskip(SKIP_1) | instid1(VALU_DEP_1)
	v_fmac_f64_e32 v[164:165], v[134:135], v[144:145]
	s_wait_dscnt 0x0
	v_fmac_f64_e32 v[164:165], v[136:137], v[146:147]
	scratch_load_b128 v[134:137], off, off offset:392
	s_wait_loadcnt 0x5
	v_fmac_f64_e32 v[164:165], v[150:151], v[148:149]
	ds_load_b128 v[142:145], v2 offset:816
	ds_load_b128 v[146:149], v2 offset:832
	s_wait_dscnt 0x1
	v_fmac_f64_e32 v[164:165], v[152:153], v[142:143]
	scratch_load_b128 v[150:153], off, off offset:408
	s_wait_loadcnt 0x5
	v_fmac_f64_e32 v[164:165], v[138:139], v[144:145]
	s_wait_dscnt 0x0
	s_delay_alu instid0(VALU_DEP_1)
	v_fmac_f64_e32 v[164:165], v[140:141], v[146:147]
	scratch_load_b128 v[138:141], off, off offset:424
	s_wait_loadcnt 0x5
	v_fmac_f64_e32 v[164:165], v[160:161], v[148:149]
	ds_load_b128 v[142:145], v2 offset:848
	ds_load_b128 v[146:149], v2 offset:864
	s_wait_dscnt 0x1
	v_fmac_f64_e32 v[164:165], v[162:163], v[142:143]
	s_wait_loadcnt 0x4
	s_delay_alu instid0(VALU_DEP_1)
	v_fmac_f64_e32 v[164:165], v[130:131], v[144:145]
	scratch_load_b128 v[142:145], off, off offset:440
	s_wait_dscnt 0x0
	v_fmac_f64_e32 v[164:165], v[132:133], v[146:147]
	scratch_load_b128 v[130:133], off, off offset:456
	s_wait_loadcnt 0x5
	v_fmac_f64_e32 v[164:165], v[154:155], v[148:149]
	ds_load_b128 v[146:149], v2 offset:880
	ds_load_b128 v[158:161], v2 offset:896
	s_wait_dscnt 0x1
	v_fmac_f64_e32 v[164:165], v[156:157], v[146:147]
	s_wait_loadcnt 0x4
	s_delay_alu instid0(VALU_DEP_1) | instskip(SKIP_4) | instid1(VALU_DEP_1)
	v_fmac_f64_e32 v[164:165], v[134:135], v[148:149]
	scratch_load_b128 v[146:149], off, off offset:472
	s_wait_dscnt 0x0
	v_fmac_f64_e32 v[164:165], v[136:137], v[158:159]
	s_wait_loadcnt 0x4
	v_fmac_f64_e32 v[164:165], v[150:151], v[160:161]
	scratch_load_b64 v[150:151], off, off offset:488
	ds_load_b128 v[134:137], v2 offset:912
	ds_load_b128 v[154:157], v2 offset:928
	s_wait_dscnt 0x1
	v_fmac_f64_e32 v[164:165], v[152:153], v[134:135]
	s_wait_loadcnt 0x4
	s_delay_alu instid0(VALU_DEP_1) | instskip(SKIP_1) | instid1(VALU_DEP_1)
	v_fmac_f64_e32 v[164:165], v[138:139], v[136:137]
	s_wait_dscnt 0x0
	v_fmac_f64_e32 v[164:165], v[140:141], v[154:155]
	ds_load_b128 v[134:137], v2 offset:944
	ds_load_b128 v[138:141], v2 offset:960
	s_wait_loadcnt 0x3
	v_fmac_f64_e32 v[164:165], v[142:143], v[156:157]
	s_wait_dscnt 0x1
	s_delay_alu instid0(VALU_DEP_1) | instskip(SKIP_1) | instid1(VALU_DEP_1)
	v_fmac_f64_e32 v[164:165], v[144:145], v[134:135]
	s_wait_loadcnt 0x2
	v_fmac_f64_e32 v[164:165], v[130:131], v[136:137]
	s_wait_dscnt 0x0
	s_delay_alu instid0(VALU_DEP_1) | instskip(SKIP_4) | instid1(VALU_DEP_1)
	v_fmac_f64_e32 v[164:165], v[132:133], v[138:139]
	ds_load_b128 v[130:133], v2 offset:976
	s_wait_loadcnt 0x1
	v_fmac_f64_e32 v[164:165], v[146:147], v[140:141]
	s_wait_dscnt 0x0
	v_fmac_f64_e32 v[164:165], v[148:149], v[130:131]
	s_wait_loadcnt 0x0
	s_delay_alu instid0(VALU_DEP_1) | instskip(NEXT) | instid1(VALU_DEP_1)
	v_fmac_f64_e32 v[164:165], v[150:151], v[132:133]
	v_add_f64_e64 v[2:3], v[128:129], -v[164:165]
	scratch_store_b64 off, v[2:3], off offset:56
	s_wait_xcnt 0x0
	v_cmpx_lt_u32_e32 6, v0
	s_cbranch_execz .LBB125_369
; %bb.368:
	scratch_load_b64 v[2:3], off, off offset:48
	v_mov_b64_e32 v[128:129], 0
	scratch_store_b64 off, v[128:129], off offset:48
	s_wait_loadcnt 0x0
	ds_store_b64 v1, v[2:3]
.LBB125_369:
	s_wait_xcnt 0x0
	s_or_b32 exec_lo, exec_lo, s0
	s_wait_storecnt_dscnt 0x0
	s_barrier_signal -1
	s_barrier_wait -1
	s_clause 0x5
	scratch_load_b128 v[128:131], off, off offset:48
	scratch_load_b128 v[132:135], off, off offset:64
	;; [unrolled: 1-line block ×6, first 2 shown]
	v_mov_b32_e32 v2, 0
	ds_load_2addr_b64 v[152:155], v2 offset0:69 offset1:70
	ds_load_2addr_b64 v[156:159], v2 offset0:71 offset1:72
	scratch_load_b128 v[160:163], off, off offset:144
	s_mov_b32 s0, exec_lo
	s_wait_loadcnt_dscnt 0x601
	v_fma_f64 v[164:165], v[130:131], v[152:153], 0
	s_wait_loadcnt 0x5
	s_delay_alu instid0(VALU_DEP_1) | instskip(SKIP_4) | instid1(VALU_DEP_1)
	v_fmac_f64_e32 v[164:165], v[132:133], v[154:155]
	scratch_load_b128 v[130:133], off, off offset:160
	s_wait_dscnt 0x0
	v_fmac_f64_e32 v[164:165], v[134:135], v[156:157]
	s_wait_loadcnt 0x5
	v_fmac_f64_e32 v[164:165], v[136:137], v[158:159]
	ds_load_2addr_b64 v[134:137], v2 offset0:73 offset1:74
	ds_load_2addr_b64 v[152:155], v2 offset0:75 offset1:76
	scratch_load_b128 v[156:159], off, off offset:176
	s_wait_dscnt 0x1
	v_fmac_f64_e32 v[164:165], v[138:139], v[134:135]
	s_wait_loadcnt 0x5
	s_delay_alu instid0(VALU_DEP_1) | instskip(SKIP_4) | instid1(VALU_DEP_1)
	v_fmac_f64_e32 v[164:165], v[140:141], v[136:137]
	scratch_load_b128 v[134:137], off, off offset:192
	s_wait_dscnt 0x0
	v_fmac_f64_e32 v[164:165], v[142:143], v[152:153]
	s_wait_loadcnt 0x5
	v_fmac_f64_e32 v[164:165], v[144:145], v[154:155]
	ds_load_2addr_b64 v[138:141], v2 offset0:77 offset1:78
	ds_load_2addr_b64 v[142:145], v2 offset0:79 offset1:80
	scratch_load_b128 v[152:155], off, off offset:208
	s_wait_dscnt 0x1
	v_fmac_f64_e32 v[164:165], v[146:147], v[138:139]
	s_wait_loadcnt 0x5
	s_delay_alu instid0(VALU_DEP_1) | instskip(SKIP_4) | instid1(VALU_DEP_1)
	v_fmac_f64_e32 v[164:165], v[148:149], v[140:141]
	scratch_load_b128 v[138:141], off, off offset:224
	s_wait_dscnt 0x0
	v_fmac_f64_e32 v[164:165], v[150:151], v[142:143]
	s_wait_loadcnt 0x5
	v_fmac_f64_e32 v[164:165], v[160:161], v[144:145]
	ds_load_2addr_b64 v[142:145], v2 offset0:81 offset1:82
	ds_load_2addr_b64 v[146:149], v2 offset0:83 offset1:84
	s_wait_dscnt 0x1
	v_fmac_f64_e32 v[164:165], v[162:163], v[142:143]
	scratch_load_b128 v[160:163], off, off offset:240
	s_wait_loadcnt 0x5
	v_fmac_f64_e32 v[164:165], v[130:131], v[144:145]
	s_wait_dscnt 0x0
	s_delay_alu instid0(VALU_DEP_1)
	v_fmac_f64_e32 v[164:165], v[132:133], v[146:147]
	scratch_load_b128 v[130:133], off, off offset:256
	s_wait_loadcnt 0x5
	v_fmac_f64_e32 v[164:165], v[156:157], v[148:149]
	ds_load_2addr_b64 v[142:145], v2 offset0:85 offset1:86
	ds_load_2addr_b64 v[146:149], v2 offset0:87 offset1:88
	s_wait_dscnt 0x1
	v_fmac_f64_e32 v[164:165], v[158:159], v[142:143]
	scratch_load_b128 v[156:159], off, off offset:272
	s_wait_loadcnt 0x5
	v_fmac_f64_e32 v[164:165], v[134:135], v[144:145]
	s_wait_dscnt 0x0
	s_delay_alu instid0(VALU_DEP_1)
	v_fmac_f64_e32 v[164:165], v[136:137], v[146:147]
	scratch_load_b128 v[134:137], off, off offset:288
	s_wait_loadcnt 0x5
	v_fmac_f64_e32 v[164:165], v[152:153], v[148:149]
	ds_load_2addr_b64 v[142:145], v2 offset0:89 offset1:90
	ds_load_2addr_b64 v[146:149], v2 offset0:91 offset1:92
	scratch_load_b128 v[150:153], off, off offset:304
	s_wait_dscnt 0x1
	v_fmac_f64_e32 v[164:165], v[154:155], v[142:143]
	s_wait_loadcnt 0x5
	s_delay_alu instid0(VALU_DEP_1) | instskip(SKIP_1) | instid1(VALU_DEP_1)
	v_fmac_f64_e32 v[164:165], v[138:139], v[144:145]
	s_wait_dscnt 0x0
	v_fmac_f64_e32 v[164:165], v[140:141], v[146:147]
	scratch_load_b128 v[138:141], off, off offset:320
	s_wait_loadcnt 0x5
	v_fmac_f64_e32 v[164:165], v[160:161], v[148:149]
	ds_load_2addr_b64 v[142:145], v2 offset0:93 offset1:94
	ds_load_2addr_b64 v[146:149], v2 offset0:95 offset1:96
	s_wait_dscnt 0x1
	v_fmac_f64_e32 v[164:165], v[162:163], v[142:143]
	scratch_load_b128 v[160:163], off, off offset:336
	s_wait_loadcnt 0x5
	v_fmac_f64_e32 v[164:165], v[130:131], v[144:145]
	s_wait_dscnt 0x0
	s_delay_alu instid0(VALU_DEP_1)
	v_fmac_f64_e32 v[164:165], v[132:133], v[146:147]
	scratch_load_b128 v[130:133], off, off offset:352
	s_wait_loadcnt 0x5
	v_fmac_f64_e32 v[164:165], v[156:157], v[148:149]
	ds_load_2addr_b64 v[142:145], v2 offset0:97 offset1:98
	ds_load_2addr_b64 v[146:149], v2 offset0:99 offset1:100
	scratch_load_b128 v[154:157], off, off offset:368
	s_wait_dscnt 0x1
	v_fmac_f64_e32 v[164:165], v[158:159], v[142:143]
	s_wait_loadcnt 0x5
	s_delay_alu instid0(VALU_DEP_1) | instskip(SKIP_1) | instid1(VALU_DEP_1)
	v_fmac_f64_e32 v[164:165], v[134:135], v[144:145]
	s_wait_dscnt 0x0
	v_fmac_f64_e32 v[164:165], v[136:137], v[146:147]
	scratch_load_b128 v[134:137], off, off offset:384
	s_wait_loadcnt 0x5
	v_fmac_f64_e32 v[164:165], v[150:151], v[148:149]
	ds_load_2addr_b64 v[142:145], v2 offset0:101 offset1:102
	ds_load_2addr_b64 v[146:149], v2 offset0:103 offset1:104
	s_wait_dscnt 0x1
	v_fmac_f64_e32 v[164:165], v[152:153], v[142:143]
	scratch_load_b128 v[150:153], off, off offset:400
	s_wait_loadcnt 0x5
	v_fmac_f64_e32 v[164:165], v[138:139], v[144:145]
	s_wait_dscnt 0x0
	s_delay_alu instid0(VALU_DEP_1)
	v_fmac_f64_e32 v[164:165], v[140:141], v[146:147]
	scratch_load_b128 v[138:141], off, off offset:416
	s_wait_loadcnt 0x5
	v_fmac_f64_e32 v[164:165], v[160:161], v[148:149]
	ds_load_2addr_b64 v[142:145], v2 offset0:105 offset1:106
	ds_load_2addr_b64 v[146:149], v2 offset0:107 offset1:108
	s_wait_dscnt 0x1
	v_fmac_f64_e32 v[164:165], v[162:163], v[142:143]
	s_wait_loadcnt 0x4
	s_delay_alu instid0(VALU_DEP_1)
	v_fmac_f64_e32 v[164:165], v[130:131], v[144:145]
	scratch_load_b128 v[142:145], off, off offset:432
	s_wait_dscnt 0x0
	v_fmac_f64_e32 v[164:165], v[132:133], v[146:147]
	scratch_load_b128 v[130:133], off, off offset:448
	s_wait_loadcnt 0x5
	v_fmac_f64_e32 v[164:165], v[154:155], v[148:149]
	ds_load_2addr_b64 v[146:149], v2 offset0:109 offset1:110
	ds_load_2addr_b64 v[158:161], v2 offset0:111 offset1:112
	s_wait_dscnt 0x1
	v_fmac_f64_e32 v[164:165], v[156:157], v[146:147]
	s_wait_loadcnt 0x4
	s_delay_alu instid0(VALU_DEP_1)
	v_fmac_f64_e32 v[164:165], v[134:135], v[148:149]
	scratch_load_b128 v[146:149], off, off offset:464
	s_wait_dscnt 0x0
	v_fmac_f64_e32 v[164:165], v[136:137], v[158:159]
	scratch_load_b128 v[134:137], off, off offset:480
	s_wait_loadcnt 0x5
	v_fmac_f64_e32 v[164:165], v[150:151], v[160:161]
	ds_load_2addr_b64 v[154:157], v2 offset0:113 offset1:114
	ds_load_2addr_b64 v[158:161], v2 offset0:115 offset1:116
	s_wait_dscnt 0x1
	v_fmac_f64_e32 v[164:165], v[152:153], v[154:155]
	s_wait_loadcnt 0x4
	s_delay_alu instid0(VALU_DEP_1) | instskip(SKIP_1) | instid1(VALU_DEP_1)
	v_fmac_f64_e32 v[164:165], v[138:139], v[156:157]
	s_wait_dscnt 0x0
	v_fmac_f64_e32 v[164:165], v[140:141], v[158:159]
	ds_load_2addr_b64 v[138:141], v2 offset0:117 offset1:118
	ds_load_2addr_b64 v[150:153], v2 offset0:119 offset1:120
	s_wait_loadcnt 0x3
	v_fmac_f64_e32 v[164:165], v[142:143], v[160:161]
	s_wait_dscnt 0x1
	s_delay_alu instid0(VALU_DEP_1) | instskip(SKIP_1) | instid1(VALU_DEP_1)
	v_fmac_f64_e32 v[164:165], v[144:145], v[138:139]
	s_wait_loadcnt 0x2
	v_fmac_f64_e32 v[164:165], v[130:131], v[140:141]
	s_wait_dscnt 0x0
	s_delay_alu instid0(VALU_DEP_1)
	v_fmac_f64_e32 v[164:165], v[132:133], v[150:151]
	ds_load_2addr_b64 v[130:133], v2 offset0:121 offset1:122
	ds_load_b64 v[138:139], v2 offset:984
	s_wait_loadcnt 0x1
	v_fmac_f64_e32 v[164:165], v[146:147], v[152:153]
	s_wait_dscnt 0x1
	s_delay_alu instid0(VALU_DEP_1) | instskip(SKIP_1) | instid1(VALU_DEP_1)
	v_fmac_f64_e32 v[164:165], v[148:149], v[130:131]
	s_wait_loadcnt 0x0
	v_fmac_f64_e32 v[164:165], v[134:135], v[132:133]
	s_wait_dscnt 0x0
	s_delay_alu instid0(VALU_DEP_1) | instskip(NEXT) | instid1(VALU_DEP_1)
	v_fmac_f64_e32 v[164:165], v[136:137], v[138:139]
	v_add_f64_e64 v[128:129], v[128:129], -v[164:165]
	scratch_store_b64 off, v[128:129], off offset:48
	s_wait_xcnt 0x0
	v_cmpx_lt_u32_e32 5, v0
	s_cbranch_execz .LBB125_371
; %bb.370:
	scratch_load_b64 v[128:129], off, off offset:40
	v_mov_b64_e32 v[130:131], 0
	scratch_store_b64 off, v[130:131], off offset:40
	s_wait_loadcnt 0x0
	ds_store_b64 v1, v[128:129]
.LBB125_371:
	s_wait_xcnt 0x0
	s_or_b32 exec_lo, exec_lo, s0
	s_wait_storecnt_dscnt 0x0
	s_barrier_signal -1
	s_barrier_wait -1
	s_clause 0x5
	scratch_load_b128 v[128:131], off, off offset:40
	scratch_load_b128 v[132:135], off, off offset:56
	;; [unrolled: 1-line block ×6, first 2 shown]
	ds_load_b128 v[152:155], v2 offset:544
	ds_load_b128 v[156:159], v2 offset:560
	scratch_load_b128 v[160:163], off, off offset:136
	s_mov_b32 s0, exec_lo
	s_wait_loadcnt_dscnt 0x601
	v_fma_f64 v[164:165], v[130:131], v[152:153], 0
	s_wait_loadcnt 0x5
	s_delay_alu instid0(VALU_DEP_1) | instskip(SKIP_4) | instid1(VALU_DEP_1)
	v_fmac_f64_e32 v[164:165], v[132:133], v[154:155]
	scratch_load_b128 v[130:133], off, off offset:152
	s_wait_dscnt 0x0
	v_fmac_f64_e32 v[164:165], v[134:135], v[156:157]
	s_wait_loadcnt 0x5
	v_fmac_f64_e32 v[164:165], v[136:137], v[158:159]
	ds_load_b128 v[134:137], v2 offset:576
	ds_load_b128 v[152:155], v2 offset:592
	scratch_load_b128 v[156:159], off, off offset:168
	s_wait_dscnt 0x1
	v_fmac_f64_e32 v[164:165], v[138:139], v[134:135]
	s_wait_loadcnt 0x5
	s_delay_alu instid0(VALU_DEP_1) | instskip(SKIP_4) | instid1(VALU_DEP_1)
	v_fmac_f64_e32 v[164:165], v[140:141], v[136:137]
	scratch_load_b128 v[134:137], off, off offset:184
	s_wait_dscnt 0x0
	v_fmac_f64_e32 v[164:165], v[142:143], v[152:153]
	s_wait_loadcnt 0x5
	v_fmac_f64_e32 v[164:165], v[144:145], v[154:155]
	ds_load_b128 v[138:141], v2 offset:608
	ds_load_b128 v[142:145], v2 offset:624
	scratch_load_b128 v[152:155], off, off offset:200
	s_wait_dscnt 0x1
	v_fmac_f64_e32 v[164:165], v[146:147], v[138:139]
	s_wait_loadcnt 0x5
	s_delay_alu instid0(VALU_DEP_1) | instskip(SKIP_4) | instid1(VALU_DEP_1)
	v_fmac_f64_e32 v[164:165], v[148:149], v[140:141]
	scratch_load_b128 v[138:141], off, off offset:216
	s_wait_dscnt 0x0
	v_fmac_f64_e32 v[164:165], v[150:151], v[142:143]
	s_wait_loadcnt 0x5
	v_fmac_f64_e32 v[164:165], v[160:161], v[144:145]
	ds_load_b128 v[142:145], v2 offset:640
	ds_load_b128 v[146:149], v2 offset:656
	s_wait_dscnt 0x1
	v_fmac_f64_e32 v[164:165], v[162:163], v[142:143]
	scratch_load_b128 v[160:163], off, off offset:232
	s_wait_loadcnt 0x5
	v_fmac_f64_e32 v[164:165], v[130:131], v[144:145]
	s_wait_dscnt 0x0
	s_delay_alu instid0(VALU_DEP_1)
	v_fmac_f64_e32 v[164:165], v[132:133], v[146:147]
	scratch_load_b128 v[130:133], off, off offset:248
	s_wait_loadcnt 0x5
	v_fmac_f64_e32 v[164:165], v[156:157], v[148:149]
	ds_load_b128 v[142:145], v2 offset:672
	ds_load_b128 v[146:149], v2 offset:688
	s_wait_dscnt 0x1
	v_fmac_f64_e32 v[164:165], v[158:159], v[142:143]
	scratch_load_b128 v[156:159], off, off offset:264
	s_wait_loadcnt 0x5
	v_fmac_f64_e32 v[164:165], v[134:135], v[144:145]
	s_wait_dscnt 0x0
	s_delay_alu instid0(VALU_DEP_1)
	v_fmac_f64_e32 v[164:165], v[136:137], v[146:147]
	scratch_load_b128 v[134:137], off, off offset:280
	s_wait_loadcnt 0x5
	v_fmac_f64_e32 v[164:165], v[152:153], v[148:149]
	ds_load_b128 v[142:145], v2 offset:704
	ds_load_b128 v[146:149], v2 offset:720
	scratch_load_b128 v[150:153], off, off offset:296
	s_wait_dscnt 0x1
	v_fmac_f64_e32 v[164:165], v[154:155], v[142:143]
	s_wait_loadcnt 0x5
	s_delay_alu instid0(VALU_DEP_1) | instskip(SKIP_1) | instid1(VALU_DEP_1)
	v_fmac_f64_e32 v[164:165], v[138:139], v[144:145]
	s_wait_dscnt 0x0
	v_fmac_f64_e32 v[164:165], v[140:141], v[146:147]
	scratch_load_b128 v[138:141], off, off offset:312
	s_wait_loadcnt 0x5
	v_fmac_f64_e32 v[164:165], v[160:161], v[148:149]
	ds_load_b128 v[142:145], v2 offset:736
	ds_load_b128 v[146:149], v2 offset:752
	s_wait_dscnt 0x1
	v_fmac_f64_e32 v[164:165], v[162:163], v[142:143]
	scratch_load_b128 v[160:163], off, off offset:328
	s_wait_loadcnt 0x5
	v_fmac_f64_e32 v[164:165], v[130:131], v[144:145]
	s_wait_dscnt 0x0
	s_delay_alu instid0(VALU_DEP_1)
	v_fmac_f64_e32 v[164:165], v[132:133], v[146:147]
	scratch_load_b128 v[130:133], off, off offset:344
	s_wait_loadcnt 0x5
	v_fmac_f64_e32 v[164:165], v[156:157], v[148:149]
	ds_load_b128 v[142:145], v2 offset:768
	ds_load_b128 v[146:149], v2 offset:784
	scratch_load_b128 v[154:157], off, off offset:360
	s_wait_dscnt 0x1
	v_fmac_f64_e32 v[164:165], v[158:159], v[142:143]
	s_wait_loadcnt 0x5
	s_delay_alu instid0(VALU_DEP_1) | instskip(SKIP_1) | instid1(VALU_DEP_1)
	v_fmac_f64_e32 v[164:165], v[134:135], v[144:145]
	s_wait_dscnt 0x0
	v_fmac_f64_e32 v[164:165], v[136:137], v[146:147]
	scratch_load_b128 v[134:137], off, off offset:376
	s_wait_loadcnt 0x5
	v_fmac_f64_e32 v[164:165], v[150:151], v[148:149]
	ds_load_b128 v[142:145], v2 offset:800
	ds_load_b128 v[146:149], v2 offset:816
	s_wait_dscnt 0x1
	v_fmac_f64_e32 v[164:165], v[152:153], v[142:143]
	scratch_load_b128 v[150:153], off, off offset:392
	s_wait_loadcnt 0x5
	v_fmac_f64_e32 v[164:165], v[138:139], v[144:145]
	s_wait_dscnt 0x0
	s_delay_alu instid0(VALU_DEP_1)
	v_fmac_f64_e32 v[164:165], v[140:141], v[146:147]
	scratch_load_b128 v[138:141], off, off offset:408
	s_wait_loadcnt 0x5
	v_fmac_f64_e32 v[164:165], v[160:161], v[148:149]
	ds_load_b128 v[142:145], v2 offset:832
	ds_load_b128 v[146:149], v2 offset:848
	s_wait_dscnt 0x1
	v_fmac_f64_e32 v[164:165], v[162:163], v[142:143]
	s_wait_loadcnt 0x4
	s_delay_alu instid0(VALU_DEP_1)
	v_fmac_f64_e32 v[164:165], v[130:131], v[144:145]
	scratch_load_b128 v[142:145], off, off offset:424
	s_wait_dscnt 0x0
	v_fmac_f64_e32 v[164:165], v[132:133], v[146:147]
	scratch_load_b128 v[130:133], off, off offset:440
	s_wait_loadcnt 0x5
	v_fmac_f64_e32 v[164:165], v[154:155], v[148:149]
	ds_load_b128 v[146:149], v2 offset:864
	ds_load_b128 v[158:161], v2 offset:880
	s_wait_dscnt 0x1
	v_fmac_f64_e32 v[164:165], v[156:157], v[146:147]
	s_wait_loadcnt 0x4
	s_delay_alu instid0(VALU_DEP_1)
	v_fmac_f64_e32 v[164:165], v[134:135], v[148:149]
	scratch_load_b128 v[146:149], off, off offset:456
	s_wait_dscnt 0x0
	v_fmac_f64_e32 v[164:165], v[136:137], v[158:159]
	scratch_load_b128 v[134:137], off, off offset:472
	s_wait_loadcnt 0x5
	v_fmac_f64_e32 v[164:165], v[150:151], v[160:161]
	ds_load_b128 v[154:157], v2 offset:896
	ds_load_b128 v[158:161], v2 offset:912
	s_wait_dscnt 0x1
	v_fmac_f64_e32 v[164:165], v[152:153], v[154:155]
	scratch_load_b64 v[154:155], off, off offset:488
	s_wait_loadcnt 0x5
	v_fmac_f64_e32 v[164:165], v[138:139], v[156:157]
	s_wait_dscnt 0x0
	s_delay_alu instid0(VALU_DEP_1)
	v_fmac_f64_e32 v[164:165], v[140:141], v[158:159]
	ds_load_b128 v[138:141], v2 offset:928
	ds_load_b128 v[150:153], v2 offset:944
	s_wait_loadcnt 0x4
	v_fmac_f64_e32 v[164:165], v[142:143], v[160:161]
	s_wait_dscnt 0x1
	s_delay_alu instid0(VALU_DEP_1) | instskip(SKIP_1) | instid1(VALU_DEP_1)
	v_fmac_f64_e32 v[164:165], v[144:145], v[138:139]
	s_wait_loadcnt 0x3
	v_fmac_f64_e32 v[164:165], v[130:131], v[140:141]
	s_wait_dscnt 0x0
	s_delay_alu instid0(VALU_DEP_1)
	v_fmac_f64_e32 v[164:165], v[132:133], v[150:151]
	ds_load_b128 v[130:133], v2 offset:960
	ds_load_b128 v[138:141], v2 offset:976
	s_wait_loadcnt 0x2
	v_fmac_f64_e32 v[164:165], v[146:147], v[152:153]
	s_wait_dscnt 0x1
	s_delay_alu instid0(VALU_DEP_1) | instskip(SKIP_1) | instid1(VALU_DEP_1)
	v_fmac_f64_e32 v[164:165], v[148:149], v[130:131]
	s_wait_loadcnt 0x1
	v_fmac_f64_e32 v[164:165], v[134:135], v[132:133]
	s_wait_dscnt 0x0
	s_delay_alu instid0(VALU_DEP_1) | instskip(SKIP_1) | instid1(VALU_DEP_1)
	v_fmac_f64_e32 v[164:165], v[136:137], v[138:139]
	s_wait_loadcnt 0x0
	v_fmac_f64_e32 v[164:165], v[154:155], v[140:141]
	s_delay_alu instid0(VALU_DEP_1)
	v_add_f64_e64 v[2:3], v[128:129], -v[164:165]
	scratch_store_b64 off, v[2:3], off offset:40
	s_wait_xcnt 0x0
	v_cmpx_lt_u32_e32 4, v0
	s_cbranch_execz .LBB125_373
; %bb.372:
	scratch_load_b64 v[2:3], off, off offset:32
	v_mov_b64_e32 v[128:129], 0
	scratch_store_b64 off, v[128:129], off offset:32
	s_wait_loadcnt 0x0
	ds_store_b64 v1, v[2:3]
.LBB125_373:
	s_wait_xcnt 0x0
	s_or_b32 exec_lo, exec_lo, s0
	s_wait_storecnt_dscnt 0x0
	s_barrier_signal -1
	s_barrier_wait -1
	s_clause 0x5
	scratch_load_b128 v[128:131], off, off offset:32
	scratch_load_b128 v[132:135], off, off offset:48
	;; [unrolled: 1-line block ×6, first 2 shown]
	v_mov_b32_e32 v2, 0
	ds_load_2addr_b64 v[152:155], v2 offset0:67 offset1:68
	ds_load_2addr_b64 v[156:159], v2 offset0:69 offset1:70
	scratch_load_b128 v[160:163], off, off offset:128
	s_mov_b32 s0, exec_lo
	s_wait_loadcnt_dscnt 0x601
	v_fma_f64 v[164:165], v[130:131], v[152:153], 0
	s_wait_loadcnt 0x5
	s_delay_alu instid0(VALU_DEP_1) | instskip(SKIP_4) | instid1(VALU_DEP_1)
	v_fmac_f64_e32 v[164:165], v[132:133], v[154:155]
	scratch_load_b128 v[130:133], off, off offset:144
	s_wait_dscnt 0x0
	v_fmac_f64_e32 v[164:165], v[134:135], v[156:157]
	s_wait_loadcnt 0x5
	v_fmac_f64_e32 v[164:165], v[136:137], v[158:159]
	ds_load_2addr_b64 v[134:137], v2 offset0:71 offset1:72
	ds_load_2addr_b64 v[152:155], v2 offset0:73 offset1:74
	scratch_load_b128 v[156:159], off, off offset:160
	s_wait_dscnt 0x1
	v_fmac_f64_e32 v[164:165], v[138:139], v[134:135]
	s_wait_loadcnt 0x5
	s_delay_alu instid0(VALU_DEP_1) | instskip(SKIP_4) | instid1(VALU_DEP_1)
	v_fmac_f64_e32 v[164:165], v[140:141], v[136:137]
	scratch_load_b128 v[134:137], off, off offset:176
	s_wait_dscnt 0x0
	v_fmac_f64_e32 v[164:165], v[142:143], v[152:153]
	s_wait_loadcnt 0x5
	v_fmac_f64_e32 v[164:165], v[144:145], v[154:155]
	ds_load_2addr_b64 v[138:141], v2 offset0:75 offset1:76
	ds_load_2addr_b64 v[142:145], v2 offset0:77 offset1:78
	scratch_load_b128 v[152:155], off, off offset:192
	s_wait_dscnt 0x1
	v_fmac_f64_e32 v[164:165], v[146:147], v[138:139]
	s_wait_loadcnt 0x5
	s_delay_alu instid0(VALU_DEP_1) | instskip(SKIP_4) | instid1(VALU_DEP_1)
	v_fmac_f64_e32 v[164:165], v[148:149], v[140:141]
	scratch_load_b128 v[138:141], off, off offset:208
	s_wait_dscnt 0x0
	v_fmac_f64_e32 v[164:165], v[150:151], v[142:143]
	s_wait_loadcnt 0x5
	v_fmac_f64_e32 v[164:165], v[160:161], v[144:145]
	ds_load_2addr_b64 v[142:145], v2 offset0:79 offset1:80
	ds_load_2addr_b64 v[146:149], v2 offset0:81 offset1:82
	s_wait_dscnt 0x1
	v_fmac_f64_e32 v[164:165], v[162:163], v[142:143]
	scratch_load_b128 v[160:163], off, off offset:224
	s_wait_loadcnt 0x5
	v_fmac_f64_e32 v[164:165], v[130:131], v[144:145]
	s_wait_dscnt 0x0
	s_delay_alu instid0(VALU_DEP_1)
	v_fmac_f64_e32 v[164:165], v[132:133], v[146:147]
	scratch_load_b128 v[130:133], off, off offset:240
	s_wait_loadcnt 0x5
	v_fmac_f64_e32 v[164:165], v[156:157], v[148:149]
	ds_load_2addr_b64 v[142:145], v2 offset0:83 offset1:84
	ds_load_2addr_b64 v[146:149], v2 offset0:85 offset1:86
	s_wait_dscnt 0x1
	v_fmac_f64_e32 v[164:165], v[158:159], v[142:143]
	scratch_load_b128 v[156:159], off, off offset:256
	s_wait_loadcnt 0x5
	v_fmac_f64_e32 v[164:165], v[134:135], v[144:145]
	s_wait_dscnt 0x0
	s_delay_alu instid0(VALU_DEP_1)
	v_fmac_f64_e32 v[164:165], v[136:137], v[146:147]
	scratch_load_b128 v[134:137], off, off offset:272
	s_wait_loadcnt 0x5
	v_fmac_f64_e32 v[164:165], v[152:153], v[148:149]
	ds_load_2addr_b64 v[142:145], v2 offset0:87 offset1:88
	ds_load_2addr_b64 v[146:149], v2 offset0:89 offset1:90
	scratch_load_b128 v[150:153], off, off offset:288
	s_wait_dscnt 0x1
	v_fmac_f64_e32 v[164:165], v[154:155], v[142:143]
	s_wait_loadcnt 0x5
	s_delay_alu instid0(VALU_DEP_1) | instskip(SKIP_1) | instid1(VALU_DEP_1)
	v_fmac_f64_e32 v[164:165], v[138:139], v[144:145]
	s_wait_dscnt 0x0
	v_fmac_f64_e32 v[164:165], v[140:141], v[146:147]
	scratch_load_b128 v[138:141], off, off offset:304
	s_wait_loadcnt 0x5
	v_fmac_f64_e32 v[164:165], v[160:161], v[148:149]
	ds_load_2addr_b64 v[142:145], v2 offset0:91 offset1:92
	ds_load_2addr_b64 v[146:149], v2 offset0:93 offset1:94
	s_wait_dscnt 0x1
	v_fmac_f64_e32 v[164:165], v[162:163], v[142:143]
	scratch_load_b128 v[160:163], off, off offset:320
	s_wait_loadcnt 0x5
	v_fmac_f64_e32 v[164:165], v[130:131], v[144:145]
	s_wait_dscnt 0x0
	s_delay_alu instid0(VALU_DEP_1)
	v_fmac_f64_e32 v[164:165], v[132:133], v[146:147]
	scratch_load_b128 v[130:133], off, off offset:336
	s_wait_loadcnt 0x5
	v_fmac_f64_e32 v[164:165], v[156:157], v[148:149]
	ds_load_2addr_b64 v[142:145], v2 offset0:95 offset1:96
	ds_load_2addr_b64 v[146:149], v2 offset0:97 offset1:98
	scratch_load_b128 v[154:157], off, off offset:352
	s_wait_dscnt 0x1
	v_fmac_f64_e32 v[164:165], v[158:159], v[142:143]
	s_wait_loadcnt 0x5
	s_delay_alu instid0(VALU_DEP_1) | instskip(SKIP_1) | instid1(VALU_DEP_1)
	v_fmac_f64_e32 v[164:165], v[134:135], v[144:145]
	s_wait_dscnt 0x0
	v_fmac_f64_e32 v[164:165], v[136:137], v[146:147]
	scratch_load_b128 v[134:137], off, off offset:368
	s_wait_loadcnt 0x5
	v_fmac_f64_e32 v[164:165], v[150:151], v[148:149]
	ds_load_2addr_b64 v[142:145], v2 offset0:99 offset1:100
	ds_load_2addr_b64 v[146:149], v2 offset0:101 offset1:102
	s_wait_dscnt 0x1
	v_fmac_f64_e32 v[164:165], v[152:153], v[142:143]
	scratch_load_b128 v[150:153], off, off offset:384
	s_wait_loadcnt 0x5
	v_fmac_f64_e32 v[164:165], v[138:139], v[144:145]
	s_wait_dscnt 0x0
	s_delay_alu instid0(VALU_DEP_1)
	v_fmac_f64_e32 v[164:165], v[140:141], v[146:147]
	scratch_load_b128 v[138:141], off, off offset:400
	s_wait_loadcnt 0x5
	v_fmac_f64_e32 v[164:165], v[160:161], v[148:149]
	ds_load_2addr_b64 v[142:145], v2 offset0:103 offset1:104
	ds_load_2addr_b64 v[146:149], v2 offset0:105 offset1:106
	s_wait_dscnt 0x1
	v_fmac_f64_e32 v[164:165], v[162:163], v[142:143]
	s_wait_loadcnt 0x4
	s_delay_alu instid0(VALU_DEP_1)
	v_fmac_f64_e32 v[164:165], v[130:131], v[144:145]
	scratch_load_b128 v[142:145], off, off offset:416
	s_wait_dscnt 0x0
	v_fmac_f64_e32 v[164:165], v[132:133], v[146:147]
	scratch_load_b128 v[130:133], off, off offset:432
	s_wait_loadcnt 0x5
	v_fmac_f64_e32 v[164:165], v[154:155], v[148:149]
	ds_load_2addr_b64 v[146:149], v2 offset0:107 offset1:108
	ds_load_2addr_b64 v[158:161], v2 offset0:109 offset1:110
	s_wait_dscnt 0x1
	v_fmac_f64_e32 v[164:165], v[156:157], v[146:147]
	s_wait_loadcnt 0x4
	s_delay_alu instid0(VALU_DEP_1)
	v_fmac_f64_e32 v[164:165], v[134:135], v[148:149]
	scratch_load_b128 v[146:149], off, off offset:448
	s_wait_dscnt 0x0
	v_fmac_f64_e32 v[164:165], v[136:137], v[158:159]
	scratch_load_b128 v[134:137], off, off offset:464
	s_wait_loadcnt 0x5
	v_fmac_f64_e32 v[164:165], v[150:151], v[160:161]
	ds_load_2addr_b64 v[154:157], v2 offset0:111 offset1:112
	ds_load_2addr_b64 v[158:161], v2 offset0:113 offset1:114
	s_wait_dscnt 0x1
	v_fmac_f64_e32 v[164:165], v[152:153], v[154:155]
	scratch_load_b128 v[150:153], off, off offset:480
	s_wait_loadcnt 0x5
	v_fmac_f64_e32 v[164:165], v[138:139], v[156:157]
	s_wait_dscnt 0x0
	s_delay_alu instid0(VALU_DEP_1)
	v_fmac_f64_e32 v[164:165], v[140:141], v[158:159]
	ds_load_2addr_b64 v[138:141], v2 offset0:115 offset1:116
	ds_load_2addr_b64 v[154:157], v2 offset0:117 offset1:118
	s_wait_loadcnt 0x4
	v_fmac_f64_e32 v[164:165], v[142:143], v[160:161]
	s_wait_dscnt 0x1
	s_delay_alu instid0(VALU_DEP_1) | instskip(SKIP_1) | instid1(VALU_DEP_1)
	v_fmac_f64_e32 v[164:165], v[144:145], v[138:139]
	s_wait_loadcnt 0x3
	v_fmac_f64_e32 v[164:165], v[130:131], v[140:141]
	s_wait_dscnt 0x0
	s_delay_alu instid0(VALU_DEP_1)
	v_fmac_f64_e32 v[164:165], v[132:133], v[154:155]
	ds_load_2addr_b64 v[130:133], v2 offset0:119 offset1:120
	ds_load_2addr_b64 v[138:141], v2 offset0:121 offset1:122
	s_wait_loadcnt 0x2
	v_fmac_f64_e32 v[164:165], v[146:147], v[156:157]
	s_wait_dscnt 0x1
	s_delay_alu instid0(VALU_DEP_1) | instskip(SKIP_4) | instid1(VALU_DEP_1)
	v_fmac_f64_e32 v[164:165], v[148:149], v[130:131]
	ds_load_b64 v[130:131], v2 offset:984
	s_wait_loadcnt 0x1
	v_fmac_f64_e32 v[164:165], v[134:135], v[132:133]
	s_wait_dscnt 0x1
	v_fmac_f64_e32 v[164:165], v[136:137], v[138:139]
	s_wait_loadcnt 0x0
	s_delay_alu instid0(VALU_DEP_1) | instskip(SKIP_1) | instid1(VALU_DEP_1)
	v_fmac_f64_e32 v[164:165], v[150:151], v[140:141]
	s_wait_dscnt 0x0
	v_fmac_f64_e32 v[164:165], v[152:153], v[130:131]
	s_delay_alu instid0(VALU_DEP_1)
	v_add_f64_e64 v[128:129], v[128:129], -v[164:165]
	scratch_store_b64 off, v[128:129], off offset:32
	s_wait_xcnt 0x0
	v_cmpx_lt_u32_e32 3, v0
	s_cbranch_execz .LBB125_375
; %bb.374:
	scratch_load_b64 v[128:129], off, off offset:24
	v_mov_b64_e32 v[130:131], 0
	scratch_store_b64 off, v[130:131], off offset:24
	s_wait_loadcnt 0x0
	ds_store_b64 v1, v[128:129]
.LBB125_375:
	s_wait_xcnt 0x0
	s_or_b32 exec_lo, exec_lo, s0
	s_wait_storecnt_dscnt 0x0
	s_barrier_signal -1
	s_barrier_wait -1
	s_clause 0x5
	scratch_load_b128 v[128:131], off, off offset:24
	scratch_load_b128 v[132:135], off, off offset:40
	;; [unrolled: 1-line block ×6, first 2 shown]
	ds_load_b128 v[152:155], v2 offset:528
	ds_load_b128 v[156:159], v2 offset:544
	scratch_load_b128 v[160:163], off, off offset:120
	s_mov_b32 s0, exec_lo
	s_wait_loadcnt_dscnt 0x601
	v_fma_f64 v[164:165], v[130:131], v[152:153], 0
	s_wait_loadcnt 0x5
	s_delay_alu instid0(VALU_DEP_1) | instskip(SKIP_4) | instid1(VALU_DEP_1)
	v_fmac_f64_e32 v[164:165], v[132:133], v[154:155]
	scratch_load_b128 v[130:133], off, off offset:136
	s_wait_dscnt 0x0
	v_fmac_f64_e32 v[164:165], v[134:135], v[156:157]
	s_wait_loadcnt 0x5
	v_fmac_f64_e32 v[164:165], v[136:137], v[158:159]
	ds_load_b128 v[134:137], v2 offset:560
	ds_load_b128 v[152:155], v2 offset:576
	scratch_load_b128 v[156:159], off, off offset:152
	s_wait_dscnt 0x1
	v_fmac_f64_e32 v[164:165], v[138:139], v[134:135]
	s_wait_loadcnt 0x5
	s_delay_alu instid0(VALU_DEP_1) | instskip(SKIP_4) | instid1(VALU_DEP_1)
	v_fmac_f64_e32 v[164:165], v[140:141], v[136:137]
	scratch_load_b128 v[134:137], off, off offset:168
	s_wait_dscnt 0x0
	v_fmac_f64_e32 v[164:165], v[142:143], v[152:153]
	s_wait_loadcnt 0x5
	v_fmac_f64_e32 v[164:165], v[144:145], v[154:155]
	ds_load_b128 v[138:141], v2 offset:592
	ds_load_b128 v[142:145], v2 offset:608
	scratch_load_b128 v[152:155], off, off offset:184
	s_wait_dscnt 0x1
	v_fmac_f64_e32 v[164:165], v[146:147], v[138:139]
	s_wait_loadcnt 0x5
	s_delay_alu instid0(VALU_DEP_1) | instskip(SKIP_4) | instid1(VALU_DEP_1)
	v_fmac_f64_e32 v[164:165], v[148:149], v[140:141]
	scratch_load_b128 v[138:141], off, off offset:200
	s_wait_dscnt 0x0
	v_fmac_f64_e32 v[164:165], v[150:151], v[142:143]
	s_wait_loadcnt 0x5
	v_fmac_f64_e32 v[164:165], v[160:161], v[144:145]
	ds_load_b128 v[142:145], v2 offset:624
	ds_load_b128 v[146:149], v2 offset:640
	s_wait_dscnt 0x1
	v_fmac_f64_e32 v[164:165], v[162:163], v[142:143]
	scratch_load_b128 v[160:163], off, off offset:216
	s_wait_loadcnt 0x5
	v_fmac_f64_e32 v[164:165], v[130:131], v[144:145]
	s_wait_dscnt 0x0
	s_delay_alu instid0(VALU_DEP_1)
	v_fmac_f64_e32 v[164:165], v[132:133], v[146:147]
	scratch_load_b128 v[130:133], off, off offset:232
	s_wait_loadcnt 0x5
	v_fmac_f64_e32 v[164:165], v[156:157], v[148:149]
	ds_load_b128 v[142:145], v2 offset:656
	ds_load_b128 v[146:149], v2 offset:672
	s_wait_dscnt 0x1
	v_fmac_f64_e32 v[164:165], v[158:159], v[142:143]
	scratch_load_b128 v[156:159], off, off offset:248
	s_wait_loadcnt 0x5
	v_fmac_f64_e32 v[164:165], v[134:135], v[144:145]
	s_wait_dscnt 0x0
	s_delay_alu instid0(VALU_DEP_1)
	v_fmac_f64_e32 v[164:165], v[136:137], v[146:147]
	scratch_load_b128 v[134:137], off, off offset:264
	s_wait_loadcnt 0x5
	v_fmac_f64_e32 v[164:165], v[152:153], v[148:149]
	ds_load_b128 v[142:145], v2 offset:688
	ds_load_b128 v[146:149], v2 offset:704
	scratch_load_b128 v[150:153], off, off offset:280
	s_wait_dscnt 0x1
	v_fmac_f64_e32 v[164:165], v[154:155], v[142:143]
	s_wait_loadcnt 0x5
	s_delay_alu instid0(VALU_DEP_1) | instskip(SKIP_1) | instid1(VALU_DEP_1)
	v_fmac_f64_e32 v[164:165], v[138:139], v[144:145]
	s_wait_dscnt 0x0
	v_fmac_f64_e32 v[164:165], v[140:141], v[146:147]
	scratch_load_b128 v[138:141], off, off offset:296
	s_wait_loadcnt 0x5
	v_fmac_f64_e32 v[164:165], v[160:161], v[148:149]
	ds_load_b128 v[142:145], v2 offset:720
	ds_load_b128 v[146:149], v2 offset:736
	s_wait_dscnt 0x1
	v_fmac_f64_e32 v[164:165], v[162:163], v[142:143]
	scratch_load_b128 v[160:163], off, off offset:312
	s_wait_loadcnt 0x5
	v_fmac_f64_e32 v[164:165], v[130:131], v[144:145]
	s_wait_dscnt 0x0
	s_delay_alu instid0(VALU_DEP_1)
	v_fmac_f64_e32 v[164:165], v[132:133], v[146:147]
	scratch_load_b128 v[130:133], off, off offset:328
	s_wait_loadcnt 0x5
	v_fmac_f64_e32 v[164:165], v[156:157], v[148:149]
	ds_load_b128 v[142:145], v2 offset:752
	ds_load_b128 v[146:149], v2 offset:768
	scratch_load_b128 v[154:157], off, off offset:344
	s_wait_dscnt 0x1
	v_fmac_f64_e32 v[164:165], v[158:159], v[142:143]
	s_wait_loadcnt 0x5
	s_delay_alu instid0(VALU_DEP_1) | instskip(SKIP_1) | instid1(VALU_DEP_1)
	v_fmac_f64_e32 v[164:165], v[134:135], v[144:145]
	s_wait_dscnt 0x0
	;; [unrolled: 26-line block ×3, first 2 shown]
	v_fmac_f64_e32 v[164:165], v[132:133], v[146:147]
	scratch_load_b128 v[130:133], off, off offset:424
	s_wait_loadcnt 0x5
	v_fmac_f64_e32 v[164:165], v[154:155], v[148:149]
	ds_load_b128 v[142:145], v2 offset:848
	ds_load_b128 v[146:149], v2 offset:864
	s_wait_dscnt 0x1
	v_fmac_f64_e32 v[164:165], v[156:157], v[142:143]
	s_wait_loadcnt 0x4
	s_delay_alu instid0(VALU_DEP_1)
	v_fmac_f64_e32 v[164:165], v[134:135], v[144:145]
	scratch_load_b128 v[142:145], off, off offset:440
	s_wait_dscnt 0x0
	v_fmac_f64_e32 v[164:165], v[136:137], v[146:147]
	scratch_load_b128 v[134:137], off, off offset:456
	s_wait_loadcnt 0x5
	v_fmac_f64_e32 v[164:165], v[150:151], v[148:149]
	ds_load_b128 v[146:149], v2 offset:880
	ds_load_b128 v[154:157], v2 offset:896
	s_wait_dscnt 0x1
	v_fmac_f64_e32 v[164:165], v[152:153], v[146:147]
	s_wait_loadcnt 0x4
	s_delay_alu instid0(VALU_DEP_1)
	v_fmac_f64_e32 v[164:165], v[138:139], v[148:149]
	scratch_load_b128 v[146:149], off, off offset:472
	s_wait_dscnt 0x0
	v_fmac_f64_e32 v[164:165], v[140:141], v[154:155]
	scratch_load_b64 v[154:155], off, off offset:488
	ds_load_b128 v[138:141], v2 offset:912
	ds_load_b128 v[150:153], v2 offset:928
	s_wait_loadcnt 0x5
	v_fmac_f64_e32 v[164:165], v[158:159], v[156:157]
	s_wait_dscnt 0x1
	s_delay_alu instid0(VALU_DEP_1) | instskip(SKIP_1) | instid1(VALU_DEP_1)
	v_fmac_f64_e32 v[164:165], v[160:161], v[138:139]
	s_wait_loadcnt 0x4
	v_fmac_f64_e32 v[164:165], v[130:131], v[140:141]
	s_wait_dscnt 0x0
	s_delay_alu instid0(VALU_DEP_1)
	v_fmac_f64_e32 v[164:165], v[132:133], v[150:151]
	ds_load_b128 v[130:133], v2 offset:944
	ds_load_b128 v[138:141], v2 offset:960
	s_wait_loadcnt 0x3
	v_fmac_f64_e32 v[164:165], v[142:143], v[152:153]
	s_wait_dscnt 0x1
	s_delay_alu instid0(VALU_DEP_1) | instskip(SKIP_1) | instid1(VALU_DEP_1)
	v_fmac_f64_e32 v[164:165], v[144:145], v[130:131]
	s_wait_loadcnt 0x2
	v_fmac_f64_e32 v[164:165], v[134:135], v[132:133]
	ds_load_b128 v[130:133], v2 offset:976
	s_wait_dscnt 0x1
	v_fmac_f64_e32 v[164:165], v[136:137], v[138:139]
	s_wait_loadcnt 0x1
	s_delay_alu instid0(VALU_DEP_1) | instskip(SKIP_1) | instid1(VALU_DEP_1)
	v_fmac_f64_e32 v[164:165], v[146:147], v[140:141]
	s_wait_dscnt 0x0
	v_fmac_f64_e32 v[164:165], v[148:149], v[130:131]
	s_wait_loadcnt 0x0
	s_delay_alu instid0(VALU_DEP_1) | instskip(NEXT) | instid1(VALU_DEP_1)
	v_fmac_f64_e32 v[164:165], v[154:155], v[132:133]
	v_add_f64_e64 v[2:3], v[128:129], -v[164:165]
	scratch_store_b64 off, v[2:3], off offset:24
	s_wait_xcnt 0x0
	v_cmpx_lt_u32_e32 2, v0
	s_cbranch_execz .LBB125_377
; %bb.376:
	scratch_load_b64 v[2:3], off, off offset:16
	v_mov_b64_e32 v[128:129], 0
	scratch_store_b64 off, v[128:129], off offset:16
	s_wait_loadcnt 0x0
	ds_store_b64 v1, v[2:3]
.LBB125_377:
	s_wait_xcnt 0x0
	s_or_b32 exec_lo, exec_lo, s0
	s_wait_storecnt_dscnt 0x0
	s_barrier_signal -1
	s_barrier_wait -1
	s_clause 0x5
	scratch_load_b128 v[128:131], off, off offset:16
	scratch_load_b128 v[132:135], off, off offset:32
	scratch_load_b128 v[136:139], off, off offset:48
	scratch_load_b128 v[140:143], off, off offset:64
	scratch_load_b128 v[144:147], off, off offset:80
	scratch_load_b128 v[148:151], off, off offset:96
	v_mov_b32_e32 v2, 0
	ds_load_2addr_b64 v[152:155], v2 offset0:65 offset1:66
	ds_load_2addr_b64 v[156:159], v2 offset0:67 offset1:68
	scratch_load_b128 v[160:163], off, off offset:112
	s_mov_b32 s0, exec_lo
	s_wait_loadcnt_dscnt 0x601
	v_fma_f64 v[164:165], v[130:131], v[152:153], 0
	s_wait_loadcnt 0x5
	s_delay_alu instid0(VALU_DEP_1) | instskip(SKIP_4) | instid1(VALU_DEP_1)
	v_fmac_f64_e32 v[164:165], v[132:133], v[154:155]
	scratch_load_b128 v[130:133], off, off offset:128
	s_wait_dscnt 0x0
	v_fmac_f64_e32 v[164:165], v[134:135], v[156:157]
	s_wait_loadcnt 0x5
	v_fmac_f64_e32 v[164:165], v[136:137], v[158:159]
	ds_load_2addr_b64 v[134:137], v2 offset0:69 offset1:70
	ds_load_2addr_b64 v[152:155], v2 offset0:71 offset1:72
	scratch_load_b128 v[156:159], off, off offset:144
	s_wait_dscnt 0x1
	v_fmac_f64_e32 v[164:165], v[138:139], v[134:135]
	s_wait_loadcnt 0x5
	s_delay_alu instid0(VALU_DEP_1) | instskip(SKIP_4) | instid1(VALU_DEP_1)
	v_fmac_f64_e32 v[164:165], v[140:141], v[136:137]
	scratch_load_b128 v[134:137], off, off offset:160
	s_wait_dscnt 0x0
	v_fmac_f64_e32 v[164:165], v[142:143], v[152:153]
	s_wait_loadcnt 0x5
	v_fmac_f64_e32 v[164:165], v[144:145], v[154:155]
	ds_load_2addr_b64 v[138:141], v2 offset0:73 offset1:74
	ds_load_2addr_b64 v[142:145], v2 offset0:75 offset1:76
	scratch_load_b128 v[152:155], off, off offset:176
	s_wait_dscnt 0x1
	v_fmac_f64_e32 v[164:165], v[146:147], v[138:139]
	s_wait_loadcnt 0x5
	s_delay_alu instid0(VALU_DEP_1) | instskip(SKIP_4) | instid1(VALU_DEP_1)
	v_fmac_f64_e32 v[164:165], v[148:149], v[140:141]
	scratch_load_b128 v[138:141], off, off offset:192
	s_wait_dscnt 0x0
	v_fmac_f64_e32 v[164:165], v[150:151], v[142:143]
	s_wait_loadcnt 0x5
	v_fmac_f64_e32 v[164:165], v[160:161], v[144:145]
	ds_load_2addr_b64 v[142:145], v2 offset0:77 offset1:78
	ds_load_2addr_b64 v[146:149], v2 offset0:79 offset1:80
	s_wait_dscnt 0x1
	v_fmac_f64_e32 v[164:165], v[162:163], v[142:143]
	scratch_load_b128 v[160:163], off, off offset:208
	s_wait_loadcnt 0x5
	v_fmac_f64_e32 v[164:165], v[130:131], v[144:145]
	s_wait_dscnt 0x0
	s_delay_alu instid0(VALU_DEP_1)
	v_fmac_f64_e32 v[164:165], v[132:133], v[146:147]
	scratch_load_b128 v[130:133], off, off offset:224
	s_wait_loadcnt 0x5
	v_fmac_f64_e32 v[164:165], v[156:157], v[148:149]
	ds_load_2addr_b64 v[142:145], v2 offset0:81 offset1:82
	ds_load_2addr_b64 v[146:149], v2 offset0:83 offset1:84
	s_wait_dscnt 0x1
	v_fmac_f64_e32 v[164:165], v[158:159], v[142:143]
	scratch_load_b128 v[156:159], off, off offset:240
	s_wait_loadcnt 0x5
	v_fmac_f64_e32 v[164:165], v[134:135], v[144:145]
	s_wait_dscnt 0x0
	s_delay_alu instid0(VALU_DEP_1)
	v_fmac_f64_e32 v[164:165], v[136:137], v[146:147]
	scratch_load_b128 v[134:137], off, off offset:256
	s_wait_loadcnt 0x5
	v_fmac_f64_e32 v[164:165], v[152:153], v[148:149]
	ds_load_2addr_b64 v[142:145], v2 offset0:85 offset1:86
	ds_load_2addr_b64 v[146:149], v2 offset0:87 offset1:88
	scratch_load_b128 v[150:153], off, off offset:272
	s_wait_dscnt 0x1
	v_fmac_f64_e32 v[164:165], v[154:155], v[142:143]
	s_wait_loadcnt 0x5
	s_delay_alu instid0(VALU_DEP_1) | instskip(SKIP_1) | instid1(VALU_DEP_1)
	v_fmac_f64_e32 v[164:165], v[138:139], v[144:145]
	s_wait_dscnt 0x0
	v_fmac_f64_e32 v[164:165], v[140:141], v[146:147]
	scratch_load_b128 v[138:141], off, off offset:288
	s_wait_loadcnt 0x5
	v_fmac_f64_e32 v[164:165], v[160:161], v[148:149]
	ds_load_2addr_b64 v[142:145], v2 offset0:89 offset1:90
	ds_load_2addr_b64 v[146:149], v2 offset0:91 offset1:92
	s_wait_dscnt 0x1
	v_fmac_f64_e32 v[164:165], v[162:163], v[142:143]
	scratch_load_b128 v[160:163], off, off offset:304
	s_wait_loadcnt 0x5
	v_fmac_f64_e32 v[164:165], v[130:131], v[144:145]
	s_wait_dscnt 0x0
	s_delay_alu instid0(VALU_DEP_1)
	v_fmac_f64_e32 v[164:165], v[132:133], v[146:147]
	scratch_load_b128 v[130:133], off, off offset:320
	s_wait_loadcnt 0x5
	v_fmac_f64_e32 v[164:165], v[156:157], v[148:149]
	ds_load_2addr_b64 v[142:145], v2 offset0:93 offset1:94
	ds_load_2addr_b64 v[146:149], v2 offset0:95 offset1:96
	scratch_load_b128 v[154:157], off, off offset:336
	s_wait_dscnt 0x1
	v_fmac_f64_e32 v[164:165], v[158:159], v[142:143]
	s_wait_loadcnt 0x5
	s_delay_alu instid0(VALU_DEP_1) | instskip(SKIP_1) | instid1(VALU_DEP_1)
	v_fmac_f64_e32 v[164:165], v[134:135], v[144:145]
	s_wait_dscnt 0x0
	;; [unrolled: 26-line block ×3, first 2 shown]
	v_fmac_f64_e32 v[164:165], v[132:133], v[146:147]
	scratch_load_b128 v[130:133], off, off offset:416
	s_wait_loadcnt 0x5
	v_fmac_f64_e32 v[164:165], v[154:155], v[148:149]
	ds_load_2addr_b64 v[142:145], v2 offset0:105 offset1:106
	ds_load_2addr_b64 v[146:149], v2 offset0:107 offset1:108
	s_wait_dscnt 0x1
	v_fmac_f64_e32 v[164:165], v[156:157], v[142:143]
	s_wait_loadcnt 0x4
	s_delay_alu instid0(VALU_DEP_1)
	v_fmac_f64_e32 v[164:165], v[134:135], v[144:145]
	scratch_load_b128 v[142:145], off, off offset:432
	s_wait_dscnt 0x0
	v_fmac_f64_e32 v[164:165], v[136:137], v[146:147]
	scratch_load_b128 v[134:137], off, off offset:448
	s_wait_loadcnt 0x5
	v_fmac_f64_e32 v[164:165], v[150:151], v[148:149]
	ds_load_2addr_b64 v[146:149], v2 offset0:109 offset1:110
	ds_load_2addr_b64 v[154:157], v2 offset0:111 offset1:112
	s_wait_dscnt 0x1
	v_fmac_f64_e32 v[164:165], v[152:153], v[146:147]
	s_wait_loadcnt 0x4
	s_delay_alu instid0(VALU_DEP_1)
	v_fmac_f64_e32 v[164:165], v[138:139], v[148:149]
	scratch_load_b128 v[146:149], off, off offset:464
	s_wait_dscnt 0x0
	v_fmac_f64_e32 v[164:165], v[140:141], v[154:155]
	scratch_load_b128 v[138:141], off, off offset:480
	s_wait_loadcnt 0x5
	v_fmac_f64_e32 v[164:165], v[158:159], v[156:157]
	ds_load_2addr_b64 v[150:153], v2 offset0:113 offset1:114
	ds_load_2addr_b64 v[154:157], v2 offset0:115 offset1:116
	s_wait_dscnt 0x1
	v_fmac_f64_e32 v[164:165], v[160:161], v[150:151]
	s_wait_loadcnt 0x4
	s_delay_alu instid0(VALU_DEP_1) | instskip(SKIP_1) | instid1(VALU_DEP_1)
	v_fmac_f64_e32 v[164:165], v[130:131], v[152:153]
	s_wait_dscnt 0x0
	v_fmac_f64_e32 v[164:165], v[132:133], v[154:155]
	ds_load_2addr_b64 v[130:133], v2 offset0:117 offset1:118
	ds_load_2addr_b64 v[150:153], v2 offset0:119 offset1:120
	s_wait_loadcnt 0x3
	v_fmac_f64_e32 v[164:165], v[142:143], v[156:157]
	s_wait_dscnt 0x1
	s_delay_alu instid0(VALU_DEP_1) | instskip(SKIP_1) | instid1(VALU_DEP_1)
	v_fmac_f64_e32 v[164:165], v[144:145], v[130:131]
	s_wait_loadcnt 0x2
	v_fmac_f64_e32 v[164:165], v[134:135], v[132:133]
	ds_load_2addr_b64 v[130:133], v2 offset0:121 offset1:122
	ds_load_b64 v[134:135], v2 offset:984
	s_wait_dscnt 0x2
	v_fmac_f64_e32 v[164:165], v[136:137], v[150:151]
	s_wait_loadcnt 0x1
	s_delay_alu instid0(VALU_DEP_1) | instskip(SKIP_1) | instid1(VALU_DEP_1)
	v_fmac_f64_e32 v[164:165], v[146:147], v[152:153]
	s_wait_dscnt 0x1
	v_fmac_f64_e32 v[164:165], v[148:149], v[130:131]
	s_wait_loadcnt 0x0
	s_delay_alu instid0(VALU_DEP_1) | instskip(SKIP_1) | instid1(VALU_DEP_1)
	v_fmac_f64_e32 v[164:165], v[138:139], v[132:133]
	s_wait_dscnt 0x0
	v_fmac_f64_e32 v[164:165], v[140:141], v[134:135]
	s_delay_alu instid0(VALU_DEP_1)
	v_add_f64_e64 v[128:129], v[128:129], -v[164:165]
	scratch_store_b64 off, v[128:129], off offset:16
	s_wait_xcnt 0x0
	v_cmpx_lt_u32_e32 1, v0
	s_cbranch_execz .LBB125_379
; %bb.378:
	scratch_load_b64 v[128:129], off, off offset:8
	v_mov_b64_e32 v[130:131], 0
	scratch_store_b64 off, v[130:131], off offset:8
	s_wait_loadcnt 0x0
	ds_store_b64 v1, v[128:129]
.LBB125_379:
	s_wait_xcnt 0x0
	s_or_b32 exec_lo, exec_lo, s0
	s_wait_storecnt_dscnt 0x0
	s_barrier_signal -1
	s_barrier_wait -1
	s_clause 0x5
	scratch_load_b128 v[128:131], off, off offset:8
	scratch_load_b128 v[132:135], off, off offset:24
	scratch_load_b128 v[136:139], off, off offset:40
	scratch_load_b128 v[140:143], off, off offset:56
	scratch_load_b128 v[144:147], off, off offset:72
	scratch_load_b128 v[148:151], off, off offset:88
	ds_load_b128 v[152:155], v2 offset:512
	ds_load_b128 v[156:159], v2 offset:528
	v_dual_ashrrev_i32 v9, 31, v8 :: v_dual_ashrrev_i32 v11, 31, v10
	v_dual_ashrrev_i32 v13, 31, v12 :: v_dual_ashrrev_i32 v15, 31, v14
	;; [unrolled: 1-line block ×29, first 2 shown]
	v_ashrrev_i32_e32 v125, 31, v124
	s_mov_b32 s0, exec_lo
	v_ashrrev_i32_e32 v75, 31, v74
	s_wait_loadcnt_dscnt 0x501
	v_fma_f64 v[160:161], v[130:131], v[152:153], 0
	s_wait_loadcnt 0x4
	s_delay_alu instid0(VALU_DEP_1) | instskip(SKIP_4) | instid1(VALU_DEP_1)
	v_fmac_f64_e32 v[160:161], v[132:133], v[154:155]
	scratch_load_b128 v[130:133], off, off offset:104
	s_wait_dscnt 0x0
	v_fmac_f64_e32 v[160:161], v[134:135], v[156:157]
	s_wait_loadcnt 0x4
	v_fmac_f64_e32 v[160:161], v[136:137], v[158:159]
	ds_load_b128 v[134:137], v2 offset:544
	ds_load_b128 v[152:155], v2 offset:560
	scratch_load_b128 v[156:159], off, off offset:120
	s_wait_dscnt 0x1
	v_fmac_f64_e32 v[160:161], v[138:139], v[134:135]
	s_wait_loadcnt 0x4
	s_delay_alu instid0(VALU_DEP_1) | instskip(SKIP_4) | instid1(VALU_DEP_1)
	v_fmac_f64_e32 v[160:161], v[140:141], v[136:137]
	scratch_load_b128 v[134:137], off, off offset:136
	s_wait_dscnt 0x0
	v_fmac_f64_e32 v[160:161], v[142:143], v[152:153]
	s_wait_loadcnt 0x4
	v_fmac_f64_e32 v[160:161], v[144:145], v[154:155]
	ds_load_b128 v[138:141], v2 offset:576
	ds_load_b128 v[142:145], v2 offset:592
	scratch_load_b128 v[152:155], off, off offset:152
	s_wait_dscnt 0x1
	v_fmac_f64_e32 v[160:161], v[146:147], v[138:139]
	s_wait_loadcnt 0x4
	s_delay_alu instid0(VALU_DEP_1) | instskip(SKIP_4) | instid1(VALU_DEP_1)
	v_fmac_f64_e32 v[160:161], v[148:149], v[140:141]
	scratch_load_b128 v[138:141], off, off offset:168
	s_wait_dscnt 0x0
	v_fmac_f64_e32 v[160:161], v[150:151], v[142:143]
	s_wait_loadcnt 0x4
	v_fmac_f64_e32 v[160:161], v[130:131], v[144:145]
	ds_load_b128 v[142:145], v2 offset:608
	ds_load_b128 v[146:149], v2 offset:624
	s_wait_dscnt 0x1
	v_fmac_f64_e32 v[160:161], v[132:133], v[142:143]
	scratch_load_b128 v[130:133], off, off offset:184
	s_wait_loadcnt 0x4
	v_fmac_f64_e32 v[160:161], v[156:157], v[144:145]
	scratch_load_b128 v[142:145], off, off offset:200
	s_wait_dscnt 0x0
	v_fmac_f64_e32 v[160:161], v[158:159], v[146:147]
	s_wait_loadcnt 0x4
	s_delay_alu instid0(VALU_DEP_1)
	v_fmac_f64_e32 v[160:161], v[134:135], v[148:149]
	ds_load_b128 v[146:149], v2 offset:640
	ds_load_b128 v[156:159], v2 offset:656
	s_wait_dscnt 0x1
	v_fmac_f64_e32 v[160:161], v[136:137], v[146:147]
	scratch_load_b128 v[134:137], off, off offset:216
	s_wait_loadcnt 0x4
	v_fmac_f64_e32 v[160:161], v[152:153], v[148:149]
	scratch_load_b128 v[146:149], off, off offset:232
	s_wait_dscnt 0x0
	v_fmac_f64_e32 v[160:161], v[154:155], v[156:157]
	ds_load_b128 v[150:153], v2 offset:672
	ds_load_b128 v[154:157], v2 offset:688
	s_wait_loadcnt 0x4
	v_fmac_f64_e32 v[160:161], v[138:139], v[158:159]
	s_wait_dscnt 0x1
	s_delay_alu instid0(VALU_DEP_1) | instskip(SKIP_4) | instid1(VALU_DEP_1)
	v_fmac_f64_e32 v[160:161], v[140:141], v[150:151]
	scratch_load_b128 v[138:141], off, off offset:248
	s_wait_loadcnt 0x4
	v_fmac_f64_e32 v[160:161], v[130:131], v[152:153]
	s_wait_dscnt 0x0
	v_fmac_f64_e32 v[160:161], v[132:133], v[154:155]
	scratch_load_b128 v[130:133], off, off offset:264
	s_wait_loadcnt 0x4
	v_fmac_f64_e32 v[160:161], v[142:143], v[156:157]
	ds_load_b128 v[150:153], v2 offset:704
	ds_load_b128 v[154:157], v2 offset:720
	s_wait_dscnt 0x1
	v_fmac_f64_e32 v[160:161], v[144:145], v[150:151]
	scratch_load_b128 v[142:145], off, off offset:280
	s_wait_loadcnt 0x4
	v_fmac_f64_e32 v[160:161], v[134:135], v[152:153]
	scratch_load_b128 v[150:153], off, off offset:296
	s_wait_dscnt 0x0
	v_fmac_f64_e32 v[160:161], v[136:137], v[154:155]
	s_wait_loadcnt 0x4
	s_delay_alu instid0(VALU_DEP_1)
	v_fmac_f64_e32 v[160:161], v[146:147], v[156:157]
	ds_load_b128 v[134:137], v2 offset:736
	ds_load_b128 v[154:157], v2 offset:752
	s_wait_dscnt 0x1
	v_fmac_f64_e32 v[160:161], v[148:149], v[134:135]
	scratch_load_b128 v[146:149], off, off offset:312
	s_wait_loadcnt 0x4
	v_fmac_f64_e32 v[160:161], v[138:139], v[136:137]
	scratch_load_b128 v[134:137], off, off offset:328
	s_wait_dscnt 0x0
	v_fmac_f64_e32 v[160:161], v[140:141], v[154:155]
	s_wait_loadcnt 0x4
	s_delay_alu instid0(VALU_DEP_1)
	;; [unrolled: 13-line block ×4, first 2 shown]
	v_fmac_f64_e32 v[160:161], v[134:135], v[156:157]
	ds_load_b128 v[146:149], v2 offset:832
	ds_load_b128 v[154:157], v2 offset:848
	s_wait_dscnt 0x1
	v_fmac_f64_e32 v[160:161], v[136:137], v[146:147]
	scratch_load_b128 v[134:137], off, off offset:408
	s_wait_loadcnt 0x4
	v_fmac_f64_e32 v[160:161], v[130:131], v[148:149]
	s_wait_dscnt 0x0
	s_delay_alu instid0(VALU_DEP_1)
	v_fmac_f64_e32 v[160:161], v[132:133], v[154:155]
	scratch_load_b128 v[130:133], off, off offset:424
	s_wait_loadcnt 0x4
	v_fmac_f64_e32 v[160:161], v[138:139], v[156:157]
	ds_load_b128 v[146:149], v2 offset:864
	ds_load_b128 v[154:157], v2 offset:880
	s_wait_dscnt 0x1
	v_fmac_f64_e32 v[160:161], v[140:141], v[146:147]
	scratch_load_b128 v[138:141], off, off offset:440
	s_wait_loadcnt 0x4
	v_fmac_f64_e32 v[160:161], v[150:151], v[148:149]
	scratch_load_b128 v[146:149], off, off offset:456
	s_wait_dscnt 0x0
	v_fmac_f64_e32 v[160:161], v[152:153], v[154:155]
	s_wait_loadcnt 0x4
	s_delay_alu instid0(VALU_DEP_1)
	v_fmac_f64_e32 v[160:161], v[142:143], v[156:157]
	ds_load_b128 v[150:153], v2 offset:896
	ds_load_b128 v[154:157], v2 offset:912
	scratch_load_b64 v[158:159], off, off offset:488
	s_wait_dscnt 0x1
	v_fmac_f64_e32 v[160:161], v[144:145], v[150:151]
	scratch_load_b128 v[142:145], off, off offset:472
	s_wait_loadcnt 0x5
	v_fmac_f64_e32 v[160:161], v[134:135], v[152:153]
	s_wait_dscnt 0x0
	s_delay_alu instid0(VALU_DEP_1)
	v_fmac_f64_e32 v[160:161], v[136:137], v[154:155]
	ds_load_b128 v[134:137], v2 offset:928
	ds_load_b128 v[150:153], v2 offset:944
	s_wait_loadcnt 0x4
	v_fmac_f64_e32 v[160:161], v[130:131], v[156:157]
	s_wait_dscnt 0x1
	s_delay_alu instid0(VALU_DEP_1) | instskip(SKIP_1) | instid1(VALU_DEP_1)
	v_fmac_f64_e32 v[160:161], v[132:133], v[134:135]
	s_wait_loadcnt 0x3
	v_fmac_f64_e32 v[160:161], v[138:139], v[136:137]
	ds_load_b128 v[130:133], v2 offset:960
	ds_load_b128 v[134:137], v2 offset:976
	s_wait_dscnt 0x2
	v_fmac_f64_e32 v[160:161], v[140:141], v[150:151]
	s_wait_loadcnt 0x2
	s_delay_alu instid0(VALU_DEP_1) | instskip(SKIP_1) | instid1(VALU_DEP_1)
	v_fmac_f64_e32 v[160:161], v[146:147], v[152:153]
	s_wait_dscnt 0x1
	v_fmac_f64_e32 v[160:161], v[148:149], v[130:131]
	s_wait_loadcnt 0x0
	s_delay_alu instid0(VALU_DEP_1) | instskip(SKIP_1) | instid1(VALU_DEP_1)
	v_fmac_f64_e32 v[160:161], v[142:143], v[132:133]
	s_wait_dscnt 0x0
	v_fmac_f64_e32 v[160:161], v[144:145], v[134:135]
	s_delay_alu instid0(VALU_DEP_1) | instskip(NEXT) | instid1(VALU_DEP_1)
	v_fmac_f64_e32 v[160:161], v[158:159], v[136:137]
	v_add_f64_e64 v[2:3], v[128:129], -v[160:161]
	scratch_store_b64 off, v[2:3], off offset:8
	s_wait_xcnt 0x0
	v_cmpx_ne_u32_e32 0, v0
	s_cbranch_execz .LBB125_381
; %bb.380:
	scratch_load_b64 v[2:3], off, off
	v_mov_b64_e32 v[128:129], 0
	scratch_store_b64 off, v[128:129], off
	s_wait_loadcnt 0x0
	ds_store_b64 v1, v[2:3]
.LBB125_381:
	s_wait_xcnt 0x0
	s_or_b32 exec_lo, exec_lo, s0
	s_wait_storecnt_dscnt 0x0
	s_barrier_signal -1
	s_barrier_wait -1
	s_clause 0x5
	scratch_load_b128 v[130:133], off, off
	scratch_load_b128 v[0:3], off, off offset:16
	scratch_load_b128 v[134:137], off, off offset:32
	;; [unrolled: 1-line block ×5, first 2 shown]
	v_mov_b32_e32 v128, 0
	scratch_load_b128 v[154:157], off, off offset:96
	s_and_b32 vcc_lo, exec_lo, s12
	ds_load_2addr_b64 v[150:153], v128 offset0:63 offset1:64
	s_wait_loadcnt_dscnt 0x600
	v_fma_f64 v[160:161], v[132:133], v[150:151], 0
	s_wait_loadcnt 0x5
	s_delay_alu instid0(VALU_DEP_1)
	v_fmac_f64_e32 v[160:161], v[0:1], v[152:153]
	ds_load_2addr_b64 v[150:153], v128 offset0:65 offset1:66
	s_wait_dscnt 0x0
	v_fmac_f64_e32 v[160:161], v[2:3], v[150:151]
	scratch_load_b128 v[0:3], off, off offset:112
	s_wait_loadcnt 0x5
	v_fmac_f64_e32 v[160:161], v[134:135], v[152:153]
	ds_load_2addr_b64 v[132:135], v128 offset0:67 offset1:68
	scratch_load_b128 v[150:153], off, off offset:128
	s_wait_dscnt 0x0
	v_fmac_f64_e32 v[160:161], v[136:137], v[132:133]
	s_wait_loadcnt 0x5
	s_delay_alu instid0(VALU_DEP_1)
	v_fmac_f64_e32 v[160:161], v[138:139], v[134:135]
	ds_load_2addr_b64 v[132:135], v128 offset0:69 offset1:70
	scratch_load_b128 v[136:139], off, off offset:144
	s_wait_dscnt 0x0
	v_fmac_f64_e32 v[160:161], v[140:141], v[132:133]
	s_wait_loadcnt 0x5
	s_delay_alu instid0(VALU_DEP_1)
	v_fmac_f64_e32 v[160:161], v[142:143], v[134:135]
	ds_load_2addr_b64 v[132:135], v128 offset0:71 offset1:72
	scratch_load_b128 v[140:143], off, off offset:160
	s_wait_dscnt 0x0
	v_fmac_f64_e32 v[160:161], v[144:145], v[132:133]
	s_wait_loadcnt 0x5
	s_delay_alu instid0(VALU_DEP_1)
	v_fmac_f64_e32 v[160:161], v[146:147], v[134:135]
	ds_load_2addr_b64 v[132:135], v128 offset0:73 offset1:74
	scratch_load_b128 v[144:147], off, off offset:176
	s_wait_dscnt 0x0
	v_fmac_f64_e32 v[160:161], v[148:149], v[132:133]
	s_wait_loadcnt 0x5
	s_delay_alu instid0(VALU_DEP_1)
	v_fmac_f64_e32 v[160:161], v[154:155], v[134:135]
	ds_load_2addr_b64 v[132:135], v128 offset0:75 offset1:76
	s_wait_dscnt 0x0
	v_fmac_f64_e32 v[160:161], v[156:157], v[132:133]
	scratch_load_b128 v[154:157], off, off offset:192
	s_wait_loadcnt 0x5
	v_fmac_f64_e32 v[160:161], v[0:1], v[134:135]
	ds_load_2addr_b64 v[132:135], v128 offset0:77 offset1:78
	s_wait_dscnt 0x0
	v_fmac_f64_e32 v[160:161], v[2:3], v[132:133]
	scratch_load_b128 v[0:3], off, off offset:208
	s_wait_loadcnt 0x5
	v_fmac_f64_e32 v[160:161], v[150:151], v[134:135]
	ds_load_2addr_b64 v[132:135], v128 offset0:79 offset1:80
	scratch_load_b128 v[148:151], off, off offset:224
	s_wait_dscnt 0x0
	v_fmac_f64_e32 v[160:161], v[152:153], v[132:133]
	s_wait_loadcnt 0x5
	s_delay_alu instid0(VALU_DEP_1)
	v_fmac_f64_e32 v[160:161], v[136:137], v[134:135]
	ds_load_2addr_b64 v[132:135], v128 offset0:81 offset1:82
	s_wait_dscnt 0x0
	v_fmac_f64_e32 v[160:161], v[138:139], v[132:133]
	scratch_load_b128 v[136:139], off, off offset:240
	s_wait_loadcnt 0x5
	v_fmac_f64_e32 v[160:161], v[140:141], v[134:135]
	ds_load_2addr_b64 v[132:135], v128 offset0:83 offset1:84
	s_wait_dscnt 0x0
	v_fmac_f64_e32 v[160:161], v[142:143], v[132:133]
	scratch_load_b128 v[140:143], off, off offset:256
	s_wait_loadcnt 0x5
	;; [unrolled: 6-line block ×3, first 2 shown]
	v_fmac_f64_e32 v[160:161], v[154:155], v[134:135]
	ds_load_2addr_b64 v[132:135], v128 offset0:87 offset1:88
	scratch_load_b128 v[152:155], off, off offset:288
	s_wait_dscnt 0x0
	v_fmac_f64_e32 v[160:161], v[156:157], v[132:133]
	scratch_load_b128 v[156:159], off, off offset:400
	s_wait_loadcnt 0x6
	v_fmac_f64_e32 v[160:161], v[0:1], v[134:135]
	ds_load_2addr_b64 v[132:135], v128 offset0:89 offset1:90
	s_wait_dscnt 0x0
	v_fmac_f64_e32 v[160:161], v[2:3], v[132:133]
	scratch_load_b128 v[0:3], off, off offset:304
	s_wait_loadcnt 0x6
	v_fmac_f64_e32 v[160:161], v[148:149], v[134:135]
	ds_load_2addr_b64 v[132:135], v128 offset0:91 offset1:92
	;; [unrolled: 6-line block ×7, first 2 shown]
	s_wait_dscnt 0x0
	v_fmac_f64_e32 v[160:161], v[2:3], v[132:133]
	ds_load_2addr_b64 v[0:3], v128 offset0:103 offset1:104
	s_wait_loadcnt 0x4
	v_fmac_f64_e32 v[160:161], v[148:149], v[134:135]
	scratch_load_b128 v[132:135], off, off offset:416
	s_wait_dscnt 0x0
	v_fmac_f64_e32 v[160:161], v[150:151], v[0:1]
	ds_load_2addr_b64 v[148:151], v128 offset0:111 offset1:112
	s_wait_loadcnt 0x4
	v_fmac_f64_e32 v[160:161], v[136:137], v[2:3]
	ds_load_2addr_b64 v[0:3], v128 offset0:105 offset1:106
	s_wait_dscnt 0x0
	v_fmac_f64_e32 v[160:161], v[138:139], v[0:1]
	scratch_load_b128 v[136:139], off, off offset:432
	s_wait_loadcnt 0x4
	v_fmac_f64_e32 v[160:161], v[140:141], v[2:3]
	ds_load_2addr_b64 v[0:3], v128 offset0:107 offset1:108
	s_wait_dscnt 0x0
	v_fmac_f64_e32 v[160:161], v[142:143], v[0:1]
	scratch_load_b128 v[140:143], off, off offset:448
	;; [unrolled: 6-line block ×3, first 2 shown]
	s_wait_loadcnt 0x4
	v_fmac_f64_e32 v[160:161], v[152:153], v[2:3]
	scratch_load_b128 v[0:3], off, off offset:480
	v_fmac_f64_e32 v[160:161], v[154:155], v[148:149]
	s_delay_alu instid0(VALU_DEP_1) | instskip(SKIP_4) | instid1(VALU_DEP_1)
	v_fmac_f64_e32 v[160:161], v[156:157], v[150:151]
	ds_load_2addr_b64 v[148:151], v128 offset0:113 offset1:114
	s_wait_dscnt 0x0
	v_fmac_f64_e32 v[160:161], v[158:159], v[148:149]
	s_wait_loadcnt 0x4
	v_fmac_f64_e32 v[160:161], v[132:133], v[150:151]
	ds_load_2addr_b64 v[148:151], v128 offset0:115 offset1:116
	s_wait_dscnt 0x0
	v_fmac_f64_e32 v[160:161], v[134:135], v[148:149]
	ds_load_2addr_b64 v[132:135], v128 offset0:117 offset1:118
	s_wait_loadcnt 0x3
	v_fmac_f64_e32 v[160:161], v[136:137], v[150:151]
	s_wait_dscnt 0x0
	s_delay_alu instid0(VALU_DEP_1) | instskip(SKIP_1) | instid1(VALU_DEP_1)
	v_fmac_f64_e32 v[160:161], v[138:139], v[132:133]
	s_wait_loadcnt 0x2
	v_fmac_f64_e32 v[160:161], v[140:141], v[134:135]
	ds_load_2addr_b64 v[132:135], v128 offset0:119 offset1:120
	s_wait_dscnt 0x0
	v_fmac_f64_e32 v[160:161], v[142:143], v[132:133]
	s_wait_loadcnt 0x1
	s_delay_alu instid0(VALU_DEP_1)
	v_fmac_f64_e32 v[160:161], v[144:145], v[134:135]
	ds_load_2addr_b64 v[132:135], v128 offset0:121 offset1:122
	s_wait_dscnt 0x0
	v_fmac_f64_e32 v[160:161], v[146:147], v[132:133]
	ds_load_b64 v[132:133], v128 offset:984
	s_wait_loadcnt 0x0
	v_fmac_f64_e32 v[160:161], v[0:1], v[134:135]
	s_wait_dscnt 0x0
	s_delay_alu instid0(VALU_DEP_1) | instskip(NEXT) | instid1(VALU_DEP_1)
	v_fmac_f64_e32 v[160:161], v[2:3], v[132:133]
	v_add_f64_e64 v[138:139], v[130:131], -v[160:161]
	scratch_store_b64 off, v[138:139], off
	s_cbranch_vccz .LBB125_504
; %bb.382:
	global_load_b32 v2, v128, s[8:9] offset:240
	s_wait_loadcnt 0x0
	v_cmp_ne_u32_e32 vcc_lo, 61, v2
	s_cbranch_vccz .LBB125_384
; %bb.383:
	v_lshlrev_b32_e32 v2, 3, v2
	s_wait_xcnt 0x0
	s_delay_alu instid0(VALU_DEP_1)
	v_mov_b32_e32 v128, v2
	scratch_load_b64 v[2:3], v128, off offset:-8
	s_wait_loadcnt 0x0
	scratch_store_b64 off, v[2:3], off offset:480
	scratch_store_b64 v128, v[0:1], off offset:-8
.LBB125_384:
	s_wait_xcnt 0x0
	v_mov_b32_e32 v0, 0
	global_load_b32 v1, v0, s[8:9] offset:236
	s_wait_loadcnt 0x0
	v_cmp_eq_u32_e32 vcc_lo, 60, v1
	s_cbranch_vccnz .LBB125_386
; %bb.385:
	v_lshlrev_b32_e32 v1, 3, v1
	scratch_load_b64 v[2:3], v1, off offset:-8
	scratch_load_b64 v[128:129], off, off offset:472
	s_wait_loadcnt 0x1
	scratch_store_b64 off, v[2:3], off offset:472
	s_wait_loadcnt 0x0
	scratch_store_b64 v1, v[128:129], off offset:-8
.LBB125_386:
	global_load_b32 v0, v0, s[8:9] offset:232
	s_wait_loadcnt 0x0
	v_cmp_eq_u32_e32 vcc_lo, 59, v0
	s_cbranch_vccnz .LBB125_388
; %bb.387:
	s_wait_xcnt 0x0
	v_lshlrev_b32_e32 v0, 3, v0
	s_delay_alu instid0(VALU_DEP_1)
	v_mov_b32_e32 v128, v0
	scratch_load_b64 v[0:1], v128, off offset:-8
	scratch_load_b64 v[2:3], off, off offset:464
	s_wait_loadcnt 0x1
	scratch_store_b64 off, v[0:1], off offset:464
	s_wait_loadcnt 0x0
	scratch_store_b64 v128, v[2:3], off offset:-8
.LBB125_388:
	s_wait_xcnt 0x0
	v_mov_b32_e32 v0, 0
	global_load_b32 v1, v0, s[8:9] offset:228
	s_wait_loadcnt 0x0
	v_cmp_eq_u32_e32 vcc_lo, 58, v1
	s_cbranch_vccnz .LBB125_390
; %bb.389:
	v_lshlrev_b32_e32 v1, 3, v1
	scratch_load_b64 v[2:3], v1, off offset:-8
	scratch_load_b64 v[128:129], off, off offset:456
	s_wait_loadcnt 0x1
	scratch_store_b64 off, v[2:3], off offset:456
	s_wait_loadcnt 0x0
	scratch_store_b64 v1, v[128:129], off offset:-8
.LBB125_390:
	global_load_b32 v0, v0, s[8:9] offset:224
	s_wait_loadcnt 0x0
	v_cmp_eq_u32_e32 vcc_lo, 57, v0
	s_cbranch_vccnz .LBB125_392
; %bb.391:
	s_wait_xcnt 0x0
	v_lshlrev_b32_e32 v0, 3, v0
	s_delay_alu instid0(VALU_DEP_1)
	v_mov_b32_e32 v128, v0
	scratch_load_b64 v[0:1], v128, off offset:-8
	scratch_load_b64 v[2:3], off, off offset:448
	s_wait_loadcnt 0x1
	scratch_store_b64 off, v[0:1], off offset:448
	s_wait_loadcnt 0x0
	scratch_store_b64 v128, v[2:3], off offset:-8
.LBB125_392:
	s_wait_xcnt 0x0
	v_mov_b32_e32 v0, 0
	global_load_b32 v1, v0, s[8:9] offset:220
	s_wait_loadcnt 0x0
	v_cmp_eq_u32_e32 vcc_lo, 56, v1
	s_cbranch_vccnz .LBB125_394
; %bb.393:
	v_lshlrev_b32_e32 v1, 3, v1
	scratch_load_b64 v[2:3], v1, off offset:-8
	scratch_load_b64 v[128:129], off, off offset:440
	s_wait_loadcnt 0x1
	scratch_store_b64 off, v[2:3], off offset:440
	s_wait_loadcnt 0x0
	scratch_store_b64 v1, v[128:129], off offset:-8
.LBB125_394:
	global_load_b32 v0, v0, s[8:9] offset:216
	s_wait_loadcnt 0x0
	v_cmp_eq_u32_e32 vcc_lo, 55, v0
	s_cbranch_vccnz .LBB125_396
; %bb.395:
	s_wait_xcnt 0x0
	v_lshlrev_b32_e32 v0, 3, v0
	s_delay_alu instid0(VALU_DEP_1)
	v_mov_b32_e32 v128, v0
	scratch_load_b64 v[0:1], v128, off offset:-8
	scratch_load_b64 v[2:3], off, off offset:432
	s_wait_loadcnt 0x1
	scratch_store_b64 off, v[0:1], off offset:432
	s_wait_loadcnt 0x0
	scratch_store_b64 v128, v[2:3], off offset:-8
.LBB125_396:
	s_wait_xcnt 0x0
	v_mov_b32_e32 v0, 0
	global_load_b32 v1, v0, s[8:9] offset:212
	s_wait_loadcnt 0x0
	v_cmp_eq_u32_e32 vcc_lo, 54, v1
	s_cbranch_vccnz .LBB125_398
; %bb.397:
	v_lshlrev_b32_e32 v1, 3, v1
	scratch_load_b64 v[2:3], v1, off offset:-8
	scratch_load_b64 v[128:129], off, off offset:424
	s_wait_loadcnt 0x1
	scratch_store_b64 off, v[2:3], off offset:424
	s_wait_loadcnt 0x0
	scratch_store_b64 v1, v[128:129], off offset:-8
.LBB125_398:
	global_load_b32 v0, v0, s[8:9] offset:208
	s_wait_loadcnt 0x0
	v_cmp_eq_u32_e32 vcc_lo, 53, v0
	s_cbranch_vccnz .LBB125_400
; %bb.399:
	s_wait_xcnt 0x0
	v_lshlrev_b32_e32 v0, 3, v0
	s_delay_alu instid0(VALU_DEP_1)
	v_mov_b32_e32 v128, v0
	scratch_load_b64 v[0:1], v128, off offset:-8
	scratch_load_b64 v[2:3], off, off offset:416
	s_wait_loadcnt 0x1
	scratch_store_b64 off, v[0:1], off offset:416
	s_wait_loadcnt 0x0
	scratch_store_b64 v128, v[2:3], off offset:-8
.LBB125_400:
	s_wait_xcnt 0x0
	v_mov_b32_e32 v0, 0
	global_load_b32 v1, v0, s[8:9] offset:204
	s_wait_loadcnt 0x0
	v_cmp_eq_u32_e32 vcc_lo, 52, v1
	s_cbranch_vccnz .LBB125_402
; %bb.401:
	v_lshlrev_b32_e32 v1, 3, v1
	scratch_load_b64 v[2:3], v1, off offset:-8
	scratch_load_b64 v[128:129], off, off offset:408
	s_wait_loadcnt 0x1
	scratch_store_b64 off, v[2:3], off offset:408
	s_wait_loadcnt 0x0
	scratch_store_b64 v1, v[128:129], off offset:-8
.LBB125_402:
	global_load_b32 v0, v0, s[8:9] offset:200
	s_wait_loadcnt 0x0
	v_cmp_eq_u32_e32 vcc_lo, 51, v0
	s_cbranch_vccnz .LBB125_404
; %bb.403:
	s_wait_xcnt 0x0
	v_lshlrev_b32_e32 v0, 3, v0
	s_delay_alu instid0(VALU_DEP_1)
	v_mov_b32_e32 v128, v0
	scratch_load_b64 v[0:1], v128, off offset:-8
	scratch_load_b64 v[2:3], off, off offset:400
	s_wait_loadcnt 0x1
	scratch_store_b64 off, v[0:1], off offset:400
	s_wait_loadcnt 0x0
	scratch_store_b64 v128, v[2:3], off offset:-8
.LBB125_404:
	s_wait_xcnt 0x0
	v_mov_b32_e32 v0, 0
	global_load_b32 v1, v0, s[8:9] offset:196
	s_wait_loadcnt 0x0
	v_cmp_eq_u32_e32 vcc_lo, 50, v1
	s_cbranch_vccnz .LBB125_406
; %bb.405:
	v_lshlrev_b32_e32 v1, 3, v1
	scratch_load_b64 v[2:3], v1, off offset:-8
	scratch_load_b64 v[128:129], off, off offset:392
	s_wait_loadcnt 0x1
	scratch_store_b64 off, v[2:3], off offset:392
	s_wait_loadcnt 0x0
	scratch_store_b64 v1, v[128:129], off offset:-8
.LBB125_406:
	global_load_b32 v0, v0, s[8:9] offset:192
	s_wait_loadcnt 0x0
	v_cmp_eq_u32_e32 vcc_lo, 49, v0
	s_cbranch_vccnz .LBB125_408
; %bb.407:
	s_wait_xcnt 0x0
	v_lshlrev_b32_e32 v0, 3, v0
	s_delay_alu instid0(VALU_DEP_1)
	v_mov_b32_e32 v128, v0
	scratch_load_b64 v[0:1], v128, off offset:-8
	scratch_load_b64 v[2:3], off, off offset:384
	s_wait_loadcnt 0x1
	scratch_store_b64 off, v[0:1], off offset:384
	s_wait_loadcnt 0x0
	scratch_store_b64 v128, v[2:3], off offset:-8
.LBB125_408:
	s_wait_xcnt 0x0
	v_mov_b32_e32 v0, 0
	global_load_b32 v1, v0, s[8:9] offset:188
	s_wait_loadcnt 0x0
	v_cmp_eq_u32_e32 vcc_lo, 48, v1
	s_cbranch_vccnz .LBB125_410
; %bb.409:
	v_lshlrev_b32_e32 v1, 3, v1
	scratch_load_b64 v[2:3], v1, off offset:-8
	scratch_load_b64 v[128:129], off, off offset:376
	s_wait_loadcnt 0x1
	scratch_store_b64 off, v[2:3], off offset:376
	s_wait_loadcnt 0x0
	scratch_store_b64 v1, v[128:129], off offset:-8
.LBB125_410:
	global_load_b32 v0, v0, s[8:9] offset:184
	s_wait_loadcnt 0x0
	v_cmp_eq_u32_e32 vcc_lo, 47, v0
	s_cbranch_vccnz .LBB125_412
; %bb.411:
	s_wait_xcnt 0x0
	v_lshlrev_b32_e32 v0, 3, v0
	s_delay_alu instid0(VALU_DEP_1)
	v_mov_b32_e32 v128, v0
	scratch_load_b64 v[0:1], v128, off offset:-8
	scratch_load_b64 v[2:3], off, off offset:368
	s_wait_loadcnt 0x1
	scratch_store_b64 off, v[0:1], off offset:368
	s_wait_loadcnt 0x0
	scratch_store_b64 v128, v[2:3], off offset:-8
.LBB125_412:
	s_wait_xcnt 0x0
	v_mov_b32_e32 v0, 0
	global_load_b32 v1, v0, s[8:9] offset:180
	s_wait_loadcnt 0x0
	v_cmp_eq_u32_e32 vcc_lo, 46, v1
	s_cbranch_vccnz .LBB125_414
; %bb.413:
	v_lshlrev_b32_e32 v1, 3, v1
	scratch_load_b64 v[2:3], v1, off offset:-8
	scratch_load_b64 v[128:129], off, off offset:360
	s_wait_loadcnt 0x1
	scratch_store_b64 off, v[2:3], off offset:360
	s_wait_loadcnt 0x0
	scratch_store_b64 v1, v[128:129], off offset:-8
.LBB125_414:
	global_load_b32 v0, v0, s[8:9] offset:176
	s_wait_loadcnt 0x0
	v_cmp_eq_u32_e32 vcc_lo, 45, v0
	s_cbranch_vccnz .LBB125_416
; %bb.415:
	s_wait_xcnt 0x0
	v_lshlrev_b32_e32 v0, 3, v0
	s_delay_alu instid0(VALU_DEP_1)
	v_mov_b32_e32 v128, v0
	scratch_load_b64 v[0:1], v128, off offset:-8
	scratch_load_b64 v[2:3], off, off offset:352
	s_wait_loadcnt 0x1
	scratch_store_b64 off, v[0:1], off offset:352
	s_wait_loadcnt 0x0
	scratch_store_b64 v128, v[2:3], off offset:-8
.LBB125_416:
	s_wait_xcnt 0x0
	v_mov_b32_e32 v0, 0
	global_load_b32 v1, v0, s[8:9] offset:172
	s_wait_loadcnt 0x0
	v_cmp_eq_u32_e32 vcc_lo, 44, v1
	s_cbranch_vccnz .LBB125_418
; %bb.417:
	v_lshlrev_b32_e32 v1, 3, v1
	scratch_load_b64 v[2:3], v1, off offset:-8
	scratch_load_b64 v[128:129], off, off offset:344
	s_wait_loadcnt 0x1
	scratch_store_b64 off, v[2:3], off offset:344
	s_wait_loadcnt 0x0
	scratch_store_b64 v1, v[128:129], off offset:-8
.LBB125_418:
	global_load_b32 v0, v0, s[8:9] offset:168
	s_wait_loadcnt 0x0
	v_cmp_eq_u32_e32 vcc_lo, 43, v0
	s_cbranch_vccnz .LBB125_420
; %bb.419:
	s_wait_xcnt 0x0
	v_lshlrev_b32_e32 v0, 3, v0
	s_delay_alu instid0(VALU_DEP_1)
	v_mov_b32_e32 v128, v0
	scratch_load_b64 v[0:1], v128, off offset:-8
	scratch_load_b64 v[2:3], off, off offset:336
	s_wait_loadcnt 0x1
	scratch_store_b64 off, v[0:1], off offset:336
	s_wait_loadcnt 0x0
	scratch_store_b64 v128, v[2:3], off offset:-8
.LBB125_420:
	s_wait_xcnt 0x0
	v_mov_b32_e32 v0, 0
	global_load_b32 v1, v0, s[8:9] offset:164
	s_wait_loadcnt 0x0
	v_cmp_eq_u32_e32 vcc_lo, 42, v1
	s_cbranch_vccnz .LBB125_422
; %bb.421:
	v_lshlrev_b32_e32 v1, 3, v1
	scratch_load_b64 v[2:3], v1, off offset:-8
	scratch_load_b64 v[128:129], off, off offset:328
	s_wait_loadcnt 0x1
	scratch_store_b64 off, v[2:3], off offset:328
	s_wait_loadcnt 0x0
	scratch_store_b64 v1, v[128:129], off offset:-8
.LBB125_422:
	global_load_b32 v0, v0, s[8:9] offset:160
	s_wait_loadcnt 0x0
	v_cmp_eq_u32_e32 vcc_lo, 41, v0
	s_cbranch_vccnz .LBB125_424
; %bb.423:
	s_wait_xcnt 0x0
	v_lshlrev_b32_e32 v0, 3, v0
	s_delay_alu instid0(VALU_DEP_1)
	v_mov_b32_e32 v128, v0
	scratch_load_b64 v[0:1], v128, off offset:-8
	scratch_load_b64 v[2:3], off, off offset:320
	s_wait_loadcnt 0x1
	scratch_store_b64 off, v[0:1], off offset:320
	s_wait_loadcnt 0x0
	scratch_store_b64 v128, v[2:3], off offset:-8
.LBB125_424:
	s_wait_xcnt 0x0
	v_mov_b32_e32 v0, 0
	global_load_b32 v1, v0, s[8:9] offset:156
	s_wait_loadcnt 0x0
	v_cmp_eq_u32_e32 vcc_lo, 40, v1
	s_cbranch_vccnz .LBB125_426
; %bb.425:
	v_lshlrev_b32_e32 v1, 3, v1
	scratch_load_b64 v[2:3], v1, off offset:-8
	scratch_load_b64 v[128:129], off, off offset:312
	s_wait_loadcnt 0x1
	scratch_store_b64 off, v[2:3], off offset:312
	s_wait_loadcnt 0x0
	scratch_store_b64 v1, v[128:129], off offset:-8
.LBB125_426:
	global_load_b32 v0, v0, s[8:9] offset:152
	s_wait_loadcnt 0x0
	v_cmp_eq_u32_e32 vcc_lo, 39, v0
	s_cbranch_vccnz .LBB125_428
; %bb.427:
	s_wait_xcnt 0x0
	v_lshlrev_b32_e32 v0, 3, v0
	s_delay_alu instid0(VALU_DEP_1)
	v_mov_b32_e32 v128, v0
	scratch_load_b64 v[0:1], v128, off offset:-8
	scratch_load_b64 v[2:3], off, off offset:304
	s_wait_loadcnt 0x1
	scratch_store_b64 off, v[0:1], off offset:304
	s_wait_loadcnt 0x0
	scratch_store_b64 v128, v[2:3], off offset:-8
.LBB125_428:
	s_wait_xcnt 0x0
	v_mov_b32_e32 v0, 0
	global_load_b32 v1, v0, s[8:9] offset:148
	s_wait_loadcnt 0x0
	v_cmp_eq_u32_e32 vcc_lo, 38, v1
	s_cbranch_vccnz .LBB125_430
; %bb.429:
	v_lshlrev_b32_e32 v1, 3, v1
	scratch_load_b64 v[2:3], v1, off offset:-8
	scratch_load_b64 v[128:129], off, off offset:296
	s_wait_loadcnt 0x1
	scratch_store_b64 off, v[2:3], off offset:296
	s_wait_loadcnt 0x0
	scratch_store_b64 v1, v[128:129], off offset:-8
.LBB125_430:
	global_load_b32 v0, v0, s[8:9] offset:144
	s_wait_loadcnt 0x0
	v_cmp_eq_u32_e32 vcc_lo, 37, v0
	s_cbranch_vccnz .LBB125_432
; %bb.431:
	s_wait_xcnt 0x0
	v_lshlrev_b32_e32 v0, 3, v0
	s_delay_alu instid0(VALU_DEP_1)
	v_mov_b32_e32 v128, v0
	scratch_load_b64 v[0:1], v128, off offset:-8
	scratch_load_b64 v[2:3], off, off offset:288
	s_wait_loadcnt 0x1
	scratch_store_b64 off, v[0:1], off offset:288
	s_wait_loadcnt 0x0
	scratch_store_b64 v128, v[2:3], off offset:-8
.LBB125_432:
	s_wait_xcnt 0x0
	v_mov_b32_e32 v0, 0
	global_load_b32 v1, v0, s[8:9] offset:140
	s_wait_loadcnt 0x0
	v_cmp_eq_u32_e32 vcc_lo, 36, v1
	s_cbranch_vccnz .LBB125_434
; %bb.433:
	v_lshlrev_b32_e32 v1, 3, v1
	scratch_load_b64 v[2:3], v1, off offset:-8
	scratch_load_b64 v[128:129], off, off offset:280
	s_wait_loadcnt 0x1
	scratch_store_b64 off, v[2:3], off offset:280
	s_wait_loadcnt 0x0
	scratch_store_b64 v1, v[128:129], off offset:-8
.LBB125_434:
	global_load_b32 v0, v0, s[8:9] offset:136
	s_wait_loadcnt 0x0
	v_cmp_eq_u32_e32 vcc_lo, 35, v0
	s_cbranch_vccnz .LBB125_436
; %bb.435:
	s_wait_xcnt 0x0
	v_lshlrev_b32_e32 v0, 3, v0
	s_delay_alu instid0(VALU_DEP_1)
	v_mov_b32_e32 v128, v0
	scratch_load_b64 v[0:1], v128, off offset:-8
	scratch_load_b64 v[2:3], off, off offset:272
	s_wait_loadcnt 0x1
	scratch_store_b64 off, v[0:1], off offset:272
	s_wait_loadcnt 0x0
	scratch_store_b64 v128, v[2:3], off offset:-8
.LBB125_436:
	s_wait_xcnt 0x0
	v_mov_b32_e32 v0, 0
	global_load_b32 v1, v0, s[8:9] offset:132
	s_wait_loadcnt 0x0
	v_cmp_eq_u32_e32 vcc_lo, 34, v1
	s_cbranch_vccnz .LBB125_438
; %bb.437:
	v_lshlrev_b32_e32 v1, 3, v1
	scratch_load_b64 v[2:3], v1, off offset:-8
	scratch_load_b64 v[128:129], off, off offset:264
	s_wait_loadcnt 0x1
	scratch_store_b64 off, v[2:3], off offset:264
	s_wait_loadcnt 0x0
	scratch_store_b64 v1, v[128:129], off offset:-8
.LBB125_438:
	global_load_b32 v0, v0, s[8:9] offset:128
	s_wait_loadcnt 0x0
	v_cmp_eq_u32_e32 vcc_lo, 33, v0
	s_cbranch_vccnz .LBB125_440
; %bb.439:
	s_wait_xcnt 0x0
	v_lshlrev_b32_e32 v0, 3, v0
	s_delay_alu instid0(VALU_DEP_1)
	v_mov_b32_e32 v128, v0
	scratch_load_b64 v[0:1], v128, off offset:-8
	scratch_load_b64 v[2:3], off, off offset:256
	s_wait_loadcnt 0x1
	scratch_store_b64 off, v[0:1], off offset:256
	s_wait_loadcnt 0x0
	scratch_store_b64 v128, v[2:3], off offset:-8
.LBB125_440:
	s_wait_xcnt 0x0
	v_mov_b32_e32 v0, 0
	global_load_b32 v1, v0, s[8:9] offset:124
	s_wait_loadcnt 0x0
	v_cmp_eq_u32_e32 vcc_lo, 32, v1
	s_cbranch_vccnz .LBB125_442
; %bb.441:
	v_lshlrev_b32_e32 v1, 3, v1
	scratch_load_b64 v[2:3], v1, off offset:-8
	scratch_load_b64 v[128:129], off, off offset:248
	s_wait_loadcnt 0x1
	scratch_store_b64 off, v[2:3], off offset:248
	s_wait_loadcnt 0x0
	scratch_store_b64 v1, v[128:129], off offset:-8
.LBB125_442:
	global_load_b32 v0, v0, s[8:9] offset:120
	s_wait_loadcnt 0x0
	v_cmp_eq_u32_e32 vcc_lo, 31, v0
	s_cbranch_vccnz .LBB125_444
; %bb.443:
	s_wait_xcnt 0x0
	v_lshlrev_b32_e32 v0, 3, v0
	s_delay_alu instid0(VALU_DEP_1)
	v_mov_b32_e32 v128, v0
	scratch_load_b64 v[0:1], v128, off offset:-8
	scratch_load_b64 v[2:3], off, off offset:240
	s_wait_loadcnt 0x1
	scratch_store_b64 off, v[0:1], off offset:240
	s_wait_loadcnt 0x0
	scratch_store_b64 v128, v[2:3], off offset:-8
.LBB125_444:
	s_wait_xcnt 0x0
	v_mov_b32_e32 v0, 0
	global_load_b32 v1, v0, s[8:9] offset:116
	s_wait_loadcnt 0x0
	v_cmp_eq_u32_e32 vcc_lo, 30, v1
	s_cbranch_vccnz .LBB125_446
; %bb.445:
	v_lshlrev_b32_e32 v1, 3, v1
	scratch_load_b64 v[2:3], v1, off offset:-8
	scratch_load_b64 v[128:129], off, off offset:232
	s_wait_loadcnt 0x1
	scratch_store_b64 off, v[2:3], off offset:232
	s_wait_loadcnt 0x0
	scratch_store_b64 v1, v[128:129], off offset:-8
.LBB125_446:
	global_load_b32 v0, v0, s[8:9] offset:112
	s_wait_loadcnt 0x0
	v_cmp_eq_u32_e32 vcc_lo, 29, v0
	s_cbranch_vccnz .LBB125_448
; %bb.447:
	s_wait_xcnt 0x0
	v_lshlrev_b32_e32 v0, 3, v0
	s_delay_alu instid0(VALU_DEP_1)
	v_mov_b32_e32 v128, v0
	scratch_load_b64 v[0:1], v128, off offset:-8
	scratch_load_b64 v[2:3], off, off offset:224
	s_wait_loadcnt 0x1
	scratch_store_b64 off, v[0:1], off offset:224
	s_wait_loadcnt 0x0
	scratch_store_b64 v128, v[2:3], off offset:-8
.LBB125_448:
	s_wait_xcnt 0x0
	v_mov_b32_e32 v0, 0
	global_load_b32 v1, v0, s[8:9] offset:108
	s_wait_loadcnt 0x0
	v_cmp_eq_u32_e32 vcc_lo, 28, v1
	s_cbranch_vccnz .LBB125_450
; %bb.449:
	v_lshlrev_b32_e32 v1, 3, v1
	scratch_load_b64 v[2:3], v1, off offset:-8
	scratch_load_b64 v[128:129], off, off offset:216
	s_wait_loadcnt 0x1
	scratch_store_b64 off, v[2:3], off offset:216
	s_wait_loadcnt 0x0
	scratch_store_b64 v1, v[128:129], off offset:-8
.LBB125_450:
	global_load_b32 v0, v0, s[8:9] offset:104
	s_wait_loadcnt 0x0
	v_cmp_eq_u32_e32 vcc_lo, 27, v0
	s_cbranch_vccnz .LBB125_452
; %bb.451:
	s_wait_xcnt 0x0
	v_lshlrev_b32_e32 v0, 3, v0
	s_delay_alu instid0(VALU_DEP_1)
	v_mov_b32_e32 v128, v0
	scratch_load_b64 v[0:1], v128, off offset:-8
	scratch_load_b64 v[2:3], off, off offset:208
	s_wait_loadcnt 0x1
	scratch_store_b64 off, v[0:1], off offset:208
	s_wait_loadcnt 0x0
	scratch_store_b64 v128, v[2:3], off offset:-8
.LBB125_452:
	s_wait_xcnt 0x0
	v_mov_b32_e32 v0, 0
	global_load_b32 v1, v0, s[8:9] offset:100
	s_wait_loadcnt 0x0
	v_cmp_eq_u32_e32 vcc_lo, 26, v1
	s_cbranch_vccnz .LBB125_454
; %bb.453:
	v_lshlrev_b32_e32 v1, 3, v1
	scratch_load_b64 v[2:3], v1, off offset:-8
	scratch_load_b64 v[128:129], off, off offset:200
	s_wait_loadcnt 0x1
	scratch_store_b64 off, v[2:3], off offset:200
	s_wait_loadcnt 0x0
	scratch_store_b64 v1, v[128:129], off offset:-8
.LBB125_454:
	global_load_b32 v0, v0, s[8:9] offset:96
	s_wait_loadcnt 0x0
	v_cmp_eq_u32_e32 vcc_lo, 25, v0
	s_cbranch_vccnz .LBB125_456
; %bb.455:
	s_wait_xcnt 0x0
	v_lshlrev_b32_e32 v0, 3, v0
	s_delay_alu instid0(VALU_DEP_1)
	v_mov_b32_e32 v128, v0
	scratch_load_b64 v[0:1], v128, off offset:-8
	scratch_load_b64 v[2:3], off, off offset:192
	s_wait_loadcnt 0x1
	scratch_store_b64 off, v[0:1], off offset:192
	s_wait_loadcnt 0x0
	scratch_store_b64 v128, v[2:3], off offset:-8
.LBB125_456:
	s_wait_xcnt 0x0
	v_mov_b32_e32 v0, 0
	global_load_b32 v1, v0, s[8:9] offset:92
	s_wait_loadcnt 0x0
	v_cmp_eq_u32_e32 vcc_lo, 24, v1
	s_cbranch_vccnz .LBB125_458
; %bb.457:
	v_lshlrev_b32_e32 v1, 3, v1
	scratch_load_b64 v[2:3], v1, off offset:-8
	scratch_load_b64 v[128:129], off, off offset:184
	s_wait_loadcnt 0x1
	scratch_store_b64 off, v[2:3], off offset:184
	s_wait_loadcnt 0x0
	scratch_store_b64 v1, v[128:129], off offset:-8
.LBB125_458:
	global_load_b32 v0, v0, s[8:9] offset:88
	s_wait_loadcnt 0x0
	v_cmp_eq_u32_e32 vcc_lo, 23, v0
	s_cbranch_vccnz .LBB125_460
; %bb.459:
	s_wait_xcnt 0x0
	v_lshlrev_b32_e32 v0, 3, v0
	s_delay_alu instid0(VALU_DEP_1)
	v_mov_b32_e32 v128, v0
	scratch_load_b64 v[0:1], v128, off offset:-8
	scratch_load_b64 v[2:3], off, off offset:176
	s_wait_loadcnt 0x1
	scratch_store_b64 off, v[0:1], off offset:176
	s_wait_loadcnt 0x0
	scratch_store_b64 v128, v[2:3], off offset:-8
.LBB125_460:
	s_wait_xcnt 0x0
	v_mov_b32_e32 v0, 0
	global_load_b32 v1, v0, s[8:9] offset:84
	s_wait_loadcnt 0x0
	v_cmp_eq_u32_e32 vcc_lo, 22, v1
	s_cbranch_vccnz .LBB125_462
; %bb.461:
	v_lshlrev_b32_e32 v1, 3, v1
	scratch_load_b64 v[2:3], v1, off offset:-8
	scratch_load_b64 v[128:129], off, off offset:168
	s_wait_loadcnt 0x1
	scratch_store_b64 off, v[2:3], off offset:168
	s_wait_loadcnt 0x0
	scratch_store_b64 v1, v[128:129], off offset:-8
.LBB125_462:
	global_load_b32 v0, v0, s[8:9] offset:80
	s_wait_loadcnt 0x0
	v_cmp_eq_u32_e32 vcc_lo, 21, v0
	s_cbranch_vccnz .LBB125_464
; %bb.463:
	s_wait_xcnt 0x0
	v_lshlrev_b32_e32 v0, 3, v0
	s_delay_alu instid0(VALU_DEP_1)
	v_mov_b32_e32 v128, v0
	scratch_load_b64 v[0:1], v128, off offset:-8
	scratch_load_b64 v[2:3], off, off offset:160
	s_wait_loadcnt 0x1
	scratch_store_b64 off, v[0:1], off offset:160
	s_wait_loadcnt 0x0
	scratch_store_b64 v128, v[2:3], off offset:-8
.LBB125_464:
	s_wait_xcnt 0x0
	v_mov_b32_e32 v0, 0
	global_load_b32 v1, v0, s[8:9] offset:76
	s_wait_loadcnt 0x0
	v_cmp_eq_u32_e32 vcc_lo, 20, v1
	s_cbranch_vccnz .LBB125_466
; %bb.465:
	v_lshlrev_b32_e32 v1, 3, v1
	scratch_load_b64 v[2:3], v1, off offset:-8
	scratch_load_b64 v[128:129], off, off offset:152
	s_wait_loadcnt 0x1
	scratch_store_b64 off, v[2:3], off offset:152
	s_wait_loadcnt 0x0
	scratch_store_b64 v1, v[128:129], off offset:-8
.LBB125_466:
	global_load_b32 v0, v0, s[8:9] offset:72
	s_wait_loadcnt 0x0
	v_cmp_eq_u32_e32 vcc_lo, 19, v0
	s_cbranch_vccnz .LBB125_468
; %bb.467:
	s_wait_xcnt 0x0
	v_lshlrev_b32_e32 v0, 3, v0
	s_delay_alu instid0(VALU_DEP_1)
	v_mov_b32_e32 v128, v0
	scratch_load_b64 v[0:1], v128, off offset:-8
	scratch_load_b64 v[2:3], off, off offset:144
	s_wait_loadcnt 0x1
	scratch_store_b64 off, v[0:1], off offset:144
	s_wait_loadcnt 0x0
	scratch_store_b64 v128, v[2:3], off offset:-8
.LBB125_468:
	s_wait_xcnt 0x0
	v_mov_b32_e32 v0, 0
	global_load_b32 v1, v0, s[8:9] offset:68
	s_wait_loadcnt 0x0
	v_cmp_eq_u32_e32 vcc_lo, 18, v1
	s_cbranch_vccnz .LBB125_470
; %bb.469:
	v_lshlrev_b32_e32 v1, 3, v1
	scratch_load_b64 v[2:3], v1, off offset:-8
	scratch_load_b64 v[128:129], off, off offset:136
	s_wait_loadcnt 0x1
	scratch_store_b64 off, v[2:3], off offset:136
	s_wait_loadcnt 0x0
	scratch_store_b64 v1, v[128:129], off offset:-8
.LBB125_470:
	global_load_b32 v0, v0, s[8:9] offset:64
	s_wait_loadcnt 0x0
	v_cmp_eq_u32_e32 vcc_lo, 17, v0
	s_cbranch_vccnz .LBB125_472
; %bb.471:
	s_wait_xcnt 0x0
	v_lshlrev_b32_e32 v0, 3, v0
	s_delay_alu instid0(VALU_DEP_1)
	v_mov_b32_e32 v128, v0
	scratch_load_b64 v[0:1], v128, off offset:-8
	scratch_load_b64 v[2:3], off, off offset:128
	s_wait_loadcnt 0x1
	scratch_store_b64 off, v[0:1], off offset:128
	s_wait_loadcnt 0x0
	scratch_store_b64 v128, v[2:3], off offset:-8
.LBB125_472:
	s_wait_xcnt 0x0
	v_mov_b32_e32 v0, 0
	global_load_b32 v1, v0, s[8:9] offset:60
	s_wait_loadcnt 0x0
	v_cmp_eq_u32_e32 vcc_lo, 16, v1
	s_cbranch_vccnz .LBB125_474
; %bb.473:
	v_lshlrev_b32_e32 v1, 3, v1
	scratch_load_b64 v[2:3], v1, off offset:-8
	scratch_load_b64 v[128:129], off, off offset:120
	s_wait_loadcnt 0x1
	scratch_store_b64 off, v[2:3], off offset:120
	s_wait_loadcnt 0x0
	scratch_store_b64 v1, v[128:129], off offset:-8
.LBB125_474:
	global_load_b32 v0, v0, s[8:9] offset:56
	s_wait_loadcnt 0x0
	v_cmp_eq_u32_e32 vcc_lo, 15, v0
	s_cbranch_vccnz .LBB125_476
; %bb.475:
	s_wait_xcnt 0x0
	v_lshlrev_b32_e32 v0, 3, v0
	s_delay_alu instid0(VALU_DEP_1)
	v_mov_b32_e32 v128, v0
	scratch_load_b64 v[0:1], v128, off offset:-8
	scratch_load_b64 v[2:3], off, off offset:112
	s_wait_loadcnt 0x1
	scratch_store_b64 off, v[0:1], off offset:112
	s_wait_loadcnt 0x0
	scratch_store_b64 v128, v[2:3], off offset:-8
.LBB125_476:
	s_wait_xcnt 0x0
	v_mov_b32_e32 v0, 0
	global_load_b32 v1, v0, s[8:9] offset:52
	s_wait_loadcnt 0x0
	v_cmp_eq_u32_e32 vcc_lo, 14, v1
	s_cbranch_vccnz .LBB125_478
; %bb.477:
	v_lshlrev_b32_e32 v1, 3, v1
	scratch_load_b64 v[2:3], v1, off offset:-8
	scratch_load_b64 v[128:129], off, off offset:104
	s_wait_loadcnt 0x1
	scratch_store_b64 off, v[2:3], off offset:104
	s_wait_loadcnt 0x0
	scratch_store_b64 v1, v[128:129], off offset:-8
.LBB125_478:
	global_load_b32 v0, v0, s[8:9] offset:48
	s_wait_loadcnt 0x0
	v_cmp_eq_u32_e32 vcc_lo, 13, v0
	s_cbranch_vccnz .LBB125_480
; %bb.479:
	s_wait_xcnt 0x0
	v_lshlrev_b32_e32 v0, 3, v0
	s_delay_alu instid0(VALU_DEP_1)
	v_mov_b32_e32 v128, v0
	scratch_load_b64 v[0:1], v128, off offset:-8
	scratch_load_b64 v[2:3], off, off offset:96
	s_wait_loadcnt 0x1
	scratch_store_b64 off, v[0:1], off offset:96
	s_wait_loadcnt 0x0
	scratch_store_b64 v128, v[2:3], off offset:-8
.LBB125_480:
	s_wait_xcnt 0x0
	v_mov_b32_e32 v0, 0
	global_load_b32 v1, v0, s[8:9] offset:44
	s_wait_loadcnt 0x0
	v_cmp_eq_u32_e32 vcc_lo, 12, v1
	s_cbranch_vccnz .LBB125_482
; %bb.481:
	v_lshlrev_b32_e32 v1, 3, v1
	scratch_load_b64 v[2:3], v1, off offset:-8
	scratch_load_b64 v[128:129], off, off offset:88
	s_wait_loadcnt 0x1
	scratch_store_b64 off, v[2:3], off offset:88
	s_wait_loadcnt 0x0
	scratch_store_b64 v1, v[128:129], off offset:-8
.LBB125_482:
	global_load_b32 v0, v0, s[8:9] offset:40
	s_wait_loadcnt 0x0
	v_cmp_eq_u32_e32 vcc_lo, 11, v0
	s_cbranch_vccnz .LBB125_484
; %bb.483:
	s_wait_xcnt 0x0
	v_lshlrev_b32_e32 v0, 3, v0
	s_delay_alu instid0(VALU_DEP_1)
	v_mov_b32_e32 v128, v0
	scratch_load_b64 v[0:1], v128, off offset:-8
	scratch_load_b64 v[2:3], off, off offset:80
	s_wait_loadcnt 0x1
	scratch_store_b64 off, v[0:1], off offset:80
	s_wait_loadcnt 0x0
	scratch_store_b64 v128, v[2:3], off offset:-8
.LBB125_484:
	s_wait_xcnt 0x0
	v_mov_b32_e32 v0, 0
	global_load_b32 v1, v0, s[8:9] offset:36
	s_wait_loadcnt 0x0
	v_cmp_eq_u32_e32 vcc_lo, 10, v1
	s_cbranch_vccnz .LBB125_486
; %bb.485:
	v_lshlrev_b32_e32 v1, 3, v1
	scratch_load_b64 v[2:3], v1, off offset:-8
	scratch_load_b64 v[128:129], off, off offset:72
	s_wait_loadcnt 0x1
	scratch_store_b64 off, v[2:3], off offset:72
	s_wait_loadcnt 0x0
	scratch_store_b64 v1, v[128:129], off offset:-8
.LBB125_486:
	global_load_b32 v0, v0, s[8:9] offset:32
	s_wait_loadcnt 0x0
	v_cmp_eq_u32_e32 vcc_lo, 9, v0
	s_cbranch_vccnz .LBB125_488
; %bb.487:
	s_wait_xcnt 0x0
	v_lshlrev_b32_e32 v0, 3, v0
	s_delay_alu instid0(VALU_DEP_1)
	v_mov_b32_e32 v128, v0
	scratch_load_b64 v[0:1], v128, off offset:-8
	scratch_load_b64 v[2:3], off, off offset:64
	s_wait_loadcnt 0x1
	scratch_store_b64 off, v[0:1], off offset:64
	s_wait_loadcnt 0x0
	scratch_store_b64 v128, v[2:3], off offset:-8
.LBB125_488:
	s_wait_xcnt 0x0
	v_mov_b32_e32 v0, 0
	global_load_b32 v1, v0, s[8:9] offset:28
	s_wait_loadcnt 0x0
	v_cmp_eq_u32_e32 vcc_lo, 8, v1
	s_cbranch_vccnz .LBB125_490
; %bb.489:
	v_lshlrev_b32_e32 v1, 3, v1
	scratch_load_b64 v[2:3], v1, off offset:-8
	scratch_load_b64 v[128:129], off, off offset:56
	s_wait_loadcnt 0x1
	scratch_store_b64 off, v[2:3], off offset:56
	s_wait_loadcnt 0x0
	scratch_store_b64 v1, v[128:129], off offset:-8
.LBB125_490:
	global_load_b32 v0, v0, s[8:9] offset:24
	s_wait_loadcnt 0x0
	v_cmp_eq_u32_e32 vcc_lo, 7, v0
	s_cbranch_vccnz .LBB125_492
; %bb.491:
	s_wait_xcnt 0x0
	v_lshlrev_b32_e32 v0, 3, v0
	s_delay_alu instid0(VALU_DEP_1)
	v_mov_b32_e32 v128, v0
	scratch_load_b64 v[0:1], v128, off offset:-8
	scratch_load_b64 v[2:3], off, off offset:48
	s_wait_loadcnt 0x1
	scratch_store_b64 off, v[0:1], off offset:48
	s_wait_loadcnt 0x0
	scratch_store_b64 v128, v[2:3], off offset:-8
.LBB125_492:
	s_wait_xcnt 0x0
	v_mov_b32_e32 v0, 0
	global_load_b32 v1, v0, s[8:9] offset:20
	s_wait_loadcnt 0x0
	v_cmp_eq_u32_e32 vcc_lo, 6, v1
	s_cbranch_vccnz .LBB125_494
; %bb.493:
	v_lshlrev_b32_e32 v1, 3, v1
	scratch_load_b64 v[2:3], v1, off offset:-8
	scratch_load_b64 v[128:129], off, off offset:40
	s_wait_loadcnt 0x1
	scratch_store_b64 off, v[2:3], off offset:40
	s_wait_loadcnt 0x0
	scratch_store_b64 v1, v[128:129], off offset:-8
.LBB125_494:
	global_load_b32 v0, v0, s[8:9] offset:16
	s_wait_loadcnt 0x0
	v_cmp_eq_u32_e32 vcc_lo, 5, v0
	s_cbranch_vccnz .LBB125_496
; %bb.495:
	s_wait_xcnt 0x0
	v_lshlrev_b32_e32 v0, 3, v0
	s_delay_alu instid0(VALU_DEP_1)
	v_mov_b32_e32 v128, v0
	scratch_load_b64 v[0:1], v128, off offset:-8
	scratch_load_b64 v[2:3], off, off offset:32
	s_wait_loadcnt 0x1
	scratch_store_b64 off, v[0:1], off offset:32
	s_wait_loadcnt 0x0
	scratch_store_b64 v128, v[2:3], off offset:-8
.LBB125_496:
	s_wait_xcnt 0x0
	v_mov_b32_e32 v0, 0
	global_load_b32 v1, v0, s[8:9] offset:12
	s_wait_loadcnt 0x0
	v_cmp_eq_u32_e32 vcc_lo, 4, v1
	s_cbranch_vccnz .LBB125_498
; %bb.497:
	v_lshlrev_b32_e32 v1, 3, v1
	scratch_load_b64 v[2:3], v1, off offset:-8
	scratch_load_b64 v[128:129], off, off offset:24
	s_wait_loadcnt 0x1
	scratch_store_b64 off, v[2:3], off offset:24
	s_wait_loadcnt 0x0
	scratch_store_b64 v1, v[128:129], off offset:-8
.LBB125_498:
	global_load_b32 v0, v0, s[8:9] offset:8
	s_wait_loadcnt 0x0
	v_cmp_eq_u32_e32 vcc_lo, 3, v0
	s_cbranch_vccnz .LBB125_500
; %bb.499:
	s_wait_xcnt 0x0
	v_lshlrev_b32_e32 v0, 3, v0
	s_delay_alu instid0(VALU_DEP_1)
	v_mov_b32_e32 v128, v0
	scratch_load_b64 v[0:1], v128, off offset:-8
	scratch_load_b64 v[2:3], off, off offset:16
	s_wait_loadcnt 0x1
	scratch_store_b64 off, v[0:1], off offset:16
	s_wait_loadcnt 0x0
	scratch_store_b64 v128, v[2:3], off offset:-8
.LBB125_500:
	s_wait_xcnt 0x0
	v_mov_b32_e32 v0, 0
	global_load_b32 v1, v0, s[8:9] offset:4
	s_wait_loadcnt 0x0
	v_cmp_eq_u32_e32 vcc_lo, 2, v1
	s_cbranch_vccnz .LBB125_502
; %bb.501:
	v_lshlrev_b32_e32 v1, 3, v1
	scratch_load_b64 v[2:3], v1, off offset:-8
	scratch_load_b64 v[128:129], off, off offset:8
	s_wait_loadcnt 0x1
	scratch_store_b64 off, v[2:3], off offset:8
	s_wait_loadcnt 0x0
	scratch_store_b64 v1, v[128:129], off offset:-8
.LBB125_502:
	global_load_b32 v0, v0, s[8:9]
	scratch_load_b64 v[138:139], off, off
	s_wait_loadcnt 0x1
	v_cmp_eq_u32_e32 vcc_lo, 1, v0
	s_cbranch_vccnz .LBB125_504
; %bb.503:
	s_wait_xcnt 0x1
	v_lshlrev_b32_e32 v0, 3, v0
	s_delay_alu instid0(VALU_DEP_1)
	v_mov_b32_e32 v2, v0
	scratch_load_b64 v[0:1], v2, off offset:-8
	s_wait_loadcnt 0x0
	scratch_store_b64 off, v[0:1], off
	scratch_store_b64 v2, v[138:139], off offset:-8
	scratch_load_b64 v[138:139], off, off
.LBB125_504:
	s_wait_loadcnt 0x0
	flat_store_b64 v[4:5], v[138:139]
	scratch_load_b64 v[4:5], off, off offset:8
	v_lshl_add_u64 v[186:187], v[8:9], 3, s[2:3]
	v_lshl_add_u64 v[184:185], v[10:11], 3, s[2:3]
	;; [unrolled: 1-line block ×60, first 2 shown]
	s_wait_loadcnt 0x0
	flat_store_b64 v[6:7], v[4:5]
	scratch_load_b64 v[4:5], off, off offset:16
	s_wait_loadcnt 0x0
	flat_store_b64 v[186:187], v[4:5]
	scratch_load_b64 v[4:5], off, off offset:24
	;; [unrolled: 3-line block ×60, first 2 shown]
	s_wait_loadcnt 0x0
	flat_store_b64 v[0:1], v[2:3]
	s_sendmsg sendmsg(MSG_DEALLOC_VGPRS)
	s_endpgm
	.section	.rodata,"a",@progbits
	.p2align	6, 0x0
	.amdhsa_kernel _ZN9rocsolver6v33100L18getri_kernel_smallILi62EdPKPdEEvT1_iilPiilS6_bb
		.amdhsa_group_segment_fixed_size 1000
		.amdhsa_private_segment_fixed_size 512
		.amdhsa_kernarg_size 60
		.amdhsa_user_sgpr_count 2
		.amdhsa_user_sgpr_dispatch_ptr 0
		.amdhsa_user_sgpr_queue_ptr 0
		.amdhsa_user_sgpr_kernarg_segment_ptr 1
		.amdhsa_user_sgpr_dispatch_id 0
		.amdhsa_user_sgpr_kernarg_preload_length 0
		.amdhsa_user_sgpr_kernarg_preload_offset 0
		.amdhsa_user_sgpr_private_segment_size 0
		.amdhsa_wavefront_size32 1
		.amdhsa_uses_dynamic_stack 0
		.amdhsa_enable_private_segment 1
		.amdhsa_system_sgpr_workgroup_id_x 1
		.amdhsa_system_sgpr_workgroup_id_y 0
		.amdhsa_system_sgpr_workgroup_id_z 0
		.amdhsa_system_sgpr_workgroup_info 0
		.amdhsa_system_vgpr_workitem_id 0
		.amdhsa_next_free_vgpr 188
		.amdhsa_next_free_sgpr 19
		.amdhsa_named_barrier_count 0
		.amdhsa_reserve_vcc 1
		.amdhsa_float_round_mode_32 0
		.amdhsa_float_round_mode_16_64 0
		.amdhsa_float_denorm_mode_32 3
		.amdhsa_float_denorm_mode_16_64 3
		.amdhsa_fp16_overflow 0
		.amdhsa_memory_ordered 1
		.amdhsa_forward_progress 1
		.amdhsa_inst_pref_size 255
		.amdhsa_round_robin_scheduling 0
		.amdhsa_exception_fp_ieee_invalid_op 0
		.amdhsa_exception_fp_denorm_src 0
		.amdhsa_exception_fp_ieee_div_zero 0
		.amdhsa_exception_fp_ieee_overflow 0
		.amdhsa_exception_fp_ieee_underflow 0
		.amdhsa_exception_fp_ieee_inexact 0
		.amdhsa_exception_int_div_zero 0
	.end_amdhsa_kernel
	.section	.text._ZN9rocsolver6v33100L18getri_kernel_smallILi62EdPKPdEEvT1_iilPiilS6_bb,"axG",@progbits,_ZN9rocsolver6v33100L18getri_kernel_smallILi62EdPKPdEEvT1_iilPiilS6_bb,comdat
.Lfunc_end125:
	.size	_ZN9rocsolver6v33100L18getri_kernel_smallILi62EdPKPdEEvT1_iilPiilS6_bb, .Lfunc_end125-_ZN9rocsolver6v33100L18getri_kernel_smallILi62EdPKPdEEvT1_iilPiilS6_bb
                                        ; -- End function
	.set _ZN9rocsolver6v33100L18getri_kernel_smallILi62EdPKPdEEvT1_iilPiilS6_bb.num_vgpr, 188
	.set _ZN9rocsolver6v33100L18getri_kernel_smallILi62EdPKPdEEvT1_iilPiilS6_bb.num_agpr, 0
	.set _ZN9rocsolver6v33100L18getri_kernel_smallILi62EdPKPdEEvT1_iilPiilS6_bb.numbered_sgpr, 19
	.set _ZN9rocsolver6v33100L18getri_kernel_smallILi62EdPKPdEEvT1_iilPiilS6_bb.num_named_barrier, 0
	.set _ZN9rocsolver6v33100L18getri_kernel_smallILi62EdPKPdEEvT1_iilPiilS6_bb.private_seg_size, 512
	.set _ZN9rocsolver6v33100L18getri_kernel_smallILi62EdPKPdEEvT1_iilPiilS6_bb.uses_vcc, 1
	.set _ZN9rocsolver6v33100L18getri_kernel_smallILi62EdPKPdEEvT1_iilPiilS6_bb.uses_flat_scratch, 1
	.set _ZN9rocsolver6v33100L18getri_kernel_smallILi62EdPKPdEEvT1_iilPiilS6_bb.has_dyn_sized_stack, 0
	.set _ZN9rocsolver6v33100L18getri_kernel_smallILi62EdPKPdEEvT1_iilPiilS6_bb.has_recursion, 0
	.set _ZN9rocsolver6v33100L18getri_kernel_smallILi62EdPKPdEEvT1_iilPiilS6_bb.has_indirect_call, 0
	.section	.AMDGPU.csdata,"",@progbits
; Kernel info:
; codeLenInByte = 66948
; TotalNumSgprs: 21
; NumVgprs: 188
; ScratchSize: 512
; MemoryBound: 0
; FloatMode: 240
; IeeeMode: 1
; LDSByteSize: 1000 bytes/workgroup (compile time only)
; SGPRBlocks: 0
; VGPRBlocks: 11
; NumSGPRsForWavesPerEU: 21
; NumVGPRsForWavesPerEU: 188
; NamedBarCnt: 0
; Occupancy: 5
; WaveLimiterHint : 1
; COMPUTE_PGM_RSRC2:SCRATCH_EN: 1
; COMPUTE_PGM_RSRC2:USER_SGPR: 2
; COMPUTE_PGM_RSRC2:TRAP_HANDLER: 0
; COMPUTE_PGM_RSRC2:TGID_X_EN: 1
; COMPUTE_PGM_RSRC2:TGID_Y_EN: 0
; COMPUTE_PGM_RSRC2:TGID_Z_EN: 0
; COMPUTE_PGM_RSRC2:TIDIG_COMP_CNT: 0
	.section	.text._ZN9rocsolver6v33100L18getri_kernel_smallILi63EdPKPdEEvT1_iilPiilS6_bb,"axG",@progbits,_ZN9rocsolver6v33100L18getri_kernel_smallILi63EdPKPdEEvT1_iilPiilS6_bb,comdat
	.globl	_ZN9rocsolver6v33100L18getri_kernel_smallILi63EdPKPdEEvT1_iilPiilS6_bb ; -- Begin function _ZN9rocsolver6v33100L18getri_kernel_smallILi63EdPKPdEEvT1_iilPiilS6_bb
	.p2align	8
	.type	_ZN9rocsolver6v33100L18getri_kernel_smallILi63EdPKPdEEvT1_iilPiilS6_bb,@function
_ZN9rocsolver6v33100L18getri_kernel_smallILi63EdPKPdEEvT1_iilPiilS6_bb: ; @_ZN9rocsolver6v33100L18getri_kernel_smallILi63EdPKPdEEvT1_iilPiilS6_bb
; %bb.0:
	s_mov_b32 s2, exec_lo
	v_cmpx_gt_u32_e32 63, v0
	s_cbranch_execz .LBB126_262
; %bb.1:
	s_clause 0x1
	s_load_b32 s13, s[0:1], 0x38
	s_load_b64 s[2:3], s[0:1], 0x0
	s_getreg_b32 s6, hwreg(HW_REG_IB_STS2, 6, 4)
	s_wait_kmcnt 0x0
	s_bitcmp1_b32 s13, 8
	s_cselect_b32 s12, -1, 0
	s_bfe_u32 s4, ttmp6, 0x4000c
	s_and_b32 s5, ttmp6, 15
	s_add_co_i32 s4, s4, 1
	s_delay_alu instid0(SALU_CYCLE_1) | instskip(NEXT) | instid1(SALU_CYCLE_1)
	s_mul_i32 s4, ttmp9, s4
	s_add_co_i32 s5, s5, s4
	s_cmp_eq_u32 s6, 0
	s_cselect_b32 s10, ttmp9, s5
	s_load_b128 s[4:7], s[0:1], 0x28
	s_ashr_i32 s11, s10, 31
	s_delay_alu instid0(SALU_CYCLE_1) | instskip(NEXT) | instid1(SALU_CYCLE_1)
	s_lshl_b64 s[8:9], s[10:11], 3
	s_add_nc_u64 s[2:3], s[2:3], s[8:9]
	s_bfe_u32 s8, s13, 0x10008
	s_load_b64 s[2:3], s[2:3], 0x0
	s_cmp_eq_u32 s8, 0
                                        ; implicit-def: $sgpr8_sgpr9
	s_cbranch_scc1 .LBB126_3
; %bb.2:
	s_load_b96 s[16:18], s[0:1], 0x18
	s_wait_kmcnt 0x0
	s_mul_u64 s[4:5], s[4:5], s[10:11]
	s_delay_alu instid0(SALU_CYCLE_1) | instskip(SKIP_4) | instid1(SALU_CYCLE_1)
	s_lshl_b64 s[4:5], s[4:5], 2
	s_ashr_i32 s9, s18, 31
	s_mov_b32 s8, s18
	s_add_nc_u64 s[4:5], s[16:17], s[4:5]
	s_lshl_b64 s[8:9], s[8:9], 2
	s_add_nc_u64 s[8:9], s[4:5], s[8:9]
.LBB126_3:
	s_wait_kmcnt 0x0
	s_clause 0x1
	s_load_b64 s[4:5], s[0:1], 0x8
	s_load_b32 s13, s[0:1], 0x38
	v_dual_mov_b32 v3, 0 :: v_dual_lshlrev_b32 v2, 3, v0
	s_wait_kmcnt 0x0
	s_ashr_i32 s1, s4, 31
	s_mov_b32 s0, s4
	s_delay_alu instid0(SALU_CYCLE_1) | instskip(NEXT) | instid1(SALU_CYCLE_1)
	s_lshl_b64 s[0:1], s[0:1], 3
	s_add_nc_u64 s[2:3], s[2:3], s[0:1]
	s_ashr_i32 s1, s5, 31
	flat_load_b64 v[8:9], v0, s[2:3] scale_offset
	v_add_nc_u64_e32 v[4:5], s[2:3], v[2:3]
	s_mov_b32 s0, s5
	s_bitcmp0_b32 s13, 0
	s_delay_alu instid0(VALU_DEP_1)
	v_lshl_add_u64 v[6:7], s[0:1], 3, v[4:5]
	s_mov_b32 s1, -1
	s_wait_loadcnt_dscnt 0x0
	scratch_store_b64 off, v[8:9], off
	flat_load_b64 v[10:11], v[6:7]
	s_wait_xcnt 0x1
	v_add3_u32 v8, s5, s5, v0
	s_wait_loadcnt_dscnt 0x0
	scratch_store_b64 off, v[10:11], off offset:8
	flat_load_b64 v[12:13], v8, s[2:3] scale_offset
	s_wait_xcnt 0x1
	v_add_nc_u32_e32 v10, s5, v8
	s_wait_loadcnt_dscnt 0x0
	scratch_store_b64 off, v[12:13], off offset:16
	flat_load_b64 v[14:15], v10, s[2:3] scale_offset
	s_wait_xcnt 0x1
	v_add_nc_u32_e32 v12, s5, v10
	;; [unrolled: 5-line block ×60, first 2 shown]
	s_wait_loadcnt_dscnt 0x0
	scratch_store_b64 off, v[130:131], off offset:488
	flat_load_b64 v[130:131], v128, s[2:3] scale_offset
	s_wait_loadcnt_dscnt 0x0
	scratch_store_b64 off, v[130:131], off offset:496
	s_cbranch_scc1 .LBB126_260
; %bb.4:
	v_cmp_eq_u32_e64 s0, 0, v0
	s_wait_xcnt 0x0
	s_and_saveexec_b32 s1, s0
; %bb.5:
	v_mov_b32_e32 v1, 0
	ds_store_b32 v1, v1 offset:504
; %bb.6:
	s_or_b32 exec_lo, exec_lo, s1
	s_wait_storecnt_dscnt 0x0
	s_barrier_signal -1
	s_barrier_wait -1
	scratch_load_b64 v[130:131], v0, off scale_offset
	s_mov_b32 s4, exec_lo
	s_wait_loadcnt 0x0
	v_cmpx_eq_f64_e32 0, v[130:131]
	s_cbranch_execz .LBB126_10
; %bb.7:
	v_mov_b32_e32 v1, 0
	s_mov_b32 s5, 0
	ds_load_b32 v3, v1 offset:504
	s_wait_dscnt 0x0
	v_readfirstlane_b32 s1, v3
	v_add_nc_u32_e32 v3, 1, v0
	s_cmp_eq_u32 s1, 0
	s_delay_alu instid0(VALU_DEP_1) | instskip(SKIP_1) | instid1(SALU_CYCLE_1)
	v_cmp_gt_i32_e32 vcc_lo, s1, v3
	s_cselect_b32 s13, -1, 0
	s_or_b32 s13, s13, vcc_lo
	s_delay_alu instid0(SALU_CYCLE_1)
	s_and_b32 exec_lo, exec_lo, s13
	s_cbranch_execz .LBB126_10
; %bb.8:
	v_mov_b32_e32 v9, s1
.LBB126_9:                              ; =>This Inner Loop Header: Depth=1
	ds_cmpstore_rtn_b32 v9, v1, v3, v9 offset:504
	s_wait_dscnt 0x0
	v_cmp_ne_u32_e32 vcc_lo, 0, v9
	v_cmp_le_i32_e64 s1, v9, v3
	s_and_b32 s1, vcc_lo, s1
	s_delay_alu instid0(SALU_CYCLE_1) | instskip(NEXT) | instid1(SALU_CYCLE_1)
	s_and_b32 s1, exec_lo, s1
	s_or_b32 s5, s1, s5
	s_delay_alu instid0(SALU_CYCLE_1)
	s_and_not1_b32 exec_lo, exec_lo, s5
	s_cbranch_execnz .LBB126_9
.LBB126_10:
	s_or_b32 exec_lo, exec_lo, s4
	v_mov_b32_e32 v1, 0
	s_barrier_signal -1
	s_barrier_wait -1
	ds_load_b32 v3, v1 offset:504
	s_and_saveexec_b32 s1, s0
	s_cbranch_execz .LBB126_12
; %bb.11:
	s_lshl_b64 s[4:5], s[10:11], 2
	s_delay_alu instid0(SALU_CYCLE_1)
	s_add_nc_u64 s[4:5], s[6:7], s[4:5]
	s_wait_dscnt 0x0
	global_store_b32 v1, v3, s[4:5]
.LBB126_12:
	s_wait_xcnt 0x0
	s_or_b32 exec_lo, exec_lo, s1
	s_wait_dscnt 0x0
	v_cmp_ne_u32_e32 vcc_lo, 0, v3
	s_mov_b32 s1, 0
	s_cbranch_vccnz .LBB126_260
; %bb.13:
	v_lshl_add_u32 v3, v0, 3, 0
	v_or_b32_e32 v1, 0x200, v2
	scratch_load_b64 v[130:131], v3, off
	s_wait_loadcnt 0x0
	v_div_scale_f64 v[132:133], null, v[130:131], v[130:131], 1.0
	v_div_scale_f64 v[138:139], vcc_lo, 1.0, v[130:131], 1.0
	s_delay_alu instid0(VALU_DEP_2) | instskip(SKIP_1) | instid1(TRANS32_DEP_1)
	v_rcp_f64_e32 v[134:135], v[132:133]
	v_nop
	v_fma_f64 v[136:137], -v[132:133], v[134:135], 1.0
	s_delay_alu instid0(VALU_DEP_1) | instskip(NEXT) | instid1(VALU_DEP_1)
	v_fmac_f64_e32 v[134:135], v[134:135], v[136:137]
	v_fma_f64 v[136:137], -v[132:133], v[134:135], 1.0
	s_delay_alu instid0(VALU_DEP_1) | instskip(NEXT) | instid1(VALU_DEP_1)
	v_fmac_f64_e32 v[134:135], v[134:135], v[136:137]
	v_mul_f64_e32 v[136:137], v[138:139], v[134:135]
	s_delay_alu instid0(VALU_DEP_1) | instskip(NEXT) | instid1(VALU_DEP_1)
	v_fma_f64 v[132:133], -v[132:133], v[136:137], v[138:139]
	v_div_fmas_f64 v[132:133], v[132:133], v[134:135], v[136:137]
	s_delay_alu instid0(VALU_DEP_1)
	v_div_fixup_f64 v[130:131], v[132:133], v[130:131], 1.0
	scratch_store_b64 v3, v[130:131], off
	scratch_load_b64 v[132:133], off, off offset:8
	s_wait_xcnt 0x1
	v_xor_b32_e32 v131, 0x80000000, v131
	s_wait_loadcnt 0x0
	ds_store_2addr_stride64_b64 v2, v[130:131], v[132:133] offset1:1
	s_wait_storecnt_dscnt 0x0
	s_barrier_signal -1
	s_barrier_wait -1
	s_wait_xcnt 0x0
	s_and_saveexec_b32 s1, s0
	s_cbranch_execz .LBB126_15
; %bb.14:
	scratch_load_b64 v[130:131], v3, off
	ds_load_b64 v[132:133], v1
	s_wait_loadcnt_dscnt 0x0
	v_fma_f64 v[130:131], v[130:131], v[132:133], 0
	v_mov_b32_e32 v9, 0
	ds_load_b64 v[134:135], v9 offset:8
	s_wait_dscnt 0x0
	v_mul_f64_e32 v[130:131], v[130:131], v[134:135]
	scratch_store_b64 off, v[130:131], off offset:8
.LBB126_15:
	s_wait_xcnt 0x0
	s_or_b32 exec_lo, exec_lo, s1
	s_wait_storecnt 0x0
	s_barrier_signal -1
	s_barrier_wait -1
	scratch_load_b64 v[130:131], off, off offset:16
	s_mov_b32 s1, exec_lo
	s_wait_loadcnt 0x0
	ds_store_b64 v1, v[130:131]
	s_wait_dscnt 0x0
	s_barrier_signal -1
	s_barrier_wait -1
	v_cmpx_gt_u32_e32 2, v0
	s_cbranch_execz .LBB126_19
; %bb.16:
	scratch_load_b64 v[130:131], v3, off
	ds_load_b64 v[132:133], v1
	s_wait_loadcnt_dscnt 0x0
	v_fma_f64 v[130:131], v[130:131], v[132:133], 0
	s_and_saveexec_b32 s4, s0
	s_cbranch_execz .LBB126_18
; %bb.17:
	scratch_load_b64 v[132:133], off, off offset:8
	v_mov_b32_e32 v3, 0
	ds_load_b64 v[134:135], v3 offset:520
	s_wait_loadcnt_dscnt 0x0
	v_fmac_f64_e32 v[130:131], v[132:133], v[134:135]
.LBB126_18:
	s_or_b32 exec_lo, exec_lo, s4
	v_mov_b32_e32 v3, 0
	ds_load_b64 v[132:133], v3 offset:16
	s_wait_dscnt 0x0
	v_mul_f64_e32 v[130:131], v[130:131], v[132:133]
	scratch_store_b64 off, v[130:131], off offset:16
.LBB126_19:
	s_wait_xcnt 0x0
	s_or_b32 exec_lo, exec_lo, s1
	s_wait_storecnt 0x0
	s_barrier_signal -1
	s_barrier_wait -1
	scratch_load_b64 v[130:131], off, off offset:24
	v_add_nc_u32_e32 v3, -1, v0
	s_mov_b32 s0, exec_lo
	s_wait_loadcnt 0x0
	ds_store_b64 v1, v[130:131]
	s_wait_dscnt 0x0
	s_barrier_signal -1
	s_barrier_wait -1
	v_cmpx_gt_u32_e32 3, v0
	s_cbranch_execz .LBB126_23
; %bb.20:
	v_mov_b64_e32 v[130:131], 0
	v_dual_add_nc_u32 v9, -1, v0 :: v_dual_mov_b32 v13, v2
	v_or_b32_e32 v11, 0x200, v2
	s_mov_b32 s1, 0
.LBB126_21:                             ; =>This Inner Loop Header: Depth=1
	scratch_load_b64 v[132:133], v13, off
	ds_load_b64 v[134:135], v11
	v_dual_add_nc_u32 v9, 1, v9 :: v_dual_add_nc_u32 v11, 8, v11
	s_wait_xcnt 0x0
	v_add_nc_u32_e32 v13, 8, v13
	s_delay_alu instid0(VALU_DEP_2)
	v_cmp_lt_u32_e32 vcc_lo, 1, v9
	s_or_b32 s1, vcc_lo, s1
	s_wait_loadcnt_dscnt 0x0
	v_fmac_f64_e32 v[130:131], v[132:133], v[134:135]
	s_and_not1_b32 exec_lo, exec_lo, s1
	s_cbranch_execnz .LBB126_21
; %bb.22:
	s_or_b32 exec_lo, exec_lo, s1
	v_mov_b32_e32 v9, 0
	ds_load_b64 v[132:133], v9 offset:24
	s_wait_dscnt 0x0
	v_mul_f64_e32 v[130:131], v[130:131], v[132:133]
	scratch_store_b64 off, v[130:131], off offset:24
.LBB126_23:
	s_wait_xcnt 0x0
	s_or_b32 exec_lo, exec_lo, s0
	s_wait_storecnt 0x0
	s_barrier_signal -1
	s_barrier_wait -1
	scratch_load_b64 v[130:131], off, off offset:32
	s_mov_b32 s0, exec_lo
	s_wait_loadcnt 0x0
	ds_store_b64 v1, v[130:131]
	s_wait_dscnt 0x0
	s_barrier_signal -1
	s_barrier_wait -1
	v_cmpx_gt_u32_e32 4, v0
	s_cbranch_execz .LBB126_27
; %bb.24:
	v_mov_b64_e32 v[130:131], 0
	v_dual_add_nc_u32 v9, -1, v0 :: v_dual_mov_b32 v13, v2
	v_or_b32_e32 v11, 0x200, v2
	s_mov_b32 s1, 0
.LBB126_25:                             ; =>This Inner Loop Header: Depth=1
	scratch_load_b64 v[132:133], v13, off
	ds_load_b64 v[134:135], v11
	v_dual_add_nc_u32 v9, 1, v9 :: v_dual_add_nc_u32 v11, 8, v11
	s_wait_xcnt 0x0
	v_add_nc_u32_e32 v13, 8, v13
	s_delay_alu instid0(VALU_DEP_2)
	v_cmp_lt_u32_e32 vcc_lo, 2, v9
	s_or_b32 s1, vcc_lo, s1
	s_wait_loadcnt_dscnt 0x0
	v_fmac_f64_e32 v[130:131], v[132:133], v[134:135]
	s_and_not1_b32 exec_lo, exec_lo, s1
	s_cbranch_execnz .LBB126_25
; %bb.26:
	s_or_b32 exec_lo, exec_lo, s1
	v_mov_b32_e32 v9, 0
	ds_load_b64 v[132:133], v9 offset:32
	s_wait_dscnt 0x0
	v_mul_f64_e32 v[130:131], v[130:131], v[132:133]
	scratch_store_b64 off, v[130:131], off offset:32
.LBB126_27:
	s_wait_xcnt 0x0
	s_or_b32 exec_lo, exec_lo, s0
	s_wait_storecnt 0x0
	s_barrier_signal -1
	s_barrier_wait -1
	scratch_load_b64 v[130:131], off, off offset:40
	;; [unrolled: 40-line block ×20, first 2 shown]
	s_mov_b32 s0, exec_lo
	s_wait_loadcnt 0x0
	ds_store_b64 v1, v[130:131]
	s_wait_dscnt 0x0
	s_barrier_signal -1
	s_barrier_wait -1
	v_cmpx_gt_u32_e32 23, v0
	s_cbranch_execz .LBB126_103
; %bb.100:
	v_mov_b64_e32 v[130:131], 0
	v_dual_add_nc_u32 v9, -1, v0 :: v_dual_mov_b32 v13, v2
	v_or_b32_e32 v11, 0x200, v2
	s_mov_b32 s1, 0
.LBB126_101:                            ; =>This Inner Loop Header: Depth=1
	scratch_load_b64 v[132:133], v13, off
	ds_load_b64 v[134:135], v11
	v_dual_add_nc_u32 v9, 1, v9 :: v_dual_add_nc_u32 v11, 8, v11
	s_wait_xcnt 0x0
	v_add_nc_u32_e32 v13, 8, v13
	s_delay_alu instid0(VALU_DEP_2)
	v_cmp_lt_u32_e32 vcc_lo, 21, v9
	s_or_b32 s1, vcc_lo, s1
	s_wait_loadcnt_dscnt 0x0
	v_fmac_f64_e32 v[130:131], v[132:133], v[134:135]
	s_and_not1_b32 exec_lo, exec_lo, s1
	s_cbranch_execnz .LBB126_101
; %bb.102:
	s_or_b32 exec_lo, exec_lo, s1
	v_mov_b32_e32 v9, 0
	ds_load_b64 v[132:133], v9 offset:184
	s_wait_dscnt 0x0
	v_mul_f64_e32 v[130:131], v[130:131], v[132:133]
	scratch_store_b64 off, v[130:131], off offset:184
.LBB126_103:
	s_wait_xcnt 0x0
	s_or_b32 exec_lo, exec_lo, s0
	s_wait_storecnt 0x0
	s_barrier_signal -1
	s_barrier_wait -1
	scratch_load_b64 v[130:131], off, off offset:192
	s_mov_b32 s0, exec_lo
	s_wait_loadcnt 0x0
	ds_store_b64 v1, v[130:131]
	s_wait_dscnt 0x0
	s_barrier_signal -1
	s_barrier_wait -1
	v_cmpx_gt_u32_e32 24, v0
	s_cbranch_execz .LBB126_107
; %bb.104:
	v_mov_b64_e32 v[130:131], 0
	v_dual_add_nc_u32 v9, -1, v0 :: v_dual_mov_b32 v13, v2
	v_or_b32_e32 v11, 0x200, v2
	s_mov_b32 s1, 0
.LBB126_105:                            ; =>This Inner Loop Header: Depth=1
	scratch_load_b64 v[132:133], v13, off
	ds_load_b64 v[134:135], v11
	v_dual_add_nc_u32 v9, 1, v9 :: v_dual_add_nc_u32 v11, 8, v11
	s_wait_xcnt 0x0
	v_add_nc_u32_e32 v13, 8, v13
	s_delay_alu instid0(VALU_DEP_2)
	v_cmp_lt_u32_e32 vcc_lo, 22, v9
	s_or_b32 s1, vcc_lo, s1
	s_wait_loadcnt_dscnt 0x0
	v_fmac_f64_e32 v[130:131], v[132:133], v[134:135]
	s_and_not1_b32 exec_lo, exec_lo, s1
	s_cbranch_execnz .LBB126_105
; %bb.106:
	s_or_b32 exec_lo, exec_lo, s1
	v_mov_b32_e32 v9, 0
	ds_load_b64 v[132:133], v9 offset:192
	s_wait_dscnt 0x0
	v_mul_f64_e32 v[130:131], v[130:131], v[132:133]
	scratch_store_b64 off, v[130:131], off offset:192
.LBB126_107:
	s_wait_xcnt 0x0
	s_or_b32 exec_lo, exec_lo, s0
	s_wait_storecnt 0x0
	s_barrier_signal -1
	s_barrier_wait -1
	scratch_load_b64 v[130:131], off, off offset:200
	;; [unrolled: 40-line block ×39, first 2 shown]
	s_mov_b32 s0, exec_lo
	s_wait_loadcnt 0x0
	ds_store_b64 v1, v[130:131]
	s_wait_dscnt 0x0
	s_barrier_signal -1
	s_barrier_wait -1
	v_cmpx_ne_u32_e32 62, v0
	s_cbranch_execz .LBB126_259
; %bb.256:
	v_mov_b64_e32 v[130:131], 0
	s_mov_b32 s1, 0
.LBB126_257:                            ; =>This Inner Loop Header: Depth=1
	scratch_load_b64 v[132:133], v2, off
	ds_load_b64 v[134:135], v1
	v_dual_add_nc_u32 v3, 1, v3 :: v_dual_add_nc_u32 v1, 8, v1
	s_wait_xcnt 0x0
	v_add_nc_u32_e32 v2, 8, v2
	s_delay_alu instid0(VALU_DEP_2)
	v_cmp_lt_u32_e32 vcc_lo, 60, v3
	s_or_b32 s1, vcc_lo, s1
	s_wait_loadcnt_dscnt 0x0
	v_fmac_f64_e32 v[130:131], v[132:133], v[134:135]
	s_and_not1_b32 exec_lo, exec_lo, s1
	s_cbranch_execnz .LBB126_257
; %bb.258:
	s_or_b32 exec_lo, exec_lo, s1
	v_mov_b32_e32 v1, 0
	ds_load_b64 v[2:3], v1 offset:496
	s_wait_dscnt 0x0
	v_mul_f64_e32 v[2:3], v[130:131], v[2:3]
	scratch_store_b64 off, v[2:3], off offset:496
.LBB126_259:
	s_wait_xcnt 0x0
	s_or_b32 exec_lo, exec_lo, s0
	s_mov_b32 s1, -1
	s_wait_storecnt 0x0
	s_barrier_signal -1
	s_barrier_wait -1
.LBB126_260:
	s_and_b32 vcc_lo, exec_lo, s1
	s_cbranch_vccz .LBB126_262
; %bb.261:
	v_mov_b32_e32 v1, 0
	s_lshl_b64 s[0:1], s[10:11], 2
	s_delay_alu instid0(SALU_CYCLE_1)
	s_add_nc_u64 s[0:1], s[6:7], s[0:1]
	global_load_b32 v1, v1, s[0:1]
	s_wait_loadcnt 0x0
	v_cmp_ne_u32_e32 vcc_lo, 0, v1
	s_cbranch_vccz .LBB126_263
.LBB126_262:
	s_sendmsg sendmsg(MSG_DEALLOC_VGPRS)
	s_endpgm
.LBB126_263:
	s_wait_xcnt 0x0
	v_lshl_or_b32 v1, v0, 3, 0x200
	s_mov_b32 s0, exec_lo
	v_cmpx_eq_u32_e32 62, v0
	s_cbranch_execz .LBB126_265
; %bb.264:
	scratch_load_b64 v[2:3], off, off offset:488
	v_mov_b64_e32 v[130:131], 0
	scratch_store_b64 off, v[130:131], off offset:488
	s_wait_loadcnt 0x0
	ds_store_b64 v1, v[2:3]
.LBB126_265:
	s_wait_xcnt 0x0
	s_or_b32 exec_lo, exec_lo, s0
	s_wait_storecnt_dscnt 0x0
	s_barrier_signal -1
	s_barrier_wait -1
	scratch_load_b128 v[130:133], off, off offset:488
	v_mov_b32_e32 v2, 0
	s_mov_b32 s0, exec_lo
	ds_load_b64 v[134:135], v2 offset:1008
	s_wait_loadcnt_dscnt 0x0
	v_fma_f64 v[132:133], v[132:133], v[134:135], 0
	s_delay_alu instid0(VALU_DEP_1)
	v_add_f64_e64 v[130:131], v[130:131], -v[132:133]
	scratch_store_b64 off, v[130:131], off offset:488
	s_wait_xcnt 0x0
	v_cmpx_lt_u32_e32 60, v0
	s_cbranch_execz .LBB126_267
; %bb.266:
	scratch_load_b64 v[130:131], off, off offset:480
	v_mov_b64_e32 v[132:133], 0
	scratch_store_b64 off, v[132:133], off offset:480
	s_wait_loadcnt 0x0
	ds_store_b64 v1, v[130:131]
.LBB126_267:
	s_wait_xcnt 0x0
	s_or_b32 exec_lo, exec_lo, s0
	s_wait_storecnt_dscnt 0x0
	s_barrier_signal -1
	s_barrier_wait -1
	s_clause 0x1
	scratch_load_b128 v[130:133], off, off offset:480
	scratch_load_b64 v[138:139], off, off offset:496
	ds_load_2addr_b64 v[134:137], v2 offset0:125 offset1:126
	s_mov_b32 s0, exec_lo
	s_wait_loadcnt_dscnt 0x100
	v_fma_f64 v[2:3], v[132:133], v[134:135], 0
	s_wait_loadcnt 0x0
	s_delay_alu instid0(VALU_DEP_1) | instskip(NEXT) | instid1(VALU_DEP_1)
	v_fmac_f64_e32 v[2:3], v[138:139], v[136:137]
	v_add_f64_e64 v[2:3], v[130:131], -v[2:3]
	scratch_store_b64 off, v[2:3], off offset:480
	s_wait_xcnt 0x0
	v_cmpx_lt_u32_e32 59, v0
	s_cbranch_execz .LBB126_269
; %bb.268:
	scratch_load_b64 v[2:3], off, off offset:472
	v_mov_b64_e32 v[130:131], 0
	scratch_store_b64 off, v[130:131], off offset:472
	s_wait_loadcnt 0x0
	ds_store_b64 v1, v[2:3]
.LBB126_269:
	s_wait_xcnt 0x0
	s_or_b32 exec_lo, exec_lo, s0
	s_wait_storecnt_dscnt 0x0
	s_barrier_signal -1
	s_barrier_wait -1
	s_clause 0x1
	scratch_load_b128 v[130:133], off, off offset:472
	scratch_load_b128 v[134:137], off, off offset:488
	v_mov_b32_e32 v2, 0
	ds_load_b128 v[138:141], v2 offset:992
	ds_load_b64 v[142:143], v2 offset:1008
	s_mov_b32 s0, exec_lo
	s_wait_loadcnt_dscnt 0x101
	v_fma_f64 v[132:133], v[132:133], v[138:139], 0
	s_wait_loadcnt 0x0
	s_delay_alu instid0(VALU_DEP_1) | instskip(SKIP_1) | instid1(VALU_DEP_1)
	v_fmac_f64_e32 v[132:133], v[134:135], v[140:141]
	s_wait_dscnt 0x0
	v_fmac_f64_e32 v[132:133], v[136:137], v[142:143]
	s_delay_alu instid0(VALU_DEP_1)
	v_add_f64_e64 v[130:131], v[130:131], -v[132:133]
	scratch_store_b64 off, v[130:131], off offset:472
	s_wait_xcnt 0x0
	v_cmpx_lt_u32_e32 58, v0
	s_cbranch_execz .LBB126_271
; %bb.270:
	scratch_load_b64 v[130:131], off, off offset:464
	v_mov_b64_e32 v[132:133], 0
	scratch_store_b64 off, v[132:133], off offset:464
	s_wait_loadcnt 0x0
	ds_store_b64 v1, v[130:131]
.LBB126_271:
	s_wait_xcnt 0x0
	s_or_b32 exec_lo, exec_lo, s0
	s_wait_storecnt_dscnt 0x0
	s_barrier_signal -1
	s_barrier_wait -1
	s_clause 0x2
	scratch_load_b128 v[130:133], off, off offset:464
	scratch_load_b128 v[134:137], off, off offset:480
	scratch_load_b64 v[146:147], off, off offset:496
	ds_load_2addr_b64 v[138:141], v2 offset0:123 offset1:124
	ds_load_2addr_b64 v[142:145], v2 offset0:125 offset1:126
	s_mov_b32 s0, exec_lo
	s_wait_loadcnt_dscnt 0x201
	v_fma_f64 v[2:3], v[132:133], v[138:139], 0
	s_wait_loadcnt 0x1
	s_delay_alu instid0(VALU_DEP_1) | instskip(SKIP_1) | instid1(VALU_DEP_1)
	v_fmac_f64_e32 v[2:3], v[134:135], v[140:141]
	s_wait_dscnt 0x0
	v_fmac_f64_e32 v[2:3], v[136:137], v[142:143]
	s_wait_loadcnt 0x0
	s_delay_alu instid0(VALU_DEP_1) | instskip(NEXT) | instid1(VALU_DEP_1)
	v_fmac_f64_e32 v[2:3], v[146:147], v[144:145]
	v_add_f64_e64 v[2:3], v[130:131], -v[2:3]
	scratch_store_b64 off, v[2:3], off offset:464
	s_wait_xcnt 0x0
	v_cmpx_lt_u32_e32 57, v0
	s_cbranch_execz .LBB126_273
; %bb.272:
	scratch_load_b64 v[2:3], off, off offset:456
	v_mov_b64_e32 v[130:131], 0
	scratch_store_b64 off, v[130:131], off offset:456
	s_wait_loadcnt 0x0
	ds_store_b64 v1, v[2:3]
.LBB126_273:
	s_wait_xcnt 0x0
	s_or_b32 exec_lo, exec_lo, s0
	s_wait_storecnt_dscnt 0x0
	s_barrier_signal -1
	s_barrier_wait -1
	s_clause 0x2
	scratch_load_b128 v[130:133], off, off offset:456
	scratch_load_b128 v[134:137], off, off offset:472
	;; [unrolled: 1-line block ×3, first 2 shown]
	v_mov_b32_e32 v2, 0
	ds_load_b128 v[142:145], v2 offset:976
	ds_load_b128 v[146:149], v2 offset:992
	s_mov_b32 s0, exec_lo
	s_wait_loadcnt_dscnt 0x201
	v_fma_f64 v[132:133], v[132:133], v[142:143], 0
	s_wait_loadcnt 0x1
	s_delay_alu instid0(VALU_DEP_1) | instskip(SKIP_4) | instid1(VALU_DEP_1)
	v_fmac_f64_e32 v[132:133], v[134:135], v[144:145]
	ds_load_b64 v[134:135], v2 offset:1008
	s_wait_dscnt 0x1
	v_fmac_f64_e32 v[132:133], v[136:137], v[146:147]
	s_wait_loadcnt 0x0
	v_fmac_f64_e32 v[132:133], v[138:139], v[148:149]
	s_wait_dscnt 0x0
	s_delay_alu instid0(VALU_DEP_1) | instskip(NEXT) | instid1(VALU_DEP_1)
	v_fmac_f64_e32 v[132:133], v[140:141], v[134:135]
	v_add_f64_e64 v[130:131], v[130:131], -v[132:133]
	scratch_store_b64 off, v[130:131], off offset:456
	s_wait_xcnt 0x0
	v_cmpx_lt_u32_e32 56, v0
	s_cbranch_execz .LBB126_275
; %bb.274:
	scratch_load_b64 v[130:131], off, off offset:448
	v_mov_b64_e32 v[132:133], 0
	scratch_store_b64 off, v[132:133], off offset:448
	s_wait_loadcnt 0x0
	ds_store_b64 v1, v[130:131]
.LBB126_275:
	s_wait_xcnt 0x0
	s_or_b32 exec_lo, exec_lo, s0
	s_wait_storecnt_dscnt 0x0
	s_barrier_signal -1
	s_barrier_wait -1
	s_clause 0x3
	scratch_load_b128 v[130:133], off, off offset:448
	scratch_load_b128 v[134:137], off, off offset:464
	;; [unrolled: 1-line block ×3, first 2 shown]
	scratch_load_b64 v[150:151], off, off offset:496
	ds_load_2addr_b64 v[142:145], v2 offset0:121 offset1:122
	ds_load_2addr_b64 v[146:149], v2 offset0:123 offset1:124
	s_mov_b32 s0, exec_lo
	s_wait_loadcnt_dscnt 0x301
	v_fma_f64 v[142:143], v[132:133], v[142:143], 0
	s_wait_loadcnt 0x2
	s_delay_alu instid0(VALU_DEP_1) | instskip(SKIP_4) | instid1(VALU_DEP_1)
	v_fmac_f64_e32 v[142:143], v[134:135], v[144:145]
	ds_load_2addr_b64 v[132:135], v2 offset0:125 offset1:126
	s_wait_dscnt 0x1
	v_fmac_f64_e32 v[142:143], v[136:137], v[146:147]
	s_wait_loadcnt 0x1
	v_fmac_f64_e32 v[142:143], v[138:139], v[148:149]
	s_wait_dscnt 0x0
	s_delay_alu instid0(VALU_DEP_1) | instskip(SKIP_1) | instid1(VALU_DEP_1)
	v_fmac_f64_e32 v[142:143], v[140:141], v[132:133]
	s_wait_loadcnt 0x0
	v_fmac_f64_e32 v[142:143], v[150:151], v[134:135]
	s_delay_alu instid0(VALU_DEP_1)
	v_add_f64_e64 v[2:3], v[130:131], -v[142:143]
	scratch_store_b64 off, v[2:3], off offset:448
	s_wait_xcnt 0x0
	v_cmpx_lt_u32_e32 55, v0
	s_cbranch_execz .LBB126_277
; %bb.276:
	scratch_load_b64 v[2:3], off, off offset:440
	v_mov_b64_e32 v[130:131], 0
	scratch_store_b64 off, v[130:131], off offset:440
	s_wait_loadcnt 0x0
	ds_store_b64 v1, v[2:3]
.LBB126_277:
	s_wait_xcnt 0x0
	s_or_b32 exec_lo, exec_lo, s0
	s_wait_storecnt_dscnt 0x0
	s_barrier_signal -1
	s_barrier_wait -1
	s_clause 0x3
	scratch_load_b128 v[130:133], off, off offset:440
	scratch_load_b128 v[134:137], off, off offset:456
	;; [unrolled: 1-line block ×4, first 2 shown]
	v_mov_b32_e32 v2, 0
	ds_load_b128 v[146:149], v2 offset:960
	ds_load_b128 v[150:153], v2 offset:976
	s_mov_b32 s0, exec_lo
	s_wait_loadcnt_dscnt 0x301
	v_fma_f64 v[146:147], v[132:133], v[146:147], 0
	s_wait_loadcnt 0x2
	s_delay_alu instid0(VALU_DEP_1) | instskip(SKIP_1) | instid1(VALU_DEP_1)
	v_fmac_f64_e32 v[146:147], v[134:135], v[148:149]
	s_wait_dscnt 0x0
	v_fmac_f64_e32 v[146:147], v[136:137], v[150:151]
	ds_load_b128 v[132:135], v2 offset:992
	ds_load_b64 v[136:137], v2 offset:1008
	s_wait_loadcnt 0x1
	v_fmac_f64_e32 v[146:147], v[138:139], v[152:153]
	s_wait_dscnt 0x1
	s_delay_alu instid0(VALU_DEP_1) | instskip(SKIP_1) | instid1(VALU_DEP_1)
	v_fmac_f64_e32 v[146:147], v[140:141], v[132:133]
	s_wait_loadcnt 0x0
	v_fmac_f64_e32 v[146:147], v[142:143], v[134:135]
	s_wait_dscnt 0x0
	s_delay_alu instid0(VALU_DEP_1) | instskip(NEXT) | instid1(VALU_DEP_1)
	v_fmac_f64_e32 v[146:147], v[144:145], v[136:137]
	v_add_f64_e64 v[130:131], v[130:131], -v[146:147]
	scratch_store_b64 off, v[130:131], off offset:440
	s_wait_xcnt 0x0
	v_cmpx_lt_u32_e32 54, v0
	s_cbranch_execz .LBB126_279
; %bb.278:
	scratch_load_b64 v[130:131], off, off offset:432
	v_mov_b64_e32 v[132:133], 0
	scratch_store_b64 off, v[132:133], off offset:432
	s_wait_loadcnt 0x0
	ds_store_b64 v1, v[130:131]
.LBB126_279:
	s_wait_xcnt 0x0
	s_or_b32 exec_lo, exec_lo, s0
	s_wait_storecnt_dscnt 0x0
	s_barrier_signal -1
	s_barrier_wait -1
	s_clause 0x4
	scratch_load_b128 v[130:133], off, off offset:432
	scratch_load_b128 v[134:137], off, off offset:448
	;; [unrolled: 1-line block ×4, first 2 shown]
	scratch_load_b64 v[154:155], off, off offset:496
	ds_load_2addr_b64 v[146:149], v2 offset0:119 offset1:120
	ds_load_2addr_b64 v[150:153], v2 offset0:121 offset1:122
	s_mov_b32 s0, exec_lo
	s_wait_loadcnt_dscnt 0x401
	v_fma_f64 v[146:147], v[132:133], v[146:147], 0
	s_wait_loadcnt 0x3
	s_delay_alu instid0(VALU_DEP_1) | instskip(SKIP_1) | instid1(VALU_DEP_1)
	v_fmac_f64_e32 v[146:147], v[134:135], v[148:149]
	s_wait_dscnt 0x0
	v_fmac_f64_e32 v[146:147], v[136:137], v[150:151]
	s_wait_loadcnt 0x2
	s_delay_alu instid0(VALU_DEP_1)
	v_fmac_f64_e32 v[146:147], v[138:139], v[152:153]
	ds_load_2addr_b64 v[132:135], v2 offset0:123 offset1:124
	ds_load_2addr_b64 v[136:139], v2 offset0:125 offset1:126
	s_wait_dscnt 0x1
	v_fmac_f64_e32 v[146:147], v[140:141], v[132:133]
	s_wait_loadcnt 0x1
	s_delay_alu instid0(VALU_DEP_1) | instskip(SKIP_1) | instid1(VALU_DEP_1)
	v_fmac_f64_e32 v[146:147], v[142:143], v[134:135]
	s_wait_dscnt 0x0
	v_fmac_f64_e32 v[146:147], v[144:145], v[136:137]
	s_wait_loadcnt 0x0
	s_delay_alu instid0(VALU_DEP_1) | instskip(NEXT) | instid1(VALU_DEP_1)
	v_fmac_f64_e32 v[146:147], v[154:155], v[138:139]
	v_add_f64_e64 v[2:3], v[130:131], -v[146:147]
	scratch_store_b64 off, v[2:3], off offset:432
	s_wait_xcnt 0x0
	v_cmpx_lt_u32_e32 53, v0
	s_cbranch_execz .LBB126_281
; %bb.280:
	scratch_load_b64 v[2:3], off, off offset:424
	v_mov_b64_e32 v[130:131], 0
	scratch_store_b64 off, v[130:131], off offset:424
	s_wait_loadcnt 0x0
	ds_store_b64 v1, v[2:3]
.LBB126_281:
	s_wait_xcnt 0x0
	s_or_b32 exec_lo, exec_lo, s0
	s_wait_storecnt_dscnt 0x0
	s_barrier_signal -1
	s_barrier_wait -1
	s_clause 0x4
	scratch_load_b128 v[130:133], off, off offset:424
	scratch_load_b128 v[134:137], off, off offset:440
	;; [unrolled: 1-line block ×5, first 2 shown]
	v_mov_b32_e32 v2, 0
	ds_load_b128 v[150:153], v2 offset:944
	ds_load_b128 v[154:157], v2 offset:960
	s_mov_b32 s0, exec_lo
	s_wait_loadcnt_dscnt 0x401
	v_fma_f64 v[150:151], v[132:133], v[150:151], 0
	s_wait_loadcnt 0x3
	s_delay_alu instid0(VALU_DEP_1) | instskip(SKIP_1) | instid1(VALU_DEP_1)
	v_fmac_f64_e32 v[150:151], v[134:135], v[152:153]
	s_wait_dscnt 0x0
	v_fmac_f64_e32 v[150:151], v[136:137], v[154:155]
	s_wait_loadcnt 0x2
	s_delay_alu instid0(VALU_DEP_1)
	v_fmac_f64_e32 v[150:151], v[138:139], v[156:157]
	ds_load_b128 v[132:135], v2 offset:976
	ds_load_b128 v[136:139], v2 offset:992
	s_wait_dscnt 0x1
	v_fmac_f64_e32 v[150:151], v[140:141], v[132:133]
	ds_load_b64 v[132:133], v2 offset:1008
	s_wait_loadcnt 0x1
	v_fmac_f64_e32 v[150:151], v[142:143], v[134:135]
	s_wait_dscnt 0x1
	s_delay_alu instid0(VALU_DEP_1) | instskip(SKIP_1) | instid1(VALU_DEP_1)
	v_fmac_f64_e32 v[150:151], v[144:145], v[136:137]
	s_wait_loadcnt 0x0
	v_fmac_f64_e32 v[150:151], v[146:147], v[138:139]
	s_wait_dscnt 0x0
	s_delay_alu instid0(VALU_DEP_1) | instskip(NEXT) | instid1(VALU_DEP_1)
	v_fmac_f64_e32 v[150:151], v[148:149], v[132:133]
	v_add_f64_e64 v[130:131], v[130:131], -v[150:151]
	scratch_store_b64 off, v[130:131], off offset:424
	s_wait_xcnt 0x0
	v_cmpx_lt_u32_e32 52, v0
	s_cbranch_execz .LBB126_283
; %bb.282:
	scratch_load_b64 v[130:131], off, off offset:416
	v_mov_b64_e32 v[132:133], 0
	scratch_store_b64 off, v[132:133], off offset:416
	s_wait_loadcnt 0x0
	ds_store_b64 v1, v[130:131]
.LBB126_283:
	s_wait_xcnt 0x0
	s_or_b32 exec_lo, exec_lo, s0
	s_wait_storecnt_dscnt 0x0
	s_barrier_signal -1
	s_barrier_wait -1
	s_clause 0x5
	scratch_load_b128 v[130:133], off, off offset:416
	scratch_load_b128 v[134:137], off, off offset:432
	;; [unrolled: 1-line block ×5, first 2 shown]
	scratch_load_b64 v[158:159], off, off offset:496
	ds_load_2addr_b64 v[150:153], v2 offset0:117 offset1:118
	ds_load_2addr_b64 v[154:157], v2 offset0:119 offset1:120
	s_mov_b32 s0, exec_lo
	s_wait_loadcnt_dscnt 0x501
	v_fma_f64 v[150:151], v[132:133], v[150:151], 0
	s_wait_loadcnt 0x4
	s_delay_alu instid0(VALU_DEP_1) | instskip(SKIP_1) | instid1(VALU_DEP_1)
	v_fmac_f64_e32 v[150:151], v[134:135], v[152:153]
	s_wait_dscnt 0x0
	v_fmac_f64_e32 v[150:151], v[136:137], v[154:155]
	s_wait_loadcnt 0x3
	s_delay_alu instid0(VALU_DEP_1)
	v_fmac_f64_e32 v[150:151], v[138:139], v[156:157]
	ds_load_2addr_b64 v[132:135], v2 offset0:121 offset1:122
	ds_load_2addr_b64 v[136:139], v2 offset0:123 offset1:124
	s_wait_dscnt 0x1
	v_fmac_f64_e32 v[150:151], v[140:141], v[132:133]
	s_wait_loadcnt 0x2
	s_delay_alu instid0(VALU_DEP_1) | instskip(SKIP_4) | instid1(VALU_DEP_1)
	v_fmac_f64_e32 v[150:151], v[142:143], v[134:135]
	ds_load_2addr_b64 v[132:135], v2 offset0:125 offset1:126
	s_wait_dscnt 0x1
	v_fmac_f64_e32 v[150:151], v[144:145], v[136:137]
	s_wait_loadcnt 0x1
	v_fmac_f64_e32 v[150:151], v[146:147], v[138:139]
	s_wait_dscnt 0x0
	s_delay_alu instid0(VALU_DEP_1) | instskip(SKIP_1) | instid1(VALU_DEP_1)
	v_fmac_f64_e32 v[150:151], v[148:149], v[132:133]
	s_wait_loadcnt 0x0
	v_fmac_f64_e32 v[150:151], v[158:159], v[134:135]
	s_delay_alu instid0(VALU_DEP_1)
	v_add_f64_e64 v[2:3], v[130:131], -v[150:151]
	scratch_store_b64 off, v[2:3], off offset:416
	s_wait_xcnt 0x0
	v_cmpx_lt_u32_e32 51, v0
	s_cbranch_execz .LBB126_285
; %bb.284:
	scratch_load_b64 v[2:3], off, off offset:408
	v_mov_b64_e32 v[130:131], 0
	scratch_store_b64 off, v[130:131], off offset:408
	s_wait_loadcnt 0x0
	ds_store_b64 v1, v[2:3]
.LBB126_285:
	s_wait_xcnt 0x0
	s_or_b32 exec_lo, exec_lo, s0
	s_wait_storecnt_dscnt 0x0
	s_barrier_signal -1
	s_barrier_wait -1
	s_clause 0x5
	scratch_load_b128 v[130:133], off, off offset:408
	scratch_load_b128 v[134:137], off, off offset:424
	;; [unrolled: 1-line block ×6, first 2 shown]
	v_mov_b32_e32 v2, 0
	ds_load_b128 v[154:157], v2 offset:928
	ds_load_b128 v[158:161], v2 offset:944
	s_mov_b32 s0, exec_lo
	s_wait_loadcnt_dscnt 0x501
	v_fma_f64 v[154:155], v[132:133], v[154:155], 0
	s_wait_loadcnt 0x4
	s_delay_alu instid0(VALU_DEP_1) | instskip(SKIP_1) | instid1(VALU_DEP_1)
	v_fmac_f64_e32 v[154:155], v[134:135], v[156:157]
	s_wait_dscnt 0x0
	v_fmac_f64_e32 v[154:155], v[136:137], v[158:159]
	s_wait_loadcnt 0x3
	s_delay_alu instid0(VALU_DEP_1)
	v_fmac_f64_e32 v[154:155], v[138:139], v[160:161]
	ds_load_b128 v[132:135], v2 offset:960
	ds_load_b128 v[136:139], v2 offset:976
	s_wait_dscnt 0x1
	v_fmac_f64_e32 v[154:155], v[140:141], v[132:133]
	s_wait_loadcnt 0x2
	s_delay_alu instid0(VALU_DEP_1) | instskip(SKIP_1) | instid1(VALU_DEP_1)
	v_fmac_f64_e32 v[154:155], v[142:143], v[134:135]
	s_wait_dscnt 0x0
	v_fmac_f64_e32 v[154:155], v[144:145], v[136:137]
	ds_load_b128 v[132:135], v2 offset:992
	ds_load_b64 v[136:137], v2 offset:1008
	s_wait_loadcnt 0x1
	v_fmac_f64_e32 v[154:155], v[146:147], v[138:139]
	s_wait_dscnt 0x1
	s_delay_alu instid0(VALU_DEP_1) | instskip(SKIP_1) | instid1(VALU_DEP_1)
	v_fmac_f64_e32 v[154:155], v[148:149], v[132:133]
	s_wait_loadcnt 0x0
	v_fmac_f64_e32 v[154:155], v[150:151], v[134:135]
	s_wait_dscnt 0x0
	s_delay_alu instid0(VALU_DEP_1) | instskip(NEXT) | instid1(VALU_DEP_1)
	v_fmac_f64_e32 v[154:155], v[152:153], v[136:137]
	v_add_f64_e64 v[130:131], v[130:131], -v[154:155]
	scratch_store_b64 off, v[130:131], off offset:408
	s_wait_xcnt 0x0
	v_cmpx_lt_u32_e32 50, v0
	s_cbranch_execz .LBB126_287
; %bb.286:
	scratch_load_b64 v[130:131], off, off offset:400
	v_mov_b64_e32 v[132:133], 0
	scratch_store_b64 off, v[132:133], off offset:400
	s_wait_loadcnt 0x0
	ds_store_b64 v1, v[130:131]
.LBB126_287:
	s_wait_xcnt 0x0
	s_or_b32 exec_lo, exec_lo, s0
	s_wait_storecnt_dscnt 0x0
	s_barrier_signal -1
	s_barrier_wait -1
	s_clause 0x5
	scratch_load_b128 v[130:133], off, off offset:400
	scratch_load_b128 v[134:137], off, off offset:416
	;; [unrolled: 1-line block ×6, first 2 shown]
	ds_load_2addr_b64 v[154:157], v2 offset0:115 offset1:116
	ds_load_2addr_b64 v[158:161], v2 offset0:117 offset1:118
	s_mov_b32 s0, exec_lo
	s_wait_loadcnt_dscnt 0x501
	v_fma_f64 v[154:155], v[132:133], v[154:155], 0
	s_wait_loadcnt 0x4
	s_delay_alu instid0(VALU_DEP_1) | instskip(SKIP_4) | instid1(VALU_DEP_1)
	v_fmac_f64_e32 v[154:155], v[134:135], v[156:157]
	scratch_load_b64 v[156:157], off, off offset:496
	s_wait_dscnt 0x0
	v_fmac_f64_e32 v[154:155], v[136:137], v[158:159]
	s_wait_loadcnt 0x4
	v_fmac_f64_e32 v[154:155], v[138:139], v[160:161]
	ds_load_2addr_b64 v[132:135], v2 offset0:119 offset1:120
	ds_load_2addr_b64 v[136:139], v2 offset0:121 offset1:122
	s_wait_dscnt 0x1
	v_fmac_f64_e32 v[154:155], v[140:141], v[132:133]
	s_wait_loadcnt 0x3
	s_delay_alu instid0(VALU_DEP_1) | instskip(SKIP_1) | instid1(VALU_DEP_1)
	v_fmac_f64_e32 v[154:155], v[142:143], v[134:135]
	s_wait_dscnt 0x0
	v_fmac_f64_e32 v[154:155], v[144:145], v[136:137]
	s_wait_loadcnt 0x2
	s_delay_alu instid0(VALU_DEP_1)
	v_fmac_f64_e32 v[154:155], v[146:147], v[138:139]
	ds_load_2addr_b64 v[132:135], v2 offset0:123 offset1:124
	ds_load_2addr_b64 v[136:139], v2 offset0:125 offset1:126
	s_wait_dscnt 0x1
	v_fmac_f64_e32 v[154:155], v[148:149], v[132:133]
	s_wait_loadcnt 0x1
	s_delay_alu instid0(VALU_DEP_1) | instskip(SKIP_1) | instid1(VALU_DEP_1)
	v_fmac_f64_e32 v[154:155], v[150:151], v[134:135]
	s_wait_dscnt 0x0
	v_fmac_f64_e32 v[154:155], v[152:153], v[136:137]
	s_wait_loadcnt 0x0
	s_delay_alu instid0(VALU_DEP_1) | instskip(NEXT) | instid1(VALU_DEP_1)
	v_fmac_f64_e32 v[154:155], v[156:157], v[138:139]
	v_add_f64_e64 v[2:3], v[130:131], -v[154:155]
	scratch_store_b64 off, v[2:3], off offset:400
	s_wait_xcnt 0x0
	v_cmpx_lt_u32_e32 49, v0
	s_cbranch_execz .LBB126_289
; %bb.288:
	scratch_load_b64 v[2:3], off, off offset:392
	v_mov_b64_e32 v[130:131], 0
	scratch_store_b64 off, v[130:131], off offset:392
	s_wait_loadcnt 0x0
	ds_store_b64 v1, v[2:3]
.LBB126_289:
	s_wait_xcnt 0x0
	s_or_b32 exec_lo, exec_lo, s0
	s_wait_storecnt_dscnt 0x0
	s_barrier_signal -1
	s_barrier_wait -1
	s_clause 0x5
	scratch_load_b128 v[130:133], off, off offset:392
	scratch_load_b128 v[134:137], off, off offset:408
	;; [unrolled: 1-line block ×6, first 2 shown]
	v_mov_b32_e32 v2, 0
	ds_load_b128 v[154:157], v2 offset:912
	ds_load_b128 v[158:161], v2 offset:928
	s_mov_b32 s0, exec_lo
	s_wait_loadcnt_dscnt 0x501
	v_fma_f64 v[162:163], v[132:133], v[154:155], 0
	s_wait_loadcnt 0x4
	s_delay_alu instid0(VALU_DEP_1) | instskip(SKIP_4) | instid1(VALU_DEP_1)
	v_fmac_f64_e32 v[162:163], v[134:135], v[156:157]
	scratch_load_b128 v[132:135], off, off offset:488
	s_wait_dscnt 0x0
	v_fmac_f64_e32 v[162:163], v[136:137], v[158:159]
	s_wait_loadcnt 0x4
	v_fmac_f64_e32 v[162:163], v[138:139], v[160:161]
	ds_load_b128 v[136:139], v2 offset:944
	ds_load_b128 v[154:157], v2 offset:960
	s_wait_dscnt 0x1
	v_fmac_f64_e32 v[162:163], v[140:141], v[136:137]
	s_wait_loadcnt 0x3
	s_delay_alu instid0(VALU_DEP_1)
	v_fmac_f64_e32 v[162:163], v[142:143], v[138:139]
	ds_load_b128 v[136:139], v2 offset:976
	ds_load_b128 v[140:143], v2 offset:992
	s_wait_dscnt 0x2
	v_fmac_f64_e32 v[162:163], v[144:145], v[154:155]
	s_wait_loadcnt 0x2
	s_delay_alu instid0(VALU_DEP_1) | instskip(SKIP_1) | instid1(VALU_DEP_1)
	v_fmac_f64_e32 v[162:163], v[146:147], v[156:157]
	s_wait_dscnt 0x1
	v_fmac_f64_e32 v[162:163], v[148:149], v[136:137]
	s_wait_loadcnt 0x1
	s_delay_alu instid0(VALU_DEP_1) | instskip(SKIP_1) | instid1(VALU_DEP_1)
	v_fmac_f64_e32 v[162:163], v[150:151], v[138:139]
	s_wait_dscnt 0x0
	v_fmac_f64_e32 v[162:163], v[152:153], v[140:141]
	s_wait_loadcnt 0x0
	s_delay_alu instid0(VALU_DEP_1) | instskip(SKIP_3) | instid1(VALU_DEP_1)
	v_fmac_f64_e32 v[162:163], v[132:133], v[142:143]
	ds_load_b64 v[132:133], v2 offset:1008
	s_wait_dscnt 0x0
	v_fmac_f64_e32 v[162:163], v[134:135], v[132:133]
	v_add_f64_e64 v[130:131], v[130:131], -v[162:163]
	scratch_store_b64 off, v[130:131], off offset:392
	s_wait_xcnt 0x0
	v_cmpx_lt_u32_e32 48, v0
	s_cbranch_execz .LBB126_291
; %bb.290:
	scratch_load_b64 v[130:131], off, off offset:384
	v_mov_b64_e32 v[132:133], 0
	scratch_store_b64 off, v[132:133], off offset:384
	s_wait_loadcnt 0x0
	ds_store_b64 v1, v[130:131]
.LBB126_291:
	s_wait_xcnt 0x0
	s_or_b32 exec_lo, exec_lo, s0
	s_wait_storecnt_dscnt 0x0
	s_barrier_signal -1
	s_barrier_wait -1
	s_clause 0x5
	scratch_load_b128 v[130:133], off, off offset:384
	scratch_load_b128 v[134:137], off, off offset:400
	;; [unrolled: 1-line block ×6, first 2 shown]
	ds_load_2addr_b64 v[154:157], v2 offset0:113 offset1:114
	ds_load_2addr_b64 v[158:161], v2 offset0:115 offset1:116
	s_mov_b32 s0, exec_lo
	s_wait_loadcnt_dscnt 0x501
	v_fma_f64 v[162:163], v[132:133], v[154:155], 0
	s_wait_loadcnt 0x4
	s_delay_alu instid0(VALU_DEP_1)
	v_fmac_f64_e32 v[162:163], v[134:135], v[156:157]
	scratch_load_b128 v[132:135], off, off offset:480
	s_wait_dscnt 0x0
	v_fmac_f64_e32 v[162:163], v[136:137], v[158:159]
	scratch_load_b64 v[158:159], off, off offset:496
	s_wait_loadcnt 0x5
	v_fmac_f64_e32 v[162:163], v[138:139], v[160:161]
	ds_load_2addr_b64 v[136:139], v2 offset0:117 offset1:118
	ds_load_2addr_b64 v[154:157], v2 offset0:119 offset1:120
	s_wait_dscnt 0x1
	v_fmac_f64_e32 v[162:163], v[140:141], v[136:137]
	s_wait_loadcnt 0x4
	s_delay_alu instid0(VALU_DEP_1)
	v_fmac_f64_e32 v[162:163], v[142:143], v[138:139]
	ds_load_2addr_b64 v[136:139], v2 offset0:121 offset1:122
	ds_load_2addr_b64 v[140:143], v2 offset0:123 offset1:124
	s_wait_dscnt 0x2
	v_fmac_f64_e32 v[162:163], v[144:145], v[154:155]
	s_wait_loadcnt 0x3
	s_delay_alu instid0(VALU_DEP_1) | instskip(SKIP_1) | instid1(VALU_DEP_1)
	v_fmac_f64_e32 v[162:163], v[146:147], v[156:157]
	s_wait_dscnt 0x1
	v_fmac_f64_e32 v[162:163], v[148:149], v[136:137]
	s_wait_loadcnt 0x2
	s_delay_alu instid0(VALU_DEP_1) | instskip(SKIP_4) | instid1(VALU_DEP_1)
	v_fmac_f64_e32 v[162:163], v[150:151], v[138:139]
	ds_load_2addr_b64 v[136:139], v2 offset0:125 offset1:126
	s_wait_dscnt 0x1
	v_fmac_f64_e32 v[162:163], v[152:153], v[140:141]
	s_wait_loadcnt 0x1
	v_fmac_f64_e32 v[162:163], v[132:133], v[142:143]
	s_wait_dscnt 0x0
	s_delay_alu instid0(VALU_DEP_1) | instskip(SKIP_1) | instid1(VALU_DEP_1)
	v_fmac_f64_e32 v[162:163], v[134:135], v[136:137]
	s_wait_loadcnt 0x0
	v_fmac_f64_e32 v[162:163], v[158:159], v[138:139]
	s_delay_alu instid0(VALU_DEP_1)
	v_add_f64_e64 v[2:3], v[130:131], -v[162:163]
	scratch_store_b64 off, v[2:3], off offset:384
	s_wait_xcnt 0x0
	v_cmpx_lt_u32_e32 47, v0
	s_cbranch_execz .LBB126_293
; %bb.292:
	scratch_load_b64 v[2:3], off, off offset:376
	v_mov_b64_e32 v[130:131], 0
	scratch_store_b64 off, v[130:131], off offset:376
	s_wait_loadcnt 0x0
	ds_store_b64 v1, v[2:3]
.LBB126_293:
	s_wait_xcnt 0x0
	s_or_b32 exec_lo, exec_lo, s0
	s_wait_storecnt_dscnt 0x0
	s_barrier_signal -1
	s_barrier_wait -1
	s_clause 0x5
	scratch_load_b128 v[130:133], off, off offset:376
	scratch_load_b128 v[134:137], off, off offset:392
	;; [unrolled: 1-line block ×6, first 2 shown]
	v_mov_b32_e32 v2, 0
	ds_load_b128 v[154:157], v2 offset:896
	ds_load_b128 v[158:161], v2 offset:912
	s_mov_b32 s0, exec_lo
	s_wait_loadcnt_dscnt 0x501
	v_fma_f64 v[162:163], v[132:133], v[154:155], 0
	s_wait_loadcnt 0x4
	s_delay_alu instid0(VALU_DEP_1) | instskip(SKIP_4) | instid1(VALU_DEP_1)
	v_fmac_f64_e32 v[162:163], v[134:135], v[156:157]
	scratch_load_b128 v[132:135], off, off offset:472
	s_wait_dscnt 0x0
	v_fmac_f64_e32 v[162:163], v[136:137], v[158:159]
	s_wait_loadcnt 0x4
	v_fmac_f64_e32 v[162:163], v[138:139], v[160:161]
	scratch_load_b128 v[136:139], off, off offset:488
	ds_load_b128 v[154:157], v2 offset:928
	ds_load_b128 v[158:161], v2 offset:944
	s_wait_dscnt 0x1
	v_fmac_f64_e32 v[162:163], v[140:141], v[154:155]
	s_wait_loadcnt 0x4
	s_delay_alu instid0(VALU_DEP_1) | instskip(SKIP_1) | instid1(VALU_DEP_1)
	v_fmac_f64_e32 v[162:163], v[142:143], v[156:157]
	s_wait_dscnt 0x0
	v_fmac_f64_e32 v[162:163], v[144:145], v[158:159]
	s_wait_loadcnt 0x3
	s_delay_alu instid0(VALU_DEP_1)
	v_fmac_f64_e32 v[162:163], v[146:147], v[160:161]
	ds_load_b128 v[140:143], v2 offset:960
	ds_load_b128 v[144:147], v2 offset:976
	s_wait_dscnt 0x1
	v_fmac_f64_e32 v[162:163], v[148:149], v[140:141]
	s_wait_loadcnt 0x2
	s_delay_alu instid0(VALU_DEP_1) | instskip(SKIP_1) | instid1(VALU_DEP_1)
	v_fmac_f64_e32 v[162:163], v[150:151], v[142:143]
	s_wait_dscnt 0x0
	v_fmac_f64_e32 v[162:163], v[152:153], v[144:145]
	s_wait_loadcnt 0x1
	s_delay_alu instid0(VALU_DEP_1)
	v_fmac_f64_e32 v[162:163], v[132:133], v[146:147]
	ds_load_b128 v[140:143], v2 offset:992
	ds_load_b64 v[132:133], v2 offset:1008
	s_wait_dscnt 0x1
	v_fmac_f64_e32 v[162:163], v[134:135], v[140:141]
	s_wait_loadcnt 0x0
	s_delay_alu instid0(VALU_DEP_1) | instskip(SKIP_1) | instid1(VALU_DEP_1)
	v_fmac_f64_e32 v[162:163], v[136:137], v[142:143]
	s_wait_dscnt 0x0
	v_fmac_f64_e32 v[162:163], v[138:139], v[132:133]
	s_delay_alu instid0(VALU_DEP_1)
	v_add_f64_e64 v[130:131], v[130:131], -v[162:163]
	scratch_store_b64 off, v[130:131], off offset:376
	s_wait_xcnt 0x0
	v_cmpx_lt_u32_e32 46, v0
	s_cbranch_execz .LBB126_295
; %bb.294:
	scratch_load_b64 v[130:131], off, off offset:368
	v_mov_b64_e32 v[132:133], 0
	scratch_store_b64 off, v[132:133], off offset:368
	s_wait_loadcnt 0x0
	ds_store_b64 v1, v[130:131]
.LBB126_295:
	s_wait_xcnt 0x0
	s_or_b32 exec_lo, exec_lo, s0
	s_wait_storecnt_dscnt 0x0
	s_barrier_signal -1
	s_barrier_wait -1
	s_clause 0x5
	scratch_load_b128 v[130:133], off, off offset:368
	scratch_load_b128 v[134:137], off, off offset:384
	;; [unrolled: 1-line block ×6, first 2 shown]
	ds_load_2addr_b64 v[154:157], v2 offset0:111 offset1:112
	ds_load_2addr_b64 v[158:161], v2 offset0:113 offset1:114
	s_mov_b32 s0, exec_lo
	s_wait_loadcnt_dscnt 0x501
	v_fma_f64 v[162:163], v[132:133], v[154:155], 0
	s_wait_loadcnt 0x4
	s_delay_alu instid0(VALU_DEP_1) | instskip(SKIP_4) | instid1(VALU_DEP_1)
	v_fmac_f64_e32 v[162:163], v[134:135], v[156:157]
	scratch_load_b128 v[132:135], off, off offset:464
	s_wait_dscnt 0x0
	v_fmac_f64_e32 v[162:163], v[136:137], v[158:159]
	s_wait_loadcnt 0x4
	v_fmac_f64_e32 v[162:163], v[138:139], v[160:161]
	scratch_load_b128 v[136:139], off, off offset:480
	ds_load_2addr_b64 v[154:157], v2 offset0:115 offset1:116
	ds_load_2addr_b64 v[158:161], v2 offset0:117 offset1:118
	s_wait_dscnt 0x1
	v_fmac_f64_e32 v[162:163], v[140:141], v[154:155]
	scratch_load_b64 v[154:155], off, off offset:496
	s_wait_loadcnt 0x5
	v_fmac_f64_e32 v[162:163], v[142:143], v[156:157]
	s_wait_dscnt 0x0
	s_delay_alu instid0(VALU_DEP_1) | instskip(SKIP_1) | instid1(VALU_DEP_1)
	v_fmac_f64_e32 v[162:163], v[144:145], v[158:159]
	s_wait_loadcnt 0x4
	v_fmac_f64_e32 v[162:163], v[146:147], v[160:161]
	ds_load_2addr_b64 v[140:143], v2 offset0:119 offset1:120
	ds_load_2addr_b64 v[144:147], v2 offset0:121 offset1:122
	s_wait_dscnt 0x1
	v_fmac_f64_e32 v[162:163], v[148:149], v[140:141]
	s_wait_loadcnt 0x3
	s_delay_alu instid0(VALU_DEP_1) | instskip(SKIP_1) | instid1(VALU_DEP_1)
	v_fmac_f64_e32 v[162:163], v[150:151], v[142:143]
	s_wait_dscnt 0x0
	v_fmac_f64_e32 v[162:163], v[152:153], v[144:145]
	s_wait_loadcnt 0x2
	s_delay_alu instid0(VALU_DEP_1)
	v_fmac_f64_e32 v[162:163], v[132:133], v[146:147]
	ds_load_2addr_b64 v[140:143], v2 offset0:123 offset1:124
	ds_load_2addr_b64 v[144:147], v2 offset0:125 offset1:126
	s_wait_dscnt 0x1
	v_fmac_f64_e32 v[162:163], v[134:135], v[140:141]
	s_wait_loadcnt 0x1
	s_delay_alu instid0(VALU_DEP_1) | instskip(SKIP_1) | instid1(VALU_DEP_1)
	v_fmac_f64_e32 v[162:163], v[136:137], v[142:143]
	s_wait_dscnt 0x0
	v_fmac_f64_e32 v[162:163], v[138:139], v[144:145]
	s_wait_loadcnt 0x0
	s_delay_alu instid0(VALU_DEP_1) | instskip(NEXT) | instid1(VALU_DEP_1)
	v_fmac_f64_e32 v[162:163], v[154:155], v[146:147]
	v_add_f64_e64 v[2:3], v[130:131], -v[162:163]
	scratch_store_b64 off, v[2:3], off offset:368
	s_wait_xcnt 0x0
	v_cmpx_lt_u32_e32 45, v0
	s_cbranch_execz .LBB126_297
; %bb.296:
	scratch_load_b64 v[2:3], off, off offset:360
	v_mov_b64_e32 v[130:131], 0
	scratch_store_b64 off, v[130:131], off offset:360
	s_wait_loadcnt 0x0
	ds_store_b64 v1, v[2:3]
.LBB126_297:
	s_wait_xcnt 0x0
	s_or_b32 exec_lo, exec_lo, s0
	s_wait_storecnt_dscnt 0x0
	s_barrier_signal -1
	s_barrier_wait -1
	s_clause 0x5
	scratch_load_b128 v[130:133], off, off offset:360
	scratch_load_b128 v[134:137], off, off offset:376
	;; [unrolled: 1-line block ×6, first 2 shown]
	v_mov_b32_e32 v2, 0
	ds_load_b128 v[154:157], v2 offset:880
	ds_load_b128 v[158:161], v2 offset:896
	s_mov_b32 s0, exec_lo
	s_wait_loadcnt_dscnt 0x501
	v_fma_f64 v[162:163], v[132:133], v[154:155], 0
	s_wait_loadcnt 0x4
	s_delay_alu instid0(VALU_DEP_1) | instskip(SKIP_4) | instid1(VALU_DEP_1)
	v_fmac_f64_e32 v[162:163], v[134:135], v[156:157]
	scratch_load_b128 v[132:135], off, off offset:456
	s_wait_dscnt 0x0
	v_fmac_f64_e32 v[162:163], v[136:137], v[158:159]
	s_wait_loadcnt 0x4
	v_fmac_f64_e32 v[162:163], v[138:139], v[160:161]
	scratch_load_b128 v[136:139], off, off offset:472
	ds_load_b128 v[154:157], v2 offset:912
	ds_load_b128 v[158:161], v2 offset:928
	s_wait_dscnt 0x1
	v_fmac_f64_e32 v[162:163], v[140:141], v[154:155]
	s_wait_loadcnt 0x4
	s_delay_alu instid0(VALU_DEP_1) | instskip(SKIP_4) | instid1(VALU_DEP_1)
	v_fmac_f64_e32 v[162:163], v[142:143], v[156:157]
	scratch_load_b128 v[140:143], off, off offset:488
	s_wait_dscnt 0x0
	v_fmac_f64_e32 v[162:163], v[144:145], v[158:159]
	s_wait_loadcnt 0x4
	v_fmac_f64_e32 v[162:163], v[146:147], v[160:161]
	ds_load_b128 v[144:147], v2 offset:944
	ds_load_b128 v[154:157], v2 offset:960
	s_wait_dscnt 0x1
	v_fmac_f64_e32 v[162:163], v[148:149], v[144:145]
	s_wait_loadcnt 0x3
	s_delay_alu instid0(VALU_DEP_1)
	v_fmac_f64_e32 v[162:163], v[150:151], v[146:147]
	ds_load_b128 v[144:147], v2 offset:976
	ds_load_b128 v[148:151], v2 offset:992
	s_wait_dscnt 0x2
	v_fmac_f64_e32 v[162:163], v[152:153], v[154:155]
	s_wait_loadcnt 0x2
	s_delay_alu instid0(VALU_DEP_1) | instskip(SKIP_4) | instid1(VALU_DEP_1)
	v_fmac_f64_e32 v[162:163], v[132:133], v[156:157]
	ds_load_b64 v[132:133], v2 offset:1008
	s_wait_dscnt 0x2
	v_fmac_f64_e32 v[162:163], v[134:135], v[144:145]
	s_wait_loadcnt 0x1
	v_fmac_f64_e32 v[162:163], v[136:137], v[146:147]
	s_wait_dscnt 0x1
	s_delay_alu instid0(VALU_DEP_1) | instskip(SKIP_1) | instid1(VALU_DEP_1)
	v_fmac_f64_e32 v[162:163], v[138:139], v[148:149]
	s_wait_loadcnt 0x0
	v_fmac_f64_e32 v[162:163], v[140:141], v[150:151]
	s_wait_dscnt 0x0
	s_delay_alu instid0(VALU_DEP_1) | instskip(NEXT) | instid1(VALU_DEP_1)
	v_fmac_f64_e32 v[162:163], v[142:143], v[132:133]
	v_add_f64_e64 v[130:131], v[130:131], -v[162:163]
	scratch_store_b64 off, v[130:131], off offset:360
	s_wait_xcnt 0x0
	v_cmpx_lt_u32_e32 44, v0
	s_cbranch_execz .LBB126_299
; %bb.298:
	scratch_load_b64 v[130:131], off, off offset:352
	v_mov_b64_e32 v[132:133], 0
	scratch_store_b64 off, v[132:133], off offset:352
	s_wait_loadcnt 0x0
	ds_store_b64 v1, v[130:131]
.LBB126_299:
	s_wait_xcnt 0x0
	s_or_b32 exec_lo, exec_lo, s0
	s_wait_storecnt_dscnt 0x0
	s_barrier_signal -1
	s_barrier_wait -1
	s_clause 0x5
	scratch_load_b128 v[130:133], off, off offset:352
	scratch_load_b128 v[134:137], off, off offset:368
	;; [unrolled: 1-line block ×6, first 2 shown]
	ds_load_2addr_b64 v[154:157], v2 offset0:109 offset1:110
	ds_load_2addr_b64 v[158:161], v2 offset0:111 offset1:112
	s_mov_b32 s0, exec_lo
	s_wait_loadcnt_dscnt 0x501
	v_fma_f64 v[162:163], v[132:133], v[154:155], 0
	s_wait_loadcnt 0x4
	s_delay_alu instid0(VALU_DEP_1) | instskip(SKIP_4) | instid1(VALU_DEP_1)
	v_fmac_f64_e32 v[162:163], v[134:135], v[156:157]
	scratch_load_b128 v[132:135], off, off offset:448
	s_wait_dscnt 0x0
	v_fmac_f64_e32 v[162:163], v[136:137], v[158:159]
	s_wait_loadcnt 0x4
	v_fmac_f64_e32 v[162:163], v[138:139], v[160:161]
	scratch_load_b128 v[136:139], off, off offset:464
	ds_load_2addr_b64 v[154:157], v2 offset0:113 offset1:114
	ds_load_2addr_b64 v[158:161], v2 offset0:115 offset1:116
	s_wait_dscnt 0x1
	v_fmac_f64_e32 v[162:163], v[140:141], v[154:155]
	s_wait_loadcnt 0x4
	s_delay_alu instid0(VALU_DEP_1)
	v_fmac_f64_e32 v[162:163], v[142:143], v[156:157]
	scratch_load_b128 v[140:143], off, off offset:480
	s_wait_dscnt 0x0
	v_fmac_f64_e32 v[162:163], v[144:145], v[158:159]
	scratch_load_b64 v[158:159], off, off offset:496
	s_wait_loadcnt 0x5
	v_fmac_f64_e32 v[162:163], v[146:147], v[160:161]
	ds_load_2addr_b64 v[144:147], v2 offset0:117 offset1:118
	ds_load_2addr_b64 v[154:157], v2 offset0:119 offset1:120
	s_wait_dscnt 0x1
	v_fmac_f64_e32 v[162:163], v[148:149], v[144:145]
	s_wait_loadcnt 0x4
	s_delay_alu instid0(VALU_DEP_1)
	v_fmac_f64_e32 v[162:163], v[150:151], v[146:147]
	ds_load_2addr_b64 v[144:147], v2 offset0:121 offset1:122
	ds_load_2addr_b64 v[148:151], v2 offset0:123 offset1:124
	s_wait_dscnt 0x2
	v_fmac_f64_e32 v[162:163], v[152:153], v[154:155]
	s_wait_loadcnt 0x3
	s_delay_alu instid0(VALU_DEP_1) | instskip(SKIP_1) | instid1(VALU_DEP_1)
	v_fmac_f64_e32 v[162:163], v[132:133], v[156:157]
	s_wait_dscnt 0x1
	v_fmac_f64_e32 v[162:163], v[134:135], v[144:145]
	ds_load_2addr_b64 v[132:135], v2 offset0:125 offset1:126
	s_wait_loadcnt 0x2
	v_fmac_f64_e32 v[162:163], v[136:137], v[146:147]
	s_wait_dscnt 0x1
	s_delay_alu instid0(VALU_DEP_1) | instskip(SKIP_1) | instid1(VALU_DEP_1)
	v_fmac_f64_e32 v[162:163], v[138:139], v[148:149]
	s_wait_loadcnt 0x1
	v_fmac_f64_e32 v[162:163], v[140:141], v[150:151]
	s_wait_dscnt 0x0
	s_delay_alu instid0(VALU_DEP_1) | instskip(SKIP_1) | instid1(VALU_DEP_1)
	v_fmac_f64_e32 v[162:163], v[142:143], v[132:133]
	s_wait_loadcnt 0x0
	v_fmac_f64_e32 v[162:163], v[158:159], v[134:135]
	s_delay_alu instid0(VALU_DEP_1)
	v_add_f64_e64 v[2:3], v[130:131], -v[162:163]
	scratch_store_b64 off, v[2:3], off offset:352
	s_wait_xcnt 0x0
	v_cmpx_lt_u32_e32 43, v0
	s_cbranch_execz .LBB126_301
; %bb.300:
	scratch_load_b64 v[2:3], off, off offset:344
	v_mov_b64_e32 v[130:131], 0
	scratch_store_b64 off, v[130:131], off offset:344
	s_wait_loadcnt 0x0
	ds_store_b64 v1, v[2:3]
.LBB126_301:
	s_wait_xcnt 0x0
	s_or_b32 exec_lo, exec_lo, s0
	s_wait_storecnt_dscnt 0x0
	s_barrier_signal -1
	s_barrier_wait -1
	s_clause 0x5
	scratch_load_b128 v[130:133], off, off offset:344
	scratch_load_b128 v[134:137], off, off offset:360
	;; [unrolled: 1-line block ×6, first 2 shown]
	v_mov_b32_e32 v2, 0
	ds_load_b128 v[154:157], v2 offset:864
	ds_load_b128 v[158:161], v2 offset:880
	s_mov_b32 s0, exec_lo
	s_wait_loadcnt_dscnt 0x501
	v_fma_f64 v[162:163], v[132:133], v[154:155], 0
	s_wait_loadcnt 0x4
	s_delay_alu instid0(VALU_DEP_1) | instskip(SKIP_4) | instid1(VALU_DEP_1)
	v_fmac_f64_e32 v[162:163], v[134:135], v[156:157]
	scratch_load_b128 v[132:135], off, off offset:440
	s_wait_dscnt 0x0
	v_fmac_f64_e32 v[162:163], v[136:137], v[158:159]
	s_wait_loadcnt 0x4
	v_fmac_f64_e32 v[162:163], v[138:139], v[160:161]
	scratch_load_b128 v[136:139], off, off offset:456
	ds_load_b128 v[154:157], v2 offset:896
	ds_load_b128 v[158:161], v2 offset:912
	s_wait_dscnt 0x1
	v_fmac_f64_e32 v[162:163], v[140:141], v[154:155]
	s_wait_loadcnt 0x4
	s_delay_alu instid0(VALU_DEP_1) | instskip(SKIP_4) | instid1(VALU_DEP_1)
	v_fmac_f64_e32 v[162:163], v[142:143], v[156:157]
	scratch_load_b128 v[140:143], off, off offset:472
	s_wait_dscnt 0x0
	v_fmac_f64_e32 v[162:163], v[144:145], v[158:159]
	s_wait_loadcnt 0x4
	v_fmac_f64_e32 v[162:163], v[146:147], v[160:161]
	scratch_load_b128 v[144:147], off, off offset:488
	ds_load_b128 v[154:157], v2 offset:928
	ds_load_b128 v[158:161], v2 offset:944
	s_wait_dscnt 0x1
	v_fmac_f64_e32 v[162:163], v[148:149], v[154:155]
	s_wait_loadcnt 0x4
	s_delay_alu instid0(VALU_DEP_1) | instskip(SKIP_1) | instid1(VALU_DEP_1)
	v_fmac_f64_e32 v[162:163], v[150:151], v[156:157]
	s_wait_dscnt 0x0
	v_fmac_f64_e32 v[162:163], v[152:153], v[158:159]
	ds_load_b128 v[148:151], v2 offset:960
	ds_load_b128 v[152:155], v2 offset:976
	s_wait_loadcnt 0x3
	v_fmac_f64_e32 v[162:163], v[132:133], v[160:161]
	s_wait_dscnt 0x1
	s_delay_alu instid0(VALU_DEP_1) | instskip(SKIP_1) | instid1(VALU_DEP_1)
	v_fmac_f64_e32 v[162:163], v[134:135], v[148:149]
	s_wait_loadcnt 0x2
	v_fmac_f64_e32 v[162:163], v[136:137], v[150:151]
	ds_load_b128 v[132:135], v2 offset:992
	ds_load_b64 v[136:137], v2 offset:1008
	s_wait_dscnt 0x2
	v_fmac_f64_e32 v[162:163], v[138:139], v[152:153]
	s_wait_loadcnt 0x1
	s_delay_alu instid0(VALU_DEP_1) | instskip(SKIP_1) | instid1(VALU_DEP_1)
	v_fmac_f64_e32 v[162:163], v[140:141], v[154:155]
	s_wait_dscnt 0x1
	v_fmac_f64_e32 v[162:163], v[142:143], v[132:133]
	s_wait_loadcnt 0x0
	s_delay_alu instid0(VALU_DEP_1) | instskip(SKIP_1) | instid1(VALU_DEP_1)
	v_fmac_f64_e32 v[162:163], v[144:145], v[134:135]
	s_wait_dscnt 0x0
	v_fmac_f64_e32 v[162:163], v[146:147], v[136:137]
	s_delay_alu instid0(VALU_DEP_1)
	v_add_f64_e64 v[130:131], v[130:131], -v[162:163]
	scratch_store_b64 off, v[130:131], off offset:344
	s_wait_xcnt 0x0
	v_cmpx_lt_u32_e32 42, v0
	s_cbranch_execz .LBB126_303
; %bb.302:
	scratch_load_b64 v[130:131], off, off offset:336
	v_mov_b64_e32 v[132:133], 0
	scratch_store_b64 off, v[132:133], off offset:336
	s_wait_loadcnt 0x0
	ds_store_b64 v1, v[130:131]
.LBB126_303:
	s_wait_xcnt 0x0
	s_or_b32 exec_lo, exec_lo, s0
	s_wait_storecnt_dscnt 0x0
	s_barrier_signal -1
	s_barrier_wait -1
	s_clause 0x5
	scratch_load_b128 v[130:133], off, off offset:336
	scratch_load_b128 v[134:137], off, off offset:352
	;; [unrolled: 1-line block ×6, first 2 shown]
	ds_load_2addr_b64 v[154:157], v2 offset0:107 offset1:108
	ds_load_2addr_b64 v[158:161], v2 offset0:109 offset1:110
	s_mov_b32 s0, exec_lo
	s_wait_loadcnt_dscnt 0x501
	v_fma_f64 v[162:163], v[132:133], v[154:155], 0
	s_wait_loadcnt 0x4
	s_delay_alu instid0(VALU_DEP_1) | instskip(SKIP_4) | instid1(VALU_DEP_1)
	v_fmac_f64_e32 v[162:163], v[134:135], v[156:157]
	scratch_load_b128 v[132:135], off, off offset:432
	s_wait_dscnt 0x0
	v_fmac_f64_e32 v[162:163], v[136:137], v[158:159]
	s_wait_loadcnt 0x4
	v_fmac_f64_e32 v[162:163], v[138:139], v[160:161]
	scratch_load_b128 v[136:139], off, off offset:448
	ds_load_2addr_b64 v[154:157], v2 offset0:111 offset1:112
	ds_load_2addr_b64 v[158:161], v2 offset0:113 offset1:114
	s_wait_dscnt 0x1
	v_fmac_f64_e32 v[162:163], v[140:141], v[154:155]
	s_wait_loadcnt 0x4
	s_delay_alu instid0(VALU_DEP_1) | instskip(SKIP_4) | instid1(VALU_DEP_1)
	v_fmac_f64_e32 v[162:163], v[142:143], v[156:157]
	scratch_load_b128 v[140:143], off, off offset:464
	s_wait_dscnt 0x0
	v_fmac_f64_e32 v[162:163], v[144:145], v[158:159]
	s_wait_loadcnt 0x4
	v_fmac_f64_e32 v[162:163], v[146:147], v[160:161]
	scratch_load_b128 v[144:147], off, off offset:480
	ds_load_2addr_b64 v[154:157], v2 offset0:115 offset1:116
	ds_load_2addr_b64 v[158:161], v2 offset0:117 offset1:118
	s_wait_dscnt 0x1
	v_fmac_f64_e32 v[162:163], v[148:149], v[154:155]
	s_wait_loadcnt 0x4
	s_delay_alu instid0(VALU_DEP_1)
	v_fmac_f64_e32 v[162:163], v[150:151], v[156:157]
	scratch_load_b64 v[156:157], off, off offset:496
	s_wait_dscnt 0x0
	v_fmac_f64_e32 v[162:163], v[152:153], v[158:159]
	ds_load_2addr_b64 v[148:151], v2 offset0:119 offset1:120
	ds_load_2addr_b64 v[152:155], v2 offset0:121 offset1:122
	s_wait_loadcnt 0x4
	v_fmac_f64_e32 v[162:163], v[132:133], v[160:161]
	s_wait_dscnt 0x1
	s_delay_alu instid0(VALU_DEP_1) | instskip(SKIP_1) | instid1(VALU_DEP_1)
	v_fmac_f64_e32 v[162:163], v[134:135], v[148:149]
	s_wait_loadcnt 0x3
	v_fmac_f64_e32 v[162:163], v[136:137], v[150:151]
	s_wait_dscnt 0x0
	s_delay_alu instid0(VALU_DEP_1)
	v_fmac_f64_e32 v[162:163], v[138:139], v[152:153]
	ds_load_2addr_b64 v[132:135], v2 offset0:123 offset1:124
	ds_load_2addr_b64 v[136:139], v2 offset0:125 offset1:126
	s_wait_loadcnt 0x2
	v_fmac_f64_e32 v[162:163], v[140:141], v[154:155]
	s_wait_dscnt 0x1
	s_delay_alu instid0(VALU_DEP_1) | instskip(SKIP_1) | instid1(VALU_DEP_1)
	v_fmac_f64_e32 v[162:163], v[142:143], v[132:133]
	s_wait_loadcnt 0x1
	v_fmac_f64_e32 v[162:163], v[144:145], v[134:135]
	s_wait_dscnt 0x0
	s_delay_alu instid0(VALU_DEP_1) | instskip(SKIP_1) | instid1(VALU_DEP_1)
	v_fmac_f64_e32 v[162:163], v[146:147], v[136:137]
	s_wait_loadcnt 0x0
	v_fmac_f64_e32 v[162:163], v[156:157], v[138:139]
	s_delay_alu instid0(VALU_DEP_1)
	v_add_f64_e64 v[2:3], v[130:131], -v[162:163]
	scratch_store_b64 off, v[2:3], off offset:336
	s_wait_xcnt 0x0
	v_cmpx_lt_u32_e32 41, v0
	s_cbranch_execz .LBB126_305
; %bb.304:
	scratch_load_b64 v[2:3], off, off offset:328
	v_mov_b64_e32 v[130:131], 0
	scratch_store_b64 off, v[130:131], off offset:328
	s_wait_loadcnt 0x0
	ds_store_b64 v1, v[2:3]
.LBB126_305:
	s_wait_xcnt 0x0
	s_or_b32 exec_lo, exec_lo, s0
	s_wait_storecnt_dscnt 0x0
	s_barrier_signal -1
	s_barrier_wait -1
	s_clause 0x5
	scratch_load_b128 v[130:133], off, off offset:328
	scratch_load_b128 v[134:137], off, off offset:344
	scratch_load_b128 v[138:141], off, off offset:360
	scratch_load_b128 v[142:145], off, off offset:376
	scratch_load_b128 v[146:149], off, off offset:392
	scratch_load_b128 v[150:153], off, off offset:408
	v_mov_b32_e32 v2, 0
	ds_load_b128 v[154:157], v2 offset:848
	ds_load_b128 v[158:161], v2 offset:864
	s_mov_b32 s0, exec_lo
	s_wait_loadcnt_dscnt 0x501
	v_fma_f64 v[162:163], v[132:133], v[154:155], 0
	s_wait_loadcnt 0x4
	s_delay_alu instid0(VALU_DEP_1) | instskip(SKIP_4) | instid1(VALU_DEP_1)
	v_fmac_f64_e32 v[162:163], v[134:135], v[156:157]
	scratch_load_b128 v[132:135], off, off offset:424
	s_wait_dscnt 0x0
	v_fmac_f64_e32 v[162:163], v[136:137], v[158:159]
	s_wait_loadcnt 0x4
	v_fmac_f64_e32 v[162:163], v[138:139], v[160:161]
	scratch_load_b128 v[136:139], off, off offset:440
	ds_load_b128 v[154:157], v2 offset:880
	ds_load_b128 v[158:161], v2 offset:896
	s_wait_dscnt 0x1
	v_fmac_f64_e32 v[162:163], v[140:141], v[154:155]
	s_wait_loadcnt 0x4
	s_delay_alu instid0(VALU_DEP_1) | instskip(SKIP_4) | instid1(VALU_DEP_1)
	v_fmac_f64_e32 v[162:163], v[142:143], v[156:157]
	scratch_load_b128 v[140:143], off, off offset:456
	s_wait_dscnt 0x0
	v_fmac_f64_e32 v[162:163], v[144:145], v[158:159]
	s_wait_loadcnt 0x4
	v_fmac_f64_e32 v[162:163], v[146:147], v[160:161]
	scratch_load_b128 v[144:147], off, off offset:472
	ds_load_b128 v[154:157], v2 offset:912
	ds_load_b128 v[158:161], v2 offset:928
	s_wait_dscnt 0x1
	v_fmac_f64_e32 v[162:163], v[148:149], v[154:155]
	s_wait_loadcnt 0x4
	s_delay_alu instid0(VALU_DEP_1)
	v_fmac_f64_e32 v[162:163], v[150:151], v[156:157]
	scratch_load_b128 v[148:151], off, off offset:488
	s_wait_dscnt 0x0
	v_fmac_f64_e32 v[162:163], v[152:153], v[158:159]
	ds_load_b128 v[152:155], v2 offset:944
	ds_load_b128 v[156:159], v2 offset:960
	s_wait_loadcnt 0x4
	v_fmac_f64_e32 v[162:163], v[132:133], v[160:161]
	s_wait_dscnt 0x1
	s_delay_alu instid0(VALU_DEP_1) | instskip(SKIP_1) | instid1(VALU_DEP_1)
	v_fmac_f64_e32 v[162:163], v[134:135], v[152:153]
	s_wait_loadcnt 0x3
	v_fmac_f64_e32 v[162:163], v[136:137], v[154:155]
	s_wait_dscnt 0x0
	s_delay_alu instid0(VALU_DEP_1)
	v_fmac_f64_e32 v[162:163], v[138:139], v[156:157]
	ds_load_b128 v[132:135], v2 offset:976
	ds_load_b128 v[136:139], v2 offset:992
	s_wait_loadcnt 0x2
	v_fmac_f64_e32 v[162:163], v[140:141], v[158:159]
	s_wait_dscnt 0x1
	s_delay_alu instid0(VALU_DEP_1) | instskip(SKIP_4) | instid1(VALU_DEP_1)
	v_fmac_f64_e32 v[162:163], v[142:143], v[132:133]
	ds_load_b64 v[132:133], v2 offset:1008
	s_wait_loadcnt 0x1
	v_fmac_f64_e32 v[162:163], v[144:145], v[134:135]
	s_wait_dscnt 0x1
	v_fmac_f64_e32 v[162:163], v[146:147], v[136:137]
	s_wait_loadcnt 0x0
	s_delay_alu instid0(VALU_DEP_1) | instskip(SKIP_1) | instid1(VALU_DEP_1)
	v_fmac_f64_e32 v[162:163], v[148:149], v[138:139]
	s_wait_dscnt 0x0
	v_fmac_f64_e32 v[162:163], v[150:151], v[132:133]
	s_delay_alu instid0(VALU_DEP_1)
	v_add_f64_e64 v[130:131], v[130:131], -v[162:163]
	scratch_store_b64 off, v[130:131], off offset:328
	s_wait_xcnt 0x0
	v_cmpx_lt_u32_e32 40, v0
	s_cbranch_execz .LBB126_307
; %bb.306:
	scratch_load_b64 v[130:131], off, off offset:320
	v_mov_b64_e32 v[132:133], 0
	scratch_store_b64 off, v[132:133], off offset:320
	s_wait_loadcnt 0x0
	ds_store_b64 v1, v[130:131]
.LBB126_307:
	s_wait_xcnt 0x0
	s_or_b32 exec_lo, exec_lo, s0
	s_wait_storecnt_dscnt 0x0
	s_barrier_signal -1
	s_barrier_wait -1
	s_clause 0x5
	scratch_load_b128 v[130:133], off, off offset:320
	scratch_load_b128 v[134:137], off, off offset:336
	;; [unrolled: 1-line block ×6, first 2 shown]
	ds_load_2addr_b64 v[154:157], v2 offset0:105 offset1:106
	ds_load_2addr_b64 v[158:161], v2 offset0:107 offset1:108
	scratch_load_b128 v[162:165], off, off offset:416
	s_mov_b32 s0, exec_lo
	s_wait_loadcnt_dscnt 0x601
	v_fma_f64 v[166:167], v[132:133], v[154:155], 0
	s_wait_loadcnt 0x5
	s_delay_alu instid0(VALU_DEP_1) | instskip(SKIP_4) | instid1(VALU_DEP_1)
	v_fmac_f64_e32 v[166:167], v[134:135], v[156:157]
	scratch_load_b128 v[132:135], off, off offset:432
	s_wait_dscnt 0x0
	v_fmac_f64_e32 v[166:167], v[136:137], v[158:159]
	s_wait_loadcnt 0x5
	v_fmac_f64_e32 v[166:167], v[138:139], v[160:161]
	ds_load_2addr_b64 v[136:139], v2 offset0:109 offset1:110
	ds_load_2addr_b64 v[154:157], v2 offset0:111 offset1:112
	s_wait_dscnt 0x1
	v_fmac_f64_e32 v[166:167], v[140:141], v[136:137]
	s_wait_loadcnt 0x4
	s_delay_alu instid0(VALU_DEP_1)
	v_fmac_f64_e32 v[166:167], v[142:143], v[138:139]
	s_clause 0x1
	scratch_load_b128 v[136:139], off, off offset:448
	scratch_load_b128 v[140:143], off, off offset:464
	s_wait_dscnt 0x0
	v_fmac_f64_e32 v[166:167], v[144:145], v[154:155]
	s_wait_loadcnt 0x5
	s_delay_alu instid0(VALU_DEP_1)
	v_fmac_f64_e32 v[166:167], v[146:147], v[156:157]
	ds_load_2addr_b64 v[144:147], v2 offset0:113 offset1:114
	ds_load_2addr_b64 v[154:157], v2 offset0:115 offset1:116
	s_wait_dscnt 0x1
	v_fmac_f64_e32 v[166:167], v[148:149], v[144:145]
	s_wait_loadcnt 0x4
	s_delay_alu instid0(VALU_DEP_1) | instskip(SKIP_4) | instid1(VALU_DEP_1)
	v_fmac_f64_e32 v[166:167], v[150:151], v[146:147]
	scratch_load_b128 v[144:147], off, off offset:480
	s_wait_dscnt 0x0
	v_fmac_f64_e32 v[166:167], v[152:153], v[154:155]
	s_wait_loadcnt 0x4
	v_fmac_f64_e32 v[166:167], v[162:163], v[156:157]
	scratch_load_b64 v[156:157], off, off offset:496
	ds_load_2addr_b64 v[148:151], v2 offset0:117 offset1:118
	ds_load_2addr_b64 v[152:155], v2 offset0:119 offset1:120
	s_wait_dscnt 0x1
	v_fmac_f64_e32 v[166:167], v[164:165], v[148:149]
	s_wait_loadcnt 0x4
	s_delay_alu instid0(VALU_DEP_1) | instskip(SKIP_1) | instid1(VALU_DEP_1)
	v_fmac_f64_e32 v[166:167], v[132:133], v[150:151]
	s_wait_dscnt 0x0
	v_fmac_f64_e32 v[166:167], v[134:135], v[152:153]
	ds_load_2addr_b64 v[132:135], v2 offset0:121 offset1:122
	ds_load_2addr_b64 v[148:151], v2 offset0:123 offset1:124
	s_wait_loadcnt 0x3
	v_fmac_f64_e32 v[166:167], v[136:137], v[154:155]
	s_wait_dscnt 0x1
	s_delay_alu instid0(VALU_DEP_1) | instskip(SKIP_1) | instid1(VALU_DEP_1)
	v_fmac_f64_e32 v[166:167], v[138:139], v[132:133]
	s_wait_loadcnt 0x2
	v_fmac_f64_e32 v[166:167], v[140:141], v[134:135]
	ds_load_2addr_b64 v[132:135], v2 offset0:125 offset1:126
	s_wait_dscnt 0x1
	v_fmac_f64_e32 v[166:167], v[142:143], v[148:149]
	s_wait_loadcnt 0x1
	s_delay_alu instid0(VALU_DEP_1) | instskip(SKIP_1) | instid1(VALU_DEP_1)
	v_fmac_f64_e32 v[166:167], v[144:145], v[150:151]
	s_wait_dscnt 0x0
	v_fmac_f64_e32 v[166:167], v[146:147], v[132:133]
	s_wait_loadcnt 0x0
	s_delay_alu instid0(VALU_DEP_1) | instskip(NEXT) | instid1(VALU_DEP_1)
	v_fmac_f64_e32 v[166:167], v[156:157], v[134:135]
	v_add_f64_e64 v[2:3], v[130:131], -v[166:167]
	scratch_store_b64 off, v[2:3], off offset:320
	s_wait_xcnt 0x0
	v_cmpx_lt_u32_e32 39, v0
	s_cbranch_execz .LBB126_309
; %bb.308:
	scratch_load_b64 v[2:3], off, off offset:312
	v_mov_b64_e32 v[130:131], 0
	scratch_store_b64 off, v[130:131], off offset:312
	s_wait_loadcnt 0x0
	ds_store_b64 v1, v[2:3]
.LBB126_309:
	s_wait_xcnt 0x0
	s_or_b32 exec_lo, exec_lo, s0
	s_wait_storecnt_dscnt 0x0
	s_barrier_signal -1
	s_barrier_wait -1
	s_clause 0x5
	scratch_load_b128 v[130:133], off, off offset:312
	scratch_load_b128 v[134:137], off, off offset:328
	scratch_load_b128 v[138:141], off, off offset:344
	scratch_load_b128 v[142:145], off, off offset:360
	scratch_load_b128 v[146:149], off, off offset:376
	scratch_load_b128 v[150:153], off, off offset:392
	v_mov_b32_e32 v2, 0
	ds_load_b128 v[154:157], v2 offset:832
	ds_load_b128 v[158:161], v2 offset:848
	scratch_load_b128 v[162:165], off, off offset:408
	s_mov_b32 s0, exec_lo
	s_wait_loadcnt_dscnt 0x601
	v_fma_f64 v[166:167], v[132:133], v[154:155], 0
	s_wait_loadcnt 0x5
	s_delay_alu instid0(VALU_DEP_1) | instskip(SKIP_4) | instid1(VALU_DEP_1)
	v_fmac_f64_e32 v[166:167], v[134:135], v[156:157]
	scratch_load_b128 v[132:135], off, off offset:424
	s_wait_dscnt 0x0
	v_fmac_f64_e32 v[166:167], v[136:137], v[158:159]
	s_wait_loadcnt 0x5
	v_fmac_f64_e32 v[166:167], v[138:139], v[160:161]
	ds_load_b128 v[136:139], v2 offset:864
	ds_load_b128 v[154:157], v2 offset:880
	s_wait_dscnt 0x1
	v_fmac_f64_e32 v[166:167], v[140:141], v[136:137]
	s_wait_loadcnt 0x4
	s_delay_alu instid0(VALU_DEP_1)
	v_fmac_f64_e32 v[166:167], v[142:143], v[138:139]
	s_clause 0x1
	scratch_load_b128 v[136:139], off, off offset:440
	scratch_load_b128 v[140:143], off, off offset:456
	s_wait_dscnt 0x0
	v_fmac_f64_e32 v[166:167], v[144:145], v[154:155]
	s_wait_loadcnt 0x5
	s_delay_alu instid0(VALU_DEP_1)
	v_fmac_f64_e32 v[166:167], v[146:147], v[156:157]
	ds_load_b128 v[144:147], v2 offset:896
	ds_load_b128 v[154:157], v2 offset:912
	s_wait_dscnt 0x1
	v_fmac_f64_e32 v[166:167], v[148:149], v[144:145]
	s_wait_loadcnt 0x4
	s_delay_alu instid0(VALU_DEP_1)
	v_fmac_f64_e32 v[166:167], v[150:151], v[146:147]
	s_clause 0x1
	scratch_load_b128 v[144:147], off, off offset:472
	scratch_load_b128 v[148:151], off, off offset:488
	s_wait_dscnt 0x0
	v_fmac_f64_e32 v[166:167], v[152:153], v[154:155]
	s_wait_loadcnt 0x5
	s_delay_alu instid0(VALU_DEP_1)
	v_fmac_f64_e32 v[166:167], v[162:163], v[156:157]
	ds_load_b128 v[152:155], v2 offset:928
	ds_load_b128 v[156:159], v2 offset:944
	s_wait_dscnt 0x1
	v_fmac_f64_e32 v[166:167], v[164:165], v[152:153]
	s_wait_loadcnt 0x4
	s_delay_alu instid0(VALU_DEP_1) | instskip(SKIP_1) | instid1(VALU_DEP_1)
	v_fmac_f64_e32 v[166:167], v[132:133], v[154:155]
	s_wait_dscnt 0x0
	v_fmac_f64_e32 v[166:167], v[134:135], v[156:157]
	ds_load_b128 v[132:135], v2 offset:960
	ds_load_b128 v[152:155], v2 offset:976
	s_wait_loadcnt 0x3
	v_fmac_f64_e32 v[166:167], v[136:137], v[158:159]
	s_wait_dscnt 0x1
	s_delay_alu instid0(VALU_DEP_1) | instskip(SKIP_1) | instid1(VALU_DEP_1)
	v_fmac_f64_e32 v[166:167], v[138:139], v[132:133]
	s_wait_loadcnt 0x2
	v_fmac_f64_e32 v[166:167], v[140:141], v[134:135]
	ds_load_b128 v[132:135], v2 offset:992
	ds_load_b64 v[136:137], v2 offset:1008
	s_wait_dscnt 0x2
	v_fmac_f64_e32 v[166:167], v[142:143], v[152:153]
	s_wait_loadcnt 0x1
	s_delay_alu instid0(VALU_DEP_1) | instskip(SKIP_1) | instid1(VALU_DEP_1)
	v_fmac_f64_e32 v[166:167], v[144:145], v[154:155]
	s_wait_dscnt 0x1
	v_fmac_f64_e32 v[166:167], v[146:147], v[132:133]
	s_wait_loadcnt 0x0
	s_delay_alu instid0(VALU_DEP_1) | instskip(SKIP_1) | instid1(VALU_DEP_1)
	v_fmac_f64_e32 v[166:167], v[148:149], v[134:135]
	s_wait_dscnt 0x0
	v_fmac_f64_e32 v[166:167], v[150:151], v[136:137]
	s_delay_alu instid0(VALU_DEP_1)
	v_add_f64_e64 v[130:131], v[130:131], -v[166:167]
	scratch_store_b64 off, v[130:131], off offset:312
	s_wait_xcnt 0x0
	v_cmpx_lt_u32_e32 38, v0
	s_cbranch_execz .LBB126_311
; %bb.310:
	scratch_load_b64 v[130:131], off, off offset:304
	v_mov_b64_e32 v[132:133], 0
	scratch_store_b64 off, v[132:133], off offset:304
	s_wait_loadcnt 0x0
	ds_store_b64 v1, v[130:131]
.LBB126_311:
	s_wait_xcnt 0x0
	s_or_b32 exec_lo, exec_lo, s0
	s_wait_storecnt_dscnt 0x0
	s_barrier_signal -1
	s_barrier_wait -1
	s_clause 0x5
	scratch_load_b128 v[130:133], off, off offset:304
	scratch_load_b128 v[134:137], off, off offset:320
	;; [unrolled: 1-line block ×6, first 2 shown]
	ds_load_2addr_b64 v[154:157], v2 offset0:103 offset1:104
	ds_load_2addr_b64 v[158:161], v2 offset0:105 offset1:106
	scratch_load_b128 v[162:165], off, off offset:400
	s_mov_b32 s0, exec_lo
	s_wait_loadcnt_dscnt 0x601
	v_fma_f64 v[166:167], v[132:133], v[154:155], 0
	s_wait_loadcnt 0x5
	s_delay_alu instid0(VALU_DEP_1) | instskip(SKIP_4) | instid1(VALU_DEP_1)
	v_fmac_f64_e32 v[166:167], v[134:135], v[156:157]
	scratch_load_b128 v[132:135], off, off offset:416
	s_wait_dscnt 0x0
	v_fmac_f64_e32 v[166:167], v[136:137], v[158:159]
	s_wait_loadcnt 0x5
	v_fmac_f64_e32 v[166:167], v[138:139], v[160:161]
	ds_load_2addr_b64 v[136:139], v2 offset0:107 offset1:108
	ds_load_2addr_b64 v[154:157], v2 offset0:109 offset1:110
	s_wait_dscnt 0x1
	v_fmac_f64_e32 v[166:167], v[140:141], v[136:137]
	s_wait_loadcnt 0x4
	s_delay_alu instid0(VALU_DEP_1)
	v_fmac_f64_e32 v[166:167], v[142:143], v[138:139]
	s_clause 0x1
	scratch_load_b128 v[136:139], off, off offset:432
	scratch_load_b128 v[140:143], off, off offset:448
	s_wait_dscnt 0x0
	v_fmac_f64_e32 v[166:167], v[144:145], v[154:155]
	s_wait_loadcnt 0x5
	s_delay_alu instid0(VALU_DEP_1)
	v_fmac_f64_e32 v[166:167], v[146:147], v[156:157]
	ds_load_2addr_b64 v[144:147], v2 offset0:111 offset1:112
	ds_load_2addr_b64 v[154:157], v2 offset0:113 offset1:114
	s_wait_dscnt 0x1
	v_fmac_f64_e32 v[166:167], v[148:149], v[144:145]
	s_wait_loadcnt 0x4
	s_delay_alu instid0(VALU_DEP_1)
	v_fmac_f64_e32 v[166:167], v[150:151], v[146:147]
	s_clause 0x1
	scratch_load_b128 v[144:147], off, off offset:464
	scratch_load_b128 v[148:151], off, off offset:480
	s_wait_dscnt 0x0
	v_fmac_f64_e32 v[166:167], v[152:153], v[154:155]
	s_wait_loadcnt 0x5
	s_delay_alu instid0(VALU_DEP_1)
	v_fmac_f64_e32 v[166:167], v[162:163], v[156:157]
	ds_load_2addr_b64 v[152:155], v2 offset0:115 offset1:116
	ds_load_2addr_b64 v[156:159], v2 offset0:117 offset1:118
	scratch_load_b64 v[160:161], off, off offset:496
	s_wait_dscnt 0x1
	v_fmac_f64_e32 v[166:167], v[164:165], v[152:153]
	s_wait_loadcnt 0x5
	s_delay_alu instid0(VALU_DEP_1) | instskip(SKIP_1) | instid1(VALU_DEP_1)
	v_fmac_f64_e32 v[166:167], v[132:133], v[154:155]
	s_wait_dscnt 0x0
	v_fmac_f64_e32 v[166:167], v[134:135], v[156:157]
	ds_load_2addr_b64 v[132:135], v2 offset0:119 offset1:120
	ds_load_2addr_b64 v[152:155], v2 offset0:121 offset1:122
	s_wait_loadcnt 0x4
	v_fmac_f64_e32 v[166:167], v[136:137], v[158:159]
	s_wait_dscnt 0x1
	s_delay_alu instid0(VALU_DEP_1) | instskip(SKIP_1) | instid1(VALU_DEP_1)
	v_fmac_f64_e32 v[166:167], v[138:139], v[132:133]
	s_wait_loadcnt 0x3
	v_fmac_f64_e32 v[166:167], v[140:141], v[134:135]
	ds_load_2addr_b64 v[132:135], v2 offset0:123 offset1:124
	ds_load_2addr_b64 v[136:139], v2 offset0:125 offset1:126
	s_wait_dscnt 0x2
	v_fmac_f64_e32 v[166:167], v[142:143], v[152:153]
	s_wait_loadcnt 0x2
	s_delay_alu instid0(VALU_DEP_1) | instskip(SKIP_1) | instid1(VALU_DEP_1)
	v_fmac_f64_e32 v[166:167], v[144:145], v[154:155]
	s_wait_dscnt 0x1
	v_fmac_f64_e32 v[166:167], v[146:147], v[132:133]
	s_wait_loadcnt 0x1
	s_delay_alu instid0(VALU_DEP_1) | instskip(SKIP_1) | instid1(VALU_DEP_1)
	v_fmac_f64_e32 v[166:167], v[148:149], v[134:135]
	s_wait_dscnt 0x0
	v_fmac_f64_e32 v[166:167], v[150:151], v[136:137]
	s_wait_loadcnt 0x0
	s_delay_alu instid0(VALU_DEP_1) | instskip(NEXT) | instid1(VALU_DEP_1)
	v_fmac_f64_e32 v[166:167], v[160:161], v[138:139]
	v_add_f64_e64 v[2:3], v[130:131], -v[166:167]
	scratch_store_b64 off, v[2:3], off offset:304
	s_wait_xcnt 0x0
	v_cmpx_lt_u32_e32 37, v0
	s_cbranch_execz .LBB126_313
; %bb.312:
	scratch_load_b64 v[2:3], off, off offset:296
	v_mov_b64_e32 v[130:131], 0
	scratch_store_b64 off, v[130:131], off offset:296
	s_wait_loadcnt 0x0
	ds_store_b64 v1, v[2:3]
.LBB126_313:
	s_wait_xcnt 0x0
	s_or_b32 exec_lo, exec_lo, s0
	s_wait_storecnt_dscnt 0x0
	s_barrier_signal -1
	s_barrier_wait -1
	s_clause 0x5
	scratch_load_b128 v[130:133], off, off offset:296
	scratch_load_b128 v[134:137], off, off offset:312
	;; [unrolled: 1-line block ×6, first 2 shown]
	v_mov_b32_e32 v2, 0
	ds_load_b128 v[154:157], v2 offset:816
	ds_load_b128 v[158:161], v2 offset:832
	scratch_load_b128 v[162:165], off, off offset:392
	s_mov_b32 s0, exec_lo
	s_wait_loadcnt_dscnt 0x601
	v_fma_f64 v[166:167], v[132:133], v[154:155], 0
	s_wait_loadcnt 0x5
	s_delay_alu instid0(VALU_DEP_1) | instskip(SKIP_4) | instid1(VALU_DEP_1)
	v_fmac_f64_e32 v[166:167], v[134:135], v[156:157]
	scratch_load_b128 v[132:135], off, off offset:408
	s_wait_dscnt 0x0
	v_fmac_f64_e32 v[166:167], v[136:137], v[158:159]
	s_wait_loadcnt 0x5
	v_fmac_f64_e32 v[166:167], v[138:139], v[160:161]
	ds_load_b128 v[136:139], v2 offset:848
	ds_load_b128 v[154:157], v2 offset:864
	s_wait_dscnt 0x1
	v_fmac_f64_e32 v[166:167], v[140:141], v[136:137]
	s_wait_loadcnt 0x4
	s_delay_alu instid0(VALU_DEP_1)
	v_fmac_f64_e32 v[166:167], v[142:143], v[138:139]
	s_clause 0x1
	scratch_load_b128 v[136:139], off, off offset:424
	scratch_load_b128 v[140:143], off, off offset:440
	s_wait_dscnt 0x0
	v_fmac_f64_e32 v[166:167], v[144:145], v[154:155]
	s_wait_loadcnt 0x5
	s_delay_alu instid0(VALU_DEP_1)
	v_fmac_f64_e32 v[166:167], v[146:147], v[156:157]
	ds_load_b128 v[144:147], v2 offset:880
	ds_load_b128 v[154:157], v2 offset:896
	s_wait_dscnt 0x1
	v_fmac_f64_e32 v[166:167], v[148:149], v[144:145]
	s_wait_loadcnt 0x4
	s_delay_alu instid0(VALU_DEP_1)
	v_fmac_f64_e32 v[166:167], v[150:151], v[146:147]
	s_clause 0x1
	scratch_load_b128 v[144:147], off, off offset:456
	scratch_load_b128 v[148:151], off, off offset:472
	s_wait_dscnt 0x0
	v_fmac_f64_e32 v[166:167], v[152:153], v[154:155]
	s_wait_loadcnt 0x5
	s_delay_alu instid0(VALU_DEP_1)
	v_fmac_f64_e32 v[166:167], v[162:163], v[156:157]
	ds_load_b128 v[152:155], v2 offset:912
	ds_load_b128 v[156:159], v2 offset:928
	s_wait_dscnt 0x1
	v_fmac_f64_e32 v[166:167], v[164:165], v[152:153]
	s_wait_loadcnt 0x4
	s_delay_alu instid0(VALU_DEP_1) | instskip(SKIP_4) | instid1(VALU_DEP_1)
	v_fmac_f64_e32 v[166:167], v[132:133], v[154:155]
	scratch_load_b128 v[152:155], off, off offset:488
	s_wait_dscnt 0x0
	v_fmac_f64_e32 v[166:167], v[134:135], v[156:157]
	s_wait_loadcnt 0x4
	v_fmac_f64_e32 v[166:167], v[136:137], v[158:159]
	ds_load_b128 v[132:135], v2 offset:944
	ds_load_b128 v[156:159], v2 offset:960
	s_wait_dscnt 0x1
	v_fmac_f64_e32 v[166:167], v[138:139], v[132:133]
	s_wait_loadcnt 0x3
	s_delay_alu instid0(VALU_DEP_1)
	v_fmac_f64_e32 v[166:167], v[140:141], v[134:135]
	ds_load_b128 v[132:135], v2 offset:976
	ds_load_b128 v[136:139], v2 offset:992
	s_wait_dscnt 0x2
	v_fmac_f64_e32 v[166:167], v[142:143], v[156:157]
	s_wait_loadcnt 0x2
	s_delay_alu instid0(VALU_DEP_1) | instskip(SKIP_1) | instid1(VALU_DEP_1)
	v_fmac_f64_e32 v[166:167], v[144:145], v[158:159]
	s_wait_dscnt 0x1
	v_fmac_f64_e32 v[166:167], v[146:147], v[132:133]
	ds_load_b64 v[132:133], v2 offset:1008
	s_wait_loadcnt 0x1
	v_fmac_f64_e32 v[166:167], v[148:149], v[134:135]
	s_wait_dscnt 0x1
	s_delay_alu instid0(VALU_DEP_1) | instskip(SKIP_1) | instid1(VALU_DEP_1)
	v_fmac_f64_e32 v[166:167], v[150:151], v[136:137]
	s_wait_loadcnt 0x0
	v_fmac_f64_e32 v[166:167], v[152:153], v[138:139]
	s_wait_dscnt 0x0
	s_delay_alu instid0(VALU_DEP_1) | instskip(NEXT) | instid1(VALU_DEP_1)
	v_fmac_f64_e32 v[166:167], v[154:155], v[132:133]
	v_add_f64_e64 v[130:131], v[130:131], -v[166:167]
	scratch_store_b64 off, v[130:131], off offset:296
	s_wait_xcnt 0x0
	v_cmpx_lt_u32_e32 36, v0
	s_cbranch_execz .LBB126_315
; %bb.314:
	scratch_load_b64 v[130:131], off, off offset:288
	v_mov_b64_e32 v[132:133], 0
	scratch_store_b64 off, v[132:133], off offset:288
	s_wait_loadcnt 0x0
	ds_store_b64 v1, v[130:131]
.LBB126_315:
	s_wait_xcnt 0x0
	s_or_b32 exec_lo, exec_lo, s0
	s_wait_storecnt_dscnt 0x0
	s_barrier_signal -1
	s_barrier_wait -1
	s_clause 0x5
	scratch_load_b128 v[130:133], off, off offset:288
	scratch_load_b128 v[134:137], off, off offset:304
	;; [unrolled: 1-line block ×6, first 2 shown]
	ds_load_2addr_b64 v[154:157], v2 offset0:101 offset1:102
	ds_load_2addr_b64 v[158:161], v2 offset0:103 offset1:104
	scratch_load_b128 v[162:165], off, off offset:384
	s_mov_b32 s0, exec_lo
	s_wait_loadcnt_dscnt 0x601
	v_fma_f64 v[166:167], v[132:133], v[154:155], 0
	s_wait_loadcnt 0x5
	s_delay_alu instid0(VALU_DEP_1) | instskip(SKIP_4) | instid1(VALU_DEP_1)
	v_fmac_f64_e32 v[166:167], v[134:135], v[156:157]
	scratch_load_b128 v[132:135], off, off offset:400
	s_wait_dscnt 0x0
	v_fmac_f64_e32 v[166:167], v[136:137], v[158:159]
	s_wait_loadcnt 0x5
	v_fmac_f64_e32 v[166:167], v[138:139], v[160:161]
	ds_load_2addr_b64 v[136:139], v2 offset0:105 offset1:106
	ds_load_2addr_b64 v[154:157], v2 offset0:107 offset1:108
	scratch_load_b128 v[158:161], off, off offset:416
	s_wait_dscnt 0x1
	v_fmac_f64_e32 v[166:167], v[140:141], v[136:137]
	s_wait_loadcnt 0x5
	s_delay_alu instid0(VALU_DEP_1) | instskip(SKIP_4) | instid1(VALU_DEP_1)
	v_fmac_f64_e32 v[166:167], v[142:143], v[138:139]
	scratch_load_b128 v[136:139], off, off offset:432
	s_wait_dscnt 0x0
	v_fmac_f64_e32 v[166:167], v[144:145], v[154:155]
	s_wait_loadcnt 0x5
	v_fmac_f64_e32 v[166:167], v[146:147], v[156:157]
	ds_load_2addr_b64 v[140:143], v2 offset0:109 offset1:110
	ds_load_2addr_b64 v[144:147], v2 offset0:111 offset1:112
	s_wait_dscnt 0x1
	v_fmac_f64_e32 v[166:167], v[148:149], v[140:141]
	s_wait_loadcnt 0x4
	s_delay_alu instid0(VALU_DEP_1) | instskip(SKIP_4) | instid1(VALU_DEP_1)
	v_fmac_f64_e32 v[166:167], v[150:151], v[142:143]
	scratch_load_b128 v[140:143], off, off offset:448
	s_wait_dscnt 0x0
	v_fmac_f64_e32 v[166:167], v[152:153], v[144:145]
	s_wait_loadcnt 0x4
	v_fmac_f64_e32 v[166:167], v[162:163], v[146:147]
	scratch_load_b128 v[144:147], off, off offset:464
	ds_load_2addr_b64 v[148:151], v2 offset0:113 offset1:114
	ds_load_2addr_b64 v[152:155], v2 offset0:115 offset1:116
	scratch_load_b64 v[156:157], off, off offset:496
	s_wait_dscnt 0x1
	v_fmac_f64_e32 v[166:167], v[164:165], v[148:149]
	s_wait_loadcnt 0x5
	s_delay_alu instid0(VALU_DEP_1) | instskip(SKIP_4) | instid1(VALU_DEP_1)
	v_fmac_f64_e32 v[166:167], v[132:133], v[150:151]
	scratch_load_b128 v[148:151], off, off offset:480
	s_wait_dscnt 0x0
	v_fmac_f64_e32 v[166:167], v[134:135], v[152:153]
	s_wait_loadcnt 0x5
	v_fmac_f64_e32 v[166:167], v[158:159], v[154:155]
	ds_load_2addr_b64 v[132:135], v2 offset0:117 offset1:118
	ds_load_2addr_b64 v[152:155], v2 offset0:119 offset1:120
	s_wait_dscnt 0x1
	v_fmac_f64_e32 v[166:167], v[160:161], v[132:133]
	s_wait_loadcnt 0x4
	s_delay_alu instid0(VALU_DEP_1) | instskip(SKIP_1) | instid1(VALU_DEP_1)
	v_fmac_f64_e32 v[166:167], v[136:137], v[134:135]
	s_wait_dscnt 0x0
	v_fmac_f64_e32 v[166:167], v[138:139], v[152:153]
	ds_load_2addr_b64 v[132:135], v2 offset0:121 offset1:122
	ds_load_2addr_b64 v[136:139], v2 offset0:123 offset1:124
	s_wait_loadcnt 0x3
	v_fmac_f64_e32 v[166:167], v[140:141], v[154:155]
	s_wait_dscnt 0x1
	s_delay_alu instid0(VALU_DEP_1) | instskip(SKIP_1) | instid1(VALU_DEP_1)
	v_fmac_f64_e32 v[166:167], v[142:143], v[132:133]
	s_wait_loadcnt 0x2
	v_fmac_f64_e32 v[166:167], v[144:145], v[134:135]
	ds_load_2addr_b64 v[132:135], v2 offset0:125 offset1:126
	s_wait_dscnt 0x1
	v_fmac_f64_e32 v[166:167], v[146:147], v[136:137]
	s_wait_loadcnt 0x0
	s_delay_alu instid0(VALU_DEP_1) | instskip(SKIP_1) | instid1(VALU_DEP_1)
	v_fmac_f64_e32 v[166:167], v[148:149], v[138:139]
	s_wait_dscnt 0x0
	v_fmac_f64_e32 v[166:167], v[150:151], v[132:133]
	s_delay_alu instid0(VALU_DEP_1) | instskip(NEXT) | instid1(VALU_DEP_1)
	v_fmac_f64_e32 v[166:167], v[156:157], v[134:135]
	v_add_f64_e64 v[2:3], v[130:131], -v[166:167]
	scratch_store_b64 off, v[2:3], off offset:288
	s_wait_xcnt 0x0
	v_cmpx_lt_u32_e32 35, v0
	s_cbranch_execz .LBB126_317
; %bb.316:
	scratch_load_b64 v[2:3], off, off offset:280
	v_mov_b64_e32 v[130:131], 0
	scratch_store_b64 off, v[130:131], off offset:280
	s_wait_loadcnt 0x0
	ds_store_b64 v1, v[2:3]
.LBB126_317:
	s_wait_xcnt 0x0
	s_or_b32 exec_lo, exec_lo, s0
	s_wait_storecnt_dscnt 0x0
	s_barrier_signal -1
	s_barrier_wait -1
	s_clause 0x5
	scratch_load_b128 v[130:133], off, off offset:280
	scratch_load_b128 v[134:137], off, off offset:296
	;; [unrolled: 1-line block ×6, first 2 shown]
	v_mov_b32_e32 v2, 0
	ds_load_b128 v[154:157], v2 offset:800
	ds_load_b128 v[158:161], v2 offset:816
	scratch_load_b128 v[162:165], off, off offset:376
	s_mov_b32 s0, exec_lo
	s_wait_loadcnt_dscnt 0x601
	v_fma_f64 v[166:167], v[132:133], v[154:155], 0
	s_wait_loadcnt 0x5
	s_delay_alu instid0(VALU_DEP_1) | instskip(SKIP_4) | instid1(VALU_DEP_1)
	v_fmac_f64_e32 v[166:167], v[134:135], v[156:157]
	scratch_load_b128 v[132:135], off, off offset:392
	s_wait_dscnt 0x0
	v_fmac_f64_e32 v[166:167], v[136:137], v[158:159]
	s_wait_loadcnt 0x5
	v_fmac_f64_e32 v[166:167], v[138:139], v[160:161]
	ds_load_b128 v[136:139], v2 offset:832
	ds_load_b128 v[154:157], v2 offset:848
	scratch_load_b128 v[158:161], off, off offset:408
	s_wait_dscnt 0x1
	v_fmac_f64_e32 v[166:167], v[140:141], v[136:137]
	s_wait_loadcnt 0x5
	s_delay_alu instid0(VALU_DEP_1) | instskip(SKIP_4) | instid1(VALU_DEP_1)
	v_fmac_f64_e32 v[166:167], v[142:143], v[138:139]
	scratch_load_b128 v[136:139], off, off offset:424
	s_wait_dscnt 0x0
	v_fmac_f64_e32 v[166:167], v[144:145], v[154:155]
	s_wait_loadcnt 0x5
	v_fmac_f64_e32 v[166:167], v[146:147], v[156:157]
	ds_load_b128 v[140:143], v2 offset:864
	ds_load_b128 v[144:147], v2 offset:880
	s_wait_dscnt 0x1
	v_fmac_f64_e32 v[166:167], v[148:149], v[140:141]
	s_wait_loadcnt 0x4
	s_delay_alu instid0(VALU_DEP_1) | instskip(SKIP_4) | instid1(VALU_DEP_1)
	v_fmac_f64_e32 v[166:167], v[150:151], v[142:143]
	scratch_load_b128 v[140:143], off, off offset:440
	s_wait_dscnt 0x0
	v_fmac_f64_e32 v[166:167], v[152:153], v[144:145]
	s_wait_loadcnt 0x4
	v_fmac_f64_e32 v[166:167], v[162:163], v[146:147]
	scratch_load_b128 v[144:147], off, off offset:456
	ds_load_b128 v[148:151], v2 offset:896
	ds_load_b128 v[152:155], v2 offset:912
	s_wait_dscnt 0x1
	v_fmac_f64_e32 v[166:167], v[164:165], v[148:149]
	s_wait_loadcnt 0x4
	s_delay_alu instid0(VALU_DEP_1)
	v_fmac_f64_e32 v[166:167], v[132:133], v[150:151]
	scratch_load_b128 v[148:151], off, off offset:472
	s_wait_dscnt 0x0
	v_fmac_f64_e32 v[166:167], v[134:135], v[152:153]
	scratch_load_b128 v[132:135], off, off offset:488
	s_wait_loadcnt 0x5
	v_fmac_f64_e32 v[166:167], v[158:159], v[154:155]
	ds_load_b128 v[152:155], v2 offset:928
	ds_load_b128 v[156:159], v2 offset:944
	s_wait_dscnt 0x1
	v_fmac_f64_e32 v[166:167], v[160:161], v[152:153]
	s_wait_loadcnt 0x4
	s_delay_alu instid0(VALU_DEP_1) | instskip(SKIP_1) | instid1(VALU_DEP_1)
	v_fmac_f64_e32 v[166:167], v[136:137], v[154:155]
	s_wait_dscnt 0x0
	v_fmac_f64_e32 v[166:167], v[138:139], v[156:157]
	ds_load_b128 v[136:139], v2 offset:960
	ds_load_b128 v[152:155], v2 offset:976
	s_wait_loadcnt 0x3
	v_fmac_f64_e32 v[166:167], v[140:141], v[158:159]
	s_wait_dscnt 0x1
	s_delay_alu instid0(VALU_DEP_1) | instskip(SKIP_1) | instid1(VALU_DEP_1)
	v_fmac_f64_e32 v[166:167], v[142:143], v[136:137]
	s_wait_loadcnt 0x2
	v_fmac_f64_e32 v[166:167], v[144:145], v[138:139]
	ds_load_b128 v[136:139], v2 offset:992
	ds_load_b64 v[140:141], v2 offset:1008
	s_wait_dscnt 0x2
	v_fmac_f64_e32 v[166:167], v[146:147], v[152:153]
	s_wait_loadcnt 0x1
	s_delay_alu instid0(VALU_DEP_1) | instskip(SKIP_1) | instid1(VALU_DEP_1)
	v_fmac_f64_e32 v[166:167], v[148:149], v[154:155]
	s_wait_dscnt 0x1
	v_fmac_f64_e32 v[166:167], v[150:151], v[136:137]
	s_wait_loadcnt 0x0
	s_delay_alu instid0(VALU_DEP_1) | instskip(SKIP_1) | instid1(VALU_DEP_1)
	v_fmac_f64_e32 v[166:167], v[132:133], v[138:139]
	s_wait_dscnt 0x0
	v_fmac_f64_e32 v[166:167], v[134:135], v[140:141]
	s_delay_alu instid0(VALU_DEP_1)
	v_add_f64_e64 v[130:131], v[130:131], -v[166:167]
	scratch_store_b64 off, v[130:131], off offset:280
	s_wait_xcnt 0x0
	v_cmpx_lt_u32_e32 34, v0
	s_cbranch_execz .LBB126_319
; %bb.318:
	scratch_load_b64 v[130:131], off, off offset:272
	v_mov_b64_e32 v[132:133], 0
	scratch_store_b64 off, v[132:133], off offset:272
	s_wait_loadcnt 0x0
	ds_store_b64 v1, v[130:131]
.LBB126_319:
	s_wait_xcnt 0x0
	s_or_b32 exec_lo, exec_lo, s0
	s_wait_storecnt_dscnt 0x0
	s_barrier_signal -1
	s_barrier_wait -1
	s_clause 0x5
	scratch_load_b128 v[130:133], off, off offset:272
	scratch_load_b128 v[134:137], off, off offset:288
	;; [unrolled: 1-line block ×6, first 2 shown]
	ds_load_2addr_b64 v[154:157], v2 offset0:99 offset1:100
	ds_load_2addr_b64 v[158:161], v2 offset0:101 offset1:102
	scratch_load_b128 v[162:165], off, off offset:368
	s_mov_b32 s0, exec_lo
	s_wait_loadcnt_dscnt 0x601
	v_fma_f64 v[166:167], v[132:133], v[154:155], 0
	s_wait_loadcnt 0x5
	s_delay_alu instid0(VALU_DEP_1) | instskip(SKIP_4) | instid1(VALU_DEP_1)
	v_fmac_f64_e32 v[166:167], v[134:135], v[156:157]
	scratch_load_b128 v[132:135], off, off offset:384
	s_wait_dscnt 0x0
	v_fmac_f64_e32 v[166:167], v[136:137], v[158:159]
	s_wait_loadcnt 0x5
	v_fmac_f64_e32 v[166:167], v[138:139], v[160:161]
	ds_load_2addr_b64 v[136:139], v2 offset0:103 offset1:104
	ds_load_2addr_b64 v[154:157], v2 offset0:105 offset1:106
	scratch_load_b128 v[158:161], off, off offset:400
	s_wait_dscnt 0x1
	v_fmac_f64_e32 v[166:167], v[140:141], v[136:137]
	s_wait_loadcnt 0x5
	s_delay_alu instid0(VALU_DEP_1) | instskip(SKIP_4) | instid1(VALU_DEP_1)
	v_fmac_f64_e32 v[166:167], v[142:143], v[138:139]
	scratch_load_b128 v[136:139], off, off offset:416
	s_wait_dscnt 0x0
	v_fmac_f64_e32 v[166:167], v[144:145], v[154:155]
	s_wait_loadcnt 0x5
	v_fmac_f64_e32 v[166:167], v[146:147], v[156:157]
	ds_load_2addr_b64 v[140:143], v2 offset0:107 offset1:108
	ds_load_2addr_b64 v[144:147], v2 offset0:109 offset1:110
	s_wait_dscnt 0x1
	v_fmac_f64_e32 v[166:167], v[148:149], v[140:141]
	s_wait_loadcnt 0x4
	s_delay_alu instid0(VALU_DEP_1) | instskip(SKIP_4) | instid1(VALU_DEP_1)
	v_fmac_f64_e32 v[166:167], v[150:151], v[142:143]
	scratch_load_b128 v[140:143], off, off offset:432
	s_wait_dscnt 0x0
	v_fmac_f64_e32 v[166:167], v[152:153], v[144:145]
	s_wait_loadcnt 0x4
	v_fmac_f64_e32 v[166:167], v[162:163], v[146:147]
	scratch_load_b128 v[144:147], off, off offset:448
	ds_load_2addr_b64 v[148:151], v2 offset0:111 offset1:112
	ds_load_2addr_b64 v[152:155], v2 offset0:113 offset1:114
	s_wait_dscnt 0x1
	v_fmac_f64_e32 v[166:167], v[164:165], v[148:149]
	s_wait_loadcnt 0x4
	s_delay_alu instid0(VALU_DEP_1)
	v_fmac_f64_e32 v[166:167], v[132:133], v[150:151]
	scratch_load_b128 v[148:151], off, off offset:464
	s_wait_dscnt 0x0
	v_fmac_f64_e32 v[166:167], v[134:135], v[152:153]
	scratch_load_b128 v[132:135], off, off offset:480
	s_wait_loadcnt 0x5
	v_fmac_f64_e32 v[166:167], v[158:159], v[154:155]
	ds_load_2addr_b64 v[152:155], v2 offset0:115 offset1:116
	ds_load_2addr_b64 v[156:159], v2 offset0:117 offset1:118
	s_wait_dscnt 0x1
	v_fmac_f64_e32 v[166:167], v[160:161], v[152:153]
	scratch_load_b64 v[160:161], off, off offset:496
	s_wait_loadcnt 0x5
	v_fmac_f64_e32 v[166:167], v[136:137], v[154:155]
	s_wait_dscnt 0x0
	s_delay_alu instid0(VALU_DEP_1)
	v_fmac_f64_e32 v[166:167], v[138:139], v[156:157]
	ds_load_2addr_b64 v[136:139], v2 offset0:119 offset1:120
	ds_load_2addr_b64 v[152:155], v2 offset0:121 offset1:122
	s_wait_loadcnt 0x4
	v_fmac_f64_e32 v[166:167], v[140:141], v[158:159]
	s_wait_dscnt 0x1
	s_delay_alu instid0(VALU_DEP_1) | instskip(SKIP_1) | instid1(VALU_DEP_1)
	v_fmac_f64_e32 v[166:167], v[142:143], v[136:137]
	s_wait_loadcnt 0x3
	v_fmac_f64_e32 v[166:167], v[144:145], v[138:139]
	ds_load_2addr_b64 v[136:139], v2 offset0:123 offset1:124
	ds_load_2addr_b64 v[140:143], v2 offset0:125 offset1:126
	s_wait_dscnt 0x2
	v_fmac_f64_e32 v[166:167], v[146:147], v[152:153]
	s_wait_loadcnt 0x2
	s_delay_alu instid0(VALU_DEP_1) | instskip(SKIP_1) | instid1(VALU_DEP_1)
	v_fmac_f64_e32 v[166:167], v[148:149], v[154:155]
	s_wait_dscnt 0x1
	v_fmac_f64_e32 v[166:167], v[150:151], v[136:137]
	s_wait_loadcnt 0x1
	s_delay_alu instid0(VALU_DEP_1) | instskip(SKIP_1) | instid1(VALU_DEP_1)
	v_fmac_f64_e32 v[166:167], v[132:133], v[138:139]
	s_wait_dscnt 0x0
	v_fmac_f64_e32 v[166:167], v[134:135], v[140:141]
	s_wait_loadcnt 0x0
	s_delay_alu instid0(VALU_DEP_1) | instskip(NEXT) | instid1(VALU_DEP_1)
	v_fmac_f64_e32 v[166:167], v[160:161], v[142:143]
	v_add_f64_e64 v[2:3], v[130:131], -v[166:167]
	scratch_store_b64 off, v[2:3], off offset:272
	s_wait_xcnt 0x0
	v_cmpx_lt_u32_e32 33, v0
	s_cbranch_execz .LBB126_321
; %bb.320:
	scratch_load_b64 v[2:3], off, off offset:264
	v_mov_b64_e32 v[130:131], 0
	scratch_store_b64 off, v[130:131], off offset:264
	s_wait_loadcnt 0x0
	ds_store_b64 v1, v[2:3]
.LBB126_321:
	s_wait_xcnt 0x0
	s_or_b32 exec_lo, exec_lo, s0
	s_wait_storecnt_dscnt 0x0
	s_barrier_signal -1
	s_barrier_wait -1
	s_clause 0x5
	scratch_load_b128 v[130:133], off, off offset:264
	scratch_load_b128 v[134:137], off, off offset:280
	scratch_load_b128 v[138:141], off, off offset:296
	scratch_load_b128 v[142:145], off, off offset:312
	scratch_load_b128 v[146:149], off, off offset:328
	scratch_load_b128 v[150:153], off, off offset:344
	v_mov_b32_e32 v2, 0
	ds_load_b128 v[154:157], v2 offset:784
	ds_load_b128 v[158:161], v2 offset:800
	scratch_load_b128 v[162:165], off, off offset:360
	s_mov_b32 s0, exec_lo
	s_wait_loadcnt_dscnt 0x601
	v_fma_f64 v[166:167], v[132:133], v[154:155], 0
	s_wait_loadcnt 0x5
	s_delay_alu instid0(VALU_DEP_1) | instskip(SKIP_4) | instid1(VALU_DEP_1)
	v_fmac_f64_e32 v[166:167], v[134:135], v[156:157]
	scratch_load_b128 v[132:135], off, off offset:376
	s_wait_dscnt 0x0
	v_fmac_f64_e32 v[166:167], v[136:137], v[158:159]
	s_wait_loadcnt 0x5
	v_fmac_f64_e32 v[166:167], v[138:139], v[160:161]
	ds_load_b128 v[136:139], v2 offset:816
	ds_load_b128 v[154:157], v2 offset:832
	scratch_load_b128 v[158:161], off, off offset:392
	s_wait_dscnt 0x1
	v_fmac_f64_e32 v[166:167], v[140:141], v[136:137]
	s_wait_loadcnt 0x5
	s_delay_alu instid0(VALU_DEP_1) | instskip(SKIP_4) | instid1(VALU_DEP_1)
	v_fmac_f64_e32 v[166:167], v[142:143], v[138:139]
	scratch_load_b128 v[136:139], off, off offset:408
	s_wait_dscnt 0x0
	v_fmac_f64_e32 v[166:167], v[144:145], v[154:155]
	s_wait_loadcnt 0x5
	v_fmac_f64_e32 v[166:167], v[146:147], v[156:157]
	ds_load_b128 v[140:143], v2 offset:848
	ds_load_b128 v[144:147], v2 offset:864
	s_wait_dscnt 0x1
	v_fmac_f64_e32 v[166:167], v[148:149], v[140:141]
	s_wait_loadcnt 0x4
	s_delay_alu instid0(VALU_DEP_1) | instskip(SKIP_4) | instid1(VALU_DEP_1)
	v_fmac_f64_e32 v[166:167], v[150:151], v[142:143]
	scratch_load_b128 v[140:143], off, off offset:424
	s_wait_dscnt 0x0
	v_fmac_f64_e32 v[166:167], v[152:153], v[144:145]
	s_wait_loadcnt 0x4
	v_fmac_f64_e32 v[166:167], v[162:163], v[146:147]
	scratch_load_b128 v[144:147], off, off offset:440
	ds_load_b128 v[148:151], v2 offset:880
	ds_load_b128 v[152:155], v2 offset:896
	s_wait_dscnt 0x1
	v_fmac_f64_e32 v[166:167], v[164:165], v[148:149]
	s_wait_loadcnt 0x4
	s_delay_alu instid0(VALU_DEP_1)
	v_fmac_f64_e32 v[166:167], v[132:133], v[150:151]
	scratch_load_b128 v[148:151], off, off offset:456
	s_wait_dscnt 0x0
	v_fmac_f64_e32 v[166:167], v[134:135], v[152:153]
	scratch_load_b128 v[132:135], off, off offset:472
	s_wait_loadcnt 0x5
	v_fmac_f64_e32 v[166:167], v[158:159], v[154:155]
	ds_load_b128 v[152:155], v2 offset:912
	ds_load_b128 v[156:159], v2 offset:928
	s_wait_dscnt 0x1
	v_fmac_f64_e32 v[166:167], v[160:161], v[152:153]
	s_wait_loadcnt 0x4
	s_delay_alu instid0(VALU_DEP_1) | instskip(SKIP_4) | instid1(VALU_DEP_1)
	v_fmac_f64_e32 v[166:167], v[136:137], v[154:155]
	scratch_load_b128 v[152:155], off, off offset:488
	s_wait_dscnt 0x0
	v_fmac_f64_e32 v[166:167], v[138:139], v[156:157]
	s_wait_loadcnt 0x4
	v_fmac_f64_e32 v[166:167], v[140:141], v[158:159]
	ds_load_b128 v[136:139], v2 offset:944
	ds_load_b128 v[156:159], v2 offset:960
	s_wait_dscnt 0x1
	v_fmac_f64_e32 v[166:167], v[142:143], v[136:137]
	s_wait_loadcnt 0x3
	s_delay_alu instid0(VALU_DEP_1)
	v_fmac_f64_e32 v[166:167], v[144:145], v[138:139]
	ds_load_b128 v[136:139], v2 offset:976
	ds_load_b128 v[140:143], v2 offset:992
	s_wait_dscnt 0x2
	v_fmac_f64_e32 v[166:167], v[146:147], v[156:157]
	s_wait_loadcnt 0x2
	s_delay_alu instid0(VALU_DEP_1) | instskip(SKIP_1) | instid1(VALU_DEP_1)
	v_fmac_f64_e32 v[166:167], v[148:149], v[158:159]
	s_wait_dscnt 0x1
	v_fmac_f64_e32 v[166:167], v[150:151], v[136:137]
	s_wait_loadcnt 0x1
	s_delay_alu instid0(VALU_DEP_1) | instskip(SKIP_4) | instid1(VALU_DEP_1)
	v_fmac_f64_e32 v[166:167], v[132:133], v[138:139]
	ds_load_b64 v[132:133], v2 offset:1008
	s_wait_dscnt 0x1
	v_fmac_f64_e32 v[166:167], v[134:135], v[140:141]
	s_wait_loadcnt 0x0
	v_fmac_f64_e32 v[166:167], v[152:153], v[142:143]
	s_wait_dscnt 0x0
	s_delay_alu instid0(VALU_DEP_1) | instskip(NEXT) | instid1(VALU_DEP_1)
	v_fmac_f64_e32 v[166:167], v[154:155], v[132:133]
	v_add_f64_e64 v[130:131], v[130:131], -v[166:167]
	scratch_store_b64 off, v[130:131], off offset:264
	s_wait_xcnt 0x0
	v_cmpx_lt_u32_e32 32, v0
	s_cbranch_execz .LBB126_323
; %bb.322:
	scratch_load_b64 v[130:131], off, off offset:256
	v_mov_b64_e32 v[132:133], 0
	scratch_store_b64 off, v[132:133], off offset:256
	s_wait_loadcnt 0x0
	ds_store_b64 v1, v[130:131]
.LBB126_323:
	s_wait_xcnt 0x0
	s_or_b32 exec_lo, exec_lo, s0
	s_wait_storecnt_dscnt 0x0
	s_barrier_signal -1
	s_barrier_wait -1
	s_clause 0x5
	scratch_load_b128 v[130:133], off, off offset:256
	scratch_load_b128 v[134:137], off, off offset:272
	;; [unrolled: 1-line block ×6, first 2 shown]
	ds_load_2addr_b64 v[154:157], v2 offset0:97 offset1:98
	ds_load_2addr_b64 v[158:161], v2 offset0:99 offset1:100
	scratch_load_b128 v[162:165], off, off offset:352
	s_mov_b32 s0, exec_lo
	s_wait_loadcnt_dscnt 0x601
	v_fma_f64 v[166:167], v[132:133], v[154:155], 0
	s_wait_loadcnt 0x5
	s_delay_alu instid0(VALU_DEP_1) | instskip(SKIP_4) | instid1(VALU_DEP_1)
	v_fmac_f64_e32 v[166:167], v[134:135], v[156:157]
	scratch_load_b128 v[132:135], off, off offset:368
	s_wait_dscnt 0x0
	v_fmac_f64_e32 v[166:167], v[136:137], v[158:159]
	s_wait_loadcnt 0x5
	v_fmac_f64_e32 v[166:167], v[138:139], v[160:161]
	ds_load_2addr_b64 v[136:139], v2 offset0:101 offset1:102
	ds_load_2addr_b64 v[154:157], v2 offset0:103 offset1:104
	scratch_load_b128 v[158:161], off, off offset:384
	s_wait_dscnt 0x1
	v_fmac_f64_e32 v[166:167], v[140:141], v[136:137]
	s_wait_loadcnt 0x5
	s_delay_alu instid0(VALU_DEP_1) | instskip(SKIP_4) | instid1(VALU_DEP_1)
	v_fmac_f64_e32 v[166:167], v[142:143], v[138:139]
	scratch_load_b128 v[136:139], off, off offset:400
	s_wait_dscnt 0x0
	v_fmac_f64_e32 v[166:167], v[144:145], v[154:155]
	s_wait_loadcnt 0x5
	v_fmac_f64_e32 v[166:167], v[146:147], v[156:157]
	ds_load_2addr_b64 v[140:143], v2 offset0:105 offset1:106
	ds_load_2addr_b64 v[144:147], v2 offset0:107 offset1:108
	scratch_load_b128 v[154:157], off, off offset:416
	s_wait_dscnt 0x1
	v_fmac_f64_e32 v[166:167], v[148:149], v[140:141]
	s_wait_loadcnt 0x5
	s_delay_alu instid0(VALU_DEP_1) | instskip(SKIP_4) | instid1(VALU_DEP_1)
	v_fmac_f64_e32 v[166:167], v[150:151], v[142:143]
	scratch_load_b128 v[140:143], off, off offset:432
	s_wait_dscnt 0x0
	v_fmac_f64_e32 v[166:167], v[152:153], v[144:145]
	s_wait_loadcnt 0x5
	v_fmac_f64_e32 v[166:167], v[162:163], v[146:147]
	ds_load_2addr_b64 v[144:147], v2 offset0:109 offset1:110
	ds_load_2addr_b64 v[148:151], v2 offset0:111 offset1:112
	s_wait_dscnt 0x1
	v_fmac_f64_e32 v[166:167], v[164:165], v[144:145]
	s_wait_loadcnt 0x4
	s_delay_alu instid0(VALU_DEP_1)
	v_fmac_f64_e32 v[166:167], v[132:133], v[146:147]
	scratch_load_b128 v[144:147], off, off offset:448
	s_wait_dscnt 0x0
	v_fmac_f64_e32 v[166:167], v[134:135], v[148:149]
	scratch_load_b128 v[132:135], off, off offset:464
	s_wait_loadcnt 0x5
	v_fmac_f64_e32 v[166:167], v[158:159], v[150:151]
	ds_load_2addr_b64 v[148:151], v2 offset0:113 offset1:114
	ds_load_2addr_b64 v[162:165], v2 offset0:115 offset1:116
	scratch_load_b64 v[158:159], off, off offset:496
	s_wait_dscnt 0x1
	v_fmac_f64_e32 v[166:167], v[160:161], v[148:149]
	s_wait_loadcnt 0x5
	s_delay_alu instid0(VALU_DEP_1) | instskip(SKIP_4) | instid1(VALU_DEP_1)
	v_fmac_f64_e32 v[166:167], v[136:137], v[150:151]
	scratch_load_b128 v[148:151], off, off offset:480
	s_wait_dscnt 0x0
	v_fmac_f64_e32 v[166:167], v[138:139], v[162:163]
	s_wait_loadcnt 0x5
	v_fmac_f64_e32 v[166:167], v[154:155], v[164:165]
	ds_load_2addr_b64 v[136:139], v2 offset0:117 offset1:118
	ds_load_2addr_b64 v[152:155], v2 offset0:119 offset1:120
	s_wait_dscnt 0x1
	v_fmac_f64_e32 v[166:167], v[156:157], v[136:137]
	s_wait_loadcnt 0x4
	s_delay_alu instid0(VALU_DEP_1) | instskip(SKIP_1) | instid1(VALU_DEP_1)
	v_fmac_f64_e32 v[166:167], v[140:141], v[138:139]
	s_wait_dscnt 0x0
	v_fmac_f64_e32 v[166:167], v[142:143], v[152:153]
	ds_load_2addr_b64 v[136:139], v2 offset0:121 offset1:122
	ds_load_2addr_b64 v[140:143], v2 offset0:123 offset1:124
	s_wait_loadcnt 0x3
	v_fmac_f64_e32 v[166:167], v[144:145], v[154:155]
	s_wait_dscnt 0x1
	s_delay_alu instid0(VALU_DEP_1) | instskip(SKIP_1) | instid1(VALU_DEP_1)
	v_fmac_f64_e32 v[166:167], v[146:147], v[136:137]
	s_wait_loadcnt 0x2
	v_fmac_f64_e32 v[166:167], v[132:133], v[138:139]
	s_wait_dscnt 0x0
	s_delay_alu instid0(VALU_DEP_1) | instskip(SKIP_4) | instid1(VALU_DEP_1)
	v_fmac_f64_e32 v[166:167], v[134:135], v[140:141]
	ds_load_2addr_b64 v[132:135], v2 offset0:125 offset1:126
	s_wait_loadcnt 0x0
	v_fmac_f64_e32 v[166:167], v[148:149], v[142:143]
	s_wait_dscnt 0x0
	v_fmac_f64_e32 v[166:167], v[150:151], v[132:133]
	s_delay_alu instid0(VALU_DEP_1) | instskip(NEXT) | instid1(VALU_DEP_1)
	v_fmac_f64_e32 v[166:167], v[158:159], v[134:135]
	v_add_f64_e64 v[2:3], v[130:131], -v[166:167]
	scratch_store_b64 off, v[2:3], off offset:256
	s_wait_xcnt 0x0
	v_cmpx_lt_u32_e32 31, v0
	s_cbranch_execz .LBB126_325
; %bb.324:
	scratch_load_b64 v[2:3], off, off offset:248
	v_mov_b64_e32 v[130:131], 0
	scratch_store_b64 off, v[130:131], off offset:248
	s_wait_loadcnt 0x0
	ds_store_b64 v1, v[2:3]
.LBB126_325:
	s_wait_xcnt 0x0
	s_or_b32 exec_lo, exec_lo, s0
	s_wait_storecnt_dscnt 0x0
	s_barrier_signal -1
	s_barrier_wait -1
	s_clause 0x5
	scratch_load_b128 v[130:133], off, off offset:248
	scratch_load_b128 v[134:137], off, off offset:264
	;; [unrolled: 1-line block ×6, first 2 shown]
	v_mov_b32_e32 v2, 0
	ds_load_b128 v[154:157], v2 offset:768
	ds_load_b128 v[158:161], v2 offset:784
	scratch_load_b128 v[162:165], off, off offset:344
	s_mov_b32 s0, exec_lo
	s_wait_loadcnt_dscnt 0x601
	v_fma_f64 v[166:167], v[132:133], v[154:155], 0
	s_wait_loadcnt 0x5
	s_delay_alu instid0(VALU_DEP_1) | instskip(SKIP_4) | instid1(VALU_DEP_1)
	v_fmac_f64_e32 v[166:167], v[134:135], v[156:157]
	scratch_load_b128 v[132:135], off, off offset:360
	s_wait_dscnt 0x0
	v_fmac_f64_e32 v[166:167], v[136:137], v[158:159]
	s_wait_loadcnt 0x5
	v_fmac_f64_e32 v[166:167], v[138:139], v[160:161]
	ds_load_b128 v[136:139], v2 offset:800
	ds_load_b128 v[154:157], v2 offset:816
	scratch_load_b128 v[158:161], off, off offset:376
	s_wait_dscnt 0x1
	v_fmac_f64_e32 v[166:167], v[140:141], v[136:137]
	s_wait_loadcnt 0x5
	s_delay_alu instid0(VALU_DEP_1) | instskip(SKIP_4) | instid1(VALU_DEP_1)
	v_fmac_f64_e32 v[166:167], v[142:143], v[138:139]
	scratch_load_b128 v[136:139], off, off offset:392
	s_wait_dscnt 0x0
	v_fmac_f64_e32 v[166:167], v[144:145], v[154:155]
	s_wait_loadcnt 0x5
	v_fmac_f64_e32 v[166:167], v[146:147], v[156:157]
	ds_load_b128 v[140:143], v2 offset:832
	ds_load_b128 v[144:147], v2 offset:848
	scratch_load_b128 v[154:157], off, off offset:408
	s_wait_dscnt 0x1
	v_fmac_f64_e32 v[166:167], v[148:149], v[140:141]
	s_wait_loadcnt 0x5
	s_delay_alu instid0(VALU_DEP_1) | instskip(SKIP_4) | instid1(VALU_DEP_1)
	v_fmac_f64_e32 v[166:167], v[150:151], v[142:143]
	scratch_load_b128 v[140:143], off, off offset:424
	s_wait_dscnt 0x0
	v_fmac_f64_e32 v[166:167], v[152:153], v[144:145]
	s_wait_loadcnt 0x5
	v_fmac_f64_e32 v[166:167], v[162:163], v[146:147]
	ds_load_b128 v[144:147], v2 offset:864
	ds_load_b128 v[148:151], v2 offset:880
	s_wait_dscnt 0x1
	v_fmac_f64_e32 v[166:167], v[164:165], v[144:145]
	s_wait_loadcnt 0x4
	s_delay_alu instid0(VALU_DEP_1)
	v_fmac_f64_e32 v[166:167], v[132:133], v[146:147]
	scratch_load_b128 v[144:147], off, off offset:440
	s_wait_dscnt 0x0
	v_fmac_f64_e32 v[166:167], v[134:135], v[148:149]
	scratch_load_b128 v[132:135], off, off offset:456
	s_wait_loadcnt 0x5
	v_fmac_f64_e32 v[166:167], v[158:159], v[150:151]
	ds_load_b128 v[148:151], v2 offset:896
	ds_load_b128 v[162:165], v2 offset:912
	s_wait_dscnt 0x1
	v_fmac_f64_e32 v[166:167], v[160:161], v[148:149]
	s_wait_loadcnt 0x4
	s_delay_alu instid0(VALU_DEP_1)
	v_fmac_f64_e32 v[166:167], v[136:137], v[150:151]
	scratch_load_b128 v[148:151], off, off offset:472
	s_wait_dscnt 0x0
	v_fmac_f64_e32 v[166:167], v[138:139], v[162:163]
	scratch_load_b128 v[136:139], off, off offset:488
	s_wait_loadcnt 0x5
	v_fmac_f64_e32 v[166:167], v[154:155], v[164:165]
	ds_load_b128 v[152:155], v2 offset:928
	ds_load_b128 v[158:161], v2 offset:944
	s_wait_dscnt 0x1
	v_fmac_f64_e32 v[166:167], v[156:157], v[152:153]
	s_wait_loadcnt 0x4
	s_delay_alu instid0(VALU_DEP_1) | instskip(SKIP_1) | instid1(VALU_DEP_1)
	v_fmac_f64_e32 v[166:167], v[140:141], v[154:155]
	s_wait_dscnt 0x0
	v_fmac_f64_e32 v[166:167], v[142:143], v[158:159]
	ds_load_b128 v[140:143], v2 offset:960
	ds_load_b128 v[152:155], v2 offset:976
	s_wait_loadcnt 0x3
	v_fmac_f64_e32 v[166:167], v[144:145], v[160:161]
	s_wait_dscnt 0x1
	s_delay_alu instid0(VALU_DEP_1) | instskip(SKIP_1) | instid1(VALU_DEP_1)
	v_fmac_f64_e32 v[166:167], v[146:147], v[140:141]
	s_wait_loadcnt 0x2
	v_fmac_f64_e32 v[166:167], v[132:133], v[142:143]
	s_wait_dscnt 0x0
	s_delay_alu instid0(VALU_DEP_1)
	v_fmac_f64_e32 v[166:167], v[134:135], v[152:153]
	ds_load_b128 v[132:135], v2 offset:992
	ds_load_b64 v[140:141], v2 offset:1008
	s_wait_loadcnt 0x1
	v_fmac_f64_e32 v[166:167], v[148:149], v[154:155]
	s_wait_dscnt 0x1
	s_delay_alu instid0(VALU_DEP_1) | instskip(SKIP_1) | instid1(VALU_DEP_1)
	v_fmac_f64_e32 v[166:167], v[150:151], v[132:133]
	s_wait_loadcnt 0x0
	v_fmac_f64_e32 v[166:167], v[136:137], v[134:135]
	s_wait_dscnt 0x0
	s_delay_alu instid0(VALU_DEP_1) | instskip(NEXT) | instid1(VALU_DEP_1)
	v_fmac_f64_e32 v[166:167], v[138:139], v[140:141]
	v_add_f64_e64 v[130:131], v[130:131], -v[166:167]
	scratch_store_b64 off, v[130:131], off offset:248
	s_wait_xcnt 0x0
	v_cmpx_lt_u32_e32 30, v0
	s_cbranch_execz .LBB126_327
; %bb.326:
	scratch_load_b64 v[130:131], off, off offset:240
	v_mov_b64_e32 v[132:133], 0
	scratch_store_b64 off, v[132:133], off offset:240
	s_wait_loadcnt 0x0
	ds_store_b64 v1, v[130:131]
.LBB126_327:
	s_wait_xcnt 0x0
	s_or_b32 exec_lo, exec_lo, s0
	s_wait_storecnt_dscnt 0x0
	s_barrier_signal -1
	s_barrier_wait -1
	s_clause 0x5
	scratch_load_b128 v[130:133], off, off offset:240
	scratch_load_b128 v[134:137], off, off offset:256
	;; [unrolled: 1-line block ×6, first 2 shown]
	ds_load_2addr_b64 v[154:157], v2 offset0:95 offset1:96
	ds_load_2addr_b64 v[158:161], v2 offset0:97 offset1:98
	scratch_load_b128 v[162:165], off, off offset:336
	s_mov_b32 s0, exec_lo
	s_wait_loadcnt_dscnt 0x601
	v_fma_f64 v[166:167], v[132:133], v[154:155], 0
	s_wait_loadcnt 0x5
	s_delay_alu instid0(VALU_DEP_1) | instskip(SKIP_4) | instid1(VALU_DEP_1)
	v_fmac_f64_e32 v[166:167], v[134:135], v[156:157]
	scratch_load_b128 v[132:135], off, off offset:352
	s_wait_dscnt 0x0
	v_fmac_f64_e32 v[166:167], v[136:137], v[158:159]
	s_wait_loadcnt 0x5
	v_fmac_f64_e32 v[166:167], v[138:139], v[160:161]
	ds_load_2addr_b64 v[136:139], v2 offset0:99 offset1:100
	ds_load_2addr_b64 v[154:157], v2 offset0:101 offset1:102
	scratch_load_b128 v[158:161], off, off offset:368
	s_wait_dscnt 0x1
	v_fmac_f64_e32 v[166:167], v[140:141], v[136:137]
	s_wait_loadcnt 0x5
	s_delay_alu instid0(VALU_DEP_1) | instskip(SKIP_4) | instid1(VALU_DEP_1)
	v_fmac_f64_e32 v[166:167], v[142:143], v[138:139]
	scratch_load_b128 v[136:139], off, off offset:384
	s_wait_dscnt 0x0
	v_fmac_f64_e32 v[166:167], v[144:145], v[154:155]
	s_wait_loadcnt 0x5
	v_fmac_f64_e32 v[166:167], v[146:147], v[156:157]
	ds_load_2addr_b64 v[140:143], v2 offset0:103 offset1:104
	ds_load_2addr_b64 v[144:147], v2 offset0:105 offset1:106
	scratch_load_b128 v[154:157], off, off offset:400
	s_wait_dscnt 0x1
	v_fmac_f64_e32 v[166:167], v[148:149], v[140:141]
	s_wait_loadcnt 0x5
	s_delay_alu instid0(VALU_DEP_1) | instskip(SKIP_4) | instid1(VALU_DEP_1)
	v_fmac_f64_e32 v[166:167], v[150:151], v[142:143]
	scratch_load_b128 v[140:143], off, off offset:416
	s_wait_dscnt 0x0
	v_fmac_f64_e32 v[166:167], v[152:153], v[144:145]
	s_wait_loadcnt 0x5
	v_fmac_f64_e32 v[166:167], v[162:163], v[146:147]
	ds_load_2addr_b64 v[144:147], v2 offset0:107 offset1:108
	ds_load_2addr_b64 v[148:151], v2 offset0:109 offset1:110
	s_wait_dscnt 0x1
	v_fmac_f64_e32 v[166:167], v[164:165], v[144:145]
	s_wait_loadcnt 0x4
	s_delay_alu instid0(VALU_DEP_1)
	v_fmac_f64_e32 v[166:167], v[132:133], v[146:147]
	scratch_load_b128 v[144:147], off, off offset:432
	s_wait_dscnt 0x0
	v_fmac_f64_e32 v[166:167], v[134:135], v[148:149]
	scratch_load_b128 v[132:135], off, off offset:448
	s_wait_loadcnt 0x5
	v_fmac_f64_e32 v[166:167], v[158:159], v[150:151]
	ds_load_2addr_b64 v[148:151], v2 offset0:111 offset1:112
	ds_load_2addr_b64 v[162:165], v2 offset0:113 offset1:114
	s_wait_dscnt 0x1
	v_fmac_f64_e32 v[166:167], v[160:161], v[148:149]
	s_wait_loadcnt 0x4
	s_delay_alu instid0(VALU_DEP_1)
	v_fmac_f64_e32 v[166:167], v[136:137], v[150:151]
	scratch_load_b128 v[148:151], off, off offset:464
	s_wait_dscnt 0x0
	v_fmac_f64_e32 v[166:167], v[138:139], v[162:163]
	scratch_load_b128 v[136:139], off, off offset:480
	s_wait_loadcnt 0x5
	v_fmac_f64_e32 v[166:167], v[154:155], v[164:165]
	ds_load_2addr_b64 v[152:155], v2 offset0:115 offset1:116
	ds_load_2addr_b64 v[158:161], v2 offset0:117 offset1:118
	s_wait_dscnt 0x1
	v_fmac_f64_e32 v[166:167], v[156:157], v[152:153]
	scratch_load_b64 v[156:157], off, off offset:496
	s_wait_loadcnt 0x5
	v_fmac_f64_e32 v[166:167], v[140:141], v[154:155]
	s_wait_dscnt 0x0
	s_delay_alu instid0(VALU_DEP_1)
	v_fmac_f64_e32 v[166:167], v[142:143], v[158:159]
	ds_load_2addr_b64 v[140:143], v2 offset0:119 offset1:120
	ds_load_2addr_b64 v[152:155], v2 offset0:121 offset1:122
	s_wait_loadcnt 0x4
	v_fmac_f64_e32 v[166:167], v[144:145], v[160:161]
	s_wait_dscnt 0x1
	s_delay_alu instid0(VALU_DEP_1) | instskip(SKIP_1) | instid1(VALU_DEP_1)
	v_fmac_f64_e32 v[166:167], v[146:147], v[140:141]
	s_wait_loadcnt 0x3
	v_fmac_f64_e32 v[166:167], v[132:133], v[142:143]
	s_wait_dscnt 0x0
	s_delay_alu instid0(VALU_DEP_1)
	v_fmac_f64_e32 v[166:167], v[134:135], v[152:153]
	ds_load_2addr_b64 v[132:135], v2 offset0:123 offset1:124
	ds_load_2addr_b64 v[140:143], v2 offset0:125 offset1:126
	s_wait_loadcnt 0x2
	v_fmac_f64_e32 v[166:167], v[148:149], v[154:155]
	s_wait_dscnt 0x1
	s_delay_alu instid0(VALU_DEP_1) | instskip(SKIP_1) | instid1(VALU_DEP_1)
	v_fmac_f64_e32 v[166:167], v[150:151], v[132:133]
	s_wait_loadcnt 0x1
	v_fmac_f64_e32 v[166:167], v[136:137], v[134:135]
	s_wait_dscnt 0x0
	s_delay_alu instid0(VALU_DEP_1) | instskip(SKIP_1) | instid1(VALU_DEP_1)
	v_fmac_f64_e32 v[166:167], v[138:139], v[140:141]
	s_wait_loadcnt 0x0
	v_fmac_f64_e32 v[166:167], v[156:157], v[142:143]
	s_delay_alu instid0(VALU_DEP_1)
	v_add_f64_e64 v[2:3], v[130:131], -v[166:167]
	scratch_store_b64 off, v[2:3], off offset:240
	s_wait_xcnt 0x0
	v_cmpx_lt_u32_e32 29, v0
	s_cbranch_execz .LBB126_329
; %bb.328:
	scratch_load_b64 v[2:3], off, off offset:232
	v_mov_b64_e32 v[130:131], 0
	scratch_store_b64 off, v[130:131], off offset:232
	s_wait_loadcnt 0x0
	ds_store_b64 v1, v[2:3]
.LBB126_329:
	s_wait_xcnt 0x0
	s_or_b32 exec_lo, exec_lo, s0
	s_wait_storecnt_dscnt 0x0
	s_barrier_signal -1
	s_barrier_wait -1
	s_clause 0x5
	scratch_load_b128 v[130:133], off, off offset:232
	scratch_load_b128 v[134:137], off, off offset:248
	;; [unrolled: 1-line block ×6, first 2 shown]
	v_mov_b32_e32 v2, 0
	ds_load_b128 v[154:157], v2 offset:752
	ds_load_b128 v[158:161], v2 offset:768
	scratch_load_b128 v[162:165], off, off offset:328
	s_mov_b32 s0, exec_lo
	s_wait_loadcnt_dscnt 0x601
	v_fma_f64 v[166:167], v[132:133], v[154:155], 0
	s_wait_loadcnt 0x5
	s_delay_alu instid0(VALU_DEP_1) | instskip(SKIP_4) | instid1(VALU_DEP_1)
	v_fmac_f64_e32 v[166:167], v[134:135], v[156:157]
	scratch_load_b128 v[132:135], off, off offset:344
	s_wait_dscnt 0x0
	v_fmac_f64_e32 v[166:167], v[136:137], v[158:159]
	s_wait_loadcnt 0x5
	v_fmac_f64_e32 v[166:167], v[138:139], v[160:161]
	ds_load_b128 v[136:139], v2 offset:784
	ds_load_b128 v[154:157], v2 offset:800
	scratch_load_b128 v[158:161], off, off offset:360
	s_wait_dscnt 0x1
	v_fmac_f64_e32 v[166:167], v[140:141], v[136:137]
	s_wait_loadcnt 0x5
	s_delay_alu instid0(VALU_DEP_1) | instskip(SKIP_4) | instid1(VALU_DEP_1)
	v_fmac_f64_e32 v[166:167], v[142:143], v[138:139]
	scratch_load_b128 v[136:139], off, off offset:376
	s_wait_dscnt 0x0
	v_fmac_f64_e32 v[166:167], v[144:145], v[154:155]
	s_wait_loadcnt 0x5
	v_fmac_f64_e32 v[166:167], v[146:147], v[156:157]
	ds_load_b128 v[140:143], v2 offset:816
	ds_load_b128 v[144:147], v2 offset:832
	scratch_load_b128 v[154:157], off, off offset:392
	s_wait_dscnt 0x1
	v_fmac_f64_e32 v[166:167], v[148:149], v[140:141]
	s_wait_loadcnt 0x5
	s_delay_alu instid0(VALU_DEP_1) | instskip(SKIP_4) | instid1(VALU_DEP_1)
	v_fmac_f64_e32 v[166:167], v[150:151], v[142:143]
	scratch_load_b128 v[140:143], off, off offset:408
	s_wait_dscnt 0x0
	v_fmac_f64_e32 v[166:167], v[152:153], v[144:145]
	s_wait_loadcnt 0x5
	v_fmac_f64_e32 v[166:167], v[162:163], v[146:147]
	ds_load_b128 v[144:147], v2 offset:848
	ds_load_b128 v[148:151], v2 offset:864
	s_wait_dscnt 0x1
	v_fmac_f64_e32 v[166:167], v[164:165], v[144:145]
	s_wait_loadcnt 0x4
	s_delay_alu instid0(VALU_DEP_1)
	v_fmac_f64_e32 v[166:167], v[132:133], v[146:147]
	scratch_load_b128 v[144:147], off, off offset:424
	s_wait_dscnt 0x0
	v_fmac_f64_e32 v[166:167], v[134:135], v[148:149]
	scratch_load_b128 v[132:135], off, off offset:440
	s_wait_loadcnt 0x5
	v_fmac_f64_e32 v[166:167], v[158:159], v[150:151]
	ds_load_b128 v[148:151], v2 offset:880
	ds_load_b128 v[162:165], v2 offset:896
	s_wait_dscnt 0x1
	v_fmac_f64_e32 v[166:167], v[160:161], v[148:149]
	s_wait_loadcnt 0x4
	s_delay_alu instid0(VALU_DEP_1)
	v_fmac_f64_e32 v[166:167], v[136:137], v[150:151]
	scratch_load_b128 v[148:151], off, off offset:456
	s_wait_dscnt 0x0
	v_fmac_f64_e32 v[166:167], v[138:139], v[162:163]
	scratch_load_b128 v[136:139], off, off offset:472
	s_wait_loadcnt 0x5
	v_fmac_f64_e32 v[166:167], v[154:155], v[164:165]
	ds_load_b128 v[152:155], v2 offset:912
	ds_load_b128 v[158:161], v2 offset:928
	s_wait_dscnt 0x1
	v_fmac_f64_e32 v[166:167], v[156:157], v[152:153]
	s_wait_loadcnt 0x4
	s_delay_alu instid0(VALU_DEP_1)
	v_fmac_f64_e32 v[166:167], v[140:141], v[154:155]
	scratch_load_b128 v[152:155], off, off offset:488
	s_wait_dscnt 0x0
	v_fmac_f64_e32 v[166:167], v[142:143], v[158:159]
	ds_load_b128 v[140:143], v2 offset:944
	ds_load_b128 v[156:159], v2 offset:960
	s_wait_loadcnt 0x4
	v_fmac_f64_e32 v[166:167], v[144:145], v[160:161]
	s_wait_dscnt 0x1
	s_delay_alu instid0(VALU_DEP_1) | instskip(SKIP_1) | instid1(VALU_DEP_1)
	v_fmac_f64_e32 v[166:167], v[146:147], v[140:141]
	s_wait_loadcnt 0x3
	v_fmac_f64_e32 v[166:167], v[132:133], v[142:143]
	s_wait_dscnt 0x0
	s_delay_alu instid0(VALU_DEP_1)
	v_fmac_f64_e32 v[166:167], v[134:135], v[156:157]
	ds_load_b128 v[132:135], v2 offset:976
	ds_load_b128 v[140:143], v2 offset:992
	s_wait_loadcnt 0x2
	v_fmac_f64_e32 v[166:167], v[148:149], v[158:159]
	s_wait_dscnt 0x1
	s_delay_alu instid0(VALU_DEP_1) | instskip(SKIP_4) | instid1(VALU_DEP_1)
	v_fmac_f64_e32 v[166:167], v[150:151], v[132:133]
	ds_load_b64 v[132:133], v2 offset:1008
	s_wait_loadcnt 0x1
	v_fmac_f64_e32 v[166:167], v[136:137], v[134:135]
	s_wait_dscnt 0x1
	v_fmac_f64_e32 v[166:167], v[138:139], v[140:141]
	s_wait_loadcnt 0x0
	s_delay_alu instid0(VALU_DEP_1) | instskip(SKIP_1) | instid1(VALU_DEP_1)
	v_fmac_f64_e32 v[166:167], v[152:153], v[142:143]
	s_wait_dscnt 0x0
	v_fmac_f64_e32 v[166:167], v[154:155], v[132:133]
	s_delay_alu instid0(VALU_DEP_1)
	v_add_f64_e64 v[130:131], v[130:131], -v[166:167]
	scratch_store_b64 off, v[130:131], off offset:232
	s_wait_xcnt 0x0
	v_cmpx_lt_u32_e32 28, v0
	s_cbranch_execz .LBB126_331
; %bb.330:
	scratch_load_b64 v[130:131], off, off offset:224
	v_mov_b64_e32 v[132:133], 0
	scratch_store_b64 off, v[132:133], off offset:224
	s_wait_loadcnt 0x0
	ds_store_b64 v1, v[130:131]
.LBB126_331:
	s_wait_xcnt 0x0
	s_or_b32 exec_lo, exec_lo, s0
	s_wait_storecnt_dscnt 0x0
	s_barrier_signal -1
	s_barrier_wait -1
	s_clause 0x5
	scratch_load_b128 v[130:133], off, off offset:224
	scratch_load_b128 v[134:137], off, off offset:240
	;; [unrolled: 1-line block ×6, first 2 shown]
	ds_load_2addr_b64 v[154:157], v2 offset0:93 offset1:94
	ds_load_2addr_b64 v[158:161], v2 offset0:95 offset1:96
	scratch_load_b128 v[162:165], off, off offset:320
	s_mov_b32 s0, exec_lo
	s_wait_loadcnt_dscnt 0x601
	v_fma_f64 v[166:167], v[132:133], v[154:155], 0
	s_wait_loadcnt 0x5
	s_delay_alu instid0(VALU_DEP_1) | instskip(SKIP_4) | instid1(VALU_DEP_1)
	v_fmac_f64_e32 v[166:167], v[134:135], v[156:157]
	scratch_load_b128 v[132:135], off, off offset:336
	s_wait_dscnt 0x0
	v_fmac_f64_e32 v[166:167], v[136:137], v[158:159]
	s_wait_loadcnt 0x5
	v_fmac_f64_e32 v[166:167], v[138:139], v[160:161]
	ds_load_2addr_b64 v[136:139], v2 offset0:97 offset1:98
	ds_load_2addr_b64 v[154:157], v2 offset0:99 offset1:100
	scratch_load_b128 v[158:161], off, off offset:352
	s_wait_dscnt 0x1
	v_fmac_f64_e32 v[166:167], v[140:141], v[136:137]
	s_wait_loadcnt 0x5
	s_delay_alu instid0(VALU_DEP_1) | instskip(SKIP_4) | instid1(VALU_DEP_1)
	v_fmac_f64_e32 v[166:167], v[142:143], v[138:139]
	scratch_load_b128 v[136:139], off, off offset:368
	s_wait_dscnt 0x0
	v_fmac_f64_e32 v[166:167], v[144:145], v[154:155]
	s_wait_loadcnt 0x5
	v_fmac_f64_e32 v[166:167], v[146:147], v[156:157]
	ds_load_2addr_b64 v[140:143], v2 offset0:101 offset1:102
	ds_load_2addr_b64 v[144:147], v2 offset0:103 offset1:104
	scratch_load_b128 v[154:157], off, off offset:384
	s_wait_dscnt 0x1
	v_fmac_f64_e32 v[166:167], v[148:149], v[140:141]
	s_wait_loadcnt 0x5
	s_delay_alu instid0(VALU_DEP_1) | instskip(SKIP_4) | instid1(VALU_DEP_1)
	v_fmac_f64_e32 v[166:167], v[150:151], v[142:143]
	scratch_load_b128 v[140:143], off, off offset:400
	s_wait_dscnt 0x0
	v_fmac_f64_e32 v[166:167], v[152:153], v[144:145]
	s_wait_loadcnt 0x5
	v_fmac_f64_e32 v[166:167], v[162:163], v[146:147]
	ds_load_2addr_b64 v[144:147], v2 offset0:105 offset1:106
	ds_load_2addr_b64 v[148:151], v2 offset0:107 offset1:108
	s_wait_dscnt 0x1
	v_fmac_f64_e32 v[166:167], v[164:165], v[144:145]
	scratch_load_b128 v[162:165], off, off offset:416
	s_wait_loadcnt 0x5
	v_fmac_f64_e32 v[166:167], v[132:133], v[146:147]
	s_wait_dscnt 0x0
	s_delay_alu instid0(VALU_DEP_1)
	v_fmac_f64_e32 v[166:167], v[134:135], v[148:149]
	scratch_load_b128 v[132:135], off, off offset:432
	s_wait_loadcnt 0x5
	v_fmac_f64_e32 v[166:167], v[158:159], v[150:151]
	ds_load_2addr_b64 v[144:147], v2 offset0:109 offset1:110
	ds_load_2addr_b64 v[148:151], v2 offset0:111 offset1:112
	s_wait_dscnt 0x1
	v_fmac_f64_e32 v[166:167], v[160:161], v[144:145]
	s_wait_loadcnt 0x4
	s_delay_alu instid0(VALU_DEP_1)
	v_fmac_f64_e32 v[166:167], v[136:137], v[146:147]
	scratch_load_b128 v[144:147], off, off offset:448
	s_wait_dscnt 0x0
	v_fmac_f64_e32 v[166:167], v[138:139], v[148:149]
	scratch_load_b128 v[136:139], off, off offset:464
	s_wait_loadcnt 0x5
	v_fmac_f64_e32 v[166:167], v[154:155], v[150:151]
	ds_load_2addr_b64 v[148:151], v2 offset0:113 offset1:114
	ds_load_2addr_b64 v[152:155], v2 offset0:115 offset1:116
	s_wait_dscnt 0x1
	v_fmac_f64_e32 v[166:167], v[156:157], v[148:149]
	scratch_load_b64 v[156:157], off, off offset:496
	s_wait_loadcnt 0x5
	v_fmac_f64_e32 v[166:167], v[140:141], v[150:151]
	scratch_load_b128 v[148:151], off, off offset:480
	s_wait_dscnt 0x0
	v_fmac_f64_e32 v[166:167], v[142:143], v[152:153]
	s_wait_loadcnt 0x5
	s_delay_alu instid0(VALU_DEP_1)
	v_fmac_f64_e32 v[166:167], v[162:163], v[154:155]
	ds_load_2addr_b64 v[140:143], v2 offset0:117 offset1:118
	ds_load_2addr_b64 v[152:155], v2 offset0:119 offset1:120
	s_wait_dscnt 0x1
	v_fmac_f64_e32 v[166:167], v[164:165], v[140:141]
	s_wait_loadcnt 0x4
	s_delay_alu instid0(VALU_DEP_1) | instskip(SKIP_1) | instid1(VALU_DEP_1)
	v_fmac_f64_e32 v[166:167], v[132:133], v[142:143]
	s_wait_dscnt 0x0
	v_fmac_f64_e32 v[166:167], v[134:135], v[152:153]
	ds_load_2addr_b64 v[132:135], v2 offset0:121 offset1:122
	ds_load_2addr_b64 v[140:143], v2 offset0:123 offset1:124
	s_wait_loadcnt 0x3
	v_fmac_f64_e32 v[166:167], v[144:145], v[154:155]
	s_wait_dscnt 0x1
	s_delay_alu instid0(VALU_DEP_1) | instskip(SKIP_1) | instid1(VALU_DEP_1)
	v_fmac_f64_e32 v[166:167], v[146:147], v[132:133]
	s_wait_loadcnt 0x2
	v_fmac_f64_e32 v[166:167], v[136:137], v[134:135]
	ds_load_2addr_b64 v[132:135], v2 offset0:125 offset1:126
	s_wait_dscnt 0x1
	v_fmac_f64_e32 v[166:167], v[138:139], v[140:141]
	s_wait_loadcnt 0x0
	s_delay_alu instid0(VALU_DEP_1) | instskip(SKIP_1) | instid1(VALU_DEP_1)
	v_fmac_f64_e32 v[166:167], v[148:149], v[142:143]
	s_wait_dscnt 0x0
	v_fmac_f64_e32 v[166:167], v[150:151], v[132:133]
	s_delay_alu instid0(VALU_DEP_1) | instskip(NEXT) | instid1(VALU_DEP_1)
	v_fmac_f64_e32 v[166:167], v[156:157], v[134:135]
	v_add_f64_e64 v[2:3], v[130:131], -v[166:167]
	scratch_store_b64 off, v[2:3], off offset:224
	s_wait_xcnt 0x0
	v_cmpx_lt_u32_e32 27, v0
	s_cbranch_execz .LBB126_333
; %bb.332:
	scratch_load_b64 v[2:3], off, off offset:216
	v_mov_b64_e32 v[130:131], 0
	scratch_store_b64 off, v[130:131], off offset:216
	s_wait_loadcnt 0x0
	ds_store_b64 v1, v[2:3]
.LBB126_333:
	s_wait_xcnt 0x0
	s_or_b32 exec_lo, exec_lo, s0
	s_wait_storecnt_dscnt 0x0
	s_barrier_signal -1
	s_barrier_wait -1
	s_clause 0x5
	scratch_load_b128 v[130:133], off, off offset:216
	scratch_load_b128 v[134:137], off, off offset:232
	scratch_load_b128 v[138:141], off, off offset:248
	scratch_load_b128 v[142:145], off, off offset:264
	scratch_load_b128 v[146:149], off, off offset:280
	scratch_load_b128 v[150:153], off, off offset:296
	v_mov_b32_e32 v2, 0
	ds_load_b128 v[154:157], v2 offset:736
	ds_load_b128 v[158:161], v2 offset:752
	scratch_load_b128 v[162:165], off, off offset:312
	s_mov_b32 s0, exec_lo
	s_wait_loadcnt_dscnt 0x601
	v_fma_f64 v[166:167], v[132:133], v[154:155], 0
	s_wait_loadcnt 0x5
	s_delay_alu instid0(VALU_DEP_1) | instskip(SKIP_4) | instid1(VALU_DEP_1)
	v_fmac_f64_e32 v[166:167], v[134:135], v[156:157]
	scratch_load_b128 v[132:135], off, off offset:328
	s_wait_dscnt 0x0
	v_fmac_f64_e32 v[166:167], v[136:137], v[158:159]
	s_wait_loadcnt 0x5
	v_fmac_f64_e32 v[166:167], v[138:139], v[160:161]
	ds_load_b128 v[136:139], v2 offset:768
	ds_load_b128 v[154:157], v2 offset:784
	scratch_load_b128 v[158:161], off, off offset:344
	s_wait_dscnt 0x1
	v_fmac_f64_e32 v[166:167], v[140:141], v[136:137]
	s_wait_loadcnt 0x5
	s_delay_alu instid0(VALU_DEP_1) | instskip(SKIP_4) | instid1(VALU_DEP_1)
	v_fmac_f64_e32 v[166:167], v[142:143], v[138:139]
	scratch_load_b128 v[136:139], off, off offset:360
	s_wait_dscnt 0x0
	v_fmac_f64_e32 v[166:167], v[144:145], v[154:155]
	s_wait_loadcnt 0x5
	v_fmac_f64_e32 v[166:167], v[146:147], v[156:157]
	ds_load_b128 v[140:143], v2 offset:800
	ds_load_b128 v[144:147], v2 offset:816
	scratch_load_b128 v[154:157], off, off offset:376
	s_wait_dscnt 0x1
	v_fmac_f64_e32 v[166:167], v[148:149], v[140:141]
	s_wait_loadcnt 0x5
	s_delay_alu instid0(VALU_DEP_1) | instskip(SKIP_4) | instid1(VALU_DEP_1)
	v_fmac_f64_e32 v[166:167], v[150:151], v[142:143]
	scratch_load_b128 v[140:143], off, off offset:392
	s_wait_dscnt 0x0
	v_fmac_f64_e32 v[166:167], v[152:153], v[144:145]
	s_wait_loadcnt 0x5
	v_fmac_f64_e32 v[166:167], v[162:163], v[146:147]
	ds_load_b128 v[144:147], v2 offset:832
	ds_load_b128 v[148:151], v2 offset:848
	s_wait_dscnt 0x1
	v_fmac_f64_e32 v[166:167], v[164:165], v[144:145]
	scratch_load_b128 v[162:165], off, off offset:408
	s_wait_loadcnt 0x5
	v_fmac_f64_e32 v[166:167], v[132:133], v[146:147]
	s_wait_dscnt 0x0
	s_delay_alu instid0(VALU_DEP_1)
	v_fmac_f64_e32 v[166:167], v[134:135], v[148:149]
	scratch_load_b128 v[132:135], off, off offset:424
	s_wait_loadcnt 0x5
	v_fmac_f64_e32 v[166:167], v[158:159], v[150:151]
	ds_load_b128 v[144:147], v2 offset:864
	ds_load_b128 v[148:151], v2 offset:880
	s_wait_dscnt 0x1
	v_fmac_f64_e32 v[166:167], v[160:161], v[144:145]
	s_wait_loadcnt 0x4
	s_delay_alu instid0(VALU_DEP_1)
	v_fmac_f64_e32 v[166:167], v[136:137], v[146:147]
	scratch_load_b128 v[144:147], off, off offset:440
	s_wait_dscnt 0x0
	v_fmac_f64_e32 v[166:167], v[138:139], v[148:149]
	scratch_load_b128 v[136:139], off, off offset:456
	s_wait_loadcnt 0x5
	v_fmac_f64_e32 v[166:167], v[154:155], v[150:151]
	ds_load_b128 v[148:151], v2 offset:896
	ds_load_b128 v[152:155], v2 offset:912
	s_wait_dscnt 0x1
	v_fmac_f64_e32 v[166:167], v[156:157], v[148:149]
	s_wait_loadcnt 0x4
	s_delay_alu instid0(VALU_DEP_1)
	v_fmac_f64_e32 v[166:167], v[140:141], v[150:151]
	scratch_load_b128 v[148:151], off, off offset:472
	s_wait_dscnt 0x0
	v_fmac_f64_e32 v[166:167], v[142:143], v[152:153]
	scratch_load_b128 v[140:143], off, off offset:488
	s_wait_loadcnt 0x5
	v_fmac_f64_e32 v[166:167], v[162:163], v[154:155]
	ds_load_b128 v[152:155], v2 offset:928
	ds_load_b128 v[156:159], v2 offset:944
	s_wait_dscnt 0x1
	v_fmac_f64_e32 v[166:167], v[164:165], v[152:153]
	s_wait_loadcnt 0x4
	s_delay_alu instid0(VALU_DEP_1) | instskip(SKIP_1) | instid1(VALU_DEP_1)
	v_fmac_f64_e32 v[166:167], v[132:133], v[154:155]
	s_wait_dscnt 0x0
	v_fmac_f64_e32 v[166:167], v[134:135], v[156:157]
	ds_load_b128 v[132:135], v2 offset:960
	ds_load_b128 v[152:155], v2 offset:976
	s_wait_loadcnt 0x3
	v_fmac_f64_e32 v[166:167], v[144:145], v[158:159]
	s_wait_dscnt 0x1
	s_delay_alu instid0(VALU_DEP_1) | instskip(SKIP_1) | instid1(VALU_DEP_1)
	v_fmac_f64_e32 v[166:167], v[146:147], v[132:133]
	s_wait_loadcnt 0x2
	v_fmac_f64_e32 v[166:167], v[136:137], v[134:135]
	ds_load_b128 v[132:135], v2 offset:992
	ds_load_b64 v[136:137], v2 offset:1008
	s_wait_dscnt 0x2
	v_fmac_f64_e32 v[166:167], v[138:139], v[152:153]
	s_wait_loadcnt 0x1
	s_delay_alu instid0(VALU_DEP_1) | instskip(SKIP_1) | instid1(VALU_DEP_1)
	v_fmac_f64_e32 v[166:167], v[148:149], v[154:155]
	s_wait_dscnt 0x1
	v_fmac_f64_e32 v[166:167], v[150:151], v[132:133]
	s_wait_loadcnt 0x0
	s_delay_alu instid0(VALU_DEP_1) | instskip(SKIP_1) | instid1(VALU_DEP_1)
	v_fmac_f64_e32 v[166:167], v[140:141], v[134:135]
	s_wait_dscnt 0x0
	v_fmac_f64_e32 v[166:167], v[142:143], v[136:137]
	s_delay_alu instid0(VALU_DEP_1)
	v_add_f64_e64 v[130:131], v[130:131], -v[166:167]
	scratch_store_b64 off, v[130:131], off offset:216
	s_wait_xcnt 0x0
	v_cmpx_lt_u32_e32 26, v0
	s_cbranch_execz .LBB126_335
; %bb.334:
	scratch_load_b64 v[130:131], off, off offset:208
	v_mov_b64_e32 v[132:133], 0
	scratch_store_b64 off, v[132:133], off offset:208
	s_wait_loadcnt 0x0
	ds_store_b64 v1, v[130:131]
.LBB126_335:
	s_wait_xcnt 0x0
	s_or_b32 exec_lo, exec_lo, s0
	s_wait_storecnt_dscnt 0x0
	s_barrier_signal -1
	s_barrier_wait -1
	s_clause 0x5
	scratch_load_b128 v[130:133], off, off offset:208
	scratch_load_b128 v[134:137], off, off offset:224
	;; [unrolled: 1-line block ×6, first 2 shown]
	ds_load_2addr_b64 v[154:157], v2 offset0:91 offset1:92
	ds_load_2addr_b64 v[158:161], v2 offset0:93 offset1:94
	scratch_load_b128 v[162:165], off, off offset:304
	s_mov_b32 s0, exec_lo
	s_wait_loadcnt_dscnt 0x601
	v_fma_f64 v[166:167], v[132:133], v[154:155], 0
	s_wait_loadcnt 0x5
	s_delay_alu instid0(VALU_DEP_1) | instskip(SKIP_4) | instid1(VALU_DEP_1)
	v_fmac_f64_e32 v[166:167], v[134:135], v[156:157]
	scratch_load_b128 v[132:135], off, off offset:320
	s_wait_dscnt 0x0
	v_fmac_f64_e32 v[166:167], v[136:137], v[158:159]
	s_wait_loadcnt 0x5
	v_fmac_f64_e32 v[166:167], v[138:139], v[160:161]
	ds_load_2addr_b64 v[136:139], v2 offset0:95 offset1:96
	ds_load_2addr_b64 v[154:157], v2 offset0:97 offset1:98
	scratch_load_b128 v[158:161], off, off offset:336
	s_wait_dscnt 0x1
	v_fmac_f64_e32 v[166:167], v[140:141], v[136:137]
	s_wait_loadcnt 0x5
	s_delay_alu instid0(VALU_DEP_1) | instskip(SKIP_4) | instid1(VALU_DEP_1)
	v_fmac_f64_e32 v[166:167], v[142:143], v[138:139]
	scratch_load_b128 v[136:139], off, off offset:352
	s_wait_dscnt 0x0
	v_fmac_f64_e32 v[166:167], v[144:145], v[154:155]
	s_wait_loadcnt 0x5
	v_fmac_f64_e32 v[166:167], v[146:147], v[156:157]
	ds_load_2addr_b64 v[140:143], v2 offset0:99 offset1:100
	ds_load_2addr_b64 v[144:147], v2 offset0:101 offset1:102
	scratch_load_b128 v[154:157], off, off offset:368
	s_wait_dscnt 0x1
	v_fmac_f64_e32 v[166:167], v[148:149], v[140:141]
	s_wait_loadcnt 0x5
	s_delay_alu instid0(VALU_DEP_1) | instskip(SKIP_4) | instid1(VALU_DEP_1)
	v_fmac_f64_e32 v[166:167], v[150:151], v[142:143]
	scratch_load_b128 v[140:143], off, off offset:384
	s_wait_dscnt 0x0
	v_fmac_f64_e32 v[166:167], v[152:153], v[144:145]
	s_wait_loadcnt 0x5
	v_fmac_f64_e32 v[166:167], v[162:163], v[146:147]
	ds_load_2addr_b64 v[144:147], v2 offset0:103 offset1:104
	ds_load_2addr_b64 v[148:151], v2 offset0:105 offset1:106
	s_wait_dscnt 0x1
	v_fmac_f64_e32 v[166:167], v[164:165], v[144:145]
	scratch_load_b128 v[162:165], off, off offset:400
	s_wait_loadcnt 0x5
	v_fmac_f64_e32 v[166:167], v[132:133], v[146:147]
	s_wait_dscnt 0x0
	s_delay_alu instid0(VALU_DEP_1)
	v_fmac_f64_e32 v[166:167], v[134:135], v[148:149]
	scratch_load_b128 v[132:135], off, off offset:416
	s_wait_loadcnt 0x5
	v_fmac_f64_e32 v[166:167], v[158:159], v[150:151]
	ds_load_2addr_b64 v[144:147], v2 offset0:107 offset1:108
	ds_load_2addr_b64 v[148:151], v2 offset0:109 offset1:110
	s_wait_dscnt 0x1
	v_fmac_f64_e32 v[166:167], v[160:161], v[144:145]
	s_wait_loadcnt 0x4
	s_delay_alu instid0(VALU_DEP_1)
	v_fmac_f64_e32 v[166:167], v[136:137], v[146:147]
	scratch_load_b128 v[144:147], off, off offset:432
	s_wait_dscnt 0x0
	v_fmac_f64_e32 v[166:167], v[138:139], v[148:149]
	scratch_load_b128 v[136:139], off, off offset:448
	s_wait_loadcnt 0x5
	v_fmac_f64_e32 v[166:167], v[154:155], v[150:151]
	ds_load_2addr_b64 v[148:151], v2 offset0:111 offset1:112
	ds_load_2addr_b64 v[152:155], v2 offset0:113 offset1:114
	s_wait_dscnt 0x1
	v_fmac_f64_e32 v[166:167], v[156:157], v[148:149]
	s_wait_loadcnt 0x4
	s_delay_alu instid0(VALU_DEP_1)
	v_fmac_f64_e32 v[166:167], v[140:141], v[150:151]
	scratch_load_b128 v[148:151], off, off offset:464
	s_wait_dscnt 0x0
	v_fmac_f64_e32 v[166:167], v[142:143], v[152:153]
	scratch_load_b128 v[140:143], off, off offset:480
	s_wait_loadcnt 0x5
	v_fmac_f64_e32 v[166:167], v[162:163], v[154:155]
	ds_load_2addr_b64 v[152:155], v2 offset0:115 offset1:116
	ds_load_2addr_b64 v[156:159], v2 offset0:117 offset1:118
	scratch_load_b64 v[160:161], off, off offset:496
	s_wait_dscnt 0x1
	v_fmac_f64_e32 v[166:167], v[164:165], v[152:153]
	s_wait_loadcnt 0x5
	s_delay_alu instid0(VALU_DEP_1) | instskip(SKIP_1) | instid1(VALU_DEP_1)
	v_fmac_f64_e32 v[166:167], v[132:133], v[154:155]
	s_wait_dscnt 0x0
	v_fmac_f64_e32 v[166:167], v[134:135], v[156:157]
	ds_load_2addr_b64 v[132:135], v2 offset0:119 offset1:120
	ds_load_2addr_b64 v[152:155], v2 offset0:121 offset1:122
	s_wait_loadcnt 0x4
	v_fmac_f64_e32 v[166:167], v[144:145], v[158:159]
	s_wait_dscnt 0x1
	s_delay_alu instid0(VALU_DEP_1) | instskip(SKIP_1) | instid1(VALU_DEP_1)
	v_fmac_f64_e32 v[166:167], v[146:147], v[132:133]
	s_wait_loadcnt 0x3
	v_fmac_f64_e32 v[166:167], v[136:137], v[134:135]
	s_wait_dscnt 0x0
	s_delay_alu instid0(VALU_DEP_1)
	v_fmac_f64_e32 v[166:167], v[138:139], v[152:153]
	ds_load_2addr_b64 v[132:135], v2 offset0:123 offset1:124
	ds_load_2addr_b64 v[136:139], v2 offset0:125 offset1:126
	s_wait_loadcnt 0x2
	v_fmac_f64_e32 v[166:167], v[148:149], v[154:155]
	s_wait_dscnt 0x1
	s_delay_alu instid0(VALU_DEP_1) | instskip(SKIP_1) | instid1(VALU_DEP_1)
	v_fmac_f64_e32 v[166:167], v[150:151], v[132:133]
	s_wait_loadcnt 0x1
	v_fmac_f64_e32 v[166:167], v[140:141], v[134:135]
	s_wait_dscnt 0x0
	s_delay_alu instid0(VALU_DEP_1) | instskip(SKIP_1) | instid1(VALU_DEP_1)
	v_fmac_f64_e32 v[166:167], v[142:143], v[136:137]
	s_wait_loadcnt 0x0
	v_fmac_f64_e32 v[166:167], v[160:161], v[138:139]
	s_delay_alu instid0(VALU_DEP_1)
	v_add_f64_e64 v[2:3], v[130:131], -v[166:167]
	scratch_store_b64 off, v[2:3], off offset:208
	s_wait_xcnt 0x0
	v_cmpx_lt_u32_e32 25, v0
	s_cbranch_execz .LBB126_337
; %bb.336:
	scratch_load_b64 v[2:3], off, off offset:200
	v_mov_b64_e32 v[130:131], 0
	scratch_store_b64 off, v[130:131], off offset:200
	s_wait_loadcnt 0x0
	ds_store_b64 v1, v[2:3]
.LBB126_337:
	s_wait_xcnt 0x0
	s_or_b32 exec_lo, exec_lo, s0
	s_wait_storecnt_dscnt 0x0
	s_barrier_signal -1
	s_barrier_wait -1
	s_clause 0x5
	scratch_load_b128 v[130:133], off, off offset:200
	scratch_load_b128 v[134:137], off, off offset:216
	;; [unrolled: 1-line block ×6, first 2 shown]
	v_mov_b32_e32 v2, 0
	ds_load_b128 v[154:157], v2 offset:720
	ds_load_b128 v[158:161], v2 offset:736
	scratch_load_b128 v[162:165], off, off offset:296
	s_mov_b32 s0, exec_lo
	s_wait_loadcnt_dscnt 0x601
	v_fma_f64 v[166:167], v[132:133], v[154:155], 0
	s_wait_loadcnt 0x5
	s_delay_alu instid0(VALU_DEP_1) | instskip(SKIP_4) | instid1(VALU_DEP_1)
	v_fmac_f64_e32 v[166:167], v[134:135], v[156:157]
	scratch_load_b128 v[132:135], off, off offset:312
	s_wait_dscnt 0x0
	v_fmac_f64_e32 v[166:167], v[136:137], v[158:159]
	s_wait_loadcnt 0x5
	v_fmac_f64_e32 v[166:167], v[138:139], v[160:161]
	ds_load_b128 v[136:139], v2 offset:752
	ds_load_b128 v[154:157], v2 offset:768
	scratch_load_b128 v[158:161], off, off offset:328
	s_wait_dscnt 0x1
	v_fmac_f64_e32 v[166:167], v[140:141], v[136:137]
	s_wait_loadcnt 0x5
	s_delay_alu instid0(VALU_DEP_1) | instskip(SKIP_4) | instid1(VALU_DEP_1)
	v_fmac_f64_e32 v[166:167], v[142:143], v[138:139]
	scratch_load_b128 v[136:139], off, off offset:344
	s_wait_dscnt 0x0
	v_fmac_f64_e32 v[166:167], v[144:145], v[154:155]
	s_wait_loadcnt 0x5
	v_fmac_f64_e32 v[166:167], v[146:147], v[156:157]
	ds_load_b128 v[140:143], v2 offset:784
	ds_load_b128 v[144:147], v2 offset:800
	scratch_load_b128 v[154:157], off, off offset:360
	s_wait_dscnt 0x1
	v_fmac_f64_e32 v[166:167], v[148:149], v[140:141]
	s_wait_loadcnt 0x5
	s_delay_alu instid0(VALU_DEP_1) | instskip(SKIP_4) | instid1(VALU_DEP_1)
	v_fmac_f64_e32 v[166:167], v[150:151], v[142:143]
	scratch_load_b128 v[140:143], off, off offset:376
	s_wait_dscnt 0x0
	v_fmac_f64_e32 v[166:167], v[152:153], v[144:145]
	s_wait_loadcnt 0x5
	v_fmac_f64_e32 v[166:167], v[162:163], v[146:147]
	ds_load_b128 v[144:147], v2 offset:816
	ds_load_b128 v[148:151], v2 offset:832
	s_wait_dscnt 0x1
	v_fmac_f64_e32 v[166:167], v[164:165], v[144:145]
	scratch_load_b128 v[162:165], off, off offset:392
	s_wait_loadcnt 0x5
	v_fmac_f64_e32 v[166:167], v[132:133], v[146:147]
	s_wait_dscnt 0x0
	s_delay_alu instid0(VALU_DEP_1)
	v_fmac_f64_e32 v[166:167], v[134:135], v[148:149]
	scratch_load_b128 v[132:135], off, off offset:408
	s_wait_loadcnt 0x5
	v_fmac_f64_e32 v[166:167], v[158:159], v[150:151]
	ds_load_b128 v[144:147], v2 offset:848
	ds_load_b128 v[148:151], v2 offset:864
	s_wait_dscnt 0x1
	v_fmac_f64_e32 v[166:167], v[160:161], v[144:145]
	s_wait_loadcnt 0x4
	s_delay_alu instid0(VALU_DEP_1)
	v_fmac_f64_e32 v[166:167], v[136:137], v[146:147]
	scratch_load_b128 v[144:147], off, off offset:424
	s_wait_dscnt 0x0
	v_fmac_f64_e32 v[166:167], v[138:139], v[148:149]
	scratch_load_b128 v[136:139], off, off offset:440
	s_wait_loadcnt 0x5
	v_fmac_f64_e32 v[166:167], v[154:155], v[150:151]
	ds_load_b128 v[148:151], v2 offset:880
	ds_load_b128 v[152:155], v2 offset:896
	s_wait_dscnt 0x1
	v_fmac_f64_e32 v[166:167], v[156:157], v[148:149]
	s_wait_loadcnt 0x4
	s_delay_alu instid0(VALU_DEP_1)
	v_fmac_f64_e32 v[166:167], v[140:141], v[150:151]
	scratch_load_b128 v[148:151], off, off offset:456
	s_wait_dscnt 0x0
	v_fmac_f64_e32 v[166:167], v[142:143], v[152:153]
	scratch_load_b128 v[140:143], off, off offset:472
	s_wait_loadcnt 0x5
	v_fmac_f64_e32 v[166:167], v[162:163], v[154:155]
	ds_load_b128 v[152:155], v2 offset:912
	ds_load_b128 v[156:159], v2 offset:928
	s_wait_dscnt 0x1
	v_fmac_f64_e32 v[166:167], v[164:165], v[152:153]
	s_wait_loadcnt 0x4
	s_delay_alu instid0(VALU_DEP_1) | instskip(SKIP_4) | instid1(VALU_DEP_1)
	v_fmac_f64_e32 v[166:167], v[132:133], v[154:155]
	scratch_load_b128 v[152:155], off, off offset:488
	s_wait_dscnt 0x0
	v_fmac_f64_e32 v[166:167], v[134:135], v[156:157]
	s_wait_loadcnt 0x4
	v_fmac_f64_e32 v[166:167], v[144:145], v[158:159]
	ds_load_b128 v[132:135], v2 offset:944
	ds_load_b128 v[156:159], v2 offset:960
	s_wait_dscnt 0x1
	v_fmac_f64_e32 v[166:167], v[146:147], v[132:133]
	s_wait_loadcnt 0x3
	s_delay_alu instid0(VALU_DEP_1) | instskip(SKIP_1) | instid1(VALU_DEP_1)
	v_fmac_f64_e32 v[166:167], v[136:137], v[134:135]
	s_wait_dscnt 0x0
	v_fmac_f64_e32 v[166:167], v[138:139], v[156:157]
	ds_load_b128 v[132:135], v2 offset:976
	ds_load_b128 v[136:139], v2 offset:992
	s_wait_loadcnt 0x2
	v_fmac_f64_e32 v[166:167], v[148:149], v[158:159]
	s_wait_dscnt 0x1
	s_delay_alu instid0(VALU_DEP_1) | instskip(SKIP_4) | instid1(VALU_DEP_1)
	v_fmac_f64_e32 v[166:167], v[150:151], v[132:133]
	ds_load_b64 v[132:133], v2 offset:1008
	s_wait_loadcnt 0x1
	v_fmac_f64_e32 v[166:167], v[140:141], v[134:135]
	s_wait_dscnt 0x1
	v_fmac_f64_e32 v[166:167], v[142:143], v[136:137]
	s_wait_loadcnt 0x0
	s_delay_alu instid0(VALU_DEP_1) | instskip(SKIP_1) | instid1(VALU_DEP_1)
	v_fmac_f64_e32 v[166:167], v[152:153], v[138:139]
	s_wait_dscnt 0x0
	v_fmac_f64_e32 v[166:167], v[154:155], v[132:133]
	s_delay_alu instid0(VALU_DEP_1)
	v_add_f64_e64 v[130:131], v[130:131], -v[166:167]
	scratch_store_b64 off, v[130:131], off offset:200
	s_wait_xcnt 0x0
	v_cmpx_lt_u32_e32 24, v0
	s_cbranch_execz .LBB126_339
; %bb.338:
	scratch_load_b64 v[130:131], off, off offset:192
	v_mov_b64_e32 v[132:133], 0
	scratch_store_b64 off, v[132:133], off offset:192
	s_wait_loadcnt 0x0
	ds_store_b64 v1, v[130:131]
.LBB126_339:
	s_wait_xcnt 0x0
	s_or_b32 exec_lo, exec_lo, s0
	s_wait_storecnt_dscnt 0x0
	s_barrier_signal -1
	s_barrier_wait -1
	s_clause 0x5
	scratch_load_b128 v[130:133], off, off offset:192
	scratch_load_b128 v[134:137], off, off offset:208
	;; [unrolled: 1-line block ×6, first 2 shown]
	ds_load_2addr_b64 v[154:157], v2 offset0:89 offset1:90
	ds_load_2addr_b64 v[158:161], v2 offset0:91 offset1:92
	scratch_load_b128 v[162:165], off, off offset:288
	s_mov_b32 s0, exec_lo
	s_wait_loadcnt_dscnt 0x601
	v_fma_f64 v[166:167], v[132:133], v[154:155], 0
	s_wait_loadcnt 0x5
	s_delay_alu instid0(VALU_DEP_1) | instskip(SKIP_4) | instid1(VALU_DEP_1)
	v_fmac_f64_e32 v[166:167], v[134:135], v[156:157]
	scratch_load_b128 v[132:135], off, off offset:304
	s_wait_dscnt 0x0
	v_fmac_f64_e32 v[166:167], v[136:137], v[158:159]
	s_wait_loadcnt 0x5
	v_fmac_f64_e32 v[166:167], v[138:139], v[160:161]
	ds_load_2addr_b64 v[136:139], v2 offset0:93 offset1:94
	ds_load_2addr_b64 v[154:157], v2 offset0:95 offset1:96
	scratch_load_b128 v[158:161], off, off offset:320
	s_wait_dscnt 0x1
	v_fmac_f64_e32 v[166:167], v[140:141], v[136:137]
	s_wait_loadcnt 0x5
	s_delay_alu instid0(VALU_DEP_1) | instskip(SKIP_4) | instid1(VALU_DEP_1)
	v_fmac_f64_e32 v[166:167], v[142:143], v[138:139]
	scratch_load_b128 v[136:139], off, off offset:336
	s_wait_dscnt 0x0
	v_fmac_f64_e32 v[166:167], v[144:145], v[154:155]
	s_wait_loadcnt 0x5
	v_fmac_f64_e32 v[166:167], v[146:147], v[156:157]
	ds_load_2addr_b64 v[140:143], v2 offset0:97 offset1:98
	ds_load_2addr_b64 v[144:147], v2 offset0:99 offset1:100
	scratch_load_b128 v[154:157], off, off offset:352
	s_wait_dscnt 0x1
	v_fmac_f64_e32 v[166:167], v[148:149], v[140:141]
	s_wait_loadcnt 0x5
	s_delay_alu instid0(VALU_DEP_1) | instskip(SKIP_4) | instid1(VALU_DEP_1)
	v_fmac_f64_e32 v[166:167], v[150:151], v[142:143]
	scratch_load_b128 v[140:143], off, off offset:368
	s_wait_dscnt 0x0
	v_fmac_f64_e32 v[166:167], v[152:153], v[144:145]
	s_wait_loadcnt 0x5
	v_fmac_f64_e32 v[166:167], v[162:163], v[146:147]
	ds_load_2addr_b64 v[144:147], v2 offset0:101 offset1:102
	ds_load_2addr_b64 v[148:151], v2 offset0:103 offset1:104
	s_wait_dscnt 0x1
	v_fmac_f64_e32 v[166:167], v[164:165], v[144:145]
	scratch_load_b128 v[162:165], off, off offset:384
	s_wait_loadcnt 0x5
	v_fmac_f64_e32 v[166:167], v[132:133], v[146:147]
	s_wait_dscnt 0x0
	s_delay_alu instid0(VALU_DEP_1)
	v_fmac_f64_e32 v[166:167], v[134:135], v[148:149]
	scratch_load_b128 v[132:135], off, off offset:400
	s_wait_loadcnt 0x5
	v_fmac_f64_e32 v[166:167], v[158:159], v[150:151]
	ds_load_2addr_b64 v[144:147], v2 offset0:105 offset1:106
	ds_load_2addr_b64 v[148:151], v2 offset0:107 offset1:108
	s_wait_dscnt 0x1
	v_fmac_f64_e32 v[166:167], v[160:161], v[144:145]
	scratch_load_b128 v[158:161], off, off offset:416
	s_wait_loadcnt 0x5
	v_fmac_f64_e32 v[166:167], v[136:137], v[146:147]
	s_wait_dscnt 0x0
	s_delay_alu instid0(VALU_DEP_1)
	v_fmac_f64_e32 v[166:167], v[138:139], v[148:149]
	scratch_load_b128 v[136:139], off, off offset:432
	s_wait_loadcnt 0x5
	v_fmac_f64_e32 v[166:167], v[154:155], v[150:151]
	ds_load_2addr_b64 v[144:147], v2 offset0:109 offset1:110
	ds_load_2addr_b64 v[148:151], v2 offset0:111 offset1:112
	s_wait_dscnt 0x1
	v_fmac_f64_e32 v[166:167], v[156:157], v[144:145]
	s_wait_loadcnt 0x4
	s_delay_alu instid0(VALU_DEP_1)
	v_fmac_f64_e32 v[166:167], v[140:141], v[146:147]
	scratch_load_b128 v[144:147], off, off offset:448
	s_wait_dscnt 0x0
	v_fmac_f64_e32 v[166:167], v[142:143], v[148:149]
	scratch_load_b128 v[140:143], off, off offset:464
	s_wait_loadcnt 0x5
	v_fmac_f64_e32 v[166:167], v[162:163], v[150:151]
	ds_load_2addr_b64 v[148:151], v2 offset0:113 offset1:114
	ds_load_2addr_b64 v[152:155], v2 offset0:115 offset1:116
	scratch_load_b64 v[156:157], off, off offset:496
	s_wait_dscnt 0x1
	v_fmac_f64_e32 v[166:167], v[164:165], v[148:149]
	s_wait_loadcnt 0x5
	s_delay_alu instid0(VALU_DEP_1) | instskip(SKIP_4) | instid1(VALU_DEP_1)
	v_fmac_f64_e32 v[166:167], v[132:133], v[150:151]
	scratch_load_b128 v[148:151], off, off offset:480
	s_wait_dscnt 0x0
	v_fmac_f64_e32 v[166:167], v[134:135], v[152:153]
	s_wait_loadcnt 0x5
	v_fmac_f64_e32 v[166:167], v[158:159], v[154:155]
	ds_load_2addr_b64 v[132:135], v2 offset0:117 offset1:118
	ds_load_2addr_b64 v[152:155], v2 offset0:119 offset1:120
	s_wait_dscnt 0x1
	v_fmac_f64_e32 v[166:167], v[160:161], v[132:133]
	s_wait_loadcnt 0x4
	s_delay_alu instid0(VALU_DEP_1) | instskip(SKIP_1) | instid1(VALU_DEP_1)
	v_fmac_f64_e32 v[166:167], v[136:137], v[134:135]
	s_wait_dscnt 0x0
	v_fmac_f64_e32 v[166:167], v[138:139], v[152:153]
	ds_load_2addr_b64 v[132:135], v2 offset0:121 offset1:122
	ds_load_2addr_b64 v[136:139], v2 offset0:123 offset1:124
	s_wait_loadcnt 0x3
	v_fmac_f64_e32 v[166:167], v[144:145], v[154:155]
	s_wait_dscnt 0x1
	s_delay_alu instid0(VALU_DEP_1) | instskip(SKIP_1) | instid1(VALU_DEP_1)
	v_fmac_f64_e32 v[166:167], v[146:147], v[132:133]
	s_wait_loadcnt 0x2
	v_fmac_f64_e32 v[166:167], v[140:141], v[134:135]
	ds_load_2addr_b64 v[132:135], v2 offset0:125 offset1:126
	s_wait_dscnt 0x1
	v_fmac_f64_e32 v[166:167], v[142:143], v[136:137]
	s_wait_loadcnt 0x0
	s_delay_alu instid0(VALU_DEP_1) | instskip(SKIP_1) | instid1(VALU_DEP_1)
	v_fmac_f64_e32 v[166:167], v[148:149], v[138:139]
	s_wait_dscnt 0x0
	v_fmac_f64_e32 v[166:167], v[150:151], v[132:133]
	s_delay_alu instid0(VALU_DEP_1) | instskip(NEXT) | instid1(VALU_DEP_1)
	v_fmac_f64_e32 v[166:167], v[156:157], v[134:135]
	v_add_f64_e64 v[2:3], v[130:131], -v[166:167]
	scratch_store_b64 off, v[2:3], off offset:192
	s_wait_xcnt 0x0
	v_cmpx_lt_u32_e32 23, v0
	s_cbranch_execz .LBB126_341
; %bb.340:
	scratch_load_b64 v[2:3], off, off offset:184
	v_mov_b64_e32 v[130:131], 0
	scratch_store_b64 off, v[130:131], off offset:184
	s_wait_loadcnt 0x0
	ds_store_b64 v1, v[2:3]
.LBB126_341:
	s_wait_xcnt 0x0
	s_or_b32 exec_lo, exec_lo, s0
	s_wait_storecnt_dscnt 0x0
	s_barrier_signal -1
	s_barrier_wait -1
	s_clause 0x5
	scratch_load_b128 v[130:133], off, off offset:184
	scratch_load_b128 v[134:137], off, off offset:200
	;; [unrolled: 1-line block ×6, first 2 shown]
	v_mov_b32_e32 v2, 0
	ds_load_b128 v[154:157], v2 offset:704
	ds_load_b128 v[158:161], v2 offset:720
	scratch_load_b128 v[162:165], off, off offset:280
	s_mov_b32 s0, exec_lo
	s_wait_loadcnt_dscnt 0x601
	v_fma_f64 v[166:167], v[132:133], v[154:155], 0
	s_wait_loadcnt 0x5
	s_delay_alu instid0(VALU_DEP_1) | instskip(SKIP_4) | instid1(VALU_DEP_1)
	v_fmac_f64_e32 v[166:167], v[134:135], v[156:157]
	scratch_load_b128 v[132:135], off, off offset:296
	s_wait_dscnt 0x0
	v_fmac_f64_e32 v[166:167], v[136:137], v[158:159]
	s_wait_loadcnt 0x5
	v_fmac_f64_e32 v[166:167], v[138:139], v[160:161]
	ds_load_b128 v[136:139], v2 offset:736
	ds_load_b128 v[154:157], v2 offset:752
	scratch_load_b128 v[158:161], off, off offset:312
	s_wait_dscnt 0x1
	v_fmac_f64_e32 v[166:167], v[140:141], v[136:137]
	s_wait_loadcnt 0x5
	s_delay_alu instid0(VALU_DEP_1) | instskip(SKIP_4) | instid1(VALU_DEP_1)
	v_fmac_f64_e32 v[166:167], v[142:143], v[138:139]
	scratch_load_b128 v[136:139], off, off offset:328
	s_wait_dscnt 0x0
	v_fmac_f64_e32 v[166:167], v[144:145], v[154:155]
	s_wait_loadcnt 0x5
	v_fmac_f64_e32 v[166:167], v[146:147], v[156:157]
	ds_load_b128 v[140:143], v2 offset:768
	ds_load_b128 v[144:147], v2 offset:784
	scratch_load_b128 v[154:157], off, off offset:344
	s_wait_dscnt 0x1
	v_fmac_f64_e32 v[166:167], v[148:149], v[140:141]
	s_wait_loadcnt 0x5
	s_delay_alu instid0(VALU_DEP_1) | instskip(SKIP_4) | instid1(VALU_DEP_1)
	v_fmac_f64_e32 v[166:167], v[150:151], v[142:143]
	scratch_load_b128 v[140:143], off, off offset:360
	s_wait_dscnt 0x0
	v_fmac_f64_e32 v[166:167], v[152:153], v[144:145]
	s_wait_loadcnt 0x5
	v_fmac_f64_e32 v[166:167], v[162:163], v[146:147]
	ds_load_b128 v[144:147], v2 offset:800
	ds_load_b128 v[148:151], v2 offset:816
	s_wait_dscnt 0x1
	v_fmac_f64_e32 v[166:167], v[164:165], v[144:145]
	scratch_load_b128 v[162:165], off, off offset:376
	s_wait_loadcnt 0x5
	v_fmac_f64_e32 v[166:167], v[132:133], v[146:147]
	s_wait_dscnt 0x0
	s_delay_alu instid0(VALU_DEP_1)
	v_fmac_f64_e32 v[166:167], v[134:135], v[148:149]
	scratch_load_b128 v[132:135], off, off offset:392
	s_wait_loadcnt 0x5
	v_fmac_f64_e32 v[166:167], v[158:159], v[150:151]
	ds_load_b128 v[144:147], v2 offset:832
	ds_load_b128 v[148:151], v2 offset:848
	s_wait_dscnt 0x1
	v_fmac_f64_e32 v[166:167], v[160:161], v[144:145]
	scratch_load_b128 v[158:161], off, off offset:408
	s_wait_loadcnt 0x5
	v_fmac_f64_e32 v[166:167], v[136:137], v[146:147]
	s_wait_dscnt 0x0
	s_delay_alu instid0(VALU_DEP_1)
	v_fmac_f64_e32 v[166:167], v[138:139], v[148:149]
	scratch_load_b128 v[136:139], off, off offset:424
	s_wait_loadcnt 0x5
	v_fmac_f64_e32 v[166:167], v[154:155], v[150:151]
	ds_load_b128 v[144:147], v2 offset:864
	ds_load_b128 v[148:151], v2 offset:880
	s_wait_dscnt 0x1
	v_fmac_f64_e32 v[166:167], v[156:157], v[144:145]
	s_wait_loadcnt 0x4
	s_delay_alu instid0(VALU_DEP_1)
	v_fmac_f64_e32 v[166:167], v[140:141], v[146:147]
	scratch_load_b128 v[144:147], off, off offset:440
	s_wait_dscnt 0x0
	v_fmac_f64_e32 v[166:167], v[142:143], v[148:149]
	scratch_load_b128 v[140:143], off, off offset:456
	s_wait_loadcnt 0x5
	v_fmac_f64_e32 v[166:167], v[162:163], v[150:151]
	ds_load_b128 v[148:151], v2 offset:896
	ds_load_b128 v[152:155], v2 offset:912
	s_wait_dscnt 0x1
	v_fmac_f64_e32 v[166:167], v[164:165], v[148:149]
	s_wait_loadcnt 0x4
	s_delay_alu instid0(VALU_DEP_1)
	v_fmac_f64_e32 v[166:167], v[132:133], v[150:151]
	scratch_load_b128 v[148:151], off, off offset:472
	s_wait_dscnt 0x0
	v_fmac_f64_e32 v[166:167], v[134:135], v[152:153]
	scratch_load_b128 v[132:135], off, off offset:488
	s_wait_loadcnt 0x5
	v_fmac_f64_e32 v[166:167], v[158:159], v[154:155]
	ds_load_b128 v[152:155], v2 offset:928
	ds_load_b128 v[156:159], v2 offset:944
	s_wait_dscnt 0x1
	v_fmac_f64_e32 v[166:167], v[160:161], v[152:153]
	s_wait_loadcnt 0x4
	s_delay_alu instid0(VALU_DEP_1) | instskip(SKIP_1) | instid1(VALU_DEP_1)
	v_fmac_f64_e32 v[166:167], v[136:137], v[154:155]
	s_wait_dscnt 0x0
	v_fmac_f64_e32 v[166:167], v[138:139], v[156:157]
	ds_load_b128 v[136:139], v2 offset:960
	ds_load_b128 v[152:155], v2 offset:976
	s_wait_loadcnt 0x3
	v_fmac_f64_e32 v[166:167], v[144:145], v[158:159]
	s_wait_dscnt 0x1
	s_delay_alu instid0(VALU_DEP_1) | instskip(SKIP_1) | instid1(VALU_DEP_1)
	v_fmac_f64_e32 v[166:167], v[146:147], v[136:137]
	s_wait_loadcnt 0x2
	v_fmac_f64_e32 v[166:167], v[140:141], v[138:139]
	ds_load_b128 v[136:139], v2 offset:992
	ds_load_b64 v[140:141], v2 offset:1008
	s_wait_dscnt 0x2
	v_fmac_f64_e32 v[166:167], v[142:143], v[152:153]
	s_wait_loadcnt 0x1
	s_delay_alu instid0(VALU_DEP_1) | instskip(SKIP_1) | instid1(VALU_DEP_1)
	v_fmac_f64_e32 v[166:167], v[148:149], v[154:155]
	s_wait_dscnt 0x1
	v_fmac_f64_e32 v[166:167], v[150:151], v[136:137]
	s_wait_loadcnt 0x0
	s_delay_alu instid0(VALU_DEP_1) | instskip(SKIP_1) | instid1(VALU_DEP_1)
	v_fmac_f64_e32 v[166:167], v[132:133], v[138:139]
	s_wait_dscnt 0x0
	v_fmac_f64_e32 v[166:167], v[134:135], v[140:141]
	s_delay_alu instid0(VALU_DEP_1)
	v_add_f64_e64 v[130:131], v[130:131], -v[166:167]
	scratch_store_b64 off, v[130:131], off offset:184
	s_wait_xcnt 0x0
	v_cmpx_lt_u32_e32 22, v0
	s_cbranch_execz .LBB126_343
; %bb.342:
	scratch_load_b64 v[130:131], off, off offset:176
	v_mov_b64_e32 v[132:133], 0
	scratch_store_b64 off, v[132:133], off offset:176
	s_wait_loadcnt 0x0
	ds_store_b64 v1, v[130:131]
.LBB126_343:
	s_wait_xcnt 0x0
	s_or_b32 exec_lo, exec_lo, s0
	s_wait_storecnt_dscnt 0x0
	s_barrier_signal -1
	s_barrier_wait -1
	s_clause 0x5
	scratch_load_b128 v[130:133], off, off offset:176
	scratch_load_b128 v[134:137], off, off offset:192
	;; [unrolled: 1-line block ×6, first 2 shown]
	ds_load_2addr_b64 v[154:157], v2 offset0:87 offset1:88
	ds_load_2addr_b64 v[158:161], v2 offset0:89 offset1:90
	scratch_load_b128 v[162:165], off, off offset:272
	s_mov_b32 s0, exec_lo
	s_wait_loadcnt_dscnt 0x601
	v_fma_f64 v[166:167], v[132:133], v[154:155], 0
	s_wait_loadcnt 0x5
	s_delay_alu instid0(VALU_DEP_1) | instskip(SKIP_4) | instid1(VALU_DEP_1)
	v_fmac_f64_e32 v[166:167], v[134:135], v[156:157]
	scratch_load_b128 v[132:135], off, off offset:288
	s_wait_dscnt 0x0
	v_fmac_f64_e32 v[166:167], v[136:137], v[158:159]
	s_wait_loadcnt 0x5
	v_fmac_f64_e32 v[166:167], v[138:139], v[160:161]
	ds_load_2addr_b64 v[136:139], v2 offset0:91 offset1:92
	ds_load_2addr_b64 v[154:157], v2 offset0:93 offset1:94
	scratch_load_b128 v[158:161], off, off offset:304
	s_wait_dscnt 0x1
	v_fmac_f64_e32 v[166:167], v[140:141], v[136:137]
	s_wait_loadcnt 0x5
	s_delay_alu instid0(VALU_DEP_1) | instskip(SKIP_4) | instid1(VALU_DEP_1)
	v_fmac_f64_e32 v[166:167], v[142:143], v[138:139]
	scratch_load_b128 v[136:139], off, off offset:320
	s_wait_dscnt 0x0
	v_fmac_f64_e32 v[166:167], v[144:145], v[154:155]
	s_wait_loadcnt 0x5
	v_fmac_f64_e32 v[166:167], v[146:147], v[156:157]
	ds_load_2addr_b64 v[140:143], v2 offset0:95 offset1:96
	ds_load_2addr_b64 v[144:147], v2 offset0:97 offset1:98
	scratch_load_b128 v[154:157], off, off offset:336
	s_wait_dscnt 0x1
	v_fmac_f64_e32 v[166:167], v[148:149], v[140:141]
	s_wait_loadcnt 0x5
	s_delay_alu instid0(VALU_DEP_1) | instskip(SKIP_4) | instid1(VALU_DEP_1)
	v_fmac_f64_e32 v[166:167], v[150:151], v[142:143]
	scratch_load_b128 v[140:143], off, off offset:352
	s_wait_dscnt 0x0
	v_fmac_f64_e32 v[166:167], v[152:153], v[144:145]
	s_wait_loadcnt 0x5
	v_fmac_f64_e32 v[166:167], v[162:163], v[146:147]
	ds_load_2addr_b64 v[144:147], v2 offset0:99 offset1:100
	ds_load_2addr_b64 v[148:151], v2 offset0:101 offset1:102
	s_wait_dscnt 0x1
	v_fmac_f64_e32 v[166:167], v[164:165], v[144:145]
	scratch_load_b128 v[162:165], off, off offset:368
	s_wait_loadcnt 0x5
	v_fmac_f64_e32 v[166:167], v[132:133], v[146:147]
	s_wait_dscnt 0x0
	s_delay_alu instid0(VALU_DEP_1)
	v_fmac_f64_e32 v[166:167], v[134:135], v[148:149]
	scratch_load_b128 v[132:135], off, off offset:384
	s_wait_loadcnt 0x5
	v_fmac_f64_e32 v[166:167], v[158:159], v[150:151]
	ds_load_2addr_b64 v[144:147], v2 offset0:103 offset1:104
	ds_load_2addr_b64 v[148:151], v2 offset0:105 offset1:106
	s_wait_dscnt 0x1
	v_fmac_f64_e32 v[166:167], v[160:161], v[144:145]
	scratch_load_b128 v[158:161], off, off offset:400
	s_wait_loadcnt 0x5
	v_fmac_f64_e32 v[166:167], v[136:137], v[146:147]
	s_wait_dscnt 0x0
	s_delay_alu instid0(VALU_DEP_1)
	v_fmac_f64_e32 v[166:167], v[138:139], v[148:149]
	scratch_load_b128 v[136:139], off, off offset:416
	s_wait_loadcnt 0x5
	v_fmac_f64_e32 v[166:167], v[154:155], v[150:151]
	ds_load_2addr_b64 v[144:147], v2 offset0:107 offset1:108
	ds_load_2addr_b64 v[148:151], v2 offset0:109 offset1:110
	s_wait_dscnt 0x1
	v_fmac_f64_e32 v[166:167], v[156:157], v[144:145]
	s_wait_loadcnt 0x4
	s_delay_alu instid0(VALU_DEP_1)
	v_fmac_f64_e32 v[166:167], v[140:141], v[146:147]
	scratch_load_b128 v[144:147], off, off offset:432
	s_wait_dscnt 0x0
	v_fmac_f64_e32 v[166:167], v[142:143], v[148:149]
	scratch_load_b128 v[140:143], off, off offset:448
	s_wait_loadcnt 0x5
	v_fmac_f64_e32 v[166:167], v[162:163], v[150:151]
	ds_load_2addr_b64 v[148:151], v2 offset0:111 offset1:112
	ds_load_2addr_b64 v[152:155], v2 offset0:113 offset1:114
	s_wait_dscnt 0x1
	v_fmac_f64_e32 v[166:167], v[164:165], v[148:149]
	s_wait_loadcnt 0x4
	s_delay_alu instid0(VALU_DEP_1)
	v_fmac_f64_e32 v[166:167], v[132:133], v[150:151]
	scratch_load_b128 v[148:151], off, off offset:464
	s_wait_dscnt 0x0
	v_fmac_f64_e32 v[166:167], v[134:135], v[152:153]
	scratch_load_b128 v[132:135], off, off offset:480
	s_wait_loadcnt 0x5
	v_fmac_f64_e32 v[166:167], v[158:159], v[154:155]
	ds_load_2addr_b64 v[152:155], v2 offset0:115 offset1:116
	ds_load_2addr_b64 v[156:159], v2 offset0:117 offset1:118
	s_wait_dscnt 0x1
	v_fmac_f64_e32 v[166:167], v[160:161], v[152:153]
	scratch_load_b64 v[160:161], off, off offset:496
	s_wait_loadcnt 0x5
	v_fmac_f64_e32 v[166:167], v[136:137], v[154:155]
	s_wait_dscnt 0x0
	s_delay_alu instid0(VALU_DEP_1)
	v_fmac_f64_e32 v[166:167], v[138:139], v[156:157]
	ds_load_2addr_b64 v[136:139], v2 offset0:119 offset1:120
	ds_load_2addr_b64 v[152:155], v2 offset0:121 offset1:122
	s_wait_loadcnt 0x4
	v_fmac_f64_e32 v[166:167], v[144:145], v[158:159]
	s_wait_dscnt 0x1
	s_delay_alu instid0(VALU_DEP_1) | instskip(SKIP_1) | instid1(VALU_DEP_1)
	v_fmac_f64_e32 v[166:167], v[146:147], v[136:137]
	s_wait_loadcnt 0x3
	v_fmac_f64_e32 v[166:167], v[140:141], v[138:139]
	s_wait_dscnt 0x0
	s_delay_alu instid0(VALU_DEP_1)
	v_fmac_f64_e32 v[166:167], v[142:143], v[152:153]
	ds_load_2addr_b64 v[136:139], v2 offset0:123 offset1:124
	ds_load_2addr_b64 v[140:143], v2 offset0:125 offset1:126
	s_wait_loadcnt 0x2
	v_fmac_f64_e32 v[166:167], v[148:149], v[154:155]
	s_wait_dscnt 0x1
	s_delay_alu instid0(VALU_DEP_1) | instskip(SKIP_1) | instid1(VALU_DEP_1)
	v_fmac_f64_e32 v[166:167], v[150:151], v[136:137]
	s_wait_loadcnt 0x1
	v_fmac_f64_e32 v[166:167], v[132:133], v[138:139]
	s_wait_dscnt 0x0
	s_delay_alu instid0(VALU_DEP_1) | instskip(SKIP_1) | instid1(VALU_DEP_1)
	v_fmac_f64_e32 v[166:167], v[134:135], v[140:141]
	s_wait_loadcnt 0x0
	v_fmac_f64_e32 v[166:167], v[160:161], v[142:143]
	s_delay_alu instid0(VALU_DEP_1)
	v_add_f64_e64 v[2:3], v[130:131], -v[166:167]
	scratch_store_b64 off, v[2:3], off offset:176
	s_wait_xcnt 0x0
	v_cmpx_lt_u32_e32 21, v0
	s_cbranch_execz .LBB126_345
; %bb.344:
	scratch_load_b64 v[2:3], off, off offset:168
	v_mov_b64_e32 v[130:131], 0
	scratch_store_b64 off, v[130:131], off offset:168
	s_wait_loadcnt 0x0
	ds_store_b64 v1, v[2:3]
.LBB126_345:
	s_wait_xcnt 0x0
	s_or_b32 exec_lo, exec_lo, s0
	s_wait_storecnt_dscnt 0x0
	s_barrier_signal -1
	s_barrier_wait -1
	s_clause 0x5
	scratch_load_b128 v[130:133], off, off offset:168
	scratch_load_b128 v[134:137], off, off offset:184
	;; [unrolled: 1-line block ×6, first 2 shown]
	v_mov_b32_e32 v2, 0
	ds_load_b128 v[154:157], v2 offset:688
	ds_load_b128 v[158:161], v2 offset:704
	scratch_load_b128 v[162:165], off, off offset:264
	s_mov_b32 s0, exec_lo
	s_wait_loadcnt_dscnt 0x601
	v_fma_f64 v[166:167], v[132:133], v[154:155], 0
	s_wait_loadcnt 0x5
	s_delay_alu instid0(VALU_DEP_1) | instskip(SKIP_4) | instid1(VALU_DEP_1)
	v_fmac_f64_e32 v[166:167], v[134:135], v[156:157]
	scratch_load_b128 v[132:135], off, off offset:280
	s_wait_dscnt 0x0
	v_fmac_f64_e32 v[166:167], v[136:137], v[158:159]
	s_wait_loadcnt 0x5
	v_fmac_f64_e32 v[166:167], v[138:139], v[160:161]
	ds_load_b128 v[136:139], v2 offset:720
	ds_load_b128 v[154:157], v2 offset:736
	scratch_load_b128 v[158:161], off, off offset:296
	s_wait_dscnt 0x1
	v_fmac_f64_e32 v[166:167], v[140:141], v[136:137]
	s_wait_loadcnt 0x5
	s_delay_alu instid0(VALU_DEP_1) | instskip(SKIP_4) | instid1(VALU_DEP_1)
	v_fmac_f64_e32 v[166:167], v[142:143], v[138:139]
	scratch_load_b128 v[136:139], off, off offset:312
	s_wait_dscnt 0x0
	v_fmac_f64_e32 v[166:167], v[144:145], v[154:155]
	s_wait_loadcnt 0x5
	v_fmac_f64_e32 v[166:167], v[146:147], v[156:157]
	ds_load_b128 v[140:143], v2 offset:752
	ds_load_b128 v[144:147], v2 offset:768
	scratch_load_b128 v[154:157], off, off offset:328
	s_wait_dscnt 0x1
	v_fmac_f64_e32 v[166:167], v[148:149], v[140:141]
	s_wait_loadcnt 0x5
	s_delay_alu instid0(VALU_DEP_1) | instskip(SKIP_4) | instid1(VALU_DEP_1)
	v_fmac_f64_e32 v[166:167], v[150:151], v[142:143]
	scratch_load_b128 v[140:143], off, off offset:344
	s_wait_dscnt 0x0
	v_fmac_f64_e32 v[166:167], v[152:153], v[144:145]
	s_wait_loadcnt 0x5
	v_fmac_f64_e32 v[166:167], v[162:163], v[146:147]
	ds_load_b128 v[144:147], v2 offset:784
	ds_load_b128 v[148:151], v2 offset:800
	s_wait_dscnt 0x1
	v_fmac_f64_e32 v[166:167], v[164:165], v[144:145]
	scratch_load_b128 v[162:165], off, off offset:360
	s_wait_loadcnt 0x5
	v_fmac_f64_e32 v[166:167], v[132:133], v[146:147]
	s_wait_dscnt 0x0
	s_delay_alu instid0(VALU_DEP_1)
	v_fmac_f64_e32 v[166:167], v[134:135], v[148:149]
	scratch_load_b128 v[132:135], off, off offset:376
	s_wait_loadcnt 0x5
	v_fmac_f64_e32 v[166:167], v[158:159], v[150:151]
	ds_load_b128 v[144:147], v2 offset:816
	ds_load_b128 v[148:151], v2 offset:832
	s_wait_dscnt 0x1
	v_fmac_f64_e32 v[166:167], v[160:161], v[144:145]
	scratch_load_b128 v[158:161], off, off offset:392
	s_wait_loadcnt 0x5
	v_fmac_f64_e32 v[166:167], v[136:137], v[146:147]
	s_wait_dscnt 0x0
	s_delay_alu instid0(VALU_DEP_1)
	v_fmac_f64_e32 v[166:167], v[138:139], v[148:149]
	scratch_load_b128 v[136:139], off, off offset:408
	s_wait_loadcnt 0x5
	v_fmac_f64_e32 v[166:167], v[154:155], v[150:151]
	ds_load_b128 v[144:147], v2 offset:848
	ds_load_b128 v[148:151], v2 offset:864
	s_wait_dscnt 0x1
	v_fmac_f64_e32 v[166:167], v[156:157], v[144:145]
	s_wait_loadcnt 0x4
	s_delay_alu instid0(VALU_DEP_1)
	v_fmac_f64_e32 v[166:167], v[140:141], v[146:147]
	scratch_load_b128 v[144:147], off, off offset:424
	s_wait_dscnt 0x0
	v_fmac_f64_e32 v[166:167], v[142:143], v[148:149]
	scratch_load_b128 v[140:143], off, off offset:440
	s_wait_loadcnt 0x5
	v_fmac_f64_e32 v[166:167], v[162:163], v[150:151]
	ds_load_b128 v[148:151], v2 offset:880
	ds_load_b128 v[152:155], v2 offset:896
	s_wait_dscnt 0x1
	v_fmac_f64_e32 v[166:167], v[164:165], v[148:149]
	s_wait_loadcnt 0x4
	s_delay_alu instid0(VALU_DEP_1)
	v_fmac_f64_e32 v[166:167], v[132:133], v[150:151]
	scratch_load_b128 v[148:151], off, off offset:456
	s_wait_dscnt 0x0
	v_fmac_f64_e32 v[166:167], v[134:135], v[152:153]
	scratch_load_b128 v[132:135], off, off offset:472
	s_wait_loadcnt 0x5
	v_fmac_f64_e32 v[166:167], v[158:159], v[154:155]
	ds_load_b128 v[152:155], v2 offset:912
	ds_load_b128 v[156:159], v2 offset:928
	s_wait_dscnt 0x1
	v_fmac_f64_e32 v[166:167], v[160:161], v[152:153]
	s_wait_loadcnt 0x4
	s_delay_alu instid0(VALU_DEP_1) | instskip(SKIP_4) | instid1(VALU_DEP_1)
	v_fmac_f64_e32 v[166:167], v[136:137], v[154:155]
	scratch_load_b128 v[152:155], off, off offset:488
	s_wait_dscnt 0x0
	v_fmac_f64_e32 v[166:167], v[138:139], v[156:157]
	s_wait_loadcnt 0x4
	v_fmac_f64_e32 v[166:167], v[144:145], v[158:159]
	ds_load_b128 v[136:139], v2 offset:944
	ds_load_b128 v[156:159], v2 offset:960
	s_wait_dscnt 0x1
	v_fmac_f64_e32 v[166:167], v[146:147], v[136:137]
	s_wait_loadcnt 0x3
	s_delay_alu instid0(VALU_DEP_1) | instskip(SKIP_1) | instid1(VALU_DEP_1)
	v_fmac_f64_e32 v[166:167], v[140:141], v[138:139]
	s_wait_dscnt 0x0
	v_fmac_f64_e32 v[166:167], v[142:143], v[156:157]
	ds_load_b128 v[136:139], v2 offset:976
	ds_load_b128 v[140:143], v2 offset:992
	s_wait_loadcnt 0x2
	v_fmac_f64_e32 v[166:167], v[148:149], v[158:159]
	s_wait_dscnt 0x1
	s_delay_alu instid0(VALU_DEP_1) | instskip(SKIP_1) | instid1(VALU_DEP_1)
	v_fmac_f64_e32 v[166:167], v[150:151], v[136:137]
	s_wait_loadcnt 0x1
	v_fmac_f64_e32 v[166:167], v[132:133], v[138:139]
	ds_load_b64 v[132:133], v2 offset:1008
	s_wait_dscnt 0x1
	v_fmac_f64_e32 v[166:167], v[134:135], v[140:141]
	s_wait_loadcnt 0x0
	s_delay_alu instid0(VALU_DEP_1) | instskip(SKIP_1) | instid1(VALU_DEP_1)
	v_fmac_f64_e32 v[166:167], v[152:153], v[142:143]
	s_wait_dscnt 0x0
	v_fmac_f64_e32 v[166:167], v[154:155], v[132:133]
	s_delay_alu instid0(VALU_DEP_1)
	v_add_f64_e64 v[130:131], v[130:131], -v[166:167]
	scratch_store_b64 off, v[130:131], off offset:168
	s_wait_xcnt 0x0
	v_cmpx_lt_u32_e32 20, v0
	s_cbranch_execz .LBB126_347
; %bb.346:
	scratch_load_b64 v[130:131], off, off offset:160
	v_mov_b64_e32 v[132:133], 0
	scratch_store_b64 off, v[132:133], off offset:160
	s_wait_loadcnt 0x0
	ds_store_b64 v1, v[130:131]
.LBB126_347:
	s_wait_xcnt 0x0
	s_or_b32 exec_lo, exec_lo, s0
	s_wait_storecnt_dscnt 0x0
	s_barrier_signal -1
	s_barrier_wait -1
	s_clause 0x5
	scratch_load_b128 v[130:133], off, off offset:160
	scratch_load_b128 v[134:137], off, off offset:176
	scratch_load_b128 v[138:141], off, off offset:192
	scratch_load_b128 v[142:145], off, off offset:208
	scratch_load_b128 v[146:149], off, off offset:224
	scratch_load_b128 v[150:153], off, off offset:240
	ds_load_2addr_b64 v[154:157], v2 offset0:85 offset1:86
	ds_load_2addr_b64 v[158:161], v2 offset0:87 offset1:88
	scratch_load_b128 v[162:165], off, off offset:256
	s_mov_b32 s0, exec_lo
	s_wait_loadcnt_dscnt 0x601
	v_fma_f64 v[166:167], v[132:133], v[154:155], 0
	s_wait_loadcnt 0x5
	s_delay_alu instid0(VALU_DEP_1) | instskip(SKIP_4) | instid1(VALU_DEP_1)
	v_fmac_f64_e32 v[166:167], v[134:135], v[156:157]
	scratch_load_b128 v[132:135], off, off offset:272
	s_wait_dscnt 0x0
	v_fmac_f64_e32 v[166:167], v[136:137], v[158:159]
	s_wait_loadcnt 0x5
	v_fmac_f64_e32 v[166:167], v[138:139], v[160:161]
	ds_load_2addr_b64 v[136:139], v2 offset0:89 offset1:90
	ds_load_2addr_b64 v[154:157], v2 offset0:91 offset1:92
	scratch_load_b128 v[158:161], off, off offset:288
	s_wait_dscnt 0x1
	v_fmac_f64_e32 v[166:167], v[140:141], v[136:137]
	s_wait_loadcnt 0x5
	s_delay_alu instid0(VALU_DEP_1) | instskip(SKIP_4) | instid1(VALU_DEP_1)
	v_fmac_f64_e32 v[166:167], v[142:143], v[138:139]
	scratch_load_b128 v[136:139], off, off offset:304
	s_wait_dscnt 0x0
	v_fmac_f64_e32 v[166:167], v[144:145], v[154:155]
	s_wait_loadcnt 0x5
	v_fmac_f64_e32 v[166:167], v[146:147], v[156:157]
	ds_load_2addr_b64 v[140:143], v2 offset0:93 offset1:94
	ds_load_2addr_b64 v[144:147], v2 offset0:95 offset1:96
	scratch_load_b128 v[154:157], off, off offset:320
	s_wait_dscnt 0x1
	v_fmac_f64_e32 v[166:167], v[148:149], v[140:141]
	s_wait_loadcnt 0x5
	s_delay_alu instid0(VALU_DEP_1) | instskip(SKIP_4) | instid1(VALU_DEP_1)
	v_fmac_f64_e32 v[166:167], v[150:151], v[142:143]
	scratch_load_b128 v[140:143], off, off offset:336
	s_wait_dscnt 0x0
	v_fmac_f64_e32 v[166:167], v[152:153], v[144:145]
	s_wait_loadcnt 0x5
	v_fmac_f64_e32 v[166:167], v[162:163], v[146:147]
	ds_load_2addr_b64 v[144:147], v2 offset0:97 offset1:98
	ds_load_2addr_b64 v[148:151], v2 offset0:99 offset1:100
	s_wait_dscnt 0x1
	v_fmac_f64_e32 v[166:167], v[164:165], v[144:145]
	scratch_load_b128 v[162:165], off, off offset:352
	s_wait_loadcnt 0x5
	v_fmac_f64_e32 v[166:167], v[132:133], v[146:147]
	s_wait_dscnt 0x0
	s_delay_alu instid0(VALU_DEP_1)
	v_fmac_f64_e32 v[166:167], v[134:135], v[148:149]
	scratch_load_b128 v[132:135], off, off offset:368
	s_wait_loadcnt 0x5
	v_fmac_f64_e32 v[166:167], v[158:159], v[150:151]
	ds_load_2addr_b64 v[144:147], v2 offset0:101 offset1:102
	ds_load_2addr_b64 v[148:151], v2 offset0:103 offset1:104
	s_wait_dscnt 0x1
	v_fmac_f64_e32 v[166:167], v[160:161], v[144:145]
	scratch_load_b128 v[158:161], off, off offset:384
	s_wait_loadcnt 0x5
	v_fmac_f64_e32 v[166:167], v[136:137], v[146:147]
	s_wait_dscnt 0x0
	s_delay_alu instid0(VALU_DEP_1)
	v_fmac_f64_e32 v[166:167], v[138:139], v[148:149]
	scratch_load_b128 v[136:139], off, off offset:400
	s_wait_loadcnt 0x5
	v_fmac_f64_e32 v[166:167], v[154:155], v[150:151]
	ds_load_2addr_b64 v[144:147], v2 offset0:105 offset1:106
	ds_load_2addr_b64 v[148:151], v2 offset0:107 offset1:108
	scratch_load_b128 v[152:155], off, off offset:416
	s_wait_dscnt 0x1
	v_fmac_f64_e32 v[166:167], v[156:157], v[144:145]
	s_wait_loadcnt 0x5
	s_delay_alu instid0(VALU_DEP_1) | instskip(SKIP_1) | instid1(VALU_DEP_1)
	v_fmac_f64_e32 v[166:167], v[140:141], v[146:147]
	s_wait_dscnt 0x0
	v_fmac_f64_e32 v[166:167], v[142:143], v[148:149]
	scratch_load_b128 v[140:143], off, off offset:432
	s_wait_loadcnt 0x5
	v_fmac_f64_e32 v[166:167], v[162:163], v[150:151]
	ds_load_2addr_b64 v[144:147], v2 offset0:109 offset1:110
	ds_load_2addr_b64 v[148:151], v2 offset0:111 offset1:112
	s_wait_dscnt 0x1
	v_fmac_f64_e32 v[166:167], v[164:165], v[144:145]
	s_wait_loadcnt 0x4
	s_delay_alu instid0(VALU_DEP_1)
	v_fmac_f64_e32 v[166:167], v[132:133], v[146:147]
	scratch_load_b128 v[144:147], off, off offset:448
	s_wait_dscnt 0x0
	v_fmac_f64_e32 v[166:167], v[134:135], v[148:149]
	scratch_load_b128 v[132:135], off, off offset:464
	s_wait_loadcnt 0x5
	v_fmac_f64_e32 v[166:167], v[158:159], v[150:151]
	ds_load_2addr_b64 v[148:151], v2 offset0:113 offset1:114
	ds_load_2addr_b64 v[156:159], v2 offset0:115 offset1:116
	s_wait_dscnt 0x1
	v_fmac_f64_e32 v[166:167], v[160:161], v[148:149]
	s_wait_loadcnt 0x4
	s_delay_alu instid0(VALU_DEP_1) | instskip(SKIP_4) | instid1(VALU_DEP_1)
	v_fmac_f64_e32 v[166:167], v[136:137], v[150:151]
	scratch_load_b128 v[148:151], off, off offset:480
	s_wait_dscnt 0x0
	v_fmac_f64_e32 v[166:167], v[138:139], v[156:157]
	s_wait_loadcnt 0x4
	v_fmac_f64_e32 v[166:167], v[152:153], v[158:159]
	scratch_load_b64 v[152:153], off, off offset:496
	ds_load_2addr_b64 v[136:139], v2 offset0:117 offset1:118
	ds_load_2addr_b64 v[156:159], v2 offset0:119 offset1:120
	s_wait_dscnt 0x1
	v_fmac_f64_e32 v[166:167], v[154:155], v[136:137]
	s_wait_loadcnt 0x4
	s_delay_alu instid0(VALU_DEP_1) | instskip(SKIP_1) | instid1(VALU_DEP_1)
	v_fmac_f64_e32 v[166:167], v[140:141], v[138:139]
	s_wait_dscnt 0x0
	v_fmac_f64_e32 v[166:167], v[142:143], v[156:157]
	ds_load_2addr_b64 v[136:139], v2 offset0:121 offset1:122
	ds_load_2addr_b64 v[140:143], v2 offset0:123 offset1:124
	s_wait_loadcnt 0x3
	v_fmac_f64_e32 v[166:167], v[144:145], v[158:159]
	s_wait_dscnt 0x1
	s_delay_alu instid0(VALU_DEP_1) | instskip(SKIP_1) | instid1(VALU_DEP_1)
	v_fmac_f64_e32 v[166:167], v[146:147], v[136:137]
	s_wait_loadcnt 0x2
	v_fmac_f64_e32 v[166:167], v[132:133], v[138:139]
	s_wait_dscnt 0x0
	s_delay_alu instid0(VALU_DEP_1) | instskip(SKIP_4) | instid1(VALU_DEP_1)
	v_fmac_f64_e32 v[166:167], v[134:135], v[140:141]
	ds_load_2addr_b64 v[132:135], v2 offset0:125 offset1:126
	s_wait_loadcnt 0x1
	v_fmac_f64_e32 v[166:167], v[148:149], v[142:143]
	s_wait_dscnt 0x0
	v_fmac_f64_e32 v[166:167], v[150:151], v[132:133]
	s_wait_loadcnt 0x0
	s_delay_alu instid0(VALU_DEP_1) | instskip(NEXT) | instid1(VALU_DEP_1)
	v_fmac_f64_e32 v[166:167], v[152:153], v[134:135]
	v_add_f64_e64 v[2:3], v[130:131], -v[166:167]
	scratch_store_b64 off, v[2:3], off offset:160
	s_wait_xcnt 0x0
	v_cmpx_lt_u32_e32 19, v0
	s_cbranch_execz .LBB126_349
; %bb.348:
	scratch_load_b64 v[2:3], off, off offset:152
	v_mov_b64_e32 v[130:131], 0
	scratch_store_b64 off, v[130:131], off offset:152
	s_wait_loadcnt 0x0
	ds_store_b64 v1, v[2:3]
.LBB126_349:
	s_wait_xcnt 0x0
	s_or_b32 exec_lo, exec_lo, s0
	s_wait_storecnt_dscnt 0x0
	s_barrier_signal -1
	s_barrier_wait -1
	s_clause 0x5
	scratch_load_b128 v[130:133], off, off offset:152
	scratch_load_b128 v[134:137], off, off offset:168
	;; [unrolled: 1-line block ×6, first 2 shown]
	v_mov_b32_e32 v2, 0
	ds_load_b128 v[154:157], v2 offset:672
	ds_load_b128 v[158:161], v2 offset:688
	scratch_load_b128 v[162:165], off, off offset:248
	s_mov_b32 s0, exec_lo
	s_wait_loadcnt_dscnt 0x601
	v_fma_f64 v[166:167], v[132:133], v[154:155], 0
	s_wait_loadcnt 0x5
	s_delay_alu instid0(VALU_DEP_1) | instskip(SKIP_4) | instid1(VALU_DEP_1)
	v_fmac_f64_e32 v[166:167], v[134:135], v[156:157]
	scratch_load_b128 v[132:135], off, off offset:264
	s_wait_dscnt 0x0
	v_fmac_f64_e32 v[166:167], v[136:137], v[158:159]
	s_wait_loadcnt 0x5
	v_fmac_f64_e32 v[166:167], v[138:139], v[160:161]
	ds_load_b128 v[136:139], v2 offset:704
	ds_load_b128 v[154:157], v2 offset:720
	scratch_load_b128 v[158:161], off, off offset:280
	s_wait_dscnt 0x1
	v_fmac_f64_e32 v[166:167], v[140:141], v[136:137]
	s_wait_loadcnt 0x5
	s_delay_alu instid0(VALU_DEP_1) | instskip(SKIP_4) | instid1(VALU_DEP_1)
	v_fmac_f64_e32 v[166:167], v[142:143], v[138:139]
	scratch_load_b128 v[136:139], off, off offset:296
	s_wait_dscnt 0x0
	v_fmac_f64_e32 v[166:167], v[144:145], v[154:155]
	s_wait_loadcnt 0x5
	v_fmac_f64_e32 v[166:167], v[146:147], v[156:157]
	ds_load_b128 v[140:143], v2 offset:736
	ds_load_b128 v[144:147], v2 offset:752
	scratch_load_b128 v[154:157], off, off offset:312
	s_wait_dscnt 0x1
	v_fmac_f64_e32 v[166:167], v[148:149], v[140:141]
	s_wait_loadcnt 0x5
	s_delay_alu instid0(VALU_DEP_1) | instskip(SKIP_4) | instid1(VALU_DEP_1)
	v_fmac_f64_e32 v[166:167], v[150:151], v[142:143]
	scratch_load_b128 v[140:143], off, off offset:328
	s_wait_dscnt 0x0
	v_fmac_f64_e32 v[166:167], v[152:153], v[144:145]
	s_wait_loadcnt 0x5
	v_fmac_f64_e32 v[166:167], v[162:163], v[146:147]
	ds_load_b128 v[144:147], v2 offset:768
	ds_load_b128 v[148:151], v2 offset:784
	s_wait_dscnt 0x1
	v_fmac_f64_e32 v[166:167], v[164:165], v[144:145]
	scratch_load_b128 v[162:165], off, off offset:344
	s_wait_loadcnt 0x5
	v_fmac_f64_e32 v[166:167], v[132:133], v[146:147]
	s_wait_dscnt 0x0
	s_delay_alu instid0(VALU_DEP_1)
	v_fmac_f64_e32 v[166:167], v[134:135], v[148:149]
	scratch_load_b128 v[132:135], off, off offset:360
	s_wait_loadcnt 0x5
	v_fmac_f64_e32 v[166:167], v[158:159], v[150:151]
	ds_load_b128 v[144:147], v2 offset:800
	ds_load_b128 v[148:151], v2 offset:816
	s_wait_dscnt 0x1
	v_fmac_f64_e32 v[166:167], v[160:161], v[144:145]
	scratch_load_b128 v[158:161], off, off offset:376
	s_wait_loadcnt 0x5
	v_fmac_f64_e32 v[166:167], v[136:137], v[146:147]
	s_wait_dscnt 0x0
	s_delay_alu instid0(VALU_DEP_1)
	v_fmac_f64_e32 v[166:167], v[138:139], v[148:149]
	scratch_load_b128 v[136:139], off, off offset:392
	s_wait_loadcnt 0x5
	v_fmac_f64_e32 v[166:167], v[154:155], v[150:151]
	ds_load_b128 v[144:147], v2 offset:832
	ds_load_b128 v[148:151], v2 offset:848
	scratch_load_b128 v[152:155], off, off offset:408
	s_wait_dscnt 0x1
	v_fmac_f64_e32 v[166:167], v[156:157], v[144:145]
	s_wait_loadcnt 0x5
	s_delay_alu instid0(VALU_DEP_1) | instskip(SKIP_1) | instid1(VALU_DEP_1)
	v_fmac_f64_e32 v[166:167], v[140:141], v[146:147]
	s_wait_dscnt 0x0
	v_fmac_f64_e32 v[166:167], v[142:143], v[148:149]
	scratch_load_b128 v[140:143], off, off offset:424
	s_wait_loadcnt 0x5
	v_fmac_f64_e32 v[166:167], v[162:163], v[150:151]
	ds_load_b128 v[144:147], v2 offset:864
	ds_load_b128 v[148:151], v2 offset:880
	s_wait_dscnt 0x1
	v_fmac_f64_e32 v[166:167], v[164:165], v[144:145]
	s_wait_loadcnt 0x4
	s_delay_alu instid0(VALU_DEP_1)
	v_fmac_f64_e32 v[166:167], v[132:133], v[146:147]
	scratch_load_b128 v[144:147], off, off offset:440
	s_wait_dscnt 0x0
	v_fmac_f64_e32 v[166:167], v[134:135], v[148:149]
	scratch_load_b128 v[132:135], off, off offset:456
	s_wait_loadcnt 0x5
	v_fmac_f64_e32 v[166:167], v[158:159], v[150:151]
	ds_load_b128 v[148:151], v2 offset:896
	ds_load_b128 v[156:159], v2 offset:912
	s_wait_dscnt 0x1
	v_fmac_f64_e32 v[166:167], v[160:161], v[148:149]
	s_wait_loadcnt 0x4
	s_delay_alu instid0(VALU_DEP_1)
	v_fmac_f64_e32 v[166:167], v[136:137], v[150:151]
	scratch_load_b128 v[148:151], off, off offset:472
	s_wait_dscnt 0x0
	v_fmac_f64_e32 v[166:167], v[138:139], v[156:157]
	scratch_load_b128 v[136:139], off, off offset:488
	s_wait_loadcnt 0x5
	v_fmac_f64_e32 v[166:167], v[152:153], v[158:159]
	ds_load_b128 v[156:159], v2 offset:928
	ds_load_b128 v[160:163], v2 offset:944
	s_wait_dscnt 0x1
	v_fmac_f64_e32 v[166:167], v[154:155], v[156:157]
	s_wait_loadcnt 0x4
	s_delay_alu instid0(VALU_DEP_1) | instskip(SKIP_1) | instid1(VALU_DEP_1)
	v_fmac_f64_e32 v[166:167], v[140:141], v[158:159]
	s_wait_dscnt 0x0
	v_fmac_f64_e32 v[166:167], v[142:143], v[160:161]
	ds_load_b128 v[140:143], v2 offset:960
	ds_load_b128 v[152:155], v2 offset:976
	s_wait_loadcnt 0x3
	v_fmac_f64_e32 v[166:167], v[144:145], v[162:163]
	s_wait_dscnt 0x1
	s_delay_alu instid0(VALU_DEP_1) | instskip(SKIP_1) | instid1(VALU_DEP_1)
	v_fmac_f64_e32 v[166:167], v[146:147], v[140:141]
	s_wait_loadcnt 0x2
	v_fmac_f64_e32 v[166:167], v[132:133], v[142:143]
	s_wait_dscnt 0x0
	s_delay_alu instid0(VALU_DEP_1)
	v_fmac_f64_e32 v[166:167], v[134:135], v[152:153]
	ds_load_b128 v[132:135], v2 offset:992
	ds_load_b64 v[140:141], v2 offset:1008
	s_wait_loadcnt 0x1
	v_fmac_f64_e32 v[166:167], v[148:149], v[154:155]
	s_wait_dscnt 0x1
	s_delay_alu instid0(VALU_DEP_1) | instskip(SKIP_1) | instid1(VALU_DEP_1)
	v_fmac_f64_e32 v[166:167], v[150:151], v[132:133]
	s_wait_loadcnt 0x0
	v_fmac_f64_e32 v[166:167], v[136:137], v[134:135]
	s_wait_dscnt 0x0
	s_delay_alu instid0(VALU_DEP_1) | instskip(NEXT) | instid1(VALU_DEP_1)
	v_fmac_f64_e32 v[166:167], v[138:139], v[140:141]
	v_add_f64_e64 v[130:131], v[130:131], -v[166:167]
	scratch_store_b64 off, v[130:131], off offset:152
	s_wait_xcnt 0x0
	v_cmpx_lt_u32_e32 18, v0
	s_cbranch_execz .LBB126_351
; %bb.350:
	scratch_load_b64 v[130:131], off, off offset:144
	v_mov_b64_e32 v[132:133], 0
	scratch_store_b64 off, v[132:133], off offset:144
	s_wait_loadcnt 0x0
	ds_store_b64 v1, v[130:131]
.LBB126_351:
	s_wait_xcnt 0x0
	s_or_b32 exec_lo, exec_lo, s0
	s_wait_storecnt_dscnt 0x0
	s_barrier_signal -1
	s_barrier_wait -1
	s_clause 0x5
	scratch_load_b128 v[130:133], off, off offset:144
	scratch_load_b128 v[134:137], off, off offset:160
	;; [unrolled: 1-line block ×6, first 2 shown]
	ds_load_2addr_b64 v[154:157], v2 offset0:83 offset1:84
	ds_load_2addr_b64 v[158:161], v2 offset0:85 offset1:86
	scratch_load_b128 v[162:165], off, off offset:240
	s_mov_b32 s0, exec_lo
	s_wait_loadcnt_dscnt 0x601
	v_fma_f64 v[166:167], v[132:133], v[154:155], 0
	s_wait_loadcnt 0x5
	s_delay_alu instid0(VALU_DEP_1) | instskip(SKIP_4) | instid1(VALU_DEP_1)
	v_fmac_f64_e32 v[166:167], v[134:135], v[156:157]
	scratch_load_b128 v[132:135], off, off offset:256
	s_wait_dscnt 0x0
	v_fmac_f64_e32 v[166:167], v[136:137], v[158:159]
	s_wait_loadcnt 0x5
	v_fmac_f64_e32 v[166:167], v[138:139], v[160:161]
	ds_load_2addr_b64 v[136:139], v2 offset0:87 offset1:88
	ds_load_2addr_b64 v[154:157], v2 offset0:89 offset1:90
	scratch_load_b128 v[158:161], off, off offset:272
	s_wait_dscnt 0x1
	v_fmac_f64_e32 v[166:167], v[140:141], v[136:137]
	s_wait_loadcnt 0x5
	s_delay_alu instid0(VALU_DEP_1) | instskip(SKIP_4) | instid1(VALU_DEP_1)
	v_fmac_f64_e32 v[166:167], v[142:143], v[138:139]
	scratch_load_b128 v[136:139], off, off offset:288
	s_wait_dscnt 0x0
	v_fmac_f64_e32 v[166:167], v[144:145], v[154:155]
	s_wait_loadcnt 0x5
	v_fmac_f64_e32 v[166:167], v[146:147], v[156:157]
	ds_load_2addr_b64 v[140:143], v2 offset0:91 offset1:92
	ds_load_2addr_b64 v[144:147], v2 offset0:93 offset1:94
	scratch_load_b128 v[154:157], off, off offset:304
	s_wait_dscnt 0x1
	v_fmac_f64_e32 v[166:167], v[148:149], v[140:141]
	s_wait_loadcnt 0x5
	s_delay_alu instid0(VALU_DEP_1) | instskip(SKIP_4) | instid1(VALU_DEP_1)
	v_fmac_f64_e32 v[166:167], v[150:151], v[142:143]
	scratch_load_b128 v[140:143], off, off offset:320
	s_wait_dscnt 0x0
	v_fmac_f64_e32 v[166:167], v[152:153], v[144:145]
	s_wait_loadcnt 0x5
	v_fmac_f64_e32 v[166:167], v[162:163], v[146:147]
	ds_load_2addr_b64 v[144:147], v2 offset0:95 offset1:96
	ds_load_2addr_b64 v[148:151], v2 offset0:97 offset1:98
	s_wait_dscnt 0x1
	v_fmac_f64_e32 v[166:167], v[164:165], v[144:145]
	scratch_load_b128 v[162:165], off, off offset:336
	s_wait_loadcnt 0x5
	v_fmac_f64_e32 v[166:167], v[132:133], v[146:147]
	s_wait_dscnt 0x0
	s_delay_alu instid0(VALU_DEP_1)
	v_fmac_f64_e32 v[166:167], v[134:135], v[148:149]
	scratch_load_b128 v[132:135], off, off offset:352
	s_wait_loadcnt 0x5
	v_fmac_f64_e32 v[166:167], v[158:159], v[150:151]
	ds_load_2addr_b64 v[144:147], v2 offset0:99 offset1:100
	ds_load_2addr_b64 v[148:151], v2 offset0:101 offset1:102
	s_wait_dscnt 0x1
	v_fmac_f64_e32 v[166:167], v[160:161], v[144:145]
	scratch_load_b128 v[158:161], off, off offset:368
	s_wait_loadcnt 0x5
	v_fmac_f64_e32 v[166:167], v[136:137], v[146:147]
	s_wait_dscnt 0x0
	s_delay_alu instid0(VALU_DEP_1)
	v_fmac_f64_e32 v[166:167], v[138:139], v[148:149]
	scratch_load_b128 v[136:139], off, off offset:384
	s_wait_loadcnt 0x5
	v_fmac_f64_e32 v[166:167], v[154:155], v[150:151]
	ds_load_2addr_b64 v[144:147], v2 offset0:103 offset1:104
	ds_load_2addr_b64 v[148:151], v2 offset0:105 offset1:106
	scratch_load_b128 v[152:155], off, off offset:400
	s_wait_dscnt 0x1
	v_fmac_f64_e32 v[166:167], v[156:157], v[144:145]
	s_wait_loadcnt 0x5
	s_delay_alu instid0(VALU_DEP_1) | instskip(SKIP_1) | instid1(VALU_DEP_1)
	v_fmac_f64_e32 v[166:167], v[140:141], v[146:147]
	s_wait_dscnt 0x0
	v_fmac_f64_e32 v[166:167], v[142:143], v[148:149]
	scratch_load_b128 v[140:143], off, off offset:416
	s_wait_loadcnt 0x5
	v_fmac_f64_e32 v[166:167], v[162:163], v[150:151]
	ds_load_2addr_b64 v[144:147], v2 offset0:107 offset1:108
	ds_load_2addr_b64 v[148:151], v2 offset0:109 offset1:110
	s_wait_dscnt 0x1
	v_fmac_f64_e32 v[166:167], v[164:165], v[144:145]
	s_wait_loadcnt 0x4
	s_delay_alu instid0(VALU_DEP_1)
	v_fmac_f64_e32 v[166:167], v[132:133], v[146:147]
	scratch_load_b128 v[144:147], off, off offset:432
	s_wait_dscnt 0x0
	v_fmac_f64_e32 v[166:167], v[134:135], v[148:149]
	scratch_load_b128 v[132:135], off, off offset:448
	s_wait_loadcnt 0x5
	v_fmac_f64_e32 v[166:167], v[158:159], v[150:151]
	ds_load_2addr_b64 v[148:151], v2 offset0:111 offset1:112
	ds_load_2addr_b64 v[156:159], v2 offset0:113 offset1:114
	s_wait_dscnt 0x1
	v_fmac_f64_e32 v[166:167], v[160:161], v[148:149]
	s_wait_loadcnt 0x4
	s_delay_alu instid0(VALU_DEP_1)
	v_fmac_f64_e32 v[166:167], v[136:137], v[150:151]
	scratch_load_b128 v[148:151], off, off offset:464
	s_wait_dscnt 0x0
	v_fmac_f64_e32 v[166:167], v[138:139], v[156:157]
	scratch_load_b128 v[136:139], off, off offset:480
	s_wait_loadcnt 0x5
	v_fmac_f64_e32 v[166:167], v[152:153], v[158:159]
	ds_load_2addr_b64 v[156:159], v2 offset0:115 offset1:116
	ds_load_2addr_b64 v[160:163], v2 offset0:117 offset1:118
	s_wait_dscnt 0x1
	v_fmac_f64_e32 v[166:167], v[154:155], v[156:157]
	scratch_load_b64 v[156:157], off, off offset:496
	s_wait_loadcnt 0x5
	v_fmac_f64_e32 v[166:167], v[140:141], v[158:159]
	s_wait_dscnt 0x0
	s_delay_alu instid0(VALU_DEP_1)
	v_fmac_f64_e32 v[166:167], v[142:143], v[160:161]
	ds_load_2addr_b64 v[140:143], v2 offset0:119 offset1:120
	ds_load_2addr_b64 v[152:155], v2 offset0:121 offset1:122
	s_wait_loadcnt 0x4
	v_fmac_f64_e32 v[166:167], v[144:145], v[162:163]
	s_wait_dscnt 0x1
	s_delay_alu instid0(VALU_DEP_1) | instskip(SKIP_1) | instid1(VALU_DEP_1)
	v_fmac_f64_e32 v[166:167], v[146:147], v[140:141]
	s_wait_loadcnt 0x3
	v_fmac_f64_e32 v[166:167], v[132:133], v[142:143]
	s_wait_dscnt 0x0
	s_delay_alu instid0(VALU_DEP_1)
	v_fmac_f64_e32 v[166:167], v[134:135], v[152:153]
	ds_load_2addr_b64 v[132:135], v2 offset0:123 offset1:124
	ds_load_2addr_b64 v[140:143], v2 offset0:125 offset1:126
	s_wait_loadcnt 0x2
	v_fmac_f64_e32 v[166:167], v[148:149], v[154:155]
	s_wait_dscnt 0x1
	s_delay_alu instid0(VALU_DEP_1) | instskip(SKIP_1) | instid1(VALU_DEP_1)
	v_fmac_f64_e32 v[166:167], v[150:151], v[132:133]
	s_wait_loadcnt 0x1
	v_fmac_f64_e32 v[166:167], v[136:137], v[134:135]
	s_wait_dscnt 0x0
	s_delay_alu instid0(VALU_DEP_1) | instskip(SKIP_1) | instid1(VALU_DEP_1)
	v_fmac_f64_e32 v[166:167], v[138:139], v[140:141]
	s_wait_loadcnt 0x0
	v_fmac_f64_e32 v[166:167], v[156:157], v[142:143]
	s_delay_alu instid0(VALU_DEP_1)
	v_add_f64_e64 v[2:3], v[130:131], -v[166:167]
	scratch_store_b64 off, v[2:3], off offset:144
	s_wait_xcnt 0x0
	v_cmpx_lt_u32_e32 17, v0
	s_cbranch_execz .LBB126_353
; %bb.352:
	scratch_load_b64 v[2:3], off, off offset:136
	v_mov_b64_e32 v[130:131], 0
	scratch_store_b64 off, v[130:131], off offset:136
	s_wait_loadcnt 0x0
	ds_store_b64 v1, v[2:3]
.LBB126_353:
	s_wait_xcnt 0x0
	s_or_b32 exec_lo, exec_lo, s0
	s_wait_storecnt_dscnt 0x0
	s_barrier_signal -1
	s_barrier_wait -1
	s_clause 0x5
	scratch_load_b128 v[130:133], off, off offset:136
	scratch_load_b128 v[134:137], off, off offset:152
	scratch_load_b128 v[138:141], off, off offset:168
	scratch_load_b128 v[142:145], off, off offset:184
	scratch_load_b128 v[146:149], off, off offset:200
	scratch_load_b128 v[150:153], off, off offset:216
	v_mov_b32_e32 v2, 0
	ds_load_b128 v[154:157], v2 offset:656
	ds_load_b128 v[158:161], v2 offset:672
	scratch_load_b128 v[162:165], off, off offset:232
	s_mov_b32 s0, exec_lo
	s_wait_loadcnt_dscnt 0x601
	v_fma_f64 v[166:167], v[132:133], v[154:155], 0
	s_wait_loadcnt 0x5
	s_delay_alu instid0(VALU_DEP_1) | instskip(SKIP_4) | instid1(VALU_DEP_1)
	v_fmac_f64_e32 v[166:167], v[134:135], v[156:157]
	scratch_load_b128 v[132:135], off, off offset:248
	s_wait_dscnt 0x0
	v_fmac_f64_e32 v[166:167], v[136:137], v[158:159]
	s_wait_loadcnt 0x5
	v_fmac_f64_e32 v[166:167], v[138:139], v[160:161]
	ds_load_b128 v[136:139], v2 offset:688
	ds_load_b128 v[154:157], v2 offset:704
	scratch_load_b128 v[158:161], off, off offset:264
	s_wait_dscnt 0x1
	v_fmac_f64_e32 v[166:167], v[140:141], v[136:137]
	s_wait_loadcnt 0x5
	s_delay_alu instid0(VALU_DEP_1) | instskip(SKIP_4) | instid1(VALU_DEP_1)
	v_fmac_f64_e32 v[166:167], v[142:143], v[138:139]
	scratch_load_b128 v[136:139], off, off offset:280
	s_wait_dscnt 0x0
	v_fmac_f64_e32 v[166:167], v[144:145], v[154:155]
	s_wait_loadcnt 0x5
	v_fmac_f64_e32 v[166:167], v[146:147], v[156:157]
	ds_load_b128 v[140:143], v2 offset:720
	ds_load_b128 v[144:147], v2 offset:736
	scratch_load_b128 v[154:157], off, off offset:296
	s_wait_dscnt 0x1
	v_fmac_f64_e32 v[166:167], v[148:149], v[140:141]
	s_wait_loadcnt 0x5
	s_delay_alu instid0(VALU_DEP_1) | instskip(SKIP_4) | instid1(VALU_DEP_1)
	v_fmac_f64_e32 v[166:167], v[150:151], v[142:143]
	scratch_load_b128 v[140:143], off, off offset:312
	s_wait_dscnt 0x0
	v_fmac_f64_e32 v[166:167], v[152:153], v[144:145]
	s_wait_loadcnt 0x5
	v_fmac_f64_e32 v[166:167], v[162:163], v[146:147]
	ds_load_b128 v[144:147], v2 offset:752
	ds_load_b128 v[148:151], v2 offset:768
	s_wait_dscnt 0x1
	v_fmac_f64_e32 v[166:167], v[164:165], v[144:145]
	scratch_load_b128 v[162:165], off, off offset:328
	s_wait_loadcnt 0x5
	v_fmac_f64_e32 v[166:167], v[132:133], v[146:147]
	s_wait_dscnt 0x0
	s_delay_alu instid0(VALU_DEP_1)
	v_fmac_f64_e32 v[166:167], v[134:135], v[148:149]
	scratch_load_b128 v[132:135], off, off offset:344
	s_wait_loadcnt 0x5
	v_fmac_f64_e32 v[166:167], v[158:159], v[150:151]
	ds_load_b128 v[144:147], v2 offset:784
	ds_load_b128 v[148:151], v2 offset:800
	s_wait_dscnt 0x1
	v_fmac_f64_e32 v[166:167], v[160:161], v[144:145]
	scratch_load_b128 v[158:161], off, off offset:360
	s_wait_loadcnt 0x5
	v_fmac_f64_e32 v[166:167], v[136:137], v[146:147]
	s_wait_dscnt 0x0
	s_delay_alu instid0(VALU_DEP_1)
	v_fmac_f64_e32 v[166:167], v[138:139], v[148:149]
	scratch_load_b128 v[136:139], off, off offset:376
	s_wait_loadcnt 0x5
	v_fmac_f64_e32 v[166:167], v[154:155], v[150:151]
	ds_load_b128 v[144:147], v2 offset:816
	ds_load_b128 v[148:151], v2 offset:832
	scratch_load_b128 v[152:155], off, off offset:392
	s_wait_dscnt 0x1
	v_fmac_f64_e32 v[166:167], v[156:157], v[144:145]
	s_wait_loadcnt 0x5
	s_delay_alu instid0(VALU_DEP_1) | instskip(SKIP_1) | instid1(VALU_DEP_1)
	v_fmac_f64_e32 v[166:167], v[140:141], v[146:147]
	s_wait_dscnt 0x0
	v_fmac_f64_e32 v[166:167], v[142:143], v[148:149]
	scratch_load_b128 v[140:143], off, off offset:408
	s_wait_loadcnt 0x5
	v_fmac_f64_e32 v[166:167], v[162:163], v[150:151]
	ds_load_b128 v[144:147], v2 offset:848
	ds_load_b128 v[148:151], v2 offset:864
	s_wait_dscnt 0x1
	v_fmac_f64_e32 v[166:167], v[164:165], v[144:145]
	s_wait_loadcnt 0x4
	s_delay_alu instid0(VALU_DEP_1)
	v_fmac_f64_e32 v[166:167], v[132:133], v[146:147]
	scratch_load_b128 v[144:147], off, off offset:424
	s_wait_dscnt 0x0
	v_fmac_f64_e32 v[166:167], v[134:135], v[148:149]
	scratch_load_b128 v[132:135], off, off offset:440
	s_wait_loadcnt 0x5
	v_fmac_f64_e32 v[166:167], v[158:159], v[150:151]
	ds_load_b128 v[148:151], v2 offset:880
	ds_load_b128 v[156:159], v2 offset:896
	s_wait_dscnt 0x1
	v_fmac_f64_e32 v[166:167], v[160:161], v[148:149]
	s_wait_loadcnt 0x4
	s_delay_alu instid0(VALU_DEP_1)
	v_fmac_f64_e32 v[166:167], v[136:137], v[150:151]
	scratch_load_b128 v[148:151], off, off offset:456
	s_wait_dscnt 0x0
	v_fmac_f64_e32 v[166:167], v[138:139], v[156:157]
	scratch_load_b128 v[136:139], off, off offset:472
	s_wait_loadcnt 0x5
	v_fmac_f64_e32 v[166:167], v[152:153], v[158:159]
	ds_load_b128 v[156:159], v2 offset:912
	ds_load_b128 v[160:163], v2 offset:928
	s_wait_dscnt 0x1
	v_fmac_f64_e32 v[166:167], v[154:155], v[156:157]
	scratch_load_b128 v[152:155], off, off offset:488
	s_wait_loadcnt 0x5
	v_fmac_f64_e32 v[166:167], v[140:141], v[158:159]
	s_wait_dscnt 0x0
	s_delay_alu instid0(VALU_DEP_1)
	v_fmac_f64_e32 v[166:167], v[142:143], v[160:161]
	ds_load_b128 v[140:143], v2 offset:944
	ds_load_b128 v[156:159], v2 offset:960
	s_wait_loadcnt 0x4
	v_fmac_f64_e32 v[166:167], v[144:145], v[162:163]
	s_wait_dscnt 0x1
	s_delay_alu instid0(VALU_DEP_1) | instskip(SKIP_1) | instid1(VALU_DEP_1)
	v_fmac_f64_e32 v[166:167], v[146:147], v[140:141]
	s_wait_loadcnt 0x3
	v_fmac_f64_e32 v[166:167], v[132:133], v[142:143]
	s_wait_dscnt 0x0
	s_delay_alu instid0(VALU_DEP_1)
	v_fmac_f64_e32 v[166:167], v[134:135], v[156:157]
	ds_load_b128 v[132:135], v2 offset:976
	ds_load_b128 v[140:143], v2 offset:992
	s_wait_loadcnt 0x2
	v_fmac_f64_e32 v[166:167], v[148:149], v[158:159]
	s_wait_dscnt 0x1
	s_delay_alu instid0(VALU_DEP_1) | instskip(SKIP_4) | instid1(VALU_DEP_1)
	v_fmac_f64_e32 v[166:167], v[150:151], v[132:133]
	ds_load_b64 v[132:133], v2 offset:1008
	s_wait_loadcnt 0x1
	v_fmac_f64_e32 v[166:167], v[136:137], v[134:135]
	s_wait_dscnt 0x1
	v_fmac_f64_e32 v[166:167], v[138:139], v[140:141]
	s_wait_loadcnt 0x0
	s_delay_alu instid0(VALU_DEP_1) | instskip(SKIP_1) | instid1(VALU_DEP_1)
	v_fmac_f64_e32 v[166:167], v[152:153], v[142:143]
	s_wait_dscnt 0x0
	v_fmac_f64_e32 v[166:167], v[154:155], v[132:133]
	s_delay_alu instid0(VALU_DEP_1)
	v_add_f64_e64 v[130:131], v[130:131], -v[166:167]
	scratch_store_b64 off, v[130:131], off offset:136
	s_wait_xcnt 0x0
	v_cmpx_lt_u32_e32 16, v0
	s_cbranch_execz .LBB126_355
; %bb.354:
	scratch_load_b64 v[130:131], off, off offset:128
	v_mov_b64_e32 v[132:133], 0
	scratch_store_b64 off, v[132:133], off offset:128
	s_wait_loadcnt 0x0
	ds_store_b64 v1, v[130:131]
.LBB126_355:
	s_wait_xcnt 0x0
	s_or_b32 exec_lo, exec_lo, s0
	s_wait_storecnt_dscnt 0x0
	s_barrier_signal -1
	s_barrier_wait -1
	s_clause 0x5
	scratch_load_b128 v[130:133], off, off offset:128
	scratch_load_b128 v[134:137], off, off offset:144
	;; [unrolled: 1-line block ×6, first 2 shown]
	ds_load_2addr_b64 v[154:157], v2 offset0:81 offset1:82
	ds_load_2addr_b64 v[158:161], v2 offset0:83 offset1:84
	scratch_load_b128 v[162:165], off, off offset:224
	s_mov_b32 s0, exec_lo
	s_wait_loadcnt_dscnt 0x601
	v_fma_f64 v[166:167], v[132:133], v[154:155], 0
	s_wait_loadcnt 0x5
	s_delay_alu instid0(VALU_DEP_1) | instskip(SKIP_4) | instid1(VALU_DEP_1)
	v_fmac_f64_e32 v[166:167], v[134:135], v[156:157]
	scratch_load_b128 v[132:135], off, off offset:240
	s_wait_dscnt 0x0
	v_fmac_f64_e32 v[166:167], v[136:137], v[158:159]
	s_wait_loadcnt 0x5
	v_fmac_f64_e32 v[166:167], v[138:139], v[160:161]
	ds_load_2addr_b64 v[136:139], v2 offset0:85 offset1:86
	ds_load_2addr_b64 v[154:157], v2 offset0:87 offset1:88
	scratch_load_b128 v[158:161], off, off offset:256
	s_wait_dscnt 0x1
	v_fmac_f64_e32 v[166:167], v[140:141], v[136:137]
	s_wait_loadcnt 0x5
	s_delay_alu instid0(VALU_DEP_1) | instskip(SKIP_4) | instid1(VALU_DEP_1)
	v_fmac_f64_e32 v[166:167], v[142:143], v[138:139]
	scratch_load_b128 v[136:139], off, off offset:272
	s_wait_dscnt 0x0
	v_fmac_f64_e32 v[166:167], v[144:145], v[154:155]
	s_wait_loadcnt 0x5
	v_fmac_f64_e32 v[166:167], v[146:147], v[156:157]
	ds_load_2addr_b64 v[140:143], v2 offset0:89 offset1:90
	ds_load_2addr_b64 v[144:147], v2 offset0:91 offset1:92
	scratch_load_b128 v[154:157], off, off offset:288
	s_wait_dscnt 0x1
	v_fmac_f64_e32 v[166:167], v[148:149], v[140:141]
	s_wait_loadcnt 0x5
	s_delay_alu instid0(VALU_DEP_1) | instskip(SKIP_4) | instid1(VALU_DEP_1)
	v_fmac_f64_e32 v[166:167], v[150:151], v[142:143]
	scratch_load_b128 v[140:143], off, off offset:304
	s_wait_dscnt 0x0
	v_fmac_f64_e32 v[166:167], v[152:153], v[144:145]
	s_wait_loadcnt 0x5
	v_fmac_f64_e32 v[166:167], v[162:163], v[146:147]
	ds_load_2addr_b64 v[144:147], v2 offset0:93 offset1:94
	ds_load_2addr_b64 v[148:151], v2 offset0:95 offset1:96
	s_wait_dscnt 0x1
	v_fmac_f64_e32 v[166:167], v[164:165], v[144:145]
	scratch_load_b128 v[162:165], off, off offset:320
	s_wait_loadcnt 0x5
	v_fmac_f64_e32 v[166:167], v[132:133], v[146:147]
	s_wait_dscnt 0x0
	s_delay_alu instid0(VALU_DEP_1)
	v_fmac_f64_e32 v[166:167], v[134:135], v[148:149]
	scratch_load_b128 v[132:135], off, off offset:336
	s_wait_loadcnt 0x5
	v_fmac_f64_e32 v[166:167], v[158:159], v[150:151]
	ds_load_2addr_b64 v[144:147], v2 offset0:97 offset1:98
	ds_load_2addr_b64 v[148:151], v2 offset0:99 offset1:100
	s_wait_dscnt 0x1
	v_fmac_f64_e32 v[166:167], v[160:161], v[144:145]
	scratch_load_b128 v[158:161], off, off offset:352
	s_wait_loadcnt 0x5
	v_fmac_f64_e32 v[166:167], v[136:137], v[146:147]
	s_wait_dscnt 0x0
	s_delay_alu instid0(VALU_DEP_1)
	v_fmac_f64_e32 v[166:167], v[138:139], v[148:149]
	scratch_load_b128 v[136:139], off, off offset:368
	s_wait_loadcnt 0x5
	v_fmac_f64_e32 v[166:167], v[154:155], v[150:151]
	ds_load_2addr_b64 v[144:147], v2 offset0:101 offset1:102
	ds_load_2addr_b64 v[148:151], v2 offset0:103 offset1:104
	scratch_load_b128 v[152:155], off, off offset:384
	s_wait_dscnt 0x1
	v_fmac_f64_e32 v[166:167], v[156:157], v[144:145]
	s_wait_loadcnt 0x5
	s_delay_alu instid0(VALU_DEP_1) | instskip(SKIP_1) | instid1(VALU_DEP_1)
	v_fmac_f64_e32 v[166:167], v[140:141], v[146:147]
	s_wait_dscnt 0x0
	v_fmac_f64_e32 v[166:167], v[142:143], v[148:149]
	scratch_load_b128 v[140:143], off, off offset:400
	s_wait_loadcnt 0x5
	v_fmac_f64_e32 v[166:167], v[162:163], v[150:151]
	ds_load_2addr_b64 v[144:147], v2 offset0:105 offset1:106
	ds_load_2addr_b64 v[148:151], v2 offset0:107 offset1:108
	s_wait_dscnt 0x1
	v_fmac_f64_e32 v[166:167], v[164:165], v[144:145]
	scratch_load_b128 v[162:165], off, off offset:416
	s_wait_loadcnt 0x5
	v_fmac_f64_e32 v[166:167], v[132:133], v[146:147]
	s_wait_dscnt 0x0
	s_delay_alu instid0(VALU_DEP_1)
	v_fmac_f64_e32 v[166:167], v[134:135], v[148:149]
	scratch_load_b128 v[132:135], off, off offset:432
	s_wait_loadcnt 0x5
	v_fmac_f64_e32 v[166:167], v[158:159], v[150:151]
	ds_load_2addr_b64 v[144:147], v2 offset0:109 offset1:110
	ds_load_2addr_b64 v[148:151], v2 offset0:111 offset1:112
	s_wait_dscnt 0x1
	v_fmac_f64_e32 v[166:167], v[160:161], v[144:145]
	s_wait_loadcnt 0x4
	s_delay_alu instid0(VALU_DEP_1)
	v_fmac_f64_e32 v[166:167], v[136:137], v[146:147]
	scratch_load_b128 v[144:147], off, off offset:448
	s_wait_dscnt 0x0
	v_fmac_f64_e32 v[166:167], v[138:139], v[148:149]
	scratch_load_b128 v[136:139], off, off offset:464
	s_wait_loadcnt 0x5
	v_fmac_f64_e32 v[166:167], v[152:153], v[150:151]
	ds_load_2addr_b64 v[148:151], v2 offset0:113 offset1:114
	ds_load_2addr_b64 v[156:159], v2 offset0:115 offset1:116
	s_wait_dscnt 0x1
	v_fmac_f64_e32 v[166:167], v[154:155], v[148:149]
	s_wait_loadcnt 0x4
	s_delay_alu instid0(VALU_DEP_1)
	v_fmac_f64_e32 v[166:167], v[140:141], v[150:151]
	scratch_load_b128 v[148:151], off, off offset:480
	s_wait_dscnt 0x0
	v_fmac_f64_e32 v[166:167], v[142:143], v[156:157]
	scratch_load_b64 v[156:157], off, off offset:496
	ds_load_2addr_b64 v[140:143], v2 offset0:117 offset1:118
	ds_load_2addr_b64 v[152:155], v2 offset0:119 offset1:120
	s_wait_loadcnt 0x5
	v_fmac_f64_e32 v[166:167], v[162:163], v[158:159]
	s_wait_dscnt 0x1
	s_delay_alu instid0(VALU_DEP_1) | instskip(SKIP_1) | instid1(VALU_DEP_1)
	v_fmac_f64_e32 v[166:167], v[164:165], v[140:141]
	s_wait_loadcnt 0x4
	v_fmac_f64_e32 v[166:167], v[132:133], v[142:143]
	s_wait_dscnt 0x0
	s_delay_alu instid0(VALU_DEP_1)
	v_fmac_f64_e32 v[166:167], v[134:135], v[152:153]
	ds_load_2addr_b64 v[132:135], v2 offset0:121 offset1:122
	ds_load_2addr_b64 v[140:143], v2 offset0:123 offset1:124
	s_wait_loadcnt 0x3
	v_fmac_f64_e32 v[166:167], v[144:145], v[154:155]
	s_wait_dscnt 0x1
	s_delay_alu instid0(VALU_DEP_1) | instskip(SKIP_1) | instid1(VALU_DEP_1)
	v_fmac_f64_e32 v[166:167], v[146:147], v[132:133]
	s_wait_loadcnt 0x2
	v_fmac_f64_e32 v[166:167], v[136:137], v[134:135]
	ds_load_2addr_b64 v[132:135], v2 offset0:125 offset1:126
	s_wait_dscnt 0x1
	v_fmac_f64_e32 v[166:167], v[138:139], v[140:141]
	s_wait_loadcnt 0x1
	s_delay_alu instid0(VALU_DEP_1) | instskip(SKIP_1) | instid1(VALU_DEP_1)
	v_fmac_f64_e32 v[166:167], v[148:149], v[142:143]
	s_wait_dscnt 0x0
	v_fmac_f64_e32 v[166:167], v[150:151], v[132:133]
	s_wait_loadcnt 0x0
	s_delay_alu instid0(VALU_DEP_1) | instskip(NEXT) | instid1(VALU_DEP_1)
	v_fmac_f64_e32 v[166:167], v[156:157], v[134:135]
	v_add_f64_e64 v[2:3], v[130:131], -v[166:167]
	scratch_store_b64 off, v[2:3], off offset:128
	s_wait_xcnt 0x0
	v_cmpx_lt_u32_e32 15, v0
	s_cbranch_execz .LBB126_357
; %bb.356:
	scratch_load_b64 v[2:3], off, off offset:120
	v_mov_b64_e32 v[130:131], 0
	scratch_store_b64 off, v[130:131], off offset:120
	s_wait_loadcnt 0x0
	ds_store_b64 v1, v[2:3]
.LBB126_357:
	s_wait_xcnt 0x0
	s_or_b32 exec_lo, exec_lo, s0
	s_wait_storecnt_dscnt 0x0
	s_barrier_signal -1
	s_barrier_wait -1
	s_clause 0x5
	scratch_load_b128 v[130:133], off, off offset:120
	scratch_load_b128 v[134:137], off, off offset:136
	;; [unrolled: 1-line block ×6, first 2 shown]
	v_mov_b32_e32 v2, 0
	ds_load_b128 v[154:157], v2 offset:640
	ds_load_b128 v[158:161], v2 offset:656
	scratch_load_b128 v[162:165], off, off offset:216
	s_mov_b32 s0, exec_lo
	s_wait_loadcnt_dscnt 0x601
	v_fma_f64 v[166:167], v[132:133], v[154:155], 0
	s_wait_loadcnt 0x5
	s_delay_alu instid0(VALU_DEP_1) | instskip(SKIP_4) | instid1(VALU_DEP_1)
	v_fmac_f64_e32 v[166:167], v[134:135], v[156:157]
	scratch_load_b128 v[132:135], off, off offset:232
	s_wait_dscnt 0x0
	v_fmac_f64_e32 v[166:167], v[136:137], v[158:159]
	s_wait_loadcnt 0x5
	v_fmac_f64_e32 v[166:167], v[138:139], v[160:161]
	ds_load_b128 v[136:139], v2 offset:672
	ds_load_b128 v[154:157], v2 offset:688
	scratch_load_b128 v[158:161], off, off offset:248
	s_wait_dscnt 0x1
	v_fmac_f64_e32 v[166:167], v[140:141], v[136:137]
	s_wait_loadcnt 0x5
	s_delay_alu instid0(VALU_DEP_1) | instskip(SKIP_4) | instid1(VALU_DEP_1)
	v_fmac_f64_e32 v[166:167], v[142:143], v[138:139]
	scratch_load_b128 v[136:139], off, off offset:264
	s_wait_dscnt 0x0
	v_fmac_f64_e32 v[166:167], v[144:145], v[154:155]
	s_wait_loadcnt 0x5
	v_fmac_f64_e32 v[166:167], v[146:147], v[156:157]
	ds_load_b128 v[140:143], v2 offset:704
	ds_load_b128 v[144:147], v2 offset:720
	scratch_load_b128 v[154:157], off, off offset:280
	s_wait_dscnt 0x1
	v_fmac_f64_e32 v[166:167], v[148:149], v[140:141]
	s_wait_loadcnt 0x5
	s_delay_alu instid0(VALU_DEP_1) | instskip(SKIP_4) | instid1(VALU_DEP_1)
	v_fmac_f64_e32 v[166:167], v[150:151], v[142:143]
	scratch_load_b128 v[140:143], off, off offset:296
	s_wait_dscnt 0x0
	v_fmac_f64_e32 v[166:167], v[152:153], v[144:145]
	s_wait_loadcnt 0x5
	v_fmac_f64_e32 v[166:167], v[162:163], v[146:147]
	ds_load_b128 v[144:147], v2 offset:736
	ds_load_b128 v[148:151], v2 offset:752
	s_wait_dscnt 0x1
	v_fmac_f64_e32 v[166:167], v[164:165], v[144:145]
	scratch_load_b128 v[162:165], off, off offset:312
	s_wait_loadcnt 0x5
	v_fmac_f64_e32 v[166:167], v[132:133], v[146:147]
	s_wait_dscnt 0x0
	s_delay_alu instid0(VALU_DEP_1)
	v_fmac_f64_e32 v[166:167], v[134:135], v[148:149]
	scratch_load_b128 v[132:135], off, off offset:328
	s_wait_loadcnt 0x5
	v_fmac_f64_e32 v[166:167], v[158:159], v[150:151]
	ds_load_b128 v[144:147], v2 offset:768
	ds_load_b128 v[148:151], v2 offset:784
	s_wait_dscnt 0x1
	v_fmac_f64_e32 v[166:167], v[160:161], v[144:145]
	scratch_load_b128 v[158:161], off, off offset:344
	s_wait_loadcnt 0x5
	v_fmac_f64_e32 v[166:167], v[136:137], v[146:147]
	s_wait_dscnt 0x0
	s_delay_alu instid0(VALU_DEP_1)
	v_fmac_f64_e32 v[166:167], v[138:139], v[148:149]
	scratch_load_b128 v[136:139], off, off offset:360
	s_wait_loadcnt 0x5
	v_fmac_f64_e32 v[166:167], v[154:155], v[150:151]
	ds_load_b128 v[144:147], v2 offset:800
	ds_load_b128 v[148:151], v2 offset:816
	scratch_load_b128 v[152:155], off, off offset:376
	s_wait_dscnt 0x1
	v_fmac_f64_e32 v[166:167], v[156:157], v[144:145]
	s_wait_loadcnt 0x5
	s_delay_alu instid0(VALU_DEP_1) | instskip(SKIP_1) | instid1(VALU_DEP_1)
	v_fmac_f64_e32 v[166:167], v[140:141], v[146:147]
	s_wait_dscnt 0x0
	v_fmac_f64_e32 v[166:167], v[142:143], v[148:149]
	scratch_load_b128 v[140:143], off, off offset:392
	s_wait_loadcnt 0x5
	v_fmac_f64_e32 v[166:167], v[162:163], v[150:151]
	ds_load_b128 v[144:147], v2 offset:832
	ds_load_b128 v[148:151], v2 offset:848
	s_wait_dscnt 0x1
	v_fmac_f64_e32 v[166:167], v[164:165], v[144:145]
	scratch_load_b128 v[162:165], off, off offset:408
	s_wait_loadcnt 0x5
	v_fmac_f64_e32 v[166:167], v[132:133], v[146:147]
	s_wait_dscnt 0x0
	s_delay_alu instid0(VALU_DEP_1)
	v_fmac_f64_e32 v[166:167], v[134:135], v[148:149]
	scratch_load_b128 v[132:135], off, off offset:424
	s_wait_loadcnt 0x5
	v_fmac_f64_e32 v[166:167], v[158:159], v[150:151]
	ds_load_b128 v[144:147], v2 offset:864
	ds_load_b128 v[148:151], v2 offset:880
	s_wait_dscnt 0x1
	v_fmac_f64_e32 v[166:167], v[160:161], v[144:145]
	s_wait_loadcnt 0x4
	s_delay_alu instid0(VALU_DEP_1)
	v_fmac_f64_e32 v[166:167], v[136:137], v[146:147]
	scratch_load_b128 v[144:147], off, off offset:440
	s_wait_dscnt 0x0
	v_fmac_f64_e32 v[166:167], v[138:139], v[148:149]
	scratch_load_b128 v[136:139], off, off offset:456
	s_wait_loadcnt 0x5
	v_fmac_f64_e32 v[166:167], v[152:153], v[150:151]
	ds_load_b128 v[148:151], v2 offset:896
	ds_load_b128 v[156:159], v2 offset:912
	s_wait_dscnt 0x1
	v_fmac_f64_e32 v[166:167], v[154:155], v[148:149]
	s_wait_loadcnt 0x4
	s_delay_alu instid0(VALU_DEP_1)
	v_fmac_f64_e32 v[166:167], v[140:141], v[150:151]
	scratch_load_b128 v[148:151], off, off offset:472
	s_wait_dscnt 0x0
	v_fmac_f64_e32 v[166:167], v[142:143], v[156:157]
	scratch_load_b128 v[140:143], off, off offset:488
	s_wait_loadcnt 0x5
	v_fmac_f64_e32 v[166:167], v[162:163], v[158:159]
	ds_load_b128 v[152:155], v2 offset:928
	ds_load_b128 v[156:159], v2 offset:944
	s_wait_dscnt 0x1
	v_fmac_f64_e32 v[166:167], v[164:165], v[152:153]
	s_wait_loadcnt 0x4
	s_delay_alu instid0(VALU_DEP_1) | instskip(SKIP_1) | instid1(VALU_DEP_1)
	v_fmac_f64_e32 v[166:167], v[132:133], v[154:155]
	s_wait_dscnt 0x0
	v_fmac_f64_e32 v[166:167], v[134:135], v[156:157]
	ds_load_b128 v[132:135], v2 offset:960
	ds_load_b128 v[152:155], v2 offset:976
	s_wait_loadcnt 0x3
	v_fmac_f64_e32 v[166:167], v[144:145], v[158:159]
	s_wait_dscnt 0x1
	s_delay_alu instid0(VALU_DEP_1) | instskip(SKIP_1) | instid1(VALU_DEP_1)
	v_fmac_f64_e32 v[166:167], v[146:147], v[132:133]
	s_wait_loadcnt 0x2
	v_fmac_f64_e32 v[166:167], v[136:137], v[134:135]
	ds_load_b128 v[132:135], v2 offset:992
	ds_load_b64 v[136:137], v2 offset:1008
	s_wait_dscnt 0x2
	v_fmac_f64_e32 v[166:167], v[138:139], v[152:153]
	s_wait_loadcnt 0x1
	s_delay_alu instid0(VALU_DEP_1) | instskip(SKIP_1) | instid1(VALU_DEP_1)
	v_fmac_f64_e32 v[166:167], v[148:149], v[154:155]
	s_wait_dscnt 0x1
	v_fmac_f64_e32 v[166:167], v[150:151], v[132:133]
	s_wait_loadcnt 0x0
	s_delay_alu instid0(VALU_DEP_1) | instskip(SKIP_1) | instid1(VALU_DEP_1)
	v_fmac_f64_e32 v[166:167], v[140:141], v[134:135]
	s_wait_dscnt 0x0
	v_fmac_f64_e32 v[166:167], v[142:143], v[136:137]
	s_delay_alu instid0(VALU_DEP_1)
	v_add_f64_e64 v[130:131], v[130:131], -v[166:167]
	scratch_store_b64 off, v[130:131], off offset:120
	s_wait_xcnt 0x0
	v_cmpx_lt_u32_e32 14, v0
	s_cbranch_execz .LBB126_359
; %bb.358:
	scratch_load_b64 v[130:131], off, off offset:112
	v_mov_b64_e32 v[132:133], 0
	scratch_store_b64 off, v[132:133], off offset:112
	s_wait_loadcnt 0x0
	ds_store_b64 v1, v[130:131]
.LBB126_359:
	s_wait_xcnt 0x0
	s_or_b32 exec_lo, exec_lo, s0
	s_wait_storecnt_dscnt 0x0
	s_barrier_signal -1
	s_barrier_wait -1
	s_clause 0x5
	scratch_load_b128 v[130:133], off, off offset:112
	scratch_load_b128 v[134:137], off, off offset:128
	scratch_load_b128 v[138:141], off, off offset:144
	scratch_load_b128 v[142:145], off, off offset:160
	scratch_load_b128 v[146:149], off, off offset:176
	scratch_load_b128 v[150:153], off, off offset:192
	ds_load_2addr_b64 v[154:157], v2 offset0:79 offset1:80
	ds_load_2addr_b64 v[158:161], v2 offset0:81 offset1:82
	scratch_load_b128 v[162:165], off, off offset:208
	s_mov_b32 s0, exec_lo
	s_wait_loadcnt_dscnt 0x601
	v_fma_f64 v[166:167], v[132:133], v[154:155], 0
	s_wait_loadcnt 0x5
	s_delay_alu instid0(VALU_DEP_1) | instskip(SKIP_4) | instid1(VALU_DEP_1)
	v_fmac_f64_e32 v[166:167], v[134:135], v[156:157]
	scratch_load_b128 v[132:135], off, off offset:224
	s_wait_dscnt 0x0
	v_fmac_f64_e32 v[166:167], v[136:137], v[158:159]
	s_wait_loadcnt 0x5
	v_fmac_f64_e32 v[166:167], v[138:139], v[160:161]
	ds_load_2addr_b64 v[136:139], v2 offset0:83 offset1:84
	ds_load_2addr_b64 v[154:157], v2 offset0:85 offset1:86
	scratch_load_b128 v[158:161], off, off offset:240
	s_wait_dscnt 0x1
	v_fmac_f64_e32 v[166:167], v[140:141], v[136:137]
	s_wait_loadcnt 0x5
	s_delay_alu instid0(VALU_DEP_1) | instskip(SKIP_4) | instid1(VALU_DEP_1)
	v_fmac_f64_e32 v[166:167], v[142:143], v[138:139]
	scratch_load_b128 v[136:139], off, off offset:256
	s_wait_dscnt 0x0
	v_fmac_f64_e32 v[166:167], v[144:145], v[154:155]
	s_wait_loadcnt 0x5
	v_fmac_f64_e32 v[166:167], v[146:147], v[156:157]
	ds_load_2addr_b64 v[140:143], v2 offset0:87 offset1:88
	ds_load_2addr_b64 v[144:147], v2 offset0:89 offset1:90
	scratch_load_b128 v[154:157], off, off offset:272
	s_wait_dscnt 0x1
	v_fmac_f64_e32 v[166:167], v[148:149], v[140:141]
	s_wait_loadcnt 0x5
	s_delay_alu instid0(VALU_DEP_1) | instskip(SKIP_4) | instid1(VALU_DEP_1)
	v_fmac_f64_e32 v[166:167], v[150:151], v[142:143]
	scratch_load_b128 v[140:143], off, off offset:288
	s_wait_dscnt 0x0
	v_fmac_f64_e32 v[166:167], v[152:153], v[144:145]
	s_wait_loadcnt 0x5
	v_fmac_f64_e32 v[166:167], v[162:163], v[146:147]
	ds_load_2addr_b64 v[144:147], v2 offset0:91 offset1:92
	ds_load_2addr_b64 v[148:151], v2 offset0:93 offset1:94
	s_wait_dscnt 0x1
	v_fmac_f64_e32 v[166:167], v[164:165], v[144:145]
	scratch_load_b128 v[162:165], off, off offset:304
	s_wait_loadcnt 0x5
	v_fmac_f64_e32 v[166:167], v[132:133], v[146:147]
	s_wait_dscnt 0x0
	s_delay_alu instid0(VALU_DEP_1)
	v_fmac_f64_e32 v[166:167], v[134:135], v[148:149]
	scratch_load_b128 v[132:135], off, off offset:320
	s_wait_loadcnt 0x5
	v_fmac_f64_e32 v[166:167], v[158:159], v[150:151]
	ds_load_2addr_b64 v[144:147], v2 offset0:95 offset1:96
	ds_load_2addr_b64 v[148:151], v2 offset0:97 offset1:98
	s_wait_dscnt 0x1
	v_fmac_f64_e32 v[166:167], v[160:161], v[144:145]
	scratch_load_b128 v[158:161], off, off offset:336
	s_wait_loadcnt 0x5
	v_fmac_f64_e32 v[166:167], v[136:137], v[146:147]
	s_wait_dscnt 0x0
	s_delay_alu instid0(VALU_DEP_1)
	v_fmac_f64_e32 v[166:167], v[138:139], v[148:149]
	scratch_load_b128 v[136:139], off, off offset:352
	s_wait_loadcnt 0x5
	v_fmac_f64_e32 v[166:167], v[154:155], v[150:151]
	ds_load_2addr_b64 v[144:147], v2 offset0:99 offset1:100
	ds_load_2addr_b64 v[148:151], v2 offset0:101 offset1:102
	scratch_load_b128 v[152:155], off, off offset:368
	s_wait_dscnt 0x1
	v_fmac_f64_e32 v[166:167], v[156:157], v[144:145]
	s_wait_loadcnt 0x5
	s_delay_alu instid0(VALU_DEP_1) | instskip(SKIP_1) | instid1(VALU_DEP_1)
	v_fmac_f64_e32 v[166:167], v[140:141], v[146:147]
	s_wait_dscnt 0x0
	v_fmac_f64_e32 v[166:167], v[142:143], v[148:149]
	scratch_load_b128 v[140:143], off, off offset:384
	s_wait_loadcnt 0x5
	v_fmac_f64_e32 v[166:167], v[162:163], v[150:151]
	ds_load_2addr_b64 v[144:147], v2 offset0:103 offset1:104
	ds_load_2addr_b64 v[148:151], v2 offset0:105 offset1:106
	s_wait_dscnt 0x1
	v_fmac_f64_e32 v[166:167], v[164:165], v[144:145]
	scratch_load_b128 v[162:165], off, off offset:400
	s_wait_loadcnt 0x5
	v_fmac_f64_e32 v[166:167], v[132:133], v[146:147]
	s_wait_dscnt 0x0
	s_delay_alu instid0(VALU_DEP_1)
	v_fmac_f64_e32 v[166:167], v[134:135], v[148:149]
	scratch_load_b128 v[132:135], off, off offset:416
	s_wait_loadcnt 0x5
	v_fmac_f64_e32 v[166:167], v[158:159], v[150:151]
	ds_load_2addr_b64 v[144:147], v2 offset0:107 offset1:108
	ds_load_2addr_b64 v[148:151], v2 offset0:109 offset1:110
	s_wait_dscnt 0x1
	v_fmac_f64_e32 v[166:167], v[160:161], v[144:145]
	s_wait_loadcnt 0x4
	s_delay_alu instid0(VALU_DEP_1)
	v_fmac_f64_e32 v[166:167], v[136:137], v[146:147]
	scratch_load_b128 v[144:147], off, off offset:432
	s_wait_dscnt 0x0
	v_fmac_f64_e32 v[166:167], v[138:139], v[148:149]
	scratch_load_b128 v[136:139], off, off offset:448
	s_wait_loadcnt 0x5
	v_fmac_f64_e32 v[166:167], v[152:153], v[150:151]
	ds_load_2addr_b64 v[148:151], v2 offset0:111 offset1:112
	ds_load_2addr_b64 v[156:159], v2 offset0:113 offset1:114
	s_wait_dscnt 0x1
	v_fmac_f64_e32 v[166:167], v[154:155], v[148:149]
	s_wait_loadcnt 0x4
	s_delay_alu instid0(VALU_DEP_1)
	v_fmac_f64_e32 v[166:167], v[140:141], v[150:151]
	scratch_load_b128 v[148:151], off, off offset:464
	s_wait_dscnt 0x0
	v_fmac_f64_e32 v[166:167], v[142:143], v[156:157]
	scratch_load_b128 v[140:143], off, off offset:480
	s_wait_loadcnt 0x5
	v_fmac_f64_e32 v[166:167], v[162:163], v[158:159]
	ds_load_2addr_b64 v[152:155], v2 offset0:115 offset1:116
	ds_load_2addr_b64 v[156:159], v2 offset0:117 offset1:118
	scratch_load_b64 v[160:161], off, off offset:496
	s_wait_dscnt 0x1
	v_fmac_f64_e32 v[166:167], v[164:165], v[152:153]
	s_wait_loadcnt 0x5
	s_delay_alu instid0(VALU_DEP_1) | instskip(SKIP_1) | instid1(VALU_DEP_1)
	v_fmac_f64_e32 v[166:167], v[132:133], v[154:155]
	s_wait_dscnt 0x0
	v_fmac_f64_e32 v[166:167], v[134:135], v[156:157]
	ds_load_2addr_b64 v[132:135], v2 offset0:119 offset1:120
	ds_load_2addr_b64 v[152:155], v2 offset0:121 offset1:122
	s_wait_loadcnt 0x4
	v_fmac_f64_e32 v[166:167], v[144:145], v[158:159]
	s_wait_dscnt 0x1
	s_delay_alu instid0(VALU_DEP_1) | instskip(SKIP_1) | instid1(VALU_DEP_1)
	v_fmac_f64_e32 v[166:167], v[146:147], v[132:133]
	s_wait_loadcnt 0x3
	v_fmac_f64_e32 v[166:167], v[136:137], v[134:135]
	s_wait_dscnt 0x0
	s_delay_alu instid0(VALU_DEP_1)
	v_fmac_f64_e32 v[166:167], v[138:139], v[152:153]
	ds_load_2addr_b64 v[132:135], v2 offset0:123 offset1:124
	ds_load_2addr_b64 v[136:139], v2 offset0:125 offset1:126
	s_wait_loadcnt 0x2
	v_fmac_f64_e32 v[166:167], v[148:149], v[154:155]
	s_wait_dscnt 0x1
	s_delay_alu instid0(VALU_DEP_1) | instskip(SKIP_1) | instid1(VALU_DEP_1)
	v_fmac_f64_e32 v[166:167], v[150:151], v[132:133]
	s_wait_loadcnt 0x1
	v_fmac_f64_e32 v[166:167], v[140:141], v[134:135]
	s_wait_dscnt 0x0
	s_delay_alu instid0(VALU_DEP_1) | instskip(SKIP_1) | instid1(VALU_DEP_1)
	v_fmac_f64_e32 v[166:167], v[142:143], v[136:137]
	s_wait_loadcnt 0x0
	v_fmac_f64_e32 v[166:167], v[160:161], v[138:139]
	s_delay_alu instid0(VALU_DEP_1)
	v_add_f64_e64 v[2:3], v[130:131], -v[166:167]
	scratch_store_b64 off, v[2:3], off offset:112
	s_wait_xcnt 0x0
	v_cmpx_lt_u32_e32 13, v0
	s_cbranch_execz .LBB126_361
; %bb.360:
	scratch_load_b64 v[2:3], off, off offset:104
	v_mov_b64_e32 v[130:131], 0
	scratch_store_b64 off, v[130:131], off offset:104
	s_wait_loadcnt 0x0
	ds_store_b64 v1, v[2:3]
.LBB126_361:
	s_wait_xcnt 0x0
	s_or_b32 exec_lo, exec_lo, s0
	s_wait_storecnt_dscnt 0x0
	s_barrier_signal -1
	s_barrier_wait -1
	s_clause 0x5
	scratch_load_b128 v[130:133], off, off offset:104
	scratch_load_b128 v[134:137], off, off offset:120
	;; [unrolled: 1-line block ×6, first 2 shown]
	v_mov_b32_e32 v2, 0
	ds_load_b128 v[154:157], v2 offset:624
	ds_load_b128 v[158:161], v2 offset:640
	scratch_load_b128 v[162:165], off, off offset:200
	s_mov_b32 s0, exec_lo
	s_wait_loadcnt_dscnt 0x601
	v_fma_f64 v[166:167], v[132:133], v[154:155], 0
	s_wait_loadcnt 0x5
	s_delay_alu instid0(VALU_DEP_1) | instskip(SKIP_4) | instid1(VALU_DEP_1)
	v_fmac_f64_e32 v[166:167], v[134:135], v[156:157]
	scratch_load_b128 v[132:135], off, off offset:216
	s_wait_dscnt 0x0
	v_fmac_f64_e32 v[166:167], v[136:137], v[158:159]
	s_wait_loadcnt 0x5
	v_fmac_f64_e32 v[166:167], v[138:139], v[160:161]
	ds_load_b128 v[136:139], v2 offset:656
	ds_load_b128 v[154:157], v2 offset:672
	scratch_load_b128 v[158:161], off, off offset:232
	s_wait_dscnt 0x1
	v_fmac_f64_e32 v[166:167], v[140:141], v[136:137]
	s_wait_loadcnt 0x5
	s_delay_alu instid0(VALU_DEP_1) | instskip(SKIP_4) | instid1(VALU_DEP_1)
	v_fmac_f64_e32 v[166:167], v[142:143], v[138:139]
	scratch_load_b128 v[136:139], off, off offset:248
	s_wait_dscnt 0x0
	v_fmac_f64_e32 v[166:167], v[144:145], v[154:155]
	s_wait_loadcnt 0x5
	v_fmac_f64_e32 v[166:167], v[146:147], v[156:157]
	ds_load_b128 v[140:143], v2 offset:688
	ds_load_b128 v[144:147], v2 offset:704
	scratch_load_b128 v[154:157], off, off offset:264
	s_wait_dscnt 0x1
	v_fmac_f64_e32 v[166:167], v[148:149], v[140:141]
	s_wait_loadcnt 0x5
	s_delay_alu instid0(VALU_DEP_1) | instskip(SKIP_4) | instid1(VALU_DEP_1)
	v_fmac_f64_e32 v[166:167], v[150:151], v[142:143]
	scratch_load_b128 v[140:143], off, off offset:280
	s_wait_dscnt 0x0
	v_fmac_f64_e32 v[166:167], v[152:153], v[144:145]
	s_wait_loadcnt 0x5
	v_fmac_f64_e32 v[166:167], v[162:163], v[146:147]
	ds_load_b128 v[144:147], v2 offset:720
	ds_load_b128 v[148:151], v2 offset:736
	s_wait_dscnt 0x1
	v_fmac_f64_e32 v[166:167], v[164:165], v[144:145]
	scratch_load_b128 v[162:165], off, off offset:296
	s_wait_loadcnt 0x5
	v_fmac_f64_e32 v[166:167], v[132:133], v[146:147]
	s_wait_dscnt 0x0
	s_delay_alu instid0(VALU_DEP_1)
	v_fmac_f64_e32 v[166:167], v[134:135], v[148:149]
	scratch_load_b128 v[132:135], off, off offset:312
	s_wait_loadcnt 0x5
	v_fmac_f64_e32 v[166:167], v[158:159], v[150:151]
	ds_load_b128 v[144:147], v2 offset:752
	ds_load_b128 v[148:151], v2 offset:768
	s_wait_dscnt 0x1
	v_fmac_f64_e32 v[166:167], v[160:161], v[144:145]
	scratch_load_b128 v[158:161], off, off offset:328
	s_wait_loadcnt 0x5
	v_fmac_f64_e32 v[166:167], v[136:137], v[146:147]
	s_wait_dscnt 0x0
	s_delay_alu instid0(VALU_DEP_1)
	v_fmac_f64_e32 v[166:167], v[138:139], v[148:149]
	scratch_load_b128 v[136:139], off, off offset:344
	s_wait_loadcnt 0x5
	v_fmac_f64_e32 v[166:167], v[154:155], v[150:151]
	ds_load_b128 v[144:147], v2 offset:784
	ds_load_b128 v[148:151], v2 offset:800
	scratch_load_b128 v[152:155], off, off offset:360
	s_wait_dscnt 0x1
	v_fmac_f64_e32 v[166:167], v[156:157], v[144:145]
	s_wait_loadcnt 0x5
	s_delay_alu instid0(VALU_DEP_1) | instskip(SKIP_1) | instid1(VALU_DEP_1)
	v_fmac_f64_e32 v[166:167], v[140:141], v[146:147]
	s_wait_dscnt 0x0
	v_fmac_f64_e32 v[166:167], v[142:143], v[148:149]
	scratch_load_b128 v[140:143], off, off offset:376
	s_wait_loadcnt 0x5
	v_fmac_f64_e32 v[166:167], v[162:163], v[150:151]
	ds_load_b128 v[144:147], v2 offset:816
	ds_load_b128 v[148:151], v2 offset:832
	s_wait_dscnt 0x1
	v_fmac_f64_e32 v[166:167], v[164:165], v[144:145]
	scratch_load_b128 v[162:165], off, off offset:392
	s_wait_loadcnt 0x5
	v_fmac_f64_e32 v[166:167], v[132:133], v[146:147]
	s_wait_dscnt 0x0
	s_delay_alu instid0(VALU_DEP_1)
	v_fmac_f64_e32 v[166:167], v[134:135], v[148:149]
	scratch_load_b128 v[132:135], off, off offset:408
	s_wait_loadcnt 0x5
	v_fmac_f64_e32 v[166:167], v[158:159], v[150:151]
	ds_load_b128 v[144:147], v2 offset:848
	ds_load_b128 v[148:151], v2 offset:864
	s_wait_dscnt 0x1
	v_fmac_f64_e32 v[166:167], v[160:161], v[144:145]
	s_wait_loadcnt 0x4
	s_delay_alu instid0(VALU_DEP_1)
	v_fmac_f64_e32 v[166:167], v[136:137], v[146:147]
	scratch_load_b128 v[144:147], off, off offset:424
	s_wait_dscnt 0x0
	v_fmac_f64_e32 v[166:167], v[138:139], v[148:149]
	scratch_load_b128 v[136:139], off, off offset:440
	s_wait_loadcnt 0x5
	v_fmac_f64_e32 v[166:167], v[152:153], v[150:151]
	ds_load_b128 v[148:151], v2 offset:880
	ds_load_b128 v[156:159], v2 offset:896
	s_wait_dscnt 0x1
	v_fmac_f64_e32 v[166:167], v[154:155], v[148:149]
	s_wait_loadcnt 0x4
	s_delay_alu instid0(VALU_DEP_1)
	v_fmac_f64_e32 v[166:167], v[140:141], v[150:151]
	scratch_load_b128 v[148:151], off, off offset:456
	s_wait_dscnt 0x0
	v_fmac_f64_e32 v[166:167], v[142:143], v[156:157]
	scratch_load_b128 v[140:143], off, off offset:472
	s_wait_loadcnt 0x5
	v_fmac_f64_e32 v[166:167], v[162:163], v[158:159]
	ds_load_b128 v[152:155], v2 offset:912
	ds_load_b128 v[156:159], v2 offset:928
	s_wait_dscnt 0x1
	v_fmac_f64_e32 v[166:167], v[164:165], v[152:153]
	s_wait_loadcnt 0x4
	s_delay_alu instid0(VALU_DEP_1) | instskip(SKIP_4) | instid1(VALU_DEP_1)
	v_fmac_f64_e32 v[166:167], v[132:133], v[154:155]
	scratch_load_b128 v[152:155], off, off offset:488
	s_wait_dscnt 0x0
	v_fmac_f64_e32 v[166:167], v[134:135], v[156:157]
	s_wait_loadcnt 0x4
	v_fmac_f64_e32 v[166:167], v[144:145], v[158:159]
	ds_load_b128 v[132:135], v2 offset:944
	ds_load_b128 v[156:159], v2 offset:960
	s_wait_dscnt 0x1
	v_fmac_f64_e32 v[166:167], v[146:147], v[132:133]
	s_wait_loadcnt 0x3
	s_delay_alu instid0(VALU_DEP_1) | instskip(SKIP_1) | instid1(VALU_DEP_1)
	v_fmac_f64_e32 v[166:167], v[136:137], v[134:135]
	s_wait_dscnt 0x0
	v_fmac_f64_e32 v[166:167], v[138:139], v[156:157]
	ds_load_b128 v[132:135], v2 offset:976
	ds_load_b128 v[136:139], v2 offset:992
	s_wait_loadcnt 0x2
	v_fmac_f64_e32 v[166:167], v[148:149], v[158:159]
	s_wait_dscnt 0x1
	s_delay_alu instid0(VALU_DEP_1) | instskip(SKIP_4) | instid1(VALU_DEP_1)
	v_fmac_f64_e32 v[166:167], v[150:151], v[132:133]
	ds_load_b64 v[132:133], v2 offset:1008
	s_wait_loadcnt 0x1
	v_fmac_f64_e32 v[166:167], v[140:141], v[134:135]
	s_wait_dscnt 0x1
	v_fmac_f64_e32 v[166:167], v[142:143], v[136:137]
	s_wait_loadcnt 0x0
	s_delay_alu instid0(VALU_DEP_1) | instskip(SKIP_1) | instid1(VALU_DEP_1)
	v_fmac_f64_e32 v[166:167], v[152:153], v[138:139]
	s_wait_dscnt 0x0
	v_fmac_f64_e32 v[166:167], v[154:155], v[132:133]
	s_delay_alu instid0(VALU_DEP_1)
	v_add_f64_e64 v[130:131], v[130:131], -v[166:167]
	scratch_store_b64 off, v[130:131], off offset:104
	s_wait_xcnt 0x0
	v_cmpx_lt_u32_e32 12, v0
	s_cbranch_execz .LBB126_363
; %bb.362:
	scratch_load_b64 v[130:131], off, off offset:96
	v_mov_b64_e32 v[132:133], 0
	scratch_store_b64 off, v[132:133], off offset:96
	s_wait_loadcnt 0x0
	ds_store_b64 v1, v[130:131]
.LBB126_363:
	s_wait_xcnt 0x0
	s_or_b32 exec_lo, exec_lo, s0
	s_wait_storecnt_dscnt 0x0
	s_barrier_signal -1
	s_barrier_wait -1
	s_clause 0x5
	scratch_load_b128 v[130:133], off, off offset:96
	scratch_load_b128 v[134:137], off, off offset:112
	;; [unrolled: 1-line block ×6, first 2 shown]
	ds_load_2addr_b64 v[154:157], v2 offset0:77 offset1:78
	ds_load_2addr_b64 v[158:161], v2 offset0:79 offset1:80
	scratch_load_b128 v[162:165], off, off offset:192
	s_mov_b32 s0, exec_lo
	s_wait_loadcnt_dscnt 0x601
	v_fma_f64 v[166:167], v[132:133], v[154:155], 0
	s_wait_loadcnt 0x5
	s_delay_alu instid0(VALU_DEP_1) | instskip(SKIP_4) | instid1(VALU_DEP_1)
	v_fmac_f64_e32 v[166:167], v[134:135], v[156:157]
	scratch_load_b128 v[132:135], off, off offset:208
	s_wait_dscnt 0x0
	v_fmac_f64_e32 v[166:167], v[136:137], v[158:159]
	s_wait_loadcnt 0x5
	v_fmac_f64_e32 v[166:167], v[138:139], v[160:161]
	ds_load_2addr_b64 v[136:139], v2 offset0:81 offset1:82
	ds_load_2addr_b64 v[154:157], v2 offset0:83 offset1:84
	scratch_load_b128 v[158:161], off, off offset:224
	s_wait_dscnt 0x1
	v_fmac_f64_e32 v[166:167], v[140:141], v[136:137]
	s_wait_loadcnt 0x5
	s_delay_alu instid0(VALU_DEP_1) | instskip(SKIP_4) | instid1(VALU_DEP_1)
	v_fmac_f64_e32 v[166:167], v[142:143], v[138:139]
	scratch_load_b128 v[136:139], off, off offset:240
	s_wait_dscnt 0x0
	v_fmac_f64_e32 v[166:167], v[144:145], v[154:155]
	s_wait_loadcnt 0x5
	v_fmac_f64_e32 v[166:167], v[146:147], v[156:157]
	ds_load_2addr_b64 v[140:143], v2 offset0:85 offset1:86
	ds_load_2addr_b64 v[144:147], v2 offset0:87 offset1:88
	scratch_load_b128 v[154:157], off, off offset:256
	s_wait_dscnt 0x1
	v_fmac_f64_e32 v[166:167], v[148:149], v[140:141]
	s_wait_loadcnt 0x5
	s_delay_alu instid0(VALU_DEP_1) | instskip(SKIP_4) | instid1(VALU_DEP_1)
	v_fmac_f64_e32 v[166:167], v[150:151], v[142:143]
	scratch_load_b128 v[140:143], off, off offset:272
	s_wait_dscnt 0x0
	v_fmac_f64_e32 v[166:167], v[152:153], v[144:145]
	s_wait_loadcnt 0x5
	v_fmac_f64_e32 v[166:167], v[162:163], v[146:147]
	ds_load_2addr_b64 v[144:147], v2 offset0:89 offset1:90
	ds_load_2addr_b64 v[148:151], v2 offset0:91 offset1:92
	s_wait_dscnt 0x1
	v_fmac_f64_e32 v[166:167], v[164:165], v[144:145]
	scratch_load_b128 v[162:165], off, off offset:288
	s_wait_loadcnt 0x5
	v_fmac_f64_e32 v[166:167], v[132:133], v[146:147]
	s_wait_dscnt 0x0
	s_delay_alu instid0(VALU_DEP_1)
	v_fmac_f64_e32 v[166:167], v[134:135], v[148:149]
	scratch_load_b128 v[132:135], off, off offset:304
	s_wait_loadcnt 0x5
	v_fmac_f64_e32 v[166:167], v[158:159], v[150:151]
	ds_load_2addr_b64 v[144:147], v2 offset0:93 offset1:94
	ds_load_2addr_b64 v[148:151], v2 offset0:95 offset1:96
	s_wait_dscnt 0x1
	v_fmac_f64_e32 v[166:167], v[160:161], v[144:145]
	scratch_load_b128 v[158:161], off, off offset:320
	s_wait_loadcnt 0x5
	v_fmac_f64_e32 v[166:167], v[136:137], v[146:147]
	s_wait_dscnt 0x0
	s_delay_alu instid0(VALU_DEP_1)
	v_fmac_f64_e32 v[166:167], v[138:139], v[148:149]
	scratch_load_b128 v[136:139], off, off offset:336
	s_wait_loadcnt 0x5
	v_fmac_f64_e32 v[166:167], v[154:155], v[150:151]
	ds_load_2addr_b64 v[144:147], v2 offset0:97 offset1:98
	ds_load_2addr_b64 v[148:151], v2 offset0:99 offset1:100
	scratch_load_b128 v[152:155], off, off offset:352
	s_wait_dscnt 0x1
	v_fmac_f64_e32 v[166:167], v[156:157], v[144:145]
	s_wait_loadcnt 0x5
	s_delay_alu instid0(VALU_DEP_1) | instskip(SKIP_1) | instid1(VALU_DEP_1)
	v_fmac_f64_e32 v[166:167], v[140:141], v[146:147]
	s_wait_dscnt 0x0
	v_fmac_f64_e32 v[166:167], v[142:143], v[148:149]
	scratch_load_b128 v[140:143], off, off offset:368
	s_wait_loadcnt 0x5
	v_fmac_f64_e32 v[166:167], v[162:163], v[150:151]
	ds_load_2addr_b64 v[144:147], v2 offset0:101 offset1:102
	ds_load_2addr_b64 v[148:151], v2 offset0:103 offset1:104
	s_wait_dscnt 0x1
	v_fmac_f64_e32 v[166:167], v[164:165], v[144:145]
	scratch_load_b128 v[162:165], off, off offset:384
	s_wait_loadcnt 0x5
	v_fmac_f64_e32 v[166:167], v[132:133], v[146:147]
	s_wait_dscnt 0x0
	s_delay_alu instid0(VALU_DEP_1)
	v_fmac_f64_e32 v[166:167], v[134:135], v[148:149]
	scratch_load_b128 v[132:135], off, off offset:400
	s_wait_loadcnt 0x5
	v_fmac_f64_e32 v[166:167], v[158:159], v[150:151]
	ds_load_2addr_b64 v[144:147], v2 offset0:105 offset1:106
	ds_load_2addr_b64 v[148:151], v2 offset0:107 offset1:108
	scratch_load_b128 v[156:159], off, off offset:416
	s_wait_dscnt 0x1
	v_fmac_f64_e32 v[166:167], v[160:161], v[144:145]
	s_wait_loadcnt 0x5
	s_delay_alu instid0(VALU_DEP_1) | instskip(SKIP_1) | instid1(VALU_DEP_1)
	v_fmac_f64_e32 v[166:167], v[136:137], v[146:147]
	s_wait_dscnt 0x0
	v_fmac_f64_e32 v[166:167], v[138:139], v[148:149]
	scratch_load_b128 v[136:139], off, off offset:432
	s_wait_loadcnt 0x5
	v_fmac_f64_e32 v[166:167], v[152:153], v[150:151]
	ds_load_2addr_b64 v[144:147], v2 offset0:109 offset1:110
	ds_load_2addr_b64 v[148:151], v2 offset0:111 offset1:112
	s_wait_dscnt 0x1
	v_fmac_f64_e32 v[166:167], v[154:155], v[144:145]
	s_wait_loadcnt 0x4
	s_delay_alu instid0(VALU_DEP_1)
	v_fmac_f64_e32 v[166:167], v[140:141], v[146:147]
	scratch_load_b128 v[144:147], off, off offset:448
	s_wait_dscnt 0x0
	v_fmac_f64_e32 v[166:167], v[142:143], v[148:149]
	scratch_load_b128 v[140:143], off, off offset:464
	s_wait_loadcnt 0x5
	v_fmac_f64_e32 v[166:167], v[162:163], v[150:151]
	ds_load_2addr_b64 v[148:151], v2 offset0:113 offset1:114
	ds_load_2addr_b64 v[152:155], v2 offset0:115 offset1:116
	s_wait_dscnt 0x1
	v_fmac_f64_e32 v[166:167], v[164:165], v[148:149]
	s_wait_loadcnt 0x4
	s_delay_alu instid0(VALU_DEP_1) | instskip(SKIP_4) | instid1(VALU_DEP_1)
	v_fmac_f64_e32 v[166:167], v[132:133], v[150:151]
	scratch_load_b128 v[148:151], off, off offset:480
	s_wait_dscnt 0x0
	v_fmac_f64_e32 v[166:167], v[134:135], v[152:153]
	s_wait_loadcnt 0x4
	v_fmac_f64_e32 v[166:167], v[156:157], v[154:155]
	scratch_load_b64 v[156:157], off, off offset:496
	ds_load_2addr_b64 v[132:135], v2 offset0:117 offset1:118
	ds_load_2addr_b64 v[152:155], v2 offset0:119 offset1:120
	s_wait_dscnt 0x1
	v_fmac_f64_e32 v[166:167], v[158:159], v[132:133]
	s_wait_loadcnt 0x4
	s_delay_alu instid0(VALU_DEP_1) | instskip(SKIP_1) | instid1(VALU_DEP_1)
	v_fmac_f64_e32 v[166:167], v[136:137], v[134:135]
	s_wait_dscnt 0x0
	v_fmac_f64_e32 v[166:167], v[138:139], v[152:153]
	ds_load_2addr_b64 v[132:135], v2 offset0:121 offset1:122
	ds_load_2addr_b64 v[136:139], v2 offset0:123 offset1:124
	s_wait_loadcnt 0x3
	v_fmac_f64_e32 v[166:167], v[144:145], v[154:155]
	s_wait_dscnt 0x1
	s_delay_alu instid0(VALU_DEP_1) | instskip(SKIP_1) | instid1(VALU_DEP_1)
	v_fmac_f64_e32 v[166:167], v[146:147], v[132:133]
	s_wait_loadcnt 0x2
	v_fmac_f64_e32 v[166:167], v[140:141], v[134:135]
	ds_load_2addr_b64 v[132:135], v2 offset0:125 offset1:126
	s_wait_dscnt 0x1
	v_fmac_f64_e32 v[166:167], v[142:143], v[136:137]
	s_wait_loadcnt 0x1
	s_delay_alu instid0(VALU_DEP_1) | instskip(SKIP_1) | instid1(VALU_DEP_1)
	v_fmac_f64_e32 v[166:167], v[148:149], v[138:139]
	s_wait_dscnt 0x0
	v_fmac_f64_e32 v[166:167], v[150:151], v[132:133]
	s_wait_loadcnt 0x0
	s_delay_alu instid0(VALU_DEP_1) | instskip(NEXT) | instid1(VALU_DEP_1)
	v_fmac_f64_e32 v[166:167], v[156:157], v[134:135]
	v_add_f64_e64 v[2:3], v[130:131], -v[166:167]
	scratch_store_b64 off, v[2:3], off offset:96
	s_wait_xcnt 0x0
	v_cmpx_lt_u32_e32 11, v0
	s_cbranch_execz .LBB126_365
; %bb.364:
	scratch_load_b64 v[2:3], off, off offset:88
	v_mov_b64_e32 v[130:131], 0
	scratch_store_b64 off, v[130:131], off offset:88
	s_wait_loadcnt 0x0
	ds_store_b64 v1, v[2:3]
.LBB126_365:
	s_wait_xcnt 0x0
	s_or_b32 exec_lo, exec_lo, s0
	s_wait_storecnt_dscnt 0x0
	s_barrier_signal -1
	s_barrier_wait -1
	s_clause 0x5
	scratch_load_b128 v[130:133], off, off offset:88
	scratch_load_b128 v[134:137], off, off offset:104
	;; [unrolled: 1-line block ×6, first 2 shown]
	v_mov_b32_e32 v2, 0
	ds_load_b128 v[154:157], v2 offset:608
	ds_load_b128 v[158:161], v2 offset:624
	scratch_load_b128 v[162:165], off, off offset:184
	s_mov_b32 s0, exec_lo
	s_wait_loadcnt_dscnt 0x601
	v_fma_f64 v[166:167], v[132:133], v[154:155], 0
	s_wait_loadcnt 0x5
	s_delay_alu instid0(VALU_DEP_1) | instskip(SKIP_4) | instid1(VALU_DEP_1)
	v_fmac_f64_e32 v[166:167], v[134:135], v[156:157]
	scratch_load_b128 v[132:135], off, off offset:200
	s_wait_dscnt 0x0
	v_fmac_f64_e32 v[166:167], v[136:137], v[158:159]
	s_wait_loadcnt 0x5
	v_fmac_f64_e32 v[166:167], v[138:139], v[160:161]
	ds_load_b128 v[136:139], v2 offset:640
	ds_load_b128 v[154:157], v2 offset:656
	scratch_load_b128 v[158:161], off, off offset:216
	s_wait_dscnt 0x1
	v_fmac_f64_e32 v[166:167], v[140:141], v[136:137]
	s_wait_loadcnt 0x5
	s_delay_alu instid0(VALU_DEP_1) | instskip(SKIP_4) | instid1(VALU_DEP_1)
	v_fmac_f64_e32 v[166:167], v[142:143], v[138:139]
	scratch_load_b128 v[136:139], off, off offset:232
	s_wait_dscnt 0x0
	v_fmac_f64_e32 v[166:167], v[144:145], v[154:155]
	s_wait_loadcnt 0x5
	v_fmac_f64_e32 v[166:167], v[146:147], v[156:157]
	ds_load_b128 v[140:143], v2 offset:672
	ds_load_b128 v[144:147], v2 offset:688
	scratch_load_b128 v[154:157], off, off offset:248
	s_wait_dscnt 0x1
	v_fmac_f64_e32 v[166:167], v[148:149], v[140:141]
	s_wait_loadcnt 0x5
	s_delay_alu instid0(VALU_DEP_1) | instskip(SKIP_4) | instid1(VALU_DEP_1)
	v_fmac_f64_e32 v[166:167], v[150:151], v[142:143]
	scratch_load_b128 v[140:143], off, off offset:264
	s_wait_dscnt 0x0
	v_fmac_f64_e32 v[166:167], v[152:153], v[144:145]
	s_wait_loadcnt 0x5
	v_fmac_f64_e32 v[166:167], v[162:163], v[146:147]
	ds_load_b128 v[144:147], v2 offset:704
	ds_load_b128 v[148:151], v2 offset:720
	s_wait_dscnt 0x1
	v_fmac_f64_e32 v[166:167], v[164:165], v[144:145]
	scratch_load_b128 v[162:165], off, off offset:280
	s_wait_loadcnt 0x5
	v_fmac_f64_e32 v[166:167], v[132:133], v[146:147]
	s_wait_dscnt 0x0
	s_delay_alu instid0(VALU_DEP_1)
	v_fmac_f64_e32 v[166:167], v[134:135], v[148:149]
	scratch_load_b128 v[132:135], off, off offset:296
	s_wait_loadcnt 0x5
	v_fmac_f64_e32 v[166:167], v[158:159], v[150:151]
	ds_load_b128 v[144:147], v2 offset:736
	ds_load_b128 v[148:151], v2 offset:752
	s_wait_dscnt 0x1
	v_fmac_f64_e32 v[166:167], v[160:161], v[144:145]
	scratch_load_b128 v[158:161], off, off offset:312
	s_wait_loadcnt 0x5
	v_fmac_f64_e32 v[166:167], v[136:137], v[146:147]
	s_wait_dscnt 0x0
	s_delay_alu instid0(VALU_DEP_1)
	v_fmac_f64_e32 v[166:167], v[138:139], v[148:149]
	scratch_load_b128 v[136:139], off, off offset:328
	s_wait_loadcnt 0x5
	v_fmac_f64_e32 v[166:167], v[154:155], v[150:151]
	ds_load_b128 v[144:147], v2 offset:768
	ds_load_b128 v[148:151], v2 offset:784
	scratch_load_b128 v[152:155], off, off offset:344
	s_wait_dscnt 0x1
	v_fmac_f64_e32 v[166:167], v[156:157], v[144:145]
	s_wait_loadcnt 0x5
	s_delay_alu instid0(VALU_DEP_1) | instskip(SKIP_1) | instid1(VALU_DEP_1)
	v_fmac_f64_e32 v[166:167], v[140:141], v[146:147]
	s_wait_dscnt 0x0
	v_fmac_f64_e32 v[166:167], v[142:143], v[148:149]
	scratch_load_b128 v[140:143], off, off offset:360
	s_wait_loadcnt 0x5
	v_fmac_f64_e32 v[166:167], v[162:163], v[150:151]
	ds_load_b128 v[144:147], v2 offset:800
	ds_load_b128 v[148:151], v2 offset:816
	s_wait_dscnt 0x1
	v_fmac_f64_e32 v[166:167], v[164:165], v[144:145]
	scratch_load_b128 v[162:165], off, off offset:376
	s_wait_loadcnt 0x5
	v_fmac_f64_e32 v[166:167], v[132:133], v[146:147]
	s_wait_dscnt 0x0
	s_delay_alu instid0(VALU_DEP_1)
	v_fmac_f64_e32 v[166:167], v[134:135], v[148:149]
	scratch_load_b128 v[132:135], off, off offset:392
	s_wait_loadcnt 0x5
	v_fmac_f64_e32 v[166:167], v[158:159], v[150:151]
	ds_load_b128 v[144:147], v2 offset:832
	ds_load_b128 v[148:151], v2 offset:848
	scratch_load_b128 v[156:159], off, off offset:408
	s_wait_dscnt 0x1
	v_fmac_f64_e32 v[166:167], v[160:161], v[144:145]
	s_wait_loadcnt 0x5
	s_delay_alu instid0(VALU_DEP_1) | instskip(SKIP_1) | instid1(VALU_DEP_1)
	v_fmac_f64_e32 v[166:167], v[136:137], v[146:147]
	s_wait_dscnt 0x0
	v_fmac_f64_e32 v[166:167], v[138:139], v[148:149]
	scratch_load_b128 v[136:139], off, off offset:424
	s_wait_loadcnt 0x5
	v_fmac_f64_e32 v[166:167], v[152:153], v[150:151]
	ds_load_b128 v[144:147], v2 offset:864
	ds_load_b128 v[148:151], v2 offset:880
	s_wait_dscnt 0x1
	v_fmac_f64_e32 v[166:167], v[154:155], v[144:145]
	s_wait_loadcnt 0x4
	s_delay_alu instid0(VALU_DEP_1)
	v_fmac_f64_e32 v[166:167], v[140:141], v[146:147]
	scratch_load_b128 v[144:147], off, off offset:440
	s_wait_dscnt 0x0
	v_fmac_f64_e32 v[166:167], v[142:143], v[148:149]
	scratch_load_b128 v[140:143], off, off offset:456
	s_wait_loadcnt 0x5
	v_fmac_f64_e32 v[166:167], v[162:163], v[150:151]
	ds_load_b128 v[148:151], v2 offset:896
	ds_load_b128 v[152:155], v2 offset:912
	s_wait_dscnt 0x1
	v_fmac_f64_e32 v[166:167], v[164:165], v[148:149]
	s_wait_loadcnt 0x4
	s_delay_alu instid0(VALU_DEP_1)
	v_fmac_f64_e32 v[166:167], v[132:133], v[150:151]
	scratch_load_b128 v[148:151], off, off offset:472
	s_wait_dscnt 0x0
	v_fmac_f64_e32 v[166:167], v[134:135], v[152:153]
	scratch_load_b128 v[132:135], off, off offset:488
	s_wait_loadcnt 0x5
	v_fmac_f64_e32 v[166:167], v[156:157], v[154:155]
	ds_load_b128 v[152:155], v2 offset:928
	ds_load_b128 v[160:163], v2 offset:944
	s_wait_dscnt 0x1
	v_fmac_f64_e32 v[166:167], v[158:159], v[152:153]
	s_wait_loadcnt 0x4
	s_delay_alu instid0(VALU_DEP_1) | instskip(SKIP_1) | instid1(VALU_DEP_1)
	v_fmac_f64_e32 v[166:167], v[136:137], v[154:155]
	s_wait_dscnt 0x0
	v_fmac_f64_e32 v[166:167], v[138:139], v[160:161]
	ds_load_b128 v[136:139], v2 offset:960
	ds_load_b128 v[152:155], v2 offset:976
	s_wait_loadcnt 0x3
	v_fmac_f64_e32 v[166:167], v[144:145], v[162:163]
	s_wait_dscnt 0x1
	s_delay_alu instid0(VALU_DEP_1) | instskip(SKIP_1) | instid1(VALU_DEP_1)
	v_fmac_f64_e32 v[166:167], v[146:147], v[136:137]
	s_wait_loadcnt 0x2
	v_fmac_f64_e32 v[166:167], v[140:141], v[138:139]
	ds_load_b128 v[136:139], v2 offset:992
	ds_load_b64 v[140:141], v2 offset:1008
	s_wait_dscnt 0x2
	v_fmac_f64_e32 v[166:167], v[142:143], v[152:153]
	s_wait_loadcnt 0x1
	s_delay_alu instid0(VALU_DEP_1) | instskip(SKIP_1) | instid1(VALU_DEP_1)
	v_fmac_f64_e32 v[166:167], v[148:149], v[154:155]
	s_wait_dscnt 0x1
	v_fmac_f64_e32 v[166:167], v[150:151], v[136:137]
	s_wait_loadcnt 0x0
	s_delay_alu instid0(VALU_DEP_1) | instskip(SKIP_1) | instid1(VALU_DEP_1)
	v_fmac_f64_e32 v[166:167], v[132:133], v[138:139]
	s_wait_dscnt 0x0
	v_fmac_f64_e32 v[166:167], v[134:135], v[140:141]
	s_delay_alu instid0(VALU_DEP_1)
	v_add_f64_e64 v[130:131], v[130:131], -v[166:167]
	scratch_store_b64 off, v[130:131], off offset:88
	s_wait_xcnt 0x0
	v_cmpx_lt_u32_e32 10, v0
	s_cbranch_execz .LBB126_367
; %bb.366:
	scratch_load_b64 v[130:131], off, off offset:80
	v_mov_b64_e32 v[132:133], 0
	scratch_store_b64 off, v[132:133], off offset:80
	s_wait_loadcnt 0x0
	ds_store_b64 v1, v[130:131]
.LBB126_367:
	s_wait_xcnt 0x0
	s_or_b32 exec_lo, exec_lo, s0
	s_wait_storecnt_dscnt 0x0
	s_barrier_signal -1
	s_barrier_wait -1
	s_clause 0x5
	scratch_load_b128 v[130:133], off, off offset:80
	scratch_load_b128 v[134:137], off, off offset:96
	;; [unrolled: 1-line block ×6, first 2 shown]
	ds_load_2addr_b64 v[154:157], v2 offset0:75 offset1:76
	ds_load_2addr_b64 v[158:161], v2 offset0:77 offset1:78
	scratch_load_b128 v[162:165], off, off offset:176
	s_mov_b32 s0, exec_lo
	s_wait_loadcnt_dscnt 0x601
	v_fma_f64 v[166:167], v[132:133], v[154:155], 0
	s_wait_loadcnt 0x5
	s_delay_alu instid0(VALU_DEP_1) | instskip(SKIP_4) | instid1(VALU_DEP_1)
	v_fmac_f64_e32 v[166:167], v[134:135], v[156:157]
	scratch_load_b128 v[132:135], off, off offset:192
	s_wait_dscnt 0x0
	v_fmac_f64_e32 v[166:167], v[136:137], v[158:159]
	s_wait_loadcnt 0x5
	v_fmac_f64_e32 v[166:167], v[138:139], v[160:161]
	ds_load_2addr_b64 v[136:139], v2 offset0:79 offset1:80
	ds_load_2addr_b64 v[154:157], v2 offset0:81 offset1:82
	scratch_load_b128 v[158:161], off, off offset:208
	s_wait_dscnt 0x1
	v_fmac_f64_e32 v[166:167], v[140:141], v[136:137]
	s_wait_loadcnt 0x5
	s_delay_alu instid0(VALU_DEP_1) | instskip(SKIP_4) | instid1(VALU_DEP_1)
	v_fmac_f64_e32 v[166:167], v[142:143], v[138:139]
	scratch_load_b128 v[136:139], off, off offset:224
	s_wait_dscnt 0x0
	v_fmac_f64_e32 v[166:167], v[144:145], v[154:155]
	s_wait_loadcnt 0x5
	v_fmac_f64_e32 v[166:167], v[146:147], v[156:157]
	ds_load_2addr_b64 v[140:143], v2 offset0:83 offset1:84
	ds_load_2addr_b64 v[144:147], v2 offset0:85 offset1:86
	scratch_load_b128 v[154:157], off, off offset:240
	s_wait_dscnt 0x1
	v_fmac_f64_e32 v[166:167], v[148:149], v[140:141]
	s_wait_loadcnt 0x5
	s_delay_alu instid0(VALU_DEP_1) | instskip(SKIP_4) | instid1(VALU_DEP_1)
	v_fmac_f64_e32 v[166:167], v[150:151], v[142:143]
	scratch_load_b128 v[140:143], off, off offset:256
	s_wait_dscnt 0x0
	v_fmac_f64_e32 v[166:167], v[152:153], v[144:145]
	s_wait_loadcnt 0x5
	v_fmac_f64_e32 v[166:167], v[162:163], v[146:147]
	ds_load_2addr_b64 v[144:147], v2 offset0:87 offset1:88
	ds_load_2addr_b64 v[148:151], v2 offset0:89 offset1:90
	s_wait_dscnt 0x1
	v_fmac_f64_e32 v[166:167], v[164:165], v[144:145]
	scratch_load_b128 v[162:165], off, off offset:272
	s_wait_loadcnt 0x5
	v_fmac_f64_e32 v[166:167], v[132:133], v[146:147]
	s_wait_dscnt 0x0
	s_delay_alu instid0(VALU_DEP_1)
	v_fmac_f64_e32 v[166:167], v[134:135], v[148:149]
	scratch_load_b128 v[132:135], off, off offset:288
	s_wait_loadcnt 0x5
	v_fmac_f64_e32 v[166:167], v[158:159], v[150:151]
	ds_load_2addr_b64 v[144:147], v2 offset0:91 offset1:92
	ds_load_2addr_b64 v[148:151], v2 offset0:93 offset1:94
	s_wait_dscnt 0x1
	v_fmac_f64_e32 v[166:167], v[160:161], v[144:145]
	scratch_load_b128 v[158:161], off, off offset:304
	s_wait_loadcnt 0x5
	v_fmac_f64_e32 v[166:167], v[136:137], v[146:147]
	s_wait_dscnt 0x0
	s_delay_alu instid0(VALU_DEP_1)
	v_fmac_f64_e32 v[166:167], v[138:139], v[148:149]
	scratch_load_b128 v[136:139], off, off offset:320
	s_wait_loadcnt 0x5
	v_fmac_f64_e32 v[166:167], v[154:155], v[150:151]
	ds_load_2addr_b64 v[144:147], v2 offset0:95 offset1:96
	ds_load_2addr_b64 v[148:151], v2 offset0:97 offset1:98
	scratch_load_b128 v[152:155], off, off offset:336
	s_wait_dscnt 0x1
	v_fmac_f64_e32 v[166:167], v[156:157], v[144:145]
	s_wait_loadcnt 0x5
	s_delay_alu instid0(VALU_DEP_1) | instskip(SKIP_1) | instid1(VALU_DEP_1)
	v_fmac_f64_e32 v[166:167], v[140:141], v[146:147]
	s_wait_dscnt 0x0
	v_fmac_f64_e32 v[166:167], v[142:143], v[148:149]
	scratch_load_b128 v[140:143], off, off offset:352
	s_wait_loadcnt 0x5
	v_fmac_f64_e32 v[166:167], v[162:163], v[150:151]
	ds_load_2addr_b64 v[144:147], v2 offset0:99 offset1:100
	ds_load_2addr_b64 v[148:151], v2 offset0:101 offset1:102
	s_wait_dscnt 0x1
	v_fmac_f64_e32 v[166:167], v[164:165], v[144:145]
	scratch_load_b128 v[162:165], off, off offset:368
	s_wait_loadcnt 0x5
	v_fmac_f64_e32 v[166:167], v[132:133], v[146:147]
	s_wait_dscnt 0x0
	s_delay_alu instid0(VALU_DEP_1)
	v_fmac_f64_e32 v[166:167], v[134:135], v[148:149]
	scratch_load_b128 v[132:135], off, off offset:384
	s_wait_loadcnt 0x5
	v_fmac_f64_e32 v[166:167], v[158:159], v[150:151]
	ds_load_2addr_b64 v[144:147], v2 offset0:103 offset1:104
	ds_load_2addr_b64 v[148:151], v2 offset0:105 offset1:106
	scratch_load_b128 v[156:159], off, off offset:400
	s_wait_dscnt 0x1
	v_fmac_f64_e32 v[166:167], v[160:161], v[144:145]
	s_wait_loadcnt 0x5
	s_delay_alu instid0(VALU_DEP_1) | instskip(SKIP_1) | instid1(VALU_DEP_1)
	v_fmac_f64_e32 v[166:167], v[136:137], v[146:147]
	s_wait_dscnt 0x0
	v_fmac_f64_e32 v[166:167], v[138:139], v[148:149]
	scratch_load_b128 v[136:139], off, off offset:416
	s_wait_loadcnt 0x5
	v_fmac_f64_e32 v[166:167], v[152:153], v[150:151]
	ds_load_2addr_b64 v[144:147], v2 offset0:107 offset1:108
	ds_load_2addr_b64 v[148:151], v2 offset0:109 offset1:110
	s_wait_dscnt 0x1
	v_fmac_f64_e32 v[166:167], v[154:155], v[144:145]
	s_wait_loadcnt 0x4
	s_delay_alu instid0(VALU_DEP_1)
	v_fmac_f64_e32 v[166:167], v[140:141], v[146:147]
	scratch_load_b128 v[144:147], off, off offset:432
	s_wait_dscnt 0x0
	v_fmac_f64_e32 v[166:167], v[142:143], v[148:149]
	scratch_load_b128 v[140:143], off, off offset:448
	s_wait_loadcnt 0x5
	v_fmac_f64_e32 v[166:167], v[162:163], v[150:151]
	ds_load_2addr_b64 v[148:151], v2 offset0:111 offset1:112
	ds_load_2addr_b64 v[152:155], v2 offset0:113 offset1:114
	s_wait_dscnt 0x1
	v_fmac_f64_e32 v[166:167], v[164:165], v[148:149]
	s_wait_loadcnt 0x4
	s_delay_alu instid0(VALU_DEP_1)
	v_fmac_f64_e32 v[166:167], v[132:133], v[150:151]
	scratch_load_b128 v[148:151], off, off offset:464
	s_wait_dscnt 0x0
	v_fmac_f64_e32 v[166:167], v[134:135], v[152:153]
	scratch_load_b128 v[132:135], off, off offset:480
	s_wait_loadcnt 0x5
	v_fmac_f64_e32 v[166:167], v[156:157], v[154:155]
	ds_load_2addr_b64 v[152:155], v2 offset0:115 offset1:116
	ds_load_2addr_b64 v[160:163], v2 offset0:117 offset1:118
	scratch_load_b64 v[156:157], off, off offset:496
	s_wait_dscnt 0x1
	v_fmac_f64_e32 v[166:167], v[158:159], v[152:153]
	s_wait_loadcnt 0x5
	s_delay_alu instid0(VALU_DEP_1) | instskip(SKIP_1) | instid1(VALU_DEP_1)
	v_fmac_f64_e32 v[166:167], v[136:137], v[154:155]
	s_wait_dscnt 0x0
	v_fmac_f64_e32 v[166:167], v[138:139], v[160:161]
	ds_load_2addr_b64 v[136:139], v2 offset0:119 offset1:120
	ds_load_2addr_b64 v[152:155], v2 offset0:121 offset1:122
	s_wait_loadcnt 0x4
	v_fmac_f64_e32 v[166:167], v[144:145], v[162:163]
	s_wait_dscnt 0x1
	s_delay_alu instid0(VALU_DEP_1) | instskip(SKIP_1) | instid1(VALU_DEP_1)
	v_fmac_f64_e32 v[166:167], v[146:147], v[136:137]
	s_wait_loadcnt 0x3
	v_fmac_f64_e32 v[166:167], v[140:141], v[138:139]
	s_wait_dscnt 0x0
	s_delay_alu instid0(VALU_DEP_1)
	v_fmac_f64_e32 v[166:167], v[142:143], v[152:153]
	ds_load_2addr_b64 v[136:139], v2 offset0:123 offset1:124
	ds_load_2addr_b64 v[140:143], v2 offset0:125 offset1:126
	s_wait_loadcnt 0x2
	v_fmac_f64_e32 v[166:167], v[148:149], v[154:155]
	s_wait_dscnt 0x1
	s_delay_alu instid0(VALU_DEP_1) | instskip(SKIP_1) | instid1(VALU_DEP_1)
	v_fmac_f64_e32 v[166:167], v[150:151], v[136:137]
	s_wait_loadcnt 0x1
	v_fmac_f64_e32 v[166:167], v[132:133], v[138:139]
	s_wait_dscnt 0x0
	s_delay_alu instid0(VALU_DEP_1) | instskip(SKIP_1) | instid1(VALU_DEP_1)
	v_fmac_f64_e32 v[166:167], v[134:135], v[140:141]
	s_wait_loadcnt 0x0
	v_fmac_f64_e32 v[166:167], v[156:157], v[142:143]
	s_delay_alu instid0(VALU_DEP_1)
	v_add_f64_e64 v[2:3], v[130:131], -v[166:167]
	scratch_store_b64 off, v[2:3], off offset:80
	s_wait_xcnt 0x0
	v_cmpx_lt_u32_e32 9, v0
	s_cbranch_execz .LBB126_369
; %bb.368:
	scratch_load_b64 v[2:3], off, off offset:72
	v_mov_b64_e32 v[130:131], 0
	scratch_store_b64 off, v[130:131], off offset:72
	s_wait_loadcnt 0x0
	ds_store_b64 v1, v[2:3]
.LBB126_369:
	s_wait_xcnt 0x0
	s_or_b32 exec_lo, exec_lo, s0
	s_wait_storecnt_dscnt 0x0
	s_barrier_signal -1
	s_barrier_wait -1
	s_clause 0x5
	scratch_load_b128 v[130:133], off, off offset:72
	scratch_load_b128 v[134:137], off, off offset:88
	;; [unrolled: 1-line block ×6, first 2 shown]
	v_mov_b32_e32 v2, 0
	ds_load_b128 v[154:157], v2 offset:592
	ds_load_b128 v[158:161], v2 offset:608
	scratch_load_b128 v[162:165], off, off offset:168
	s_mov_b32 s0, exec_lo
	s_wait_loadcnt_dscnt 0x601
	v_fma_f64 v[166:167], v[132:133], v[154:155], 0
	s_wait_loadcnt 0x5
	s_delay_alu instid0(VALU_DEP_1) | instskip(SKIP_4) | instid1(VALU_DEP_1)
	v_fmac_f64_e32 v[166:167], v[134:135], v[156:157]
	scratch_load_b128 v[132:135], off, off offset:184
	s_wait_dscnt 0x0
	v_fmac_f64_e32 v[166:167], v[136:137], v[158:159]
	s_wait_loadcnt 0x5
	v_fmac_f64_e32 v[166:167], v[138:139], v[160:161]
	ds_load_b128 v[136:139], v2 offset:624
	ds_load_b128 v[154:157], v2 offset:640
	scratch_load_b128 v[158:161], off, off offset:200
	s_wait_dscnt 0x1
	v_fmac_f64_e32 v[166:167], v[140:141], v[136:137]
	s_wait_loadcnt 0x5
	s_delay_alu instid0(VALU_DEP_1) | instskip(SKIP_4) | instid1(VALU_DEP_1)
	v_fmac_f64_e32 v[166:167], v[142:143], v[138:139]
	scratch_load_b128 v[136:139], off, off offset:216
	s_wait_dscnt 0x0
	v_fmac_f64_e32 v[166:167], v[144:145], v[154:155]
	s_wait_loadcnt 0x5
	v_fmac_f64_e32 v[166:167], v[146:147], v[156:157]
	ds_load_b128 v[140:143], v2 offset:656
	ds_load_b128 v[144:147], v2 offset:672
	scratch_load_b128 v[154:157], off, off offset:232
	s_wait_dscnt 0x1
	v_fmac_f64_e32 v[166:167], v[148:149], v[140:141]
	s_wait_loadcnt 0x5
	s_delay_alu instid0(VALU_DEP_1) | instskip(SKIP_4) | instid1(VALU_DEP_1)
	v_fmac_f64_e32 v[166:167], v[150:151], v[142:143]
	scratch_load_b128 v[140:143], off, off offset:248
	s_wait_dscnt 0x0
	v_fmac_f64_e32 v[166:167], v[152:153], v[144:145]
	s_wait_loadcnt 0x5
	v_fmac_f64_e32 v[166:167], v[162:163], v[146:147]
	ds_load_b128 v[144:147], v2 offset:688
	ds_load_b128 v[148:151], v2 offset:704
	s_wait_dscnt 0x1
	v_fmac_f64_e32 v[166:167], v[164:165], v[144:145]
	scratch_load_b128 v[162:165], off, off offset:264
	s_wait_loadcnt 0x5
	v_fmac_f64_e32 v[166:167], v[132:133], v[146:147]
	s_wait_dscnt 0x0
	s_delay_alu instid0(VALU_DEP_1)
	v_fmac_f64_e32 v[166:167], v[134:135], v[148:149]
	scratch_load_b128 v[132:135], off, off offset:280
	s_wait_loadcnt 0x5
	v_fmac_f64_e32 v[166:167], v[158:159], v[150:151]
	ds_load_b128 v[144:147], v2 offset:720
	ds_load_b128 v[148:151], v2 offset:736
	s_wait_dscnt 0x1
	v_fmac_f64_e32 v[166:167], v[160:161], v[144:145]
	scratch_load_b128 v[158:161], off, off offset:296
	s_wait_loadcnt 0x5
	v_fmac_f64_e32 v[166:167], v[136:137], v[146:147]
	s_wait_dscnt 0x0
	s_delay_alu instid0(VALU_DEP_1)
	v_fmac_f64_e32 v[166:167], v[138:139], v[148:149]
	scratch_load_b128 v[136:139], off, off offset:312
	s_wait_loadcnt 0x5
	v_fmac_f64_e32 v[166:167], v[154:155], v[150:151]
	ds_load_b128 v[144:147], v2 offset:752
	ds_load_b128 v[148:151], v2 offset:768
	scratch_load_b128 v[152:155], off, off offset:328
	s_wait_dscnt 0x1
	v_fmac_f64_e32 v[166:167], v[156:157], v[144:145]
	s_wait_loadcnt 0x5
	s_delay_alu instid0(VALU_DEP_1) | instskip(SKIP_1) | instid1(VALU_DEP_1)
	v_fmac_f64_e32 v[166:167], v[140:141], v[146:147]
	s_wait_dscnt 0x0
	v_fmac_f64_e32 v[166:167], v[142:143], v[148:149]
	scratch_load_b128 v[140:143], off, off offset:344
	s_wait_loadcnt 0x5
	v_fmac_f64_e32 v[166:167], v[162:163], v[150:151]
	ds_load_b128 v[144:147], v2 offset:784
	ds_load_b128 v[148:151], v2 offset:800
	s_wait_dscnt 0x1
	v_fmac_f64_e32 v[166:167], v[164:165], v[144:145]
	scratch_load_b128 v[162:165], off, off offset:360
	s_wait_loadcnt 0x5
	v_fmac_f64_e32 v[166:167], v[132:133], v[146:147]
	s_wait_dscnt 0x0
	s_delay_alu instid0(VALU_DEP_1)
	v_fmac_f64_e32 v[166:167], v[134:135], v[148:149]
	scratch_load_b128 v[132:135], off, off offset:376
	s_wait_loadcnt 0x5
	v_fmac_f64_e32 v[166:167], v[158:159], v[150:151]
	ds_load_b128 v[144:147], v2 offset:816
	ds_load_b128 v[148:151], v2 offset:832
	scratch_load_b128 v[156:159], off, off offset:392
	s_wait_dscnt 0x1
	v_fmac_f64_e32 v[166:167], v[160:161], v[144:145]
	s_wait_loadcnt 0x5
	s_delay_alu instid0(VALU_DEP_1) | instskip(SKIP_1) | instid1(VALU_DEP_1)
	v_fmac_f64_e32 v[166:167], v[136:137], v[146:147]
	s_wait_dscnt 0x0
	v_fmac_f64_e32 v[166:167], v[138:139], v[148:149]
	scratch_load_b128 v[136:139], off, off offset:408
	s_wait_loadcnt 0x5
	v_fmac_f64_e32 v[166:167], v[152:153], v[150:151]
	ds_load_b128 v[144:147], v2 offset:848
	ds_load_b128 v[148:151], v2 offset:864
	s_wait_dscnt 0x1
	v_fmac_f64_e32 v[166:167], v[154:155], v[144:145]
	s_wait_loadcnt 0x4
	s_delay_alu instid0(VALU_DEP_1)
	v_fmac_f64_e32 v[166:167], v[140:141], v[146:147]
	scratch_load_b128 v[144:147], off, off offset:424
	s_wait_dscnt 0x0
	v_fmac_f64_e32 v[166:167], v[142:143], v[148:149]
	scratch_load_b128 v[140:143], off, off offset:440
	s_wait_loadcnt 0x5
	v_fmac_f64_e32 v[166:167], v[162:163], v[150:151]
	ds_load_b128 v[148:151], v2 offset:880
	ds_load_b128 v[152:155], v2 offset:896
	s_wait_dscnt 0x1
	v_fmac_f64_e32 v[166:167], v[164:165], v[148:149]
	s_wait_loadcnt 0x4
	s_delay_alu instid0(VALU_DEP_1)
	v_fmac_f64_e32 v[166:167], v[132:133], v[150:151]
	scratch_load_b128 v[148:151], off, off offset:456
	s_wait_dscnt 0x0
	v_fmac_f64_e32 v[166:167], v[134:135], v[152:153]
	scratch_load_b128 v[132:135], off, off offset:472
	s_wait_loadcnt 0x5
	v_fmac_f64_e32 v[166:167], v[156:157], v[154:155]
	ds_load_b128 v[152:155], v2 offset:912
	ds_load_b128 v[160:163], v2 offset:928
	s_wait_dscnt 0x1
	v_fmac_f64_e32 v[166:167], v[158:159], v[152:153]
	s_wait_loadcnt 0x4
	s_delay_alu instid0(VALU_DEP_1)
	v_fmac_f64_e32 v[166:167], v[136:137], v[154:155]
	scratch_load_b128 v[152:155], off, off offset:488
	s_wait_dscnt 0x0
	v_fmac_f64_e32 v[166:167], v[138:139], v[160:161]
	ds_load_b128 v[136:139], v2 offset:944
	ds_load_b128 v[156:159], v2 offset:960
	s_wait_loadcnt 0x4
	v_fmac_f64_e32 v[166:167], v[144:145], v[162:163]
	s_wait_dscnt 0x1
	s_delay_alu instid0(VALU_DEP_1) | instskip(SKIP_1) | instid1(VALU_DEP_1)
	v_fmac_f64_e32 v[166:167], v[146:147], v[136:137]
	s_wait_loadcnt 0x3
	v_fmac_f64_e32 v[166:167], v[140:141], v[138:139]
	s_wait_dscnt 0x0
	s_delay_alu instid0(VALU_DEP_1)
	v_fmac_f64_e32 v[166:167], v[142:143], v[156:157]
	ds_load_b128 v[136:139], v2 offset:976
	ds_load_b128 v[140:143], v2 offset:992
	s_wait_loadcnt 0x2
	v_fmac_f64_e32 v[166:167], v[148:149], v[158:159]
	s_wait_dscnt 0x1
	s_delay_alu instid0(VALU_DEP_1) | instskip(SKIP_1) | instid1(VALU_DEP_1)
	v_fmac_f64_e32 v[166:167], v[150:151], v[136:137]
	s_wait_loadcnt 0x1
	v_fmac_f64_e32 v[166:167], v[132:133], v[138:139]
	ds_load_b64 v[132:133], v2 offset:1008
	s_wait_dscnt 0x1
	v_fmac_f64_e32 v[166:167], v[134:135], v[140:141]
	s_wait_loadcnt 0x0
	s_delay_alu instid0(VALU_DEP_1) | instskip(SKIP_1) | instid1(VALU_DEP_1)
	v_fmac_f64_e32 v[166:167], v[152:153], v[142:143]
	s_wait_dscnt 0x0
	v_fmac_f64_e32 v[166:167], v[154:155], v[132:133]
	s_delay_alu instid0(VALU_DEP_1)
	v_add_f64_e64 v[130:131], v[130:131], -v[166:167]
	scratch_store_b64 off, v[130:131], off offset:72
	s_wait_xcnt 0x0
	v_cmpx_lt_u32_e32 8, v0
	s_cbranch_execz .LBB126_371
; %bb.370:
	scratch_load_b64 v[130:131], off, off offset:64
	v_mov_b64_e32 v[132:133], 0
	scratch_store_b64 off, v[132:133], off offset:64
	s_wait_loadcnt 0x0
	ds_store_b64 v1, v[130:131]
.LBB126_371:
	s_wait_xcnt 0x0
	s_or_b32 exec_lo, exec_lo, s0
	s_wait_storecnt_dscnt 0x0
	s_barrier_signal -1
	s_barrier_wait -1
	s_clause 0x5
	scratch_load_b128 v[130:133], off, off offset:64
	scratch_load_b128 v[134:137], off, off offset:80
	;; [unrolled: 1-line block ×6, first 2 shown]
	ds_load_2addr_b64 v[154:157], v2 offset0:73 offset1:74
	ds_load_2addr_b64 v[158:161], v2 offset0:75 offset1:76
	scratch_load_b128 v[162:165], off, off offset:160
	s_mov_b32 s0, exec_lo
	s_wait_loadcnt_dscnt 0x601
	v_fma_f64 v[166:167], v[132:133], v[154:155], 0
	s_wait_loadcnt 0x5
	s_delay_alu instid0(VALU_DEP_1) | instskip(SKIP_4) | instid1(VALU_DEP_1)
	v_fmac_f64_e32 v[166:167], v[134:135], v[156:157]
	scratch_load_b128 v[132:135], off, off offset:176
	s_wait_dscnt 0x0
	v_fmac_f64_e32 v[166:167], v[136:137], v[158:159]
	s_wait_loadcnt 0x5
	v_fmac_f64_e32 v[166:167], v[138:139], v[160:161]
	ds_load_2addr_b64 v[136:139], v2 offset0:77 offset1:78
	ds_load_2addr_b64 v[154:157], v2 offset0:79 offset1:80
	scratch_load_b128 v[158:161], off, off offset:192
	s_wait_dscnt 0x1
	v_fmac_f64_e32 v[166:167], v[140:141], v[136:137]
	s_wait_loadcnt 0x5
	s_delay_alu instid0(VALU_DEP_1) | instskip(SKIP_4) | instid1(VALU_DEP_1)
	v_fmac_f64_e32 v[166:167], v[142:143], v[138:139]
	scratch_load_b128 v[136:139], off, off offset:208
	s_wait_dscnt 0x0
	v_fmac_f64_e32 v[166:167], v[144:145], v[154:155]
	s_wait_loadcnt 0x5
	v_fmac_f64_e32 v[166:167], v[146:147], v[156:157]
	ds_load_2addr_b64 v[140:143], v2 offset0:81 offset1:82
	ds_load_2addr_b64 v[144:147], v2 offset0:83 offset1:84
	scratch_load_b128 v[154:157], off, off offset:224
	s_wait_dscnt 0x1
	v_fmac_f64_e32 v[166:167], v[148:149], v[140:141]
	s_wait_loadcnt 0x5
	s_delay_alu instid0(VALU_DEP_1) | instskip(SKIP_4) | instid1(VALU_DEP_1)
	v_fmac_f64_e32 v[166:167], v[150:151], v[142:143]
	scratch_load_b128 v[140:143], off, off offset:240
	s_wait_dscnt 0x0
	v_fmac_f64_e32 v[166:167], v[152:153], v[144:145]
	s_wait_loadcnt 0x5
	v_fmac_f64_e32 v[166:167], v[162:163], v[146:147]
	ds_load_2addr_b64 v[144:147], v2 offset0:85 offset1:86
	ds_load_2addr_b64 v[148:151], v2 offset0:87 offset1:88
	s_wait_dscnt 0x1
	v_fmac_f64_e32 v[166:167], v[164:165], v[144:145]
	scratch_load_b128 v[162:165], off, off offset:256
	s_wait_loadcnt 0x5
	v_fmac_f64_e32 v[166:167], v[132:133], v[146:147]
	s_wait_dscnt 0x0
	s_delay_alu instid0(VALU_DEP_1)
	v_fmac_f64_e32 v[166:167], v[134:135], v[148:149]
	scratch_load_b128 v[132:135], off, off offset:272
	s_wait_loadcnt 0x5
	v_fmac_f64_e32 v[166:167], v[158:159], v[150:151]
	ds_load_2addr_b64 v[144:147], v2 offset0:89 offset1:90
	ds_load_2addr_b64 v[148:151], v2 offset0:91 offset1:92
	s_wait_dscnt 0x1
	v_fmac_f64_e32 v[166:167], v[160:161], v[144:145]
	scratch_load_b128 v[158:161], off, off offset:288
	s_wait_loadcnt 0x5
	v_fmac_f64_e32 v[166:167], v[136:137], v[146:147]
	s_wait_dscnt 0x0
	s_delay_alu instid0(VALU_DEP_1)
	v_fmac_f64_e32 v[166:167], v[138:139], v[148:149]
	scratch_load_b128 v[136:139], off, off offset:304
	s_wait_loadcnt 0x5
	v_fmac_f64_e32 v[166:167], v[154:155], v[150:151]
	ds_load_2addr_b64 v[144:147], v2 offset0:93 offset1:94
	ds_load_2addr_b64 v[148:151], v2 offset0:95 offset1:96
	scratch_load_b128 v[152:155], off, off offset:320
	s_wait_dscnt 0x1
	v_fmac_f64_e32 v[166:167], v[156:157], v[144:145]
	s_wait_loadcnt 0x5
	s_delay_alu instid0(VALU_DEP_1) | instskip(SKIP_1) | instid1(VALU_DEP_1)
	v_fmac_f64_e32 v[166:167], v[140:141], v[146:147]
	s_wait_dscnt 0x0
	v_fmac_f64_e32 v[166:167], v[142:143], v[148:149]
	scratch_load_b128 v[140:143], off, off offset:336
	s_wait_loadcnt 0x5
	v_fmac_f64_e32 v[166:167], v[162:163], v[150:151]
	ds_load_2addr_b64 v[144:147], v2 offset0:97 offset1:98
	ds_load_2addr_b64 v[148:151], v2 offset0:99 offset1:100
	s_wait_dscnt 0x1
	v_fmac_f64_e32 v[166:167], v[164:165], v[144:145]
	scratch_load_b128 v[162:165], off, off offset:352
	s_wait_loadcnt 0x5
	v_fmac_f64_e32 v[166:167], v[132:133], v[146:147]
	s_wait_dscnt 0x0
	s_delay_alu instid0(VALU_DEP_1)
	v_fmac_f64_e32 v[166:167], v[134:135], v[148:149]
	scratch_load_b128 v[132:135], off, off offset:368
	s_wait_loadcnt 0x5
	v_fmac_f64_e32 v[166:167], v[158:159], v[150:151]
	ds_load_2addr_b64 v[144:147], v2 offset0:101 offset1:102
	ds_load_2addr_b64 v[148:151], v2 offset0:103 offset1:104
	scratch_load_b128 v[156:159], off, off offset:384
	s_wait_dscnt 0x1
	v_fmac_f64_e32 v[166:167], v[160:161], v[144:145]
	s_wait_loadcnt 0x5
	s_delay_alu instid0(VALU_DEP_1) | instskip(SKIP_1) | instid1(VALU_DEP_1)
	v_fmac_f64_e32 v[166:167], v[136:137], v[146:147]
	s_wait_dscnt 0x0
	v_fmac_f64_e32 v[166:167], v[138:139], v[148:149]
	scratch_load_b128 v[136:139], off, off offset:400
	s_wait_loadcnt 0x5
	v_fmac_f64_e32 v[166:167], v[152:153], v[150:151]
	ds_load_2addr_b64 v[144:147], v2 offset0:105 offset1:106
	ds_load_2addr_b64 v[148:151], v2 offset0:107 offset1:108
	s_wait_dscnt 0x1
	v_fmac_f64_e32 v[166:167], v[154:155], v[144:145]
	scratch_load_b128 v[152:155], off, off offset:416
	s_wait_loadcnt 0x5
	v_fmac_f64_e32 v[166:167], v[140:141], v[146:147]
	s_wait_dscnt 0x0
	s_delay_alu instid0(VALU_DEP_1)
	v_fmac_f64_e32 v[166:167], v[142:143], v[148:149]
	scratch_load_b128 v[140:143], off, off offset:432
	s_wait_loadcnt 0x5
	v_fmac_f64_e32 v[166:167], v[162:163], v[150:151]
	ds_load_2addr_b64 v[144:147], v2 offset0:109 offset1:110
	ds_load_2addr_b64 v[148:151], v2 offset0:111 offset1:112
	s_wait_dscnt 0x1
	v_fmac_f64_e32 v[166:167], v[164:165], v[144:145]
	s_wait_loadcnt 0x4
	s_delay_alu instid0(VALU_DEP_1)
	v_fmac_f64_e32 v[166:167], v[132:133], v[146:147]
	scratch_load_b128 v[144:147], off, off offset:448
	s_wait_dscnt 0x0
	v_fmac_f64_e32 v[166:167], v[134:135], v[148:149]
	scratch_load_b128 v[132:135], off, off offset:464
	s_wait_loadcnt 0x5
	v_fmac_f64_e32 v[166:167], v[156:157], v[150:151]
	ds_load_2addr_b64 v[148:151], v2 offset0:113 offset1:114
	ds_load_2addr_b64 v[160:163], v2 offset0:115 offset1:116
	s_wait_dscnt 0x1
	v_fmac_f64_e32 v[166:167], v[158:159], v[148:149]
	s_wait_loadcnt 0x4
	s_delay_alu instid0(VALU_DEP_1) | instskip(SKIP_4) | instid1(VALU_DEP_1)
	v_fmac_f64_e32 v[166:167], v[136:137], v[150:151]
	scratch_load_b128 v[148:151], off, off offset:480
	s_wait_dscnt 0x0
	v_fmac_f64_e32 v[166:167], v[138:139], v[160:161]
	s_wait_loadcnt 0x4
	v_fmac_f64_e32 v[166:167], v[152:153], v[162:163]
	scratch_load_b64 v[152:153], off, off offset:496
	ds_load_2addr_b64 v[136:139], v2 offset0:117 offset1:118
	ds_load_2addr_b64 v[156:159], v2 offset0:119 offset1:120
	s_wait_dscnt 0x1
	v_fmac_f64_e32 v[166:167], v[154:155], v[136:137]
	s_wait_loadcnt 0x4
	s_delay_alu instid0(VALU_DEP_1) | instskip(SKIP_1) | instid1(VALU_DEP_1)
	v_fmac_f64_e32 v[166:167], v[140:141], v[138:139]
	s_wait_dscnt 0x0
	v_fmac_f64_e32 v[166:167], v[142:143], v[156:157]
	ds_load_2addr_b64 v[136:139], v2 offset0:121 offset1:122
	ds_load_2addr_b64 v[140:143], v2 offset0:123 offset1:124
	s_wait_loadcnt 0x3
	v_fmac_f64_e32 v[166:167], v[144:145], v[158:159]
	s_wait_dscnt 0x1
	s_delay_alu instid0(VALU_DEP_1) | instskip(SKIP_1) | instid1(VALU_DEP_1)
	v_fmac_f64_e32 v[166:167], v[146:147], v[136:137]
	s_wait_loadcnt 0x2
	v_fmac_f64_e32 v[166:167], v[132:133], v[138:139]
	s_wait_dscnt 0x0
	s_delay_alu instid0(VALU_DEP_1) | instskip(SKIP_4) | instid1(VALU_DEP_1)
	v_fmac_f64_e32 v[166:167], v[134:135], v[140:141]
	ds_load_2addr_b64 v[132:135], v2 offset0:125 offset1:126
	s_wait_loadcnt 0x1
	v_fmac_f64_e32 v[166:167], v[148:149], v[142:143]
	s_wait_dscnt 0x0
	v_fmac_f64_e32 v[166:167], v[150:151], v[132:133]
	s_wait_loadcnt 0x0
	s_delay_alu instid0(VALU_DEP_1) | instskip(NEXT) | instid1(VALU_DEP_1)
	v_fmac_f64_e32 v[166:167], v[152:153], v[134:135]
	v_add_f64_e64 v[2:3], v[130:131], -v[166:167]
	scratch_store_b64 off, v[2:3], off offset:64
	s_wait_xcnt 0x0
	v_cmpx_lt_u32_e32 7, v0
	s_cbranch_execz .LBB126_373
; %bb.372:
	scratch_load_b64 v[2:3], off, off offset:56
	v_mov_b64_e32 v[130:131], 0
	scratch_store_b64 off, v[130:131], off offset:56
	s_wait_loadcnt 0x0
	ds_store_b64 v1, v[2:3]
.LBB126_373:
	s_wait_xcnt 0x0
	s_or_b32 exec_lo, exec_lo, s0
	s_wait_storecnt_dscnt 0x0
	s_barrier_signal -1
	s_barrier_wait -1
	s_clause 0x5
	scratch_load_b128 v[130:133], off, off offset:56
	scratch_load_b128 v[134:137], off, off offset:72
	;; [unrolled: 1-line block ×6, first 2 shown]
	v_mov_b32_e32 v2, 0
	ds_load_b128 v[154:157], v2 offset:576
	ds_load_b128 v[158:161], v2 offset:592
	scratch_load_b128 v[162:165], off, off offset:152
	s_mov_b32 s0, exec_lo
	s_wait_loadcnt_dscnt 0x601
	v_fma_f64 v[166:167], v[132:133], v[154:155], 0
	s_wait_loadcnt 0x5
	s_delay_alu instid0(VALU_DEP_1) | instskip(SKIP_4) | instid1(VALU_DEP_1)
	v_fmac_f64_e32 v[166:167], v[134:135], v[156:157]
	scratch_load_b128 v[132:135], off, off offset:168
	s_wait_dscnt 0x0
	v_fmac_f64_e32 v[166:167], v[136:137], v[158:159]
	s_wait_loadcnt 0x5
	v_fmac_f64_e32 v[166:167], v[138:139], v[160:161]
	ds_load_b128 v[136:139], v2 offset:608
	ds_load_b128 v[154:157], v2 offset:624
	scratch_load_b128 v[158:161], off, off offset:184
	s_wait_dscnt 0x1
	v_fmac_f64_e32 v[166:167], v[140:141], v[136:137]
	s_wait_loadcnt 0x5
	s_delay_alu instid0(VALU_DEP_1) | instskip(SKIP_4) | instid1(VALU_DEP_1)
	v_fmac_f64_e32 v[166:167], v[142:143], v[138:139]
	scratch_load_b128 v[136:139], off, off offset:200
	s_wait_dscnt 0x0
	v_fmac_f64_e32 v[166:167], v[144:145], v[154:155]
	s_wait_loadcnt 0x5
	v_fmac_f64_e32 v[166:167], v[146:147], v[156:157]
	ds_load_b128 v[140:143], v2 offset:640
	ds_load_b128 v[144:147], v2 offset:656
	scratch_load_b128 v[154:157], off, off offset:216
	s_wait_dscnt 0x1
	v_fmac_f64_e32 v[166:167], v[148:149], v[140:141]
	s_wait_loadcnt 0x5
	s_delay_alu instid0(VALU_DEP_1) | instskip(SKIP_4) | instid1(VALU_DEP_1)
	v_fmac_f64_e32 v[166:167], v[150:151], v[142:143]
	scratch_load_b128 v[140:143], off, off offset:232
	s_wait_dscnt 0x0
	v_fmac_f64_e32 v[166:167], v[152:153], v[144:145]
	s_wait_loadcnt 0x5
	v_fmac_f64_e32 v[166:167], v[162:163], v[146:147]
	ds_load_b128 v[144:147], v2 offset:672
	ds_load_b128 v[148:151], v2 offset:688
	s_wait_dscnt 0x1
	v_fmac_f64_e32 v[166:167], v[164:165], v[144:145]
	scratch_load_b128 v[162:165], off, off offset:248
	s_wait_loadcnt 0x5
	v_fmac_f64_e32 v[166:167], v[132:133], v[146:147]
	s_wait_dscnt 0x0
	s_delay_alu instid0(VALU_DEP_1)
	v_fmac_f64_e32 v[166:167], v[134:135], v[148:149]
	scratch_load_b128 v[132:135], off, off offset:264
	s_wait_loadcnt 0x5
	v_fmac_f64_e32 v[166:167], v[158:159], v[150:151]
	ds_load_b128 v[144:147], v2 offset:704
	ds_load_b128 v[148:151], v2 offset:720
	s_wait_dscnt 0x1
	v_fmac_f64_e32 v[166:167], v[160:161], v[144:145]
	scratch_load_b128 v[158:161], off, off offset:280
	s_wait_loadcnt 0x5
	v_fmac_f64_e32 v[166:167], v[136:137], v[146:147]
	s_wait_dscnt 0x0
	s_delay_alu instid0(VALU_DEP_1)
	v_fmac_f64_e32 v[166:167], v[138:139], v[148:149]
	scratch_load_b128 v[136:139], off, off offset:296
	s_wait_loadcnt 0x5
	v_fmac_f64_e32 v[166:167], v[154:155], v[150:151]
	ds_load_b128 v[144:147], v2 offset:736
	ds_load_b128 v[148:151], v2 offset:752
	scratch_load_b128 v[152:155], off, off offset:312
	s_wait_dscnt 0x1
	v_fmac_f64_e32 v[166:167], v[156:157], v[144:145]
	s_wait_loadcnt 0x5
	s_delay_alu instid0(VALU_DEP_1) | instskip(SKIP_1) | instid1(VALU_DEP_1)
	v_fmac_f64_e32 v[166:167], v[140:141], v[146:147]
	s_wait_dscnt 0x0
	v_fmac_f64_e32 v[166:167], v[142:143], v[148:149]
	scratch_load_b128 v[140:143], off, off offset:328
	s_wait_loadcnt 0x5
	v_fmac_f64_e32 v[166:167], v[162:163], v[150:151]
	ds_load_b128 v[144:147], v2 offset:768
	ds_load_b128 v[148:151], v2 offset:784
	s_wait_dscnt 0x1
	v_fmac_f64_e32 v[166:167], v[164:165], v[144:145]
	scratch_load_b128 v[162:165], off, off offset:344
	s_wait_loadcnt 0x5
	v_fmac_f64_e32 v[166:167], v[132:133], v[146:147]
	s_wait_dscnt 0x0
	s_delay_alu instid0(VALU_DEP_1)
	v_fmac_f64_e32 v[166:167], v[134:135], v[148:149]
	scratch_load_b128 v[132:135], off, off offset:360
	s_wait_loadcnt 0x5
	v_fmac_f64_e32 v[166:167], v[158:159], v[150:151]
	ds_load_b128 v[144:147], v2 offset:800
	ds_load_b128 v[148:151], v2 offset:816
	scratch_load_b128 v[156:159], off, off offset:376
	s_wait_dscnt 0x1
	v_fmac_f64_e32 v[166:167], v[160:161], v[144:145]
	s_wait_loadcnt 0x5
	s_delay_alu instid0(VALU_DEP_1) | instskip(SKIP_1) | instid1(VALU_DEP_1)
	v_fmac_f64_e32 v[166:167], v[136:137], v[146:147]
	s_wait_dscnt 0x0
	v_fmac_f64_e32 v[166:167], v[138:139], v[148:149]
	scratch_load_b128 v[136:139], off, off offset:392
	s_wait_loadcnt 0x5
	v_fmac_f64_e32 v[166:167], v[152:153], v[150:151]
	ds_load_b128 v[144:147], v2 offset:832
	ds_load_b128 v[148:151], v2 offset:848
	s_wait_dscnt 0x1
	v_fmac_f64_e32 v[166:167], v[154:155], v[144:145]
	scratch_load_b128 v[152:155], off, off offset:408
	s_wait_loadcnt 0x5
	v_fmac_f64_e32 v[166:167], v[140:141], v[146:147]
	s_wait_dscnt 0x0
	s_delay_alu instid0(VALU_DEP_1)
	v_fmac_f64_e32 v[166:167], v[142:143], v[148:149]
	scratch_load_b128 v[140:143], off, off offset:424
	s_wait_loadcnt 0x5
	v_fmac_f64_e32 v[166:167], v[162:163], v[150:151]
	ds_load_b128 v[144:147], v2 offset:864
	ds_load_b128 v[148:151], v2 offset:880
	s_wait_dscnt 0x1
	v_fmac_f64_e32 v[166:167], v[164:165], v[144:145]
	s_wait_loadcnt 0x4
	s_delay_alu instid0(VALU_DEP_1)
	v_fmac_f64_e32 v[166:167], v[132:133], v[146:147]
	scratch_load_b128 v[144:147], off, off offset:440
	s_wait_dscnt 0x0
	v_fmac_f64_e32 v[166:167], v[134:135], v[148:149]
	scratch_load_b128 v[132:135], off, off offset:456
	s_wait_loadcnt 0x5
	v_fmac_f64_e32 v[166:167], v[156:157], v[150:151]
	ds_load_b128 v[148:151], v2 offset:896
	ds_load_b128 v[160:163], v2 offset:912
	s_wait_dscnt 0x1
	v_fmac_f64_e32 v[166:167], v[158:159], v[148:149]
	s_wait_loadcnt 0x4
	s_delay_alu instid0(VALU_DEP_1)
	v_fmac_f64_e32 v[166:167], v[136:137], v[150:151]
	scratch_load_b128 v[148:151], off, off offset:472
	s_wait_dscnt 0x0
	v_fmac_f64_e32 v[166:167], v[138:139], v[160:161]
	scratch_load_b128 v[136:139], off, off offset:488
	s_wait_loadcnt 0x5
	v_fmac_f64_e32 v[166:167], v[152:153], v[162:163]
	ds_load_b128 v[156:159], v2 offset:928
	ds_load_b128 v[160:163], v2 offset:944
	s_wait_dscnt 0x1
	v_fmac_f64_e32 v[166:167], v[154:155], v[156:157]
	s_wait_loadcnt 0x4
	s_delay_alu instid0(VALU_DEP_1) | instskip(SKIP_1) | instid1(VALU_DEP_1)
	v_fmac_f64_e32 v[166:167], v[140:141], v[158:159]
	s_wait_dscnt 0x0
	v_fmac_f64_e32 v[166:167], v[142:143], v[160:161]
	ds_load_b128 v[140:143], v2 offset:960
	ds_load_b128 v[152:155], v2 offset:976
	s_wait_loadcnt 0x3
	v_fmac_f64_e32 v[166:167], v[144:145], v[162:163]
	s_wait_dscnt 0x1
	s_delay_alu instid0(VALU_DEP_1) | instskip(SKIP_1) | instid1(VALU_DEP_1)
	v_fmac_f64_e32 v[166:167], v[146:147], v[140:141]
	s_wait_loadcnt 0x2
	v_fmac_f64_e32 v[166:167], v[132:133], v[142:143]
	s_wait_dscnt 0x0
	s_delay_alu instid0(VALU_DEP_1)
	v_fmac_f64_e32 v[166:167], v[134:135], v[152:153]
	ds_load_b128 v[132:135], v2 offset:992
	ds_load_b64 v[140:141], v2 offset:1008
	s_wait_loadcnt 0x1
	v_fmac_f64_e32 v[166:167], v[148:149], v[154:155]
	s_wait_dscnt 0x1
	s_delay_alu instid0(VALU_DEP_1) | instskip(SKIP_1) | instid1(VALU_DEP_1)
	v_fmac_f64_e32 v[166:167], v[150:151], v[132:133]
	s_wait_loadcnt 0x0
	v_fmac_f64_e32 v[166:167], v[136:137], v[134:135]
	s_wait_dscnt 0x0
	s_delay_alu instid0(VALU_DEP_1) | instskip(NEXT) | instid1(VALU_DEP_1)
	v_fmac_f64_e32 v[166:167], v[138:139], v[140:141]
	v_add_f64_e64 v[130:131], v[130:131], -v[166:167]
	scratch_store_b64 off, v[130:131], off offset:56
	s_wait_xcnt 0x0
	v_cmpx_lt_u32_e32 6, v0
	s_cbranch_execz .LBB126_375
; %bb.374:
	scratch_load_b64 v[130:131], off, off offset:48
	v_mov_b64_e32 v[132:133], 0
	scratch_store_b64 off, v[132:133], off offset:48
	s_wait_loadcnt 0x0
	ds_store_b64 v1, v[130:131]
.LBB126_375:
	s_wait_xcnt 0x0
	s_or_b32 exec_lo, exec_lo, s0
	s_wait_storecnt_dscnt 0x0
	s_barrier_signal -1
	s_barrier_wait -1
	s_clause 0x5
	scratch_load_b128 v[130:133], off, off offset:48
	scratch_load_b128 v[134:137], off, off offset:64
	;; [unrolled: 1-line block ×6, first 2 shown]
	ds_load_2addr_b64 v[154:157], v2 offset0:71 offset1:72
	ds_load_2addr_b64 v[158:161], v2 offset0:73 offset1:74
	scratch_load_b128 v[162:165], off, off offset:144
	s_mov_b32 s0, exec_lo
	s_wait_loadcnt_dscnt 0x601
	v_fma_f64 v[166:167], v[132:133], v[154:155], 0
	s_wait_loadcnt 0x5
	s_delay_alu instid0(VALU_DEP_1) | instskip(SKIP_4) | instid1(VALU_DEP_1)
	v_fmac_f64_e32 v[166:167], v[134:135], v[156:157]
	scratch_load_b128 v[132:135], off, off offset:160
	s_wait_dscnt 0x0
	v_fmac_f64_e32 v[166:167], v[136:137], v[158:159]
	s_wait_loadcnt 0x5
	v_fmac_f64_e32 v[166:167], v[138:139], v[160:161]
	ds_load_2addr_b64 v[136:139], v2 offset0:75 offset1:76
	ds_load_2addr_b64 v[154:157], v2 offset0:77 offset1:78
	scratch_load_b128 v[158:161], off, off offset:176
	s_wait_dscnt 0x1
	v_fmac_f64_e32 v[166:167], v[140:141], v[136:137]
	s_wait_loadcnt 0x5
	s_delay_alu instid0(VALU_DEP_1) | instskip(SKIP_4) | instid1(VALU_DEP_1)
	v_fmac_f64_e32 v[166:167], v[142:143], v[138:139]
	scratch_load_b128 v[136:139], off, off offset:192
	s_wait_dscnt 0x0
	v_fmac_f64_e32 v[166:167], v[144:145], v[154:155]
	s_wait_loadcnt 0x5
	v_fmac_f64_e32 v[166:167], v[146:147], v[156:157]
	ds_load_2addr_b64 v[140:143], v2 offset0:79 offset1:80
	ds_load_2addr_b64 v[144:147], v2 offset0:81 offset1:82
	scratch_load_b128 v[154:157], off, off offset:208
	s_wait_dscnt 0x1
	v_fmac_f64_e32 v[166:167], v[148:149], v[140:141]
	s_wait_loadcnt 0x5
	s_delay_alu instid0(VALU_DEP_1) | instskip(SKIP_4) | instid1(VALU_DEP_1)
	v_fmac_f64_e32 v[166:167], v[150:151], v[142:143]
	scratch_load_b128 v[140:143], off, off offset:224
	s_wait_dscnt 0x0
	v_fmac_f64_e32 v[166:167], v[152:153], v[144:145]
	s_wait_loadcnt 0x5
	v_fmac_f64_e32 v[166:167], v[162:163], v[146:147]
	ds_load_2addr_b64 v[144:147], v2 offset0:83 offset1:84
	ds_load_2addr_b64 v[148:151], v2 offset0:85 offset1:86
	s_wait_dscnt 0x1
	v_fmac_f64_e32 v[166:167], v[164:165], v[144:145]
	scratch_load_b128 v[162:165], off, off offset:240
	s_wait_loadcnt 0x5
	v_fmac_f64_e32 v[166:167], v[132:133], v[146:147]
	s_wait_dscnt 0x0
	s_delay_alu instid0(VALU_DEP_1)
	v_fmac_f64_e32 v[166:167], v[134:135], v[148:149]
	scratch_load_b128 v[132:135], off, off offset:256
	s_wait_loadcnt 0x5
	v_fmac_f64_e32 v[166:167], v[158:159], v[150:151]
	ds_load_2addr_b64 v[144:147], v2 offset0:87 offset1:88
	ds_load_2addr_b64 v[148:151], v2 offset0:89 offset1:90
	s_wait_dscnt 0x1
	v_fmac_f64_e32 v[166:167], v[160:161], v[144:145]
	scratch_load_b128 v[158:161], off, off offset:272
	s_wait_loadcnt 0x5
	v_fmac_f64_e32 v[166:167], v[136:137], v[146:147]
	s_wait_dscnt 0x0
	s_delay_alu instid0(VALU_DEP_1)
	v_fmac_f64_e32 v[166:167], v[138:139], v[148:149]
	scratch_load_b128 v[136:139], off, off offset:288
	s_wait_loadcnt 0x5
	v_fmac_f64_e32 v[166:167], v[154:155], v[150:151]
	ds_load_2addr_b64 v[144:147], v2 offset0:91 offset1:92
	ds_load_2addr_b64 v[148:151], v2 offset0:93 offset1:94
	scratch_load_b128 v[152:155], off, off offset:304
	s_wait_dscnt 0x1
	v_fmac_f64_e32 v[166:167], v[156:157], v[144:145]
	s_wait_loadcnt 0x5
	s_delay_alu instid0(VALU_DEP_1) | instskip(SKIP_1) | instid1(VALU_DEP_1)
	v_fmac_f64_e32 v[166:167], v[140:141], v[146:147]
	s_wait_dscnt 0x0
	v_fmac_f64_e32 v[166:167], v[142:143], v[148:149]
	scratch_load_b128 v[140:143], off, off offset:320
	s_wait_loadcnt 0x5
	v_fmac_f64_e32 v[166:167], v[162:163], v[150:151]
	ds_load_2addr_b64 v[144:147], v2 offset0:95 offset1:96
	ds_load_2addr_b64 v[148:151], v2 offset0:97 offset1:98
	s_wait_dscnt 0x1
	v_fmac_f64_e32 v[166:167], v[164:165], v[144:145]
	scratch_load_b128 v[162:165], off, off offset:336
	s_wait_loadcnt 0x5
	v_fmac_f64_e32 v[166:167], v[132:133], v[146:147]
	s_wait_dscnt 0x0
	s_delay_alu instid0(VALU_DEP_1)
	v_fmac_f64_e32 v[166:167], v[134:135], v[148:149]
	scratch_load_b128 v[132:135], off, off offset:352
	s_wait_loadcnt 0x5
	v_fmac_f64_e32 v[166:167], v[158:159], v[150:151]
	ds_load_2addr_b64 v[144:147], v2 offset0:99 offset1:100
	ds_load_2addr_b64 v[148:151], v2 offset0:101 offset1:102
	scratch_load_b128 v[156:159], off, off offset:368
	s_wait_dscnt 0x1
	v_fmac_f64_e32 v[166:167], v[160:161], v[144:145]
	s_wait_loadcnt 0x5
	s_delay_alu instid0(VALU_DEP_1) | instskip(SKIP_1) | instid1(VALU_DEP_1)
	v_fmac_f64_e32 v[166:167], v[136:137], v[146:147]
	s_wait_dscnt 0x0
	v_fmac_f64_e32 v[166:167], v[138:139], v[148:149]
	scratch_load_b128 v[136:139], off, off offset:384
	s_wait_loadcnt 0x5
	v_fmac_f64_e32 v[166:167], v[152:153], v[150:151]
	ds_load_2addr_b64 v[144:147], v2 offset0:103 offset1:104
	ds_load_2addr_b64 v[148:151], v2 offset0:105 offset1:106
	s_wait_dscnt 0x1
	v_fmac_f64_e32 v[166:167], v[154:155], v[144:145]
	scratch_load_b128 v[152:155], off, off offset:400
	s_wait_loadcnt 0x5
	v_fmac_f64_e32 v[166:167], v[140:141], v[146:147]
	s_wait_dscnt 0x0
	s_delay_alu instid0(VALU_DEP_1)
	v_fmac_f64_e32 v[166:167], v[142:143], v[148:149]
	scratch_load_b128 v[140:143], off, off offset:416
	s_wait_loadcnt 0x5
	v_fmac_f64_e32 v[166:167], v[162:163], v[150:151]
	ds_load_2addr_b64 v[144:147], v2 offset0:107 offset1:108
	ds_load_2addr_b64 v[148:151], v2 offset0:109 offset1:110
	s_wait_dscnt 0x1
	v_fmac_f64_e32 v[166:167], v[164:165], v[144:145]
	s_wait_loadcnt 0x4
	s_delay_alu instid0(VALU_DEP_1)
	v_fmac_f64_e32 v[166:167], v[132:133], v[146:147]
	scratch_load_b128 v[144:147], off, off offset:432
	s_wait_dscnt 0x0
	v_fmac_f64_e32 v[166:167], v[134:135], v[148:149]
	scratch_load_b128 v[132:135], off, off offset:448
	s_wait_loadcnt 0x5
	v_fmac_f64_e32 v[166:167], v[156:157], v[150:151]
	ds_load_2addr_b64 v[148:151], v2 offset0:111 offset1:112
	ds_load_2addr_b64 v[160:163], v2 offset0:113 offset1:114
	s_wait_dscnt 0x1
	v_fmac_f64_e32 v[166:167], v[158:159], v[148:149]
	s_wait_loadcnt 0x4
	s_delay_alu instid0(VALU_DEP_1)
	v_fmac_f64_e32 v[166:167], v[136:137], v[150:151]
	scratch_load_b128 v[148:151], off, off offset:464
	s_wait_dscnt 0x0
	v_fmac_f64_e32 v[166:167], v[138:139], v[160:161]
	scratch_load_b128 v[136:139], off, off offset:480
	s_wait_loadcnt 0x5
	v_fmac_f64_e32 v[166:167], v[152:153], v[162:163]
	ds_load_2addr_b64 v[156:159], v2 offset0:115 offset1:116
	ds_load_2addr_b64 v[160:163], v2 offset0:117 offset1:118
	s_wait_dscnt 0x1
	v_fmac_f64_e32 v[166:167], v[154:155], v[156:157]
	scratch_load_b64 v[156:157], off, off offset:496
	s_wait_loadcnt 0x5
	v_fmac_f64_e32 v[166:167], v[140:141], v[158:159]
	s_wait_dscnt 0x0
	s_delay_alu instid0(VALU_DEP_1)
	v_fmac_f64_e32 v[166:167], v[142:143], v[160:161]
	ds_load_2addr_b64 v[140:143], v2 offset0:119 offset1:120
	ds_load_2addr_b64 v[152:155], v2 offset0:121 offset1:122
	s_wait_loadcnt 0x4
	v_fmac_f64_e32 v[166:167], v[144:145], v[162:163]
	s_wait_dscnt 0x1
	s_delay_alu instid0(VALU_DEP_1) | instskip(SKIP_1) | instid1(VALU_DEP_1)
	v_fmac_f64_e32 v[166:167], v[146:147], v[140:141]
	s_wait_loadcnt 0x3
	v_fmac_f64_e32 v[166:167], v[132:133], v[142:143]
	s_wait_dscnt 0x0
	s_delay_alu instid0(VALU_DEP_1)
	v_fmac_f64_e32 v[166:167], v[134:135], v[152:153]
	ds_load_2addr_b64 v[132:135], v2 offset0:123 offset1:124
	ds_load_2addr_b64 v[140:143], v2 offset0:125 offset1:126
	s_wait_loadcnt 0x2
	v_fmac_f64_e32 v[166:167], v[148:149], v[154:155]
	s_wait_dscnt 0x1
	s_delay_alu instid0(VALU_DEP_1) | instskip(SKIP_1) | instid1(VALU_DEP_1)
	v_fmac_f64_e32 v[166:167], v[150:151], v[132:133]
	s_wait_loadcnt 0x1
	v_fmac_f64_e32 v[166:167], v[136:137], v[134:135]
	s_wait_dscnt 0x0
	s_delay_alu instid0(VALU_DEP_1) | instskip(SKIP_1) | instid1(VALU_DEP_1)
	v_fmac_f64_e32 v[166:167], v[138:139], v[140:141]
	s_wait_loadcnt 0x0
	v_fmac_f64_e32 v[166:167], v[156:157], v[142:143]
	s_delay_alu instid0(VALU_DEP_1)
	v_add_f64_e64 v[2:3], v[130:131], -v[166:167]
	scratch_store_b64 off, v[2:3], off offset:48
	s_wait_xcnt 0x0
	v_cmpx_lt_u32_e32 5, v0
	s_cbranch_execz .LBB126_377
; %bb.376:
	scratch_load_b64 v[2:3], off, off offset:40
	v_mov_b64_e32 v[130:131], 0
	scratch_store_b64 off, v[130:131], off offset:40
	s_wait_loadcnt 0x0
	ds_store_b64 v1, v[2:3]
.LBB126_377:
	s_wait_xcnt 0x0
	s_or_b32 exec_lo, exec_lo, s0
	s_wait_storecnt_dscnt 0x0
	s_barrier_signal -1
	s_barrier_wait -1
	s_clause 0x5
	scratch_load_b128 v[130:133], off, off offset:40
	scratch_load_b128 v[134:137], off, off offset:56
	;; [unrolled: 1-line block ×6, first 2 shown]
	v_mov_b32_e32 v2, 0
	ds_load_b128 v[154:157], v2 offset:560
	ds_load_b128 v[158:161], v2 offset:576
	scratch_load_b128 v[162:165], off, off offset:136
	s_mov_b32 s0, exec_lo
	s_wait_loadcnt_dscnt 0x601
	v_fma_f64 v[166:167], v[132:133], v[154:155], 0
	s_wait_loadcnt 0x5
	s_delay_alu instid0(VALU_DEP_1) | instskip(SKIP_4) | instid1(VALU_DEP_1)
	v_fmac_f64_e32 v[166:167], v[134:135], v[156:157]
	scratch_load_b128 v[132:135], off, off offset:152
	s_wait_dscnt 0x0
	v_fmac_f64_e32 v[166:167], v[136:137], v[158:159]
	s_wait_loadcnt 0x5
	v_fmac_f64_e32 v[166:167], v[138:139], v[160:161]
	ds_load_b128 v[136:139], v2 offset:592
	ds_load_b128 v[154:157], v2 offset:608
	scratch_load_b128 v[158:161], off, off offset:168
	s_wait_dscnt 0x1
	v_fmac_f64_e32 v[166:167], v[140:141], v[136:137]
	s_wait_loadcnt 0x5
	s_delay_alu instid0(VALU_DEP_1) | instskip(SKIP_4) | instid1(VALU_DEP_1)
	v_fmac_f64_e32 v[166:167], v[142:143], v[138:139]
	scratch_load_b128 v[136:139], off, off offset:184
	s_wait_dscnt 0x0
	v_fmac_f64_e32 v[166:167], v[144:145], v[154:155]
	s_wait_loadcnt 0x5
	v_fmac_f64_e32 v[166:167], v[146:147], v[156:157]
	ds_load_b128 v[140:143], v2 offset:624
	ds_load_b128 v[144:147], v2 offset:640
	scratch_load_b128 v[154:157], off, off offset:200
	s_wait_dscnt 0x1
	v_fmac_f64_e32 v[166:167], v[148:149], v[140:141]
	s_wait_loadcnt 0x5
	s_delay_alu instid0(VALU_DEP_1) | instskip(SKIP_4) | instid1(VALU_DEP_1)
	v_fmac_f64_e32 v[166:167], v[150:151], v[142:143]
	scratch_load_b128 v[140:143], off, off offset:216
	s_wait_dscnt 0x0
	v_fmac_f64_e32 v[166:167], v[152:153], v[144:145]
	s_wait_loadcnt 0x5
	v_fmac_f64_e32 v[166:167], v[162:163], v[146:147]
	ds_load_b128 v[144:147], v2 offset:656
	ds_load_b128 v[148:151], v2 offset:672
	s_wait_dscnt 0x1
	v_fmac_f64_e32 v[166:167], v[164:165], v[144:145]
	scratch_load_b128 v[162:165], off, off offset:232
	s_wait_loadcnt 0x5
	v_fmac_f64_e32 v[166:167], v[132:133], v[146:147]
	s_wait_dscnt 0x0
	s_delay_alu instid0(VALU_DEP_1)
	v_fmac_f64_e32 v[166:167], v[134:135], v[148:149]
	scratch_load_b128 v[132:135], off, off offset:248
	s_wait_loadcnt 0x5
	v_fmac_f64_e32 v[166:167], v[158:159], v[150:151]
	ds_load_b128 v[144:147], v2 offset:688
	ds_load_b128 v[148:151], v2 offset:704
	s_wait_dscnt 0x1
	v_fmac_f64_e32 v[166:167], v[160:161], v[144:145]
	scratch_load_b128 v[158:161], off, off offset:264
	s_wait_loadcnt 0x5
	v_fmac_f64_e32 v[166:167], v[136:137], v[146:147]
	s_wait_dscnt 0x0
	s_delay_alu instid0(VALU_DEP_1)
	v_fmac_f64_e32 v[166:167], v[138:139], v[148:149]
	scratch_load_b128 v[136:139], off, off offset:280
	s_wait_loadcnt 0x5
	v_fmac_f64_e32 v[166:167], v[154:155], v[150:151]
	ds_load_b128 v[144:147], v2 offset:720
	ds_load_b128 v[148:151], v2 offset:736
	scratch_load_b128 v[152:155], off, off offset:296
	s_wait_dscnt 0x1
	v_fmac_f64_e32 v[166:167], v[156:157], v[144:145]
	s_wait_loadcnt 0x5
	s_delay_alu instid0(VALU_DEP_1) | instskip(SKIP_1) | instid1(VALU_DEP_1)
	v_fmac_f64_e32 v[166:167], v[140:141], v[146:147]
	s_wait_dscnt 0x0
	v_fmac_f64_e32 v[166:167], v[142:143], v[148:149]
	scratch_load_b128 v[140:143], off, off offset:312
	s_wait_loadcnt 0x5
	v_fmac_f64_e32 v[166:167], v[162:163], v[150:151]
	ds_load_b128 v[144:147], v2 offset:752
	ds_load_b128 v[148:151], v2 offset:768
	s_wait_dscnt 0x1
	v_fmac_f64_e32 v[166:167], v[164:165], v[144:145]
	scratch_load_b128 v[162:165], off, off offset:328
	s_wait_loadcnt 0x5
	v_fmac_f64_e32 v[166:167], v[132:133], v[146:147]
	s_wait_dscnt 0x0
	s_delay_alu instid0(VALU_DEP_1)
	v_fmac_f64_e32 v[166:167], v[134:135], v[148:149]
	scratch_load_b128 v[132:135], off, off offset:344
	s_wait_loadcnt 0x5
	v_fmac_f64_e32 v[166:167], v[158:159], v[150:151]
	ds_load_b128 v[144:147], v2 offset:784
	ds_load_b128 v[148:151], v2 offset:800
	scratch_load_b128 v[156:159], off, off offset:360
	s_wait_dscnt 0x1
	v_fmac_f64_e32 v[166:167], v[160:161], v[144:145]
	s_wait_loadcnt 0x5
	s_delay_alu instid0(VALU_DEP_1) | instskip(SKIP_1) | instid1(VALU_DEP_1)
	v_fmac_f64_e32 v[166:167], v[136:137], v[146:147]
	s_wait_dscnt 0x0
	v_fmac_f64_e32 v[166:167], v[138:139], v[148:149]
	scratch_load_b128 v[136:139], off, off offset:376
	s_wait_loadcnt 0x5
	v_fmac_f64_e32 v[166:167], v[152:153], v[150:151]
	ds_load_b128 v[144:147], v2 offset:816
	ds_load_b128 v[148:151], v2 offset:832
	s_wait_dscnt 0x1
	v_fmac_f64_e32 v[166:167], v[154:155], v[144:145]
	scratch_load_b128 v[152:155], off, off offset:392
	s_wait_loadcnt 0x5
	v_fmac_f64_e32 v[166:167], v[140:141], v[146:147]
	s_wait_dscnt 0x0
	s_delay_alu instid0(VALU_DEP_1)
	v_fmac_f64_e32 v[166:167], v[142:143], v[148:149]
	scratch_load_b128 v[140:143], off, off offset:408
	s_wait_loadcnt 0x5
	v_fmac_f64_e32 v[166:167], v[162:163], v[150:151]
	ds_load_b128 v[144:147], v2 offset:848
	ds_load_b128 v[148:151], v2 offset:864
	s_wait_dscnt 0x1
	v_fmac_f64_e32 v[166:167], v[164:165], v[144:145]
	s_wait_loadcnt 0x4
	s_delay_alu instid0(VALU_DEP_1)
	v_fmac_f64_e32 v[166:167], v[132:133], v[146:147]
	scratch_load_b128 v[144:147], off, off offset:424
	s_wait_dscnt 0x0
	v_fmac_f64_e32 v[166:167], v[134:135], v[148:149]
	scratch_load_b128 v[132:135], off, off offset:440
	s_wait_loadcnt 0x5
	v_fmac_f64_e32 v[166:167], v[156:157], v[150:151]
	ds_load_b128 v[148:151], v2 offset:880
	ds_load_b128 v[160:163], v2 offset:896
	s_wait_dscnt 0x1
	v_fmac_f64_e32 v[166:167], v[158:159], v[148:149]
	s_wait_loadcnt 0x4
	s_delay_alu instid0(VALU_DEP_1)
	v_fmac_f64_e32 v[166:167], v[136:137], v[150:151]
	scratch_load_b128 v[148:151], off, off offset:456
	s_wait_dscnt 0x0
	v_fmac_f64_e32 v[166:167], v[138:139], v[160:161]
	scratch_load_b128 v[136:139], off, off offset:472
	s_wait_loadcnt 0x5
	v_fmac_f64_e32 v[166:167], v[152:153], v[162:163]
	ds_load_b128 v[156:159], v2 offset:912
	ds_load_b128 v[160:163], v2 offset:928
	s_wait_dscnt 0x1
	v_fmac_f64_e32 v[166:167], v[154:155], v[156:157]
	scratch_load_b128 v[152:155], off, off offset:488
	s_wait_loadcnt 0x5
	v_fmac_f64_e32 v[166:167], v[140:141], v[158:159]
	s_wait_dscnt 0x0
	s_delay_alu instid0(VALU_DEP_1)
	v_fmac_f64_e32 v[166:167], v[142:143], v[160:161]
	ds_load_b128 v[140:143], v2 offset:944
	ds_load_b128 v[156:159], v2 offset:960
	s_wait_loadcnt 0x4
	v_fmac_f64_e32 v[166:167], v[144:145], v[162:163]
	s_wait_dscnt 0x1
	s_delay_alu instid0(VALU_DEP_1) | instskip(SKIP_1) | instid1(VALU_DEP_1)
	v_fmac_f64_e32 v[166:167], v[146:147], v[140:141]
	s_wait_loadcnt 0x3
	v_fmac_f64_e32 v[166:167], v[132:133], v[142:143]
	s_wait_dscnt 0x0
	s_delay_alu instid0(VALU_DEP_1)
	v_fmac_f64_e32 v[166:167], v[134:135], v[156:157]
	ds_load_b128 v[132:135], v2 offset:976
	ds_load_b128 v[140:143], v2 offset:992
	s_wait_loadcnt 0x2
	v_fmac_f64_e32 v[166:167], v[148:149], v[158:159]
	s_wait_dscnt 0x1
	s_delay_alu instid0(VALU_DEP_1) | instskip(SKIP_4) | instid1(VALU_DEP_1)
	v_fmac_f64_e32 v[166:167], v[150:151], v[132:133]
	ds_load_b64 v[132:133], v2 offset:1008
	s_wait_loadcnt 0x1
	v_fmac_f64_e32 v[166:167], v[136:137], v[134:135]
	s_wait_dscnt 0x1
	v_fmac_f64_e32 v[166:167], v[138:139], v[140:141]
	s_wait_loadcnt 0x0
	s_delay_alu instid0(VALU_DEP_1) | instskip(SKIP_1) | instid1(VALU_DEP_1)
	v_fmac_f64_e32 v[166:167], v[152:153], v[142:143]
	s_wait_dscnt 0x0
	v_fmac_f64_e32 v[166:167], v[154:155], v[132:133]
	s_delay_alu instid0(VALU_DEP_1)
	v_add_f64_e64 v[130:131], v[130:131], -v[166:167]
	scratch_store_b64 off, v[130:131], off offset:40
	s_wait_xcnt 0x0
	v_cmpx_lt_u32_e32 4, v0
	s_cbranch_execz .LBB126_379
; %bb.378:
	scratch_load_b64 v[130:131], off, off offset:32
	v_mov_b64_e32 v[132:133], 0
	scratch_store_b64 off, v[132:133], off offset:32
	s_wait_loadcnt 0x0
	ds_store_b64 v1, v[130:131]
.LBB126_379:
	s_wait_xcnt 0x0
	s_or_b32 exec_lo, exec_lo, s0
	s_wait_storecnt_dscnt 0x0
	s_barrier_signal -1
	s_barrier_wait -1
	s_clause 0x5
	scratch_load_b128 v[130:133], off, off offset:32
	scratch_load_b128 v[134:137], off, off offset:48
	;; [unrolled: 1-line block ×6, first 2 shown]
	ds_load_2addr_b64 v[154:157], v2 offset0:69 offset1:70
	ds_load_2addr_b64 v[158:161], v2 offset0:71 offset1:72
	scratch_load_b128 v[162:165], off, off offset:128
	s_mov_b32 s0, exec_lo
	s_wait_loadcnt_dscnt 0x601
	v_fma_f64 v[166:167], v[132:133], v[154:155], 0
	s_wait_loadcnt 0x5
	s_delay_alu instid0(VALU_DEP_1) | instskip(SKIP_4) | instid1(VALU_DEP_1)
	v_fmac_f64_e32 v[166:167], v[134:135], v[156:157]
	scratch_load_b128 v[132:135], off, off offset:144
	s_wait_dscnt 0x0
	v_fmac_f64_e32 v[166:167], v[136:137], v[158:159]
	s_wait_loadcnt 0x5
	v_fmac_f64_e32 v[166:167], v[138:139], v[160:161]
	ds_load_2addr_b64 v[136:139], v2 offset0:73 offset1:74
	ds_load_2addr_b64 v[154:157], v2 offset0:75 offset1:76
	scratch_load_b128 v[158:161], off, off offset:160
	s_wait_dscnt 0x1
	v_fmac_f64_e32 v[166:167], v[140:141], v[136:137]
	s_wait_loadcnt 0x5
	s_delay_alu instid0(VALU_DEP_1) | instskip(SKIP_4) | instid1(VALU_DEP_1)
	v_fmac_f64_e32 v[166:167], v[142:143], v[138:139]
	scratch_load_b128 v[136:139], off, off offset:176
	s_wait_dscnt 0x0
	v_fmac_f64_e32 v[166:167], v[144:145], v[154:155]
	s_wait_loadcnt 0x5
	v_fmac_f64_e32 v[166:167], v[146:147], v[156:157]
	ds_load_2addr_b64 v[140:143], v2 offset0:77 offset1:78
	ds_load_2addr_b64 v[144:147], v2 offset0:79 offset1:80
	scratch_load_b128 v[154:157], off, off offset:192
	s_wait_dscnt 0x1
	v_fmac_f64_e32 v[166:167], v[148:149], v[140:141]
	s_wait_loadcnt 0x5
	s_delay_alu instid0(VALU_DEP_1) | instskip(SKIP_4) | instid1(VALU_DEP_1)
	v_fmac_f64_e32 v[166:167], v[150:151], v[142:143]
	scratch_load_b128 v[140:143], off, off offset:208
	s_wait_dscnt 0x0
	v_fmac_f64_e32 v[166:167], v[152:153], v[144:145]
	s_wait_loadcnt 0x5
	v_fmac_f64_e32 v[166:167], v[162:163], v[146:147]
	ds_load_2addr_b64 v[144:147], v2 offset0:81 offset1:82
	ds_load_2addr_b64 v[148:151], v2 offset0:83 offset1:84
	s_wait_dscnt 0x1
	v_fmac_f64_e32 v[166:167], v[164:165], v[144:145]
	scratch_load_b128 v[162:165], off, off offset:224
	s_wait_loadcnt 0x5
	v_fmac_f64_e32 v[166:167], v[132:133], v[146:147]
	s_wait_dscnt 0x0
	s_delay_alu instid0(VALU_DEP_1)
	v_fmac_f64_e32 v[166:167], v[134:135], v[148:149]
	scratch_load_b128 v[132:135], off, off offset:240
	s_wait_loadcnt 0x5
	v_fmac_f64_e32 v[166:167], v[158:159], v[150:151]
	ds_load_2addr_b64 v[144:147], v2 offset0:85 offset1:86
	ds_load_2addr_b64 v[148:151], v2 offset0:87 offset1:88
	s_wait_dscnt 0x1
	v_fmac_f64_e32 v[166:167], v[160:161], v[144:145]
	scratch_load_b128 v[158:161], off, off offset:256
	s_wait_loadcnt 0x5
	v_fmac_f64_e32 v[166:167], v[136:137], v[146:147]
	s_wait_dscnt 0x0
	s_delay_alu instid0(VALU_DEP_1)
	v_fmac_f64_e32 v[166:167], v[138:139], v[148:149]
	scratch_load_b128 v[136:139], off, off offset:272
	s_wait_loadcnt 0x5
	v_fmac_f64_e32 v[166:167], v[154:155], v[150:151]
	ds_load_2addr_b64 v[144:147], v2 offset0:89 offset1:90
	ds_load_2addr_b64 v[148:151], v2 offset0:91 offset1:92
	scratch_load_b128 v[152:155], off, off offset:288
	s_wait_dscnt 0x1
	v_fmac_f64_e32 v[166:167], v[156:157], v[144:145]
	s_wait_loadcnt 0x5
	s_delay_alu instid0(VALU_DEP_1) | instskip(SKIP_1) | instid1(VALU_DEP_1)
	v_fmac_f64_e32 v[166:167], v[140:141], v[146:147]
	s_wait_dscnt 0x0
	v_fmac_f64_e32 v[166:167], v[142:143], v[148:149]
	scratch_load_b128 v[140:143], off, off offset:304
	s_wait_loadcnt 0x5
	v_fmac_f64_e32 v[166:167], v[162:163], v[150:151]
	ds_load_2addr_b64 v[144:147], v2 offset0:93 offset1:94
	ds_load_2addr_b64 v[148:151], v2 offset0:95 offset1:96
	s_wait_dscnt 0x1
	v_fmac_f64_e32 v[166:167], v[164:165], v[144:145]
	scratch_load_b128 v[162:165], off, off offset:320
	s_wait_loadcnt 0x5
	v_fmac_f64_e32 v[166:167], v[132:133], v[146:147]
	s_wait_dscnt 0x0
	s_delay_alu instid0(VALU_DEP_1)
	v_fmac_f64_e32 v[166:167], v[134:135], v[148:149]
	scratch_load_b128 v[132:135], off, off offset:336
	s_wait_loadcnt 0x5
	v_fmac_f64_e32 v[166:167], v[158:159], v[150:151]
	ds_load_2addr_b64 v[144:147], v2 offset0:97 offset1:98
	ds_load_2addr_b64 v[148:151], v2 offset0:99 offset1:100
	scratch_load_b128 v[156:159], off, off offset:352
	s_wait_dscnt 0x1
	v_fmac_f64_e32 v[166:167], v[160:161], v[144:145]
	s_wait_loadcnt 0x5
	s_delay_alu instid0(VALU_DEP_1) | instskip(SKIP_1) | instid1(VALU_DEP_1)
	v_fmac_f64_e32 v[166:167], v[136:137], v[146:147]
	s_wait_dscnt 0x0
	;; [unrolled: 26-line block ×3, first 2 shown]
	v_fmac_f64_e32 v[166:167], v[134:135], v[148:149]
	scratch_load_b128 v[132:135], off, off offset:432
	s_wait_loadcnt 0x5
	v_fmac_f64_e32 v[166:167], v[156:157], v[150:151]
	ds_load_2addr_b64 v[144:147], v2 offset0:109 offset1:110
	ds_load_2addr_b64 v[148:151], v2 offset0:111 offset1:112
	s_wait_dscnt 0x1
	v_fmac_f64_e32 v[166:167], v[158:159], v[144:145]
	s_wait_loadcnt 0x4
	s_delay_alu instid0(VALU_DEP_1)
	v_fmac_f64_e32 v[166:167], v[136:137], v[146:147]
	scratch_load_b128 v[144:147], off, off offset:448
	s_wait_dscnt 0x0
	v_fmac_f64_e32 v[166:167], v[138:139], v[148:149]
	scratch_load_b128 v[136:139], off, off offset:464
	s_wait_loadcnt 0x5
	v_fmac_f64_e32 v[166:167], v[152:153], v[150:151]
	ds_load_2addr_b64 v[148:151], v2 offset0:113 offset1:114
	ds_load_2addr_b64 v[156:159], v2 offset0:115 offset1:116
	s_wait_dscnt 0x1
	v_fmac_f64_e32 v[166:167], v[154:155], v[148:149]
	s_wait_loadcnt 0x4
	s_delay_alu instid0(VALU_DEP_1)
	v_fmac_f64_e32 v[166:167], v[140:141], v[150:151]
	scratch_load_b128 v[148:151], off, off offset:480
	s_wait_dscnt 0x0
	v_fmac_f64_e32 v[166:167], v[142:143], v[156:157]
	scratch_load_b64 v[156:157], off, off offset:496
	ds_load_2addr_b64 v[140:143], v2 offset0:117 offset1:118
	ds_load_2addr_b64 v[152:155], v2 offset0:119 offset1:120
	s_wait_loadcnt 0x5
	v_fmac_f64_e32 v[166:167], v[160:161], v[158:159]
	s_wait_dscnt 0x1
	s_delay_alu instid0(VALU_DEP_1) | instskip(SKIP_1) | instid1(VALU_DEP_1)
	v_fmac_f64_e32 v[166:167], v[162:163], v[140:141]
	s_wait_loadcnt 0x4
	v_fmac_f64_e32 v[166:167], v[132:133], v[142:143]
	s_wait_dscnt 0x0
	s_delay_alu instid0(VALU_DEP_1)
	v_fmac_f64_e32 v[166:167], v[134:135], v[152:153]
	ds_load_2addr_b64 v[132:135], v2 offset0:121 offset1:122
	ds_load_2addr_b64 v[140:143], v2 offset0:123 offset1:124
	s_wait_loadcnt 0x3
	v_fmac_f64_e32 v[166:167], v[144:145], v[154:155]
	s_wait_dscnt 0x1
	s_delay_alu instid0(VALU_DEP_1) | instskip(SKIP_1) | instid1(VALU_DEP_1)
	v_fmac_f64_e32 v[166:167], v[146:147], v[132:133]
	s_wait_loadcnt 0x2
	v_fmac_f64_e32 v[166:167], v[136:137], v[134:135]
	ds_load_2addr_b64 v[132:135], v2 offset0:125 offset1:126
	s_wait_dscnt 0x1
	v_fmac_f64_e32 v[166:167], v[138:139], v[140:141]
	s_wait_loadcnt 0x1
	s_delay_alu instid0(VALU_DEP_1) | instskip(SKIP_1) | instid1(VALU_DEP_1)
	v_fmac_f64_e32 v[166:167], v[148:149], v[142:143]
	s_wait_dscnt 0x0
	v_fmac_f64_e32 v[166:167], v[150:151], v[132:133]
	s_wait_loadcnt 0x0
	s_delay_alu instid0(VALU_DEP_1) | instskip(NEXT) | instid1(VALU_DEP_1)
	v_fmac_f64_e32 v[166:167], v[156:157], v[134:135]
	v_add_f64_e64 v[2:3], v[130:131], -v[166:167]
	scratch_store_b64 off, v[2:3], off offset:32
	s_wait_xcnt 0x0
	v_cmpx_lt_u32_e32 3, v0
	s_cbranch_execz .LBB126_381
; %bb.380:
	scratch_load_b64 v[2:3], off, off offset:24
	v_mov_b64_e32 v[130:131], 0
	scratch_store_b64 off, v[130:131], off offset:24
	s_wait_loadcnt 0x0
	ds_store_b64 v1, v[2:3]
.LBB126_381:
	s_wait_xcnt 0x0
	s_or_b32 exec_lo, exec_lo, s0
	s_wait_storecnt_dscnt 0x0
	s_barrier_signal -1
	s_barrier_wait -1
	s_clause 0x5
	scratch_load_b128 v[130:133], off, off offset:24
	scratch_load_b128 v[134:137], off, off offset:40
	;; [unrolled: 1-line block ×6, first 2 shown]
	v_mov_b32_e32 v2, 0
	ds_load_b128 v[154:157], v2 offset:544
	ds_load_b128 v[158:161], v2 offset:560
	scratch_load_b128 v[162:165], off, off offset:120
	s_mov_b32 s0, exec_lo
	s_wait_loadcnt_dscnt 0x601
	v_fma_f64 v[166:167], v[132:133], v[154:155], 0
	s_wait_loadcnt 0x5
	s_delay_alu instid0(VALU_DEP_1) | instskip(SKIP_4) | instid1(VALU_DEP_1)
	v_fmac_f64_e32 v[166:167], v[134:135], v[156:157]
	scratch_load_b128 v[132:135], off, off offset:136
	s_wait_dscnt 0x0
	v_fmac_f64_e32 v[166:167], v[136:137], v[158:159]
	s_wait_loadcnt 0x5
	v_fmac_f64_e32 v[166:167], v[138:139], v[160:161]
	ds_load_b128 v[136:139], v2 offset:576
	ds_load_b128 v[154:157], v2 offset:592
	scratch_load_b128 v[158:161], off, off offset:152
	s_wait_dscnt 0x1
	v_fmac_f64_e32 v[166:167], v[140:141], v[136:137]
	s_wait_loadcnt 0x5
	s_delay_alu instid0(VALU_DEP_1) | instskip(SKIP_4) | instid1(VALU_DEP_1)
	v_fmac_f64_e32 v[166:167], v[142:143], v[138:139]
	scratch_load_b128 v[136:139], off, off offset:168
	s_wait_dscnt 0x0
	v_fmac_f64_e32 v[166:167], v[144:145], v[154:155]
	s_wait_loadcnt 0x5
	v_fmac_f64_e32 v[166:167], v[146:147], v[156:157]
	ds_load_b128 v[140:143], v2 offset:608
	ds_load_b128 v[144:147], v2 offset:624
	scratch_load_b128 v[154:157], off, off offset:184
	s_wait_dscnt 0x1
	v_fmac_f64_e32 v[166:167], v[148:149], v[140:141]
	s_wait_loadcnt 0x5
	s_delay_alu instid0(VALU_DEP_1) | instskip(SKIP_4) | instid1(VALU_DEP_1)
	v_fmac_f64_e32 v[166:167], v[150:151], v[142:143]
	scratch_load_b128 v[140:143], off, off offset:200
	s_wait_dscnt 0x0
	v_fmac_f64_e32 v[166:167], v[152:153], v[144:145]
	s_wait_loadcnt 0x5
	v_fmac_f64_e32 v[166:167], v[162:163], v[146:147]
	ds_load_b128 v[144:147], v2 offset:640
	ds_load_b128 v[148:151], v2 offset:656
	s_wait_dscnt 0x1
	v_fmac_f64_e32 v[166:167], v[164:165], v[144:145]
	scratch_load_b128 v[162:165], off, off offset:216
	s_wait_loadcnt 0x5
	v_fmac_f64_e32 v[166:167], v[132:133], v[146:147]
	s_wait_dscnt 0x0
	s_delay_alu instid0(VALU_DEP_1)
	v_fmac_f64_e32 v[166:167], v[134:135], v[148:149]
	scratch_load_b128 v[132:135], off, off offset:232
	s_wait_loadcnt 0x5
	v_fmac_f64_e32 v[166:167], v[158:159], v[150:151]
	ds_load_b128 v[144:147], v2 offset:672
	ds_load_b128 v[148:151], v2 offset:688
	s_wait_dscnt 0x1
	v_fmac_f64_e32 v[166:167], v[160:161], v[144:145]
	scratch_load_b128 v[158:161], off, off offset:248
	s_wait_loadcnt 0x5
	v_fmac_f64_e32 v[166:167], v[136:137], v[146:147]
	s_wait_dscnt 0x0
	s_delay_alu instid0(VALU_DEP_1)
	v_fmac_f64_e32 v[166:167], v[138:139], v[148:149]
	scratch_load_b128 v[136:139], off, off offset:264
	s_wait_loadcnt 0x5
	v_fmac_f64_e32 v[166:167], v[154:155], v[150:151]
	ds_load_b128 v[144:147], v2 offset:704
	ds_load_b128 v[148:151], v2 offset:720
	scratch_load_b128 v[152:155], off, off offset:280
	s_wait_dscnt 0x1
	v_fmac_f64_e32 v[166:167], v[156:157], v[144:145]
	s_wait_loadcnt 0x5
	s_delay_alu instid0(VALU_DEP_1) | instskip(SKIP_1) | instid1(VALU_DEP_1)
	v_fmac_f64_e32 v[166:167], v[140:141], v[146:147]
	s_wait_dscnt 0x0
	v_fmac_f64_e32 v[166:167], v[142:143], v[148:149]
	scratch_load_b128 v[140:143], off, off offset:296
	s_wait_loadcnt 0x5
	v_fmac_f64_e32 v[166:167], v[162:163], v[150:151]
	ds_load_b128 v[144:147], v2 offset:736
	ds_load_b128 v[148:151], v2 offset:752
	s_wait_dscnt 0x1
	v_fmac_f64_e32 v[166:167], v[164:165], v[144:145]
	scratch_load_b128 v[162:165], off, off offset:312
	s_wait_loadcnt 0x5
	v_fmac_f64_e32 v[166:167], v[132:133], v[146:147]
	s_wait_dscnt 0x0
	s_delay_alu instid0(VALU_DEP_1)
	v_fmac_f64_e32 v[166:167], v[134:135], v[148:149]
	scratch_load_b128 v[132:135], off, off offset:328
	s_wait_loadcnt 0x5
	v_fmac_f64_e32 v[166:167], v[158:159], v[150:151]
	ds_load_b128 v[144:147], v2 offset:768
	ds_load_b128 v[148:151], v2 offset:784
	scratch_load_b128 v[156:159], off, off offset:344
	s_wait_dscnt 0x1
	v_fmac_f64_e32 v[166:167], v[160:161], v[144:145]
	s_wait_loadcnt 0x5
	s_delay_alu instid0(VALU_DEP_1) | instskip(SKIP_1) | instid1(VALU_DEP_1)
	v_fmac_f64_e32 v[166:167], v[136:137], v[146:147]
	s_wait_dscnt 0x0
	;; [unrolled: 26-line block ×3, first 2 shown]
	v_fmac_f64_e32 v[166:167], v[134:135], v[148:149]
	scratch_load_b128 v[132:135], off, off offset:424
	s_wait_loadcnt 0x5
	v_fmac_f64_e32 v[166:167], v[156:157], v[150:151]
	ds_load_b128 v[144:147], v2 offset:864
	ds_load_b128 v[148:151], v2 offset:880
	s_wait_dscnt 0x1
	v_fmac_f64_e32 v[166:167], v[158:159], v[144:145]
	s_wait_loadcnt 0x4
	s_delay_alu instid0(VALU_DEP_1)
	v_fmac_f64_e32 v[166:167], v[136:137], v[146:147]
	scratch_load_b128 v[144:147], off, off offset:440
	s_wait_dscnt 0x0
	v_fmac_f64_e32 v[166:167], v[138:139], v[148:149]
	scratch_load_b128 v[136:139], off, off offset:456
	s_wait_loadcnt 0x5
	v_fmac_f64_e32 v[166:167], v[152:153], v[150:151]
	ds_load_b128 v[148:151], v2 offset:896
	ds_load_b128 v[156:159], v2 offset:912
	s_wait_dscnt 0x1
	v_fmac_f64_e32 v[166:167], v[154:155], v[148:149]
	s_wait_loadcnt 0x4
	s_delay_alu instid0(VALU_DEP_1)
	v_fmac_f64_e32 v[166:167], v[140:141], v[150:151]
	scratch_load_b128 v[148:151], off, off offset:472
	s_wait_dscnt 0x0
	v_fmac_f64_e32 v[166:167], v[142:143], v[156:157]
	scratch_load_b128 v[140:143], off, off offset:488
	s_wait_loadcnt 0x5
	v_fmac_f64_e32 v[166:167], v[160:161], v[158:159]
	ds_load_b128 v[152:155], v2 offset:928
	ds_load_b128 v[156:159], v2 offset:944
	s_wait_dscnt 0x1
	v_fmac_f64_e32 v[166:167], v[162:163], v[152:153]
	s_wait_loadcnt 0x4
	s_delay_alu instid0(VALU_DEP_1) | instskip(SKIP_1) | instid1(VALU_DEP_1)
	v_fmac_f64_e32 v[166:167], v[132:133], v[154:155]
	s_wait_dscnt 0x0
	v_fmac_f64_e32 v[166:167], v[134:135], v[156:157]
	ds_load_b128 v[132:135], v2 offset:960
	ds_load_b128 v[152:155], v2 offset:976
	s_wait_loadcnt 0x3
	v_fmac_f64_e32 v[166:167], v[144:145], v[158:159]
	s_wait_dscnt 0x1
	s_delay_alu instid0(VALU_DEP_1) | instskip(SKIP_1) | instid1(VALU_DEP_1)
	v_fmac_f64_e32 v[166:167], v[146:147], v[132:133]
	s_wait_loadcnt 0x2
	v_fmac_f64_e32 v[166:167], v[136:137], v[134:135]
	ds_load_b128 v[132:135], v2 offset:992
	ds_load_b64 v[136:137], v2 offset:1008
	s_wait_dscnt 0x2
	v_fmac_f64_e32 v[166:167], v[138:139], v[152:153]
	s_wait_loadcnt 0x1
	s_delay_alu instid0(VALU_DEP_1) | instskip(SKIP_1) | instid1(VALU_DEP_1)
	v_fmac_f64_e32 v[166:167], v[148:149], v[154:155]
	s_wait_dscnt 0x1
	v_fmac_f64_e32 v[166:167], v[150:151], v[132:133]
	s_wait_loadcnt 0x0
	s_delay_alu instid0(VALU_DEP_1) | instskip(SKIP_1) | instid1(VALU_DEP_1)
	v_fmac_f64_e32 v[166:167], v[140:141], v[134:135]
	s_wait_dscnt 0x0
	v_fmac_f64_e32 v[166:167], v[142:143], v[136:137]
	s_delay_alu instid0(VALU_DEP_1)
	v_add_f64_e64 v[130:131], v[130:131], -v[166:167]
	scratch_store_b64 off, v[130:131], off offset:24
	s_wait_xcnt 0x0
	v_cmpx_lt_u32_e32 2, v0
	s_cbranch_execz .LBB126_383
; %bb.382:
	scratch_load_b64 v[130:131], off, off offset:16
	v_mov_b64_e32 v[132:133], 0
	scratch_store_b64 off, v[132:133], off offset:16
	s_wait_loadcnt 0x0
	ds_store_b64 v1, v[130:131]
.LBB126_383:
	s_wait_xcnt 0x0
	s_or_b32 exec_lo, exec_lo, s0
	s_wait_storecnt_dscnt 0x0
	s_barrier_signal -1
	s_barrier_wait -1
	s_clause 0x5
	scratch_load_b128 v[130:133], off, off offset:16
	scratch_load_b128 v[134:137], off, off offset:32
	;; [unrolled: 1-line block ×6, first 2 shown]
	ds_load_2addr_b64 v[154:157], v2 offset0:67 offset1:68
	ds_load_2addr_b64 v[158:161], v2 offset0:69 offset1:70
	scratch_load_b128 v[162:165], off, off offset:112
	s_mov_b32 s0, exec_lo
	s_wait_loadcnt_dscnt 0x601
	v_fma_f64 v[166:167], v[132:133], v[154:155], 0
	s_wait_loadcnt 0x5
	s_delay_alu instid0(VALU_DEP_1) | instskip(SKIP_4) | instid1(VALU_DEP_1)
	v_fmac_f64_e32 v[166:167], v[134:135], v[156:157]
	scratch_load_b128 v[132:135], off, off offset:128
	s_wait_dscnt 0x0
	v_fmac_f64_e32 v[166:167], v[136:137], v[158:159]
	s_wait_loadcnt 0x5
	v_fmac_f64_e32 v[166:167], v[138:139], v[160:161]
	ds_load_2addr_b64 v[136:139], v2 offset0:71 offset1:72
	ds_load_2addr_b64 v[154:157], v2 offset0:73 offset1:74
	scratch_load_b128 v[158:161], off, off offset:144
	s_wait_dscnt 0x1
	v_fmac_f64_e32 v[166:167], v[140:141], v[136:137]
	s_wait_loadcnt 0x5
	s_delay_alu instid0(VALU_DEP_1) | instskip(SKIP_4) | instid1(VALU_DEP_1)
	v_fmac_f64_e32 v[166:167], v[142:143], v[138:139]
	scratch_load_b128 v[136:139], off, off offset:160
	s_wait_dscnt 0x0
	v_fmac_f64_e32 v[166:167], v[144:145], v[154:155]
	s_wait_loadcnt 0x5
	v_fmac_f64_e32 v[166:167], v[146:147], v[156:157]
	ds_load_2addr_b64 v[140:143], v2 offset0:75 offset1:76
	ds_load_2addr_b64 v[144:147], v2 offset0:77 offset1:78
	scratch_load_b128 v[154:157], off, off offset:176
	s_wait_dscnt 0x1
	v_fmac_f64_e32 v[166:167], v[148:149], v[140:141]
	s_wait_loadcnt 0x5
	s_delay_alu instid0(VALU_DEP_1) | instskip(SKIP_4) | instid1(VALU_DEP_1)
	v_fmac_f64_e32 v[166:167], v[150:151], v[142:143]
	scratch_load_b128 v[140:143], off, off offset:192
	s_wait_dscnt 0x0
	v_fmac_f64_e32 v[166:167], v[152:153], v[144:145]
	s_wait_loadcnt 0x5
	v_fmac_f64_e32 v[166:167], v[162:163], v[146:147]
	ds_load_2addr_b64 v[144:147], v2 offset0:79 offset1:80
	ds_load_2addr_b64 v[148:151], v2 offset0:81 offset1:82
	s_wait_dscnt 0x1
	v_fmac_f64_e32 v[166:167], v[164:165], v[144:145]
	scratch_load_b128 v[162:165], off, off offset:208
	s_wait_loadcnt 0x5
	v_fmac_f64_e32 v[166:167], v[132:133], v[146:147]
	s_wait_dscnt 0x0
	s_delay_alu instid0(VALU_DEP_1)
	v_fmac_f64_e32 v[166:167], v[134:135], v[148:149]
	scratch_load_b128 v[132:135], off, off offset:224
	s_wait_loadcnt 0x5
	v_fmac_f64_e32 v[166:167], v[158:159], v[150:151]
	ds_load_2addr_b64 v[144:147], v2 offset0:83 offset1:84
	ds_load_2addr_b64 v[148:151], v2 offset0:85 offset1:86
	s_wait_dscnt 0x1
	v_fmac_f64_e32 v[166:167], v[160:161], v[144:145]
	scratch_load_b128 v[158:161], off, off offset:240
	s_wait_loadcnt 0x5
	v_fmac_f64_e32 v[166:167], v[136:137], v[146:147]
	s_wait_dscnt 0x0
	s_delay_alu instid0(VALU_DEP_1)
	v_fmac_f64_e32 v[166:167], v[138:139], v[148:149]
	scratch_load_b128 v[136:139], off, off offset:256
	s_wait_loadcnt 0x5
	v_fmac_f64_e32 v[166:167], v[154:155], v[150:151]
	ds_load_2addr_b64 v[144:147], v2 offset0:87 offset1:88
	ds_load_2addr_b64 v[148:151], v2 offset0:89 offset1:90
	scratch_load_b128 v[152:155], off, off offset:272
	s_wait_dscnt 0x1
	v_fmac_f64_e32 v[166:167], v[156:157], v[144:145]
	s_wait_loadcnt 0x5
	s_delay_alu instid0(VALU_DEP_1) | instskip(SKIP_1) | instid1(VALU_DEP_1)
	v_fmac_f64_e32 v[166:167], v[140:141], v[146:147]
	s_wait_dscnt 0x0
	v_fmac_f64_e32 v[166:167], v[142:143], v[148:149]
	scratch_load_b128 v[140:143], off, off offset:288
	s_wait_loadcnt 0x5
	v_fmac_f64_e32 v[166:167], v[162:163], v[150:151]
	ds_load_2addr_b64 v[144:147], v2 offset0:91 offset1:92
	ds_load_2addr_b64 v[148:151], v2 offset0:93 offset1:94
	s_wait_dscnt 0x1
	v_fmac_f64_e32 v[166:167], v[164:165], v[144:145]
	scratch_load_b128 v[162:165], off, off offset:304
	s_wait_loadcnt 0x5
	v_fmac_f64_e32 v[166:167], v[132:133], v[146:147]
	s_wait_dscnt 0x0
	s_delay_alu instid0(VALU_DEP_1)
	v_fmac_f64_e32 v[166:167], v[134:135], v[148:149]
	scratch_load_b128 v[132:135], off, off offset:320
	s_wait_loadcnt 0x5
	v_fmac_f64_e32 v[166:167], v[158:159], v[150:151]
	ds_load_2addr_b64 v[144:147], v2 offset0:95 offset1:96
	ds_load_2addr_b64 v[148:151], v2 offset0:97 offset1:98
	scratch_load_b128 v[156:159], off, off offset:336
	s_wait_dscnt 0x1
	v_fmac_f64_e32 v[166:167], v[160:161], v[144:145]
	s_wait_loadcnt 0x5
	s_delay_alu instid0(VALU_DEP_1) | instskip(SKIP_1) | instid1(VALU_DEP_1)
	v_fmac_f64_e32 v[166:167], v[136:137], v[146:147]
	s_wait_dscnt 0x0
	;; [unrolled: 26-line block ×3, first 2 shown]
	v_fmac_f64_e32 v[166:167], v[134:135], v[148:149]
	scratch_load_b128 v[132:135], off, off offset:416
	s_wait_loadcnt 0x5
	v_fmac_f64_e32 v[166:167], v[156:157], v[150:151]
	ds_load_2addr_b64 v[144:147], v2 offset0:107 offset1:108
	ds_load_2addr_b64 v[148:151], v2 offset0:109 offset1:110
	s_wait_dscnt 0x1
	v_fmac_f64_e32 v[166:167], v[158:159], v[144:145]
	s_wait_loadcnt 0x4
	s_delay_alu instid0(VALU_DEP_1)
	v_fmac_f64_e32 v[166:167], v[136:137], v[146:147]
	scratch_load_b128 v[144:147], off, off offset:432
	s_wait_dscnt 0x0
	v_fmac_f64_e32 v[166:167], v[138:139], v[148:149]
	scratch_load_b128 v[136:139], off, off offset:448
	s_wait_loadcnt 0x5
	v_fmac_f64_e32 v[166:167], v[152:153], v[150:151]
	ds_load_2addr_b64 v[148:151], v2 offset0:111 offset1:112
	ds_load_2addr_b64 v[156:159], v2 offset0:113 offset1:114
	s_wait_dscnt 0x1
	v_fmac_f64_e32 v[166:167], v[154:155], v[148:149]
	s_wait_loadcnt 0x4
	s_delay_alu instid0(VALU_DEP_1)
	v_fmac_f64_e32 v[166:167], v[140:141], v[150:151]
	scratch_load_b128 v[148:151], off, off offset:464
	s_wait_dscnt 0x0
	v_fmac_f64_e32 v[166:167], v[142:143], v[156:157]
	scratch_load_b128 v[140:143], off, off offset:480
	s_wait_loadcnt 0x5
	v_fmac_f64_e32 v[166:167], v[160:161], v[158:159]
	ds_load_2addr_b64 v[152:155], v2 offset0:115 offset1:116
	ds_load_2addr_b64 v[156:159], v2 offset0:117 offset1:118
	scratch_load_b64 v[160:161], off, off offset:496
	s_wait_dscnt 0x1
	v_fmac_f64_e32 v[166:167], v[162:163], v[152:153]
	s_wait_loadcnt 0x5
	s_delay_alu instid0(VALU_DEP_1) | instskip(SKIP_1) | instid1(VALU_DEP_1)
	v_fmac_f64_e32 v[166:167], v[132:133], v[154:155]
	s_wait_dscnt 0x0
	v_fmac_f64_e32 v[166:167], v[134:135], v[156:157]
	ds_load_2addr_b64 v[132:135], v2 offset0:119 offset1:120
	ds_load_2addr_b64 v[152:155], v2 offset0:121 offset1:122
	s_wait_loadcnt 0x4
	v_fmac_f64_e32 v[166:167], v[144:145], v[158:159]
	s_wait_dscnt 0x1
	s_delay_alu instid0(VALU_DEP_1) | instskip(SKIP_1) | instid1(VALU_DEP_1)
	v_fmac_f64_e32 v[166:167], v[146:147], v[132:133]
	s_wait_loadcnt 0x3
	v_fmac_f64_e32 v[166:167], v[136:137], v[134:135]
	s_wait_dscnt 0x0
	s_delay_alu instid0(VALU_DEP_1)
	v_fmac_f64_e32 v[166:167], v[138:139], v[152:153]
	ds_load_2addr_b64 v[132:135], v2 offset0:123 offset1:124
	ds_load_2addr_b64 v[136:139], v2 offset0:125 offset1:126
	s_wait_loadcnt 0x2
	v_fmac_f64_e32 v[166:167], v[148:149], v[154:155]
	s_wait_dscnt 0x1
	s_delay_alu instid0(VALU_DEP_1) | instskip(SKIP_1) | instid1(VALU_DEP_1)
	v_fmac_f64_e32 v[166:167], v[150:151], v[132:133]
	s_wait_loadcnt 0x1
	v_fmac_f64_e32 v[166:167], v[140:141], v[134:135]
	s_wait_dscnt 0x0
	s_delay_alu instid0(VALU_DEP_1) | instskip(SKIP_1) | instid1(VALU_DEP_1)
	v_fmac_f64_e32 v[166:167], v[142:143], v[136:137]
	s_wait_loadcnt 0x0
	v_fmac_f64_e32 v[166:167], v[160:161], v[138:139]
	s_delay_alu instid0(VALU_DEP_1)
	v_add_f64_e64 v[2:3], v[130:131], -v[166:167]
	scratch_store_b64 off, v[2:3], off offset:16
	s_wait_xcnt 0x0
	v_cmpx_lt_u32_e32 1, v0
	s_cbranch_execz .LBB126_385
; %bb.384:
	scratch_load_b64 v[2:3], off, off offset:8
	v_mov_b64_e32 v[130:131], 0
	scratch_store_b64 off, v[130:131], off offset:8
	s_wait_loadcnt 0x0
	ds_store_b64 v1, v[2:3]
.LBB126_385:
	s_wait_xcnt 0x0
	s_or_b32 exec_lo, exec_lo, s0
	s_wait_storecnt_dscnt 0x0
	s_barrier_signal -1
	s_barrier_wait -1
	s_clause 0x3
	scratch_load_b128 v[132:135], off, off offset:8
	scratch_load_b128 v[136:139], off, off offset:24
	;; [unrolled: 1-line block ×4, first 2 shown]
	v_dual_mov_b32 v130, 0 :: v_dual_ashrrev_i32 v9, 31, v8
	ds_load_b128 v[148:151], v130 offset:528
	ds_load_b128 v[152:155], v130 offset:544
	scratch_load_b128 v[156:159], off, off offset:72
	v_dual_ashrrev_i32 v11, 31, v10 :: v_dual_ashrrev_i32 v13, 31, v12
	v_dual_ashrrev_i32 v15, 31, v14 :: v_dual_ashrrev_i32 v17, 31, v16
	;; [unrolled: 1-line block ×29, first 2 shown]
	v_ashrrev_i32_e32 v127, 31, v126
	s_mov_b32 s0, exec_lo
	v_ashrrev_i32_e32 v81, 31, v80
	s_wait_loadcnt_dscnt 0x401
	v_fma_f64 v[2:3], v[134:135], v[148:149], 0
	s_wait_loadcnt 0x3
	s_delay_alu instid0(VALU_DEP_1) | instskip(SKIP_4) | instid1(VALU_DEP_1)
	v_fmac_f64_e32 v[2:3], v[136:137], v[150:151]
	scratch_load_b128 v[134:137], off, off offset:88
	s_wait_dscnt 0x0
	v_fmac_f64_e32 v[2:3], v[138:139], v[152:153]
	s_wait_loadcnt 0x3
	v_fmac_f64_e32 v[2:3], v[140:141], v[154:155]
	ds_load_b128 v[138:141], v130 offset:560
	ds_load_b128 v[148:151], v130 offset:576
	scratch_load_b128 v[152:155], off, off offset:104
	s_wait_dscnt 0x1
	v_fmac_f64_e32 v[2:3], v[142:143], v[138:139]
	s_wait_loadcnt 0x3
	s_delay_alu instid0(VALU_DEP_1)
	v_fmac_f64_e32 v[2:3], v[144:145], v[140:141]
	scratch_load_b128 v[138:141], off, off offset:120
	s_wait_dscnt 0x0
	v_fmac_f64_e32 v[2:3], v[146:147], v[148:149]
	ds_load_b128 v[142:145], v130 offset:592
	ds_load_b128 v[146:149], v130 offset:608
	s_wait_loadcnt 0x3
	v_fmac_f64_e32 v[2:3], v[156:157], v[150:151]
	s_wait_dscnt 0x1
	s_delay_alu instid0(VALU_DEP_1) | instskip(SKIP_4) | instid1(VALU_DEP_1)
	v_fmac_f64_e32 v[2:3], v[158:159], v[142:143]
	scratch_load_b128 v[156:159], off, off offset:136
	s_wait_loadcnt 0x3
	v_fmac_f64_e32 v[2:3], v[134:135], v[144:145]
	s_wait_dscnt 0x0
	v_fmac_f64_e32 v[2:3], v[136:137], v[146:147]
	scratch_load_b128 v[134:137], off, off offset:152
	s_wait_loadcnt 0x3
	v_fmac_f64_e32 v[2:3], v[152:153], v[148:149]
	ds_load_b128 v[142:145], v130 offset:624
	ds_load_b128 v[146:149], v130 offset:640
	scratch_load_b128 v[150:153], off, off offset:168
	s_wait_dscnt 0x1
	v_fmac_f64_e32 v[2:3], v[154:155], v[142:143]
	s_wait_loadcnt 0x3
	s_delay_alu instid0(VALU_DEP_1) | instskip(SKIP_1) | instid1(VALU_DEP_1)
	v_fmac_f64_e32 v[2:3], v[138:139], v[144:145]
	s_wait_dscnt 0x0
	v_fmac_f64_e32 v[2:3], v[140:141], v[146:147]
	scratch_load_b128 v[138:141], off, off offset:184
	s_wait_loadcnt 0x3
	v_fmac_f64_e32 v[2:3], v[156:157], v[148:149]
	ds_load_b128 v[142:145], v130 offset:656
	ds_load_b128 v[146:149], v130 offset:672
	scratch_load_b128 v[154:157], off, off offset:200
	s_wait_dscnt 0x1
	v_fmac_f64_e32 v[2:3], v[158:159], v[142:143]
	s_wait_loadcnt 0x3
	s_delay_alu instid0(VALU_DEP_1) | instskip(SKIP_1) | instid1(VALU_DEP_1)
	v_fmac_f64_e32 v[2:3], v[134:135], v[144:145]
	s_wait_dscnt 0x0
	v_fmac_f64_e32 v[2:3], v[136:137], v[146:147]
	scratch_load_b128 v[134:137], off, off offset:216
	s_wait_loadcnt 0x3
	v_fmac_f64_e32 v[2:3], v[150:151], v[148:149]
	ds_load_b128 v[142:145], v130 offset:688
	ds_load_b128 v[146:149], v130 offset:704
	s_wait_dscnt 0x1
	v_fmac_f64_e32 v[2:3], v[152:153], v[142:143]
	scratch_load_b128 v[150:153], off, off offset:232
	s_wait_loadcnt 0x3
	v_fmac_f64_e32 v[2:3], v[138:139], v[144:145]
	s_wait_dscnt 0x0
	s_delay_alu instid0(VALU_DEP_1)
	v_fmac_f64_e32 v[2:3], v[140:141], v[146:147]
	scratch_load_b128 v[138:141], off, off offset:248
	s_wait_loadcnt 0x3
	v_fmac_f64_e32 v[2:3], v[154:155], v[148:149]
	ds_load_b128 v[142:145], v130 offset:720
	ds_load_b128 v[146:149], v130 offset:736
	s_wait_dscnt 0x1
	v_fmac_f64_e32 v[2:3], v[156:157], v[142:143]
	scratch_load_b128 v[154:157], off, off offset:264
	s_wait_loadcnt 0x3
	v_fmac_f64_e32 v[2:3], v[134:135], v[144:145]
	s_wait_dscnt 0x0
	s_delay_alu instid0(VALU_DEP_1)
	;; [unrolled: 13-line block ×9, first 2 shown]
	v_fmac_f64_e32 v[2:3], v[140:141], v[146:147]
	ds_load_b128 v[138:141], v130 offset:976
	ds_load_b128 v[142:145], v130 offset:992
	s_wait_loadcnt 0x2
	v_fmac_f64_e32 v[2:3], v[154:155], v[148:149]
	s_wait_dscnt 0x1
	s_delay_alu instid0(VALU_DEP_1) | instskip(SKIP_1) | instid1(VALU_DEP_1)
	v_fmac_f64_e32 v[2:3], v[156:157], v[138:139]
	s_wait_loadcnt 0x1
	v_fmac_f64_e32 v[2:3], v[134:135], v[140:141]
	ds_load_b64 v[134:135], v130 offset:1008
	s_wait_dscnt 0x1
	v_fmac_f64_e32 v[2:3], v[136:137], v[142:143]
	s_wait_loadcnt 0x0
	s_delay_alu instid0(VALU_DEP_1) | instskip(SKIP_1) | instid1(VALU_DEP_1)
	v_fmac_f64_e32 v[2:3], v[150:151], v[144:145]
	s_wait_dscnt 0x0
	v_fmac_f64_e32 v[2:3], v[152:153], v[134:135]
	s_delay_alu instid0(VALU_DEP_1)
	v_add_f64_e64 v[2:3], v[132:133], -v[2:3]
	scratch_store_b64 off, v[2:3], off offset:8
	s_wait_xcnt 0x0
	v_cmpx_ne_u32_e32 0, v0
	s_cbranch_execz .LBB126_387
; %bb.386:
	scratch_load_b64 v[2:3], off, off
	v_mov_b64_e32 v[132:133], 0
	scratch_store_b64 off, v[132:133], off
	s_wait_loadcnt 0x0
	ds_store_b64 v1, v[2:3]
.LBB126_387:
	s_wait_xcnt 0x0
	s_or_b32 exec_lo, exec_lo, s0
	s_wait_storecnt_dscnt 0x0
	s_barrier_signal -1
	s_barrier_wait -1
	s_clause 0x5
	scratch_load_b128 v[132:135], off, off
	scratch_load_b128 v[0:3], off, off offset:16
	scratch_load_b128 v[136:139], off, off offset:32
	;; [unrolled: 1-line block ×5, first 2 shown]
	ds_load_2addr_b64 v[152:155], v130 offset0:65 offset1:66
	scratch_load_b128 v[156:159], off, off offset:96
	s_and_b32 vcc_lo, exec_lo, s12
	s_wait_loadcnt_dscnt 0x600
	v_fma_f64 v[162:163], v[134:135], v[152:153], 0
	s_wait_loadcnt 0x5
	s_delay_alu instid0(VALU_DEP_1)
	v_fmac_f64_e32 v[162:163], v[0:1], v[154:155]
	ds_load_2addr_b64 v[152:155], v130 offset0:67 offset1:68
	s_wait_dscnt 0x0
	v_fmac_f64_e32 v[162:163], v[2:3], v[152:153]
	scratch_load_b128 v[0:3], off, off offset:112
	s_wait_loadcnt 0x5
	v_fmac_f64_e32 v[162:163], v[136:137], v[154:155]
	ds_load_2addr_b64 v[134:137], v130 offset0:69 offset1:70
	scratch_load_b128 v[152:155], off, off offset:128
	s_wait_dscnt 0x0
	v_fmac_f64_e32 v[162:163], v[138:139], v[134:135]
	s_wait_loadcnt 0x5
	s_delay_alu instid0(VALU_DEP_1)
	v_fmac_f64_e32 v[162:163], v[140:141], v[136:137]
	ds_load_2addr_b64 v[134:137], v130 offset0:71 offset1:72
	scratch_load_b128 v[138:141], off, off offset:144
	s_wait_dscnt 0x0
	v_fmac_f64_e32 v[162:163], v[142:143], v[134:135]
	s_wait_loadcnt 0x5
	s_delay_alu instid0(VALU_DEP_1)
	;; [unrolled: 7-line block ×4, first 2 shown]
	v_fmac_f64_e32 v[162:163], v[156:157], v[136:137]
	ds_load_2addr_b64 v[134:137], v130 offset0:77 offset1:78
	s_wait_dscnt 0x0
	v_fmac_f64_e32 v[162:163], v[158:159], v[134:135]
	scratch_load_b128 v[156:159], off, off offset:192
	s_wait_loadcnt 0x5
	v_fmac_f64_e32 v[162:163], v[0:1], v[136:137]
	ds_load_2addr_b64 v[134:137], v130 offset0:79 offset1:80
	s_wait_dscnt 0x0
	v_fmac_f64_e32 v[162:163], v[2:3], v[134:135]
	scratch_load_b128 v[0:3], off, off offset:208
	s_wait_loadcnt 0x5
	v_fmac_f64_e32 v[162:163], v[152:153], v[136:137]
	ds_load_2addr_b64 v[134:137], v130 offset0:81 offset1:82
	scratch_load_b128 v[150:153], off, off offset:224
	s_wait_dscnt 0x0
	v_fmac_f64_e32 v[162:163], v[154:155], v[134:135]
	s_wait_loadcnt 0x5
	s_delay_alu instid0(VALU_DEP_1)
	v_fmac_f64_e32 v[162:163], v[138:139], v[136:137]
	ds_load_2addr_b64 v[134:137], v130 offset0:83 offset1:84
	s_wait_dscnt 0x0
	v_fmac_f64_e32 v[162:163], v[140:141], v[134:135]
	scratch_load_b128 v[138:141], off, off offset:240
	s_wait_loadcnt 0x5
	v_fmac_f64_e32 v[162:163], v[142:143], v[136:137]
	ds_load_2addr_b64 v[134:137], v130 offset0:85 offset1:86
	s_wait_dscnt 0x0
	v_fmac_f64_e32 v[162:163], v[144:145], v[134:135]
	scratch_load_b128 v[142:145], off, off offset:256
	s_wait_loadcnt 0x5
	;; [unrolled: 6-line block ×3, first 2 shown]
	v_fmac_f64_e32 v[162:163], v[156:157], v[136:137]
	ds_load_2addr_b64 v[134:137], v130 offset0:89 offset1:90
	scratch_load_b128 v[154:157], off, off offset:288
	s_wait_dscnt 0x0
	v_fmac_f64_e32 v[162:163], v[158:159], v[134:135]
	scratch_load_b128 v[158:161], off, off offset:400
	s_wait_loadcnt 0x6
	v_fmac_f64_e32 v[162:163], v[0:1], v[136:137]
	ds_load_2addr_b64 v[134:137], v130 offset0:91 offset1:92
	s_wait_dscnt 0x0
	v_fmac_f64_e32 v[162:163], v[2:3], v[134:135]
	scratch_load_b128 v[0:3], off, off offset:304
	s_wait_loadcnt 0x6
	v_fmac_f64_e32 v[162:163], v[150:151], v[136:137]
	ds_load_2addr_b64 v[134:137], v130 offset0:93 offset1:94
	;; [unrolled: 6-line block ×7, first 2 shown]
	s_wait_dscnt 0x0
	v_fmac_f64_e32 v[162:163], v[2:3], v[134:135]
	ds_load_2addr_b64 v[0:3], v130 offset0:105 offset1:106
	s_wait_loadcnt 0x4
	v_fmac_f64_e32 v[162:163], v[150:151], v[136:137]
	scratch_load_b128 v[134:137], off, off offset:416
	s_wait_dscnt 0x0
	v_fmac_f64_e32 v[162:163], v[152:153], v[0:1]
	ds_load_2addr_b64 v[150:153], v130 offset0:113 offset1:114
	s_wait_loadcnt 0x4
	v_fmac_f64_e32 v[162:163], v[138:139], v[2:3]
	ds_load_2addr_b64 v[0:3], v130 offset0:107 offset1:108
	s_wait_dscnt 0x0
	v_fmac_f64_e32 v[162:163], v[140:141], v[0:1]
	scratch_load_b128 v[138:141], off, off offset:432
	s_wait_loadcnt 0x4
	v_fmac_f64_e32 v[162:163], v[142:143], v[2:3]
	ds_load_2addr_b64 v[0:3], v130 offset0:109 offset1:110
	s_wait_dscnt 0x0
	v_fmac_f64_e32 v[162:163], v[144:145], v[0:1]
	scratch_load_b128 v[142:145], off, off offset:448
	;; [unrolled: 6-line block ×3, first 2 shown]
	s_wait_loadcnt 0x4
	v_fmac_f64_e32 v[162:163], v[154:155], v[2:3]
	s_clause 0x1
	scratch_load_b128 v[0:3], off, off offset:480
	scratch_load_b64 v[154:155], off, off offset:496
	v_fmac_f64_e32 v[162:163], v[156:157], v[150:151]
	s_delay_alu instid0(VALU_DEP_1) | instskip(SKIP_4) | instid1(VALU_DEP_1)
	v_fmac_f64_e32 v[162:163], v[158:159], v[152:153]
	ds_load_2addr_b64 v[150:153], v130 offset0:115 offset1:116
	s_wait_dscnt 0x0
	v_fmac_f64_e32 v[162:163], v[160:161], v[150:151]
	s_wait_loadcnt 0x5
	v_fmac_f64_e32 v[162:163], v[134:135], v[152:153]
	ds_load_2addr_b64 v[150:153], v130 offset0:117 offset1:118
	s_wait_dscnt 0x0
	v_fmac_f64_e32 v[162:163], v[136:137], v[150:151]
	ds_load_2addr_b64 v[134:137], v130 offset0:119 offset1:120
	s_wait_loadcnt 0x4
	v_fmac_f64_e32 v[162:163], v[138:139], v[152:153]
	s_wait_dscnt 0x0
	s_delay_alu instid0(VALU_DEP_1) | instskip(SKIP_1) | instid1(VALU_DEP_1)
	v_fmac_f64_e32 v[162:163], v[140:141], v[134:135]
	s_wait_loadcnt 0x3
	v_fmac_f64_e32 v[162:163], v[142:143], v[136:137]
	ds_load_2addr_b64 v[134:137], v130 offset0:121 offset1:122
	s_wait_dscnt 0x0
	v_fmac_f64_e32 v[162:163], v[144:145], v[134:135]
	s_wait_loadcnt 0x2
	s_delay_alu instid0(VALU_DEP_1) | instskip(SKIP_4) | instid1(VALU_DEP_1)
	v_fmac_f64_e32 v[162:163], v[146:147], v[136:137]
	ds_load_2addr_b64 v[134:137], v130 offset0:123 offset1:124
	s_wait_dscnt 0x0
	v_fmac_f64_e32 v[162:163], v[148:149], v[134:135]
	s_wait_loadcnt 0x1
	v_fmac_f64_e32 v[162:163], v[0:1], v[136:137]
	ds_load_2addr_b64 v[134:137], v130 offset0:125 offset1:126
	s_wait_dscnt 0x0
	v_fmac_f64_e32 v[162:163], v[2:3], v[134:135]
	s_wait_loadcnt 0x0
	s_delay_alu instid0(VALU_DEP_1) | instskip(NEXT) | instid1(VALU_DEP_1)
	v_fmac_f64_e32 v[162:163], v[154:155], v[136:137]
	v_add_f64_e64 v[140:141], v[132:133], -v[162:163]
	scratch_store_b64 off, v[140:141], off
	s_cbranch_vccz .LBB126_512
; %bb.388:
	v_mov_b32_e32 v0, 0
	global_load_b32 v1, v0, s[8:9] offset:244
	s_wait_loadcnt 0x0
	v_cmp_ne_u32_e32 vcc_lo, 62, v1
	s_cbranch_vccz .LBB126_390
; %bb.389:
	v_lshlrev_b32_e32 v1, 3, v1
	scratch_load_b64 v[130:131], v1, off offset:-8
	s_wait_loadcnt 0x0
	scratch_store_b64 off, v[130:131], off offset:488
	scratch_store_b64 v1, v[2:3], off offset:-8
.LBB126_390:
	global_load_b32 v0, v0, s[8:9] offset:240
	s_wait_loadcnt 0x0
	v_cmp_eq_u32_e32 vcc_lo, 61, v0
	s_cbranch_vccnz .LBB126_392
; %bb.391:
	s_wait_xcnt 0x0
	v_lshlrev_b32_e32 v0, 3, v0
	s_delay_alu instid0(VALU_DEP_1)
	v_mov_b32_e32 v130, v0
	scratch_load_b64 v[0:1], v130, off offset:-8
	scratch_load_b64 v[2:3], off, off offset:480
	s_wait_loadcnt 0x1
	scratch_store_b64 off, v[0:1], off offset:480
	s_wait_loadcnt 0x0
	scratch_store_b64 v130, v[2:3], off offset:-8
.LBB126_392:
	s_wait_xcnt 0x0
	v_mov_b32_e32 v0, 0
	global_load_b32 v1, v0, s[8:9] offset:236
	s_wait_loadcnt 0x0
	v_cmp_eq_u32_e32 vcc_lo, 60, v1
	s_cbranch_vccnz .LBB126_394
; %bb.393:
	v_lshlrev_b32_e32 v1, 3, v1
	scratch_load_b64 v[2:3], v1, off offset:-8
	scratch_load_b64 v[130:131], off, off offset:472
	s_wait_loadcnt 0x1
	scratch_store_b64 off, v[2:3], off offset:472
	s_wait_loadcnt 0x0
	scratch_store_b64 v1, v[130:131], off offset:-8
.LBB126_394:
	global_load_b32 v0, v0, s[8:9] offset:232
	s_wait_loadcnt 0x0
	v_cmp_eq_u32_e32 vcc_lo, 59, v0
	s_cbranch_vccnz .LBB126_396
; %bb.395:
	s_wait_xcnt 0x0
	v_lshlrev_b32_e32 v0, 3, v0
	s_delay_alu instid0(VALU_DEP_1)
	v_mov_b32_e32 v130, v0
	scratch_load_b64 v[0:1], v130, off offset:-8
	scratch_load_b64 v[2:3], off, off offset:464
	s_wait_loadcnt 0x1
	scratch_store_b64 off, v[0:1], off offset:464
	s_wait_loadcnt 0x0
	scratch_store_b64 v130, v[2:3], off offset:-8
.LBB126_396:
	s_wait_xcnt 0x0
	v_mov_b32_e32 v0, 0
	global_load_b32 v1, v0, s[8:9] offset:228
	s_wait_loadcnt 0x0
	v_cmp_eq_u32_e32 vcc_lo, 58, v1
	s_cbranch_vccnz .LBB126_398
; %bb.397:
	v_lshlrev_b32_e32 v1, 3, v1
	scratch_load_b64 v[2:3], v1, off offset:-8
	scratch_load_b64 v[130:131], off, off offset:456
	s_wait_loadcnt 0x1
	scratch_store_b64 off, v[2:3], off offset:456
	s_wait_loadcnt 0x0
	scratch_store_b64 v1, v[130:131], off offset:-8
.LBB126_398:
	;; [unrolled: 31-line block ×30, first 2 shown]
	global_load_b32 v0, v0, s[8:9]
	scratch_load_b64 v[140:141], off, off
	s_wait_loadcnt 0x1
	v_cmp_eq_u32_e32 vcc_lo, 1, v0
	s_cbranch_vccnz .LBB126_512
; %bb.511:
	s_wait_xcnt 0x1
	v_lshlrev_b32_e32 v0, 3, v0
	s_delay_alu instid0(VALU_DEP_1)
	v_mov_b32_e32 v2, v0
	scratch_load_b64 v[0:1], v2, off offset:-8
	s_wait_loadcnt 0x0
	scratch_store_b64 off, v[0:1], off
	scratch_store_b64 v2, v[140:141], off offset:-8
	scratch_load_b64 v[140:141], off, off
.LBB126_512:
	s_wait_loadcnt 0x0
	flat_store_b64 v[4:5], v[140:141]
	scratch_load_b64 v[4:5], off, off offset:8
	v_lshl_add_u64 v[188:189], v[8:9], 3, s[2:3]
	v_lshl_add_u64 v[186:187], v[10:11], 3, s[2:3]
	;; [unrolled: 1-line block ×61, first 2 shown]
	s_wait_loadcnt 0x0
	flat_store_b64 v[6:7], v[4:5]
	scratch_load_b64 v[4:5], off, off offset:16
	s_wait_loadcnt 0x0
	flat_store_b64 v[188:189], v[4:5]
	scratch_load_b64 v[4:5], off, off offset:24
	;; [unrolled: 3-line block ×61, first 2 shown]
	s_wait_loadcnt 0x0
	flat_store_b64 v[0:1], v[2:3]
	s_sendmsg sendmsg(MSG_DEALLOC_VGPRS)
	s_endpgm
	.section	.rodata,"a",@progbits
	.p2align	6, 0x0
	.amdhsa_kernel _ZN9rocsolver6v33100L18getri_kernel_smallILi63EdPKPdEEvT1_iilPiilS6_bb
		.amdhsa_group_segment_fixed_size 1016
		.amdhsa_private_segment_fixed_size 512
		.amdhsa_kernarg_size 60
		.amdhsa_user_sgpr_count 2
		.amdhsa_user_sgpr_dispatch_ptr 0
		.amdhsa_user_sgpr_queue_ptr 0
		.amdhsa_user_sgpr_kernarg_segment_ptr 1
		.amdhsa_user_sgpr_dispatch_id 0
		.amdhsa_user_sgpr_kernarg_preload_length 0
		.amdhsa_user_sgpr_kernarg_preload_offset 0
		.amdhsa_user_sgpr_private_segment_size 0
		.amdhsa_wavefront_size32 1
		.amdhsa_uses_dynamic_stack 0
		.amdhsa_enable_private_segment 1
		.amdhsa_system_sgpr_workgroup_id_x 1
		.amdhsa_system_sgpr_workgroup_id_y 0
		.amdhsa_system_sgpr_workgroup_id_z 0
		.amdhsa_system_sgpr_workgroup_info 0
		.amdhsa_system_vgpr_workitem_id 0
		.amdhsa_next_free_vgpr 190
		.amdhsa_next_free_sgpr 19
		.amdhsa_named_barrier_count 0
		.amdhsa_reserve_vcc 1
		.amdhsa_float_round_mode_32 0
		.amdhsa_float_round_mode_16_64 0
		.amdhsa_float_denorm_mode_32 3
		.amdhsa_float_denorm_mode_16_64 3
		.amdhsa_fp16_overflow 0
		.amdhsa_memory_ordered 1
		.amdhsa_forward_progress 1
		.amdhsa_inst_pref_size 255
		.amdhsa_round_robin_scheduling 0
		.amdhsa_exception_fp_ieee_invalid_op 0
		.amdhsa_exception_fp_denorm_src 0
		.amdhsa_exception_fp_ieee_div_zero 0
		.amdhsa_exception_fp_ieee_overflow 0
		.amdhsa_exception_fp_ieee_underflow 0
		.amdhsa_exception_fp_ieee_inexact 0
		.amdhsa_exception_int_div_zero 0
	.end_amdhsa_kernel
	.section	.text._ZN9rocsolver6v33100L18getri_kernel_smallILi63EdPKPdEEvT1_iilPiilS6_bb,"axG",@progbits,_ZN9rocsolver6v33100L18getri_kernel_smallILi63EdPKPdEEvT1_iilPiilS6_bb,comdat
.Lfunc_end126:
	.size	_ZN9rocsolver6v33100L18getri_kernel_smallILi63EdPKPdEEvT1_iilPiilS6_bb, .Lfunc_end126-_ZN9rocsolver6v33100L18getri_kernel_smallILi63EdPKPdEEvT1_iilPiilS6_bb
                                        ; -- End function
	.set _ZN9rocsolver6v33100L18getri_kernel_smallILi63EdPKPdEEvT1_iilPiilS6_bb.num_vgpr, 190
	.set _ZN9rocsolver6v33100L18getri_kernel_smallILi63EdPKPdEEvT1_iilPiilS6_bb.num_agpr, 0
	.set _ZN9rocsolver6v33100L18getri_kernel_smallILi63EdPKPdEEvT1_iilPiilS6_bb.numbered_sgpr, 19
	.set _ZN9rocsolver6v33100L18getri_kernel_smallILi63EdPKPdEEvT1_iilPiilS6_bb.num_named_barrier, 0
	.set _ZN9rocsolver6v33100L18getri_kernel_smallILi63EdPKPdEEvT1_iilPiilS6_bb.private_seg_size, 512
	.set _ZN9rocsolver6v33100L18getri_kernel_smallILi63EdPKPdEEvT1_iilPiilS6_bb.uses_vcc, 1
	.set _ZN9rocsolver6v33100L18getri_kernel_smallILi63EdPKPdEEvT1_iilPiilS6_bb.uses_flat_scratch, 1
	.set _ZN9rocsolver6v33100L18getri_kernel_smallILi63EdPKPdEEvT1_iilPiilS6_bb.has_dyn_sized_stack, 0
	.set _ZN9rocsolver6v33100L18getri_kernel_smallILi63EdPKPdEEvT1_iilPiilS6_bb.has_recursion, 0
	.set _ZN9rocsolver6v33100L18getri_kernel_smallILi63EdPKPdEEvT1_iilPiilS6_bb.has_indirect_call, 0
	.section	.AMDGPU.csdata,"",@progbits
; Kernel info:
; codeLenInByte = 68628
; TotalNumSgprs: 21
; NumVgprs: 190
; ScratchSize: 512
; MemoryBound: 0
; FloatMode: 240
; IeeeMode: 1
; LDSByteSize: 1016 bytes/workgroup (compile time only)
; SGPRBlocks: 0
; VGPRBlocks: 11
; NumSGPRsForWavesPerEU: 21
; NumVGPRsForWavesPerEU: 190
; NamedBarCnt: 0
; Occupancy: 5
; WaveLimiterHint : 1
; COMPUTE_PGM_RSRC2:SCRATCH_EN: 1
; COMPUTE_PGM_RSRC2:USER_SGPR: 2
; COMPUTE_PGM_RSRC2:TRAP_HANDLER: 0
; COMPUTE_PGM_RSRC2:TGID_X_EN: 1
; COMPUTE_PGM_RSRC2:TGID_Y_EN: 0
; COMPUTE_PGM_RSRC2:TGID_Z_EN: 0
; COMPUTE_PGM_RSRC2:TIDIG_COMP_CNT: 0
	.section	.text._ZN9rocsolver6v33100L18getri_kernel_smallILi64EdPKPdEEvT1_iilPiilS6_bb,"axG",@progbits,_ZN9rocsolver6v33100L18getri_kernel_smallILi64EdPKPdEEvT1_iilPiilS6_bb,comdat
	.globl	_ZN9rocsolver6v33100L18getri_kernel_smallILi64EdPKPdEEvT1_iilPiilS6_bb ; -- Begin function _ZN9rocsolver6v33100L18getri_kernel_smallILi64EdPKPdEEvT1_iilPiilS6_bb
	.p2align	8
	.type	_ZN9rocsolver6v33100L18getri_kernel_smallILi64EdPKPdEEvT1_iilPiilS6_bb,@function
_ZN9rocsolver6v33100L18getri_kernel_smallILi64EdPKPdEEvT1_iilPiilS6_bb: ; @_ZN9rocsolver6v33100L18getri_kernel_smallILi64EdPKPdEEvT1_iilPiilS6_bb
; %bb.0:
	s_mov_b32 s2, exec_lo
	v_cmpx_gt_u32_e32 64, v0
	s_cbranch_execz .LBB127_266
; %bb.1:
	s_clause 0x1
	s_load_b32 s13, s[0:1], 0x38
	s_load_b64 s[2:3], s[0:1], 0x0
	s_getreg_b32 s6, hwreg(HW_REG_IB_STS2, 6, 4)
	s_wait_kmcnt 0x0
	s_bitcmp1_b32 s13, 8
	s_cselect_b32 s12, -1, 0
	s_bfe_u32 s4, ttmp6, 0x4000c
	s_and_b32 s5, ttmp6, 15
	s_add_co_i32 s4, s4, 1
	s_delay_alu instid0(SALU_CYCLE_1) | instskip(NEXT) | instid1(SALU_CYCLE_1)
	s_mul_i32 s4, ttmp9, s4
	s_add_co_i32 s5, s5, s4
	s_cmp_eq_u32 s6, 0
	s_cselect_b32 s10, ttmp9, s5
	s_load_b128 s[4:7], s[0:1], 0x28
	s_ashr_i32 s11, s10, 31
	s_delay_alu instid0(SALU_CYCLE_1) | instskip(NEXT) | instid1(SALU_CYCLE_1)
	s_lshl_b64 s[8:9], s[10:11], 3
	s_add_nc_u64 s[2:3], s[2:3], s[8:9]
	s_bfe_u32 s8, s13, 0x10008
	s_load_b64 s[2:3], s[2:3], 0x0
	s_cmp_eq_u32 s8, 0
                                        ; implicit-def: $sgpr8_sgpr9
	s_cbranch_scc1 .LBB127_3
; %bb.2:
	s_load_b96 s[16:18], s[0:1], 0x18
	s_wait_kmcnt 0x0
	s_mul_u64 s[4:5], s[4:5], s[10:11]
	s_delay_alu instid0(SALU_CYCLE_1) | instskip(SKIP_4) | instid1(SALU_CYCLE_1)
	s_lshl_b64 s[4:5], s[4:5], 2
	s_ashr_i32 s9, s18, 31
	s_mov_b32 s8, s18
	s_add_nc_u64 s[4:5], s[16:17], s[4:5]
	s_lshl_b64 s[8:9], s[8:9], 2
	s_add_nc_u64 s[8:9], s[4:5], s[8:9]
.LBB127_3:
	s_wait_kmcnt 0x0
	s_clause 0x1
	s_load_b64 s[4:5], s[0:1], 0x8
	s_load_b32 s13, s[0:1], 0x38
	v_dual_mov_b32 v3, 0 :: v_dual_lshlrev_b32 v2, 3, v0
	s_wait_kmcnt 0x0
	s_ashr_i32 s1, s4, 31
	s_mov_b32 s0, s4
	s_delay_alu instid0(SALU_CYCLE_1) | instskip(NEXT) | instid1(SALU_CYCLE_1)
	s_lshl_b64 s[0:1], s[0:1], 3
	s_add_nc_u64 s[2:3], s[2:3], s[0:1]
	s_ashr_i32 s1, s5, 31
	flat_load_b64 v[8:9], v0, s[2:3] scale_offset
	v_add_nc_u64_e32 v[4:5], s[2:3], v[2:3]
	s_mov_b32 s0, s5
	s_bitcmp0_b32 s13, 0
	s_delay_alu instid0(VALU_DEP_1)
	v_lshl_add_u64 v[6:7], s[0:1], 3, v[4:5]
	s_mov_b32 s1, -1
	s_wait_loadcnt_dscnt 0x0
	scratch_store_b64 off, v[8:9], off
	flat_load_b64 v[10:11], v[6:7]
	s_wait_xcnt 0x1
	v_add3_u32 v8, s5, s5, v0
	s_wait_loadcnt_dscnt 0x0
	scratch_store_b64 off, v[10:11], off offset:8
	flat_load_b64 v[12:13], v8, s[2:3] scale_offset
	s_wait_xcnt 0x1
	v_add_nc_u32_e32 v10, s5, v8
	s_wait_loadcnt_dscnt 0x0
	scratch_store_b64 off, v[12:13], off offset:16
	flat_load_b64 v[14:15], v10, s[2:3] scale_offset
	s_wait_xcnt 0x1
	v_add_nc_u32_e32 v12, s5, v10
	;; [unrolled: 5-line block ×61, first 2 shown]
	s_wait_loadcnt_dscnt 0x0
	scratch_store_b64 off, v[132:133], off offset:496
	flat_load_b64 v[132:133], v130, s[2:3] scale_offset
	s_wait_loadcnt_dscnt 0x0
	scratch_store_b64 off, v[132:133], off offset:504
	s_cbranch_scc1 .LBB127_264
; %bb.4:
	v_cmp_eq_u32_e64 s0, 0, v0
	s_wait_xcnt 0x0
	s_and_saveexec_b32 s1, s0
; %bb.5:
	v_mov_b32_e32 v1, 0
	ds_store_b32 v1, v1 offset:1024
; %bb.6:
	s_or_b32 exec_lo, exec_lo, s1
	s_wait_storecnt_dscnt 0x0
	s_barrier_signal -1
	s_barrier_wait -1
	scratch_load_b64 v[132:133], v0, off scale_offset
	s_mov_b32 s4, exec_lo
	s_wait_loadcnt 0x0
	v_cmpx_eq_f64_e32 0, v[132:133]
	s_cbranch_execz .LBB127_10
; %bb.7:
	v_mov_b32_e32 v1, 0
	s_mov_b32 s5, 0
	ds_load_b32 v3, v1 offset:1024
	s_wait_dscnt 0x0
	v_readfirstlane_b32 s1, v3
	v_add_nc_u32_e32 v3, 1, v0
	s_cmp_eq_u32 s1, 0
	s_delay_alu instid0(VALU_DEP_1) | instskip(SKIP_1) | instid1(SALU_CYCLE_1)
	v_cmp_gt_i32_e32 vcc_lo, s1, v3
	s_cselect_b32 s13, -1, 0
	s_or_b32 s13, s13, vcc_lo
	s_delay_alu instid0(SALU_CYCLE_1)
	s_and_b32 exec_lo, exec_lo, s13
	s_cbranch_execz .LBB127_10
; %bb.8:
	v_mov_b32_e32 v9, s1
.LBB127_9:                              ; =>This Inner Loop Header: Depth=1
	ds_cmpstore_rtn_b32 v9, v1, v3, v9 offset:1024
	s_wait_dscnt 0x0
	v_cmp_ne_u32_e32 vcc_lo, 0, v9
	v_cmp_le_i32_e64 s1, v9, v3
	s_and_b32 s1, vcc_lo, s1
	s_delay_alu instid0(SALU_CYCLE_1) | instskip(NEXT) | instid1(SALU_CYCLE_1)
	s_and_b32 s1, exec_lo, s1
	s_or_b32 s5, s1, s5
	s_delay_alu instid0(SALU_CYCLE_1)
	s_and_not1_b32 exec_lo, exec_lo, s5
	s_cbranch_execnz .LBB127_9
.LBB127_10:
	s_or_b32 exec_lo, exec_lo, s4
	v_mov_b32_e32 v1, 0
	s_barrier_signal -1
	s_barrier_wait -1
	ds_load_b32 v3, v1 offset:1024
	s_and_saveexec_b32 s1, s0
	s_cbranch_execz .LBB127_12
; %bb.11:
	s_lshl_b64 s[4:5], s[10:11], 2
	s_delay_alu instid0(SALU_CYCLE_1)
	s_add_nc_u64 s[4:5], s[6:7], s[4:5]
	s_wait_dscnt 0x0
	global_store_b32 v1, v3, s[4:5]
.LBB127_12:
	s_wait_xcnt 0x0
	s_or_b32 exec_lo, exec_lo, s1
	s_wait_dscnt 0x0
	v_cmp_ne_u32_e32 vcc_lo, 0, v3
	s_mov_b32 s1, 0
	s_cbranch_vccnz .LBB127_264
; %bb.13:
	v_lshl_add_u32 v3, v0, 3, 0
	v_or_b32_e32 v1, 0x200, v2
	scratch_load_b64 v[132:133], v3, off
	s_wait_loadcnt 0x0
	v_div_scale_f64 v[134:135], null, v[132:133], v[132:133], 1.0
	v_div_scale_f64 v[140:141], vcc_lo, 1.0, v[132:133], 1.0
	s_delay_alu instid0(VALU_DEP_2) | instskip(SKIP_1) | instid1(TRANS32_DEP_1)
	v_rcp_f64_e32 v[136:137], v[134:135]
	v_nop
	v_fma_f64 v[138:139], -v[134:135], v[136:137], 1.0
	s_delay_alu instid0(VALU_DEP_1) | instskip(NEXT) | instid1(VALU_DEP_1)
	v_fmac_f64_e32 v[136:137], v[136:137], v[138:139]
	v_fma_f64 v[138:139], -v[134:135], v[136:137], 1.0
	s_delay_alu instid0(VALU_DEP_1) | instskip(NEXT) | instid1(VALU_DEP_1)
	v_fmac_f64_e32 v[136:137], v[136:137], v[138:139]
	v_mul_f64_e32 v[138:139], v[140:141], v[136:137]
	s_delay_alu instid0(VALU_DEP_1) | instskip(NEXT) | instid1(VALU_DEP_1)
	v_fma_f64 v[134:135], -v[134:135], v[138:139], v[140:141]
	v_div_fmas_f64 v[134:135], v[134:135], v[136:137], v[138:139]
	s_delay_alu instid0(VALU_DEP_1)
	v_div_fixup_f64 v[132:133], v[134:135], v[132:133], 1.0
	scratch_store_b64 v3, v[132:133], off
	scratch_load_b64 v[134:135], off, off offset:8
	s_wait_xcnt 0x1
	v_xor_b32_e32 v133, 0x80000000, v133
	s_wait_loadcnt 0x0
	ds_store_2addr_stride64_b64 v2, v[132:133], v[134:135] offset1:1
	s_wait_storecnt_dscnt 0x0
	s_barrier_signal -1
	s_barrier_wait -1
	s_wait_xcnt 0x0
	s_and_saveexec_b32 s1, s0
	s_cbranch_execz .LBB127_15
; %bb.14:
	scratch_load_b64 v[132:133], v3, off
	ds_load_b64 v[134:135], v1
	s_wait_loadcnt_dscnt 0x0
	v_fma_f64 v[132:133], v[132:133], v[134:135], 0
	v_mov_b32_e32 v9, 0
	ds_load_b64 v[136:137], v9 offset:8
	s_wait_dscnt 0x0
	v_mul_f64_e32 v[132:133], v[132:133], v[136:137]
	scratch_store_b64 off, v[132:133], off offset:8
.LBB127_15:
	s_wait_xcnt 0x0
	s_or_b32 exec_lo, exec_lo, s1
	s_wait_storecnt 0x0
	s_barrier_signal -1
	s_barrier_wait -1
	scratch_load_b64 v[132:133], off, off offset:16
	s_mov_b32 s1, exec_lo
	s_wait_loadcnt 0x0
	ds_store_b64 v1, v[132:133]
	s_wait_dscnt 0x0
	s_barrier_signal -1
	s_barrier_wait -1
	v_cmpx_gt_u32_e32 2, v0
	s_cbranch_execz .LBB127_19
; %bb.16:
	scratch_load_b64 v[132:133], v3, off
	ds_load_b64 v[134:135], v1
	s_wait_loadcnt_dscnt 0x0
	v_fma_f64 v[132:133], v[132:133], v[134:135], 0
	s_and_saveexec_b32 s4, s0
	s_cbranch_execz .LBB127_18
; %bb.17:
	scratch_load_b64 v[134:135], off, off offset:8
	v_mov_b32_e32 v3, 0
	ds_load_b64 v[136:137], v3 offset:520
	s_wait_loadcnt_dscnt 0x0
	v_fmac_f64_e32 v[132:133], v[134:135], v[136:137]
.LBB127_18:
	s_or_b32 exec_lo, exec_lo, s4
	v_mov_b32_e32 v3, 0
	ds_load_b64 v[134:135], v3 offset:16
	s_wait_dscnt 0x0
	v_mul_f64_e32 v[132:133], v[132:133], v[134:135]
	scratch_store_b64 off, v[132:133], off offset:16
.LBB127_19:
	s_wait_xcnt 0x0
	s_or_b32 exec_lo, exec_lo, s1
	s_wait_storecnt 0x0
	s_barrier_signal -1
	s_barrier_wait -1
	scratch_load_b64 v[132:133], off, off offset:24
	v_add_nc_u32_e32 v3, -1, v0
	s_mov_b32 s0, exec_lo
	s_wait_loadcnt 0x0
	ds_store_b64 v1, v[132:133]
	s_wait_dscnt 0x0
	s_barrier_signal -1
	s_barrier_wait -1
	v_cmpx_gt_u32_e32 3, v0
	s_cbranch_execz .LBB127_23
; %bb.20:
	v_mov_b64_e32 v[132:133], 0
	v_dual_add_nc_u32 v9, -1, v0 :: v_dual_mov_b32 v13, v2
	v_or_b32_e32 v11, 0x200, v2
	s_mov_b32 s1, 0
.LBB127_21:                             ; =>This Inner Loop Header: Depth=1
	scratch_load_b64 v[134:135], v13, off
	ds_load_b64 v[136:137], v11
	v_dual_add_nc_u32 v9, 1, v9 :: v_dual_add_nc_u32 v11, 8, v11
	s_wait_xcnt 0x0
	v_add_nc_u32_e32 v13, 8, v13
	s_delay_alu instid0(VALU_DEP_2)
	v_cmp_lt_u32_e32 vcc_lo, 1, v9
	s_or_b32 s1, vcc_lo, s1
	s_wait_loadcnt_dscnt 0x0
	v_fmac_f64_e32 v[132:133], v[134:135], v[136:137]
	s_and_not1_b32 exec_lo, exec_lo, s1
	s_cbranch_execnz .LBB127_21
; %bb.22:
	s_or_b32 exec_lo, exec_lo, s1
	v_mov_b32_e32 v9, 0
	ds_load_b64 v[134:135], v9 offset:24
	s_wait_dscnt 0x0
	v_mul_f64_e32 v[132:133], v[132:133], v[134:135]
	scratch_store_b64 off, v[132:133], off offset:24
.LBB127_23:
	s_wait_xcnt 0x0
	s_or_b32 exec_lo, exec_lo, s0
	s_wait_storecnt 0x0
	s_barrier_signal -1
	s_barrier_wait -1
	scratch_load_b64 v[132:133], off, off offset:32
	s_mov_b32 s0, exec_lo
	s_wait_loadcnt 0x0
	ds_store_b64 v1, v[132:133]
	s_wait_dscnt 0x0
	s_barrier_signal -1
	s_barrier_wait -1
	v_cmpx_gt_u32_e32 4, v0
	s_cbranch_execz .LBB127_27
; %bb.24:
	v_mov_b64_e32 v[132:133], 0
	v_dual_add_nc_u32 v9, -1, v0 :: v_dual_mov_b32 v13, v2
	v_or_b32_e32 v11, 0x200, v2
	s_mov_b32 s1, 0
.LBB127_25:                             ; =>This Inner Loop Header: Depth=1
	scratch_load_b64 v[134:135], v13, off
	ds_load_b64 v[136:137], v11
	v_dual_add_nc_u32 v9, 1, v9 :: v_dual_add_nc_u32 v11, 8, v11
	s_wait_xcnt 0x0
	v_add_nc_u32_e32 v13, 8, v13
	s_delay_alu instid0(VALU_DEP_2)
	v_cmp_lt_u32_e32 vcc_lo, 2, v9
	s_or_b32 s1, vcc_lo, s1
	s_wait_loadcnt_dscnt 0x0
	v_fmac_f64_e32 v[132:133], v[134:135], v[136:137]
	s_and_not1_b32 exec_lo, exec_lo, s1
	s_cbranch_execnz .LBB127_25
; %bb.26:
	s_or_b32 exec_lo, exec_lo, s1
	v_mov_b32_e32 v9, 0
	ds_load_b64 v[134:135], v9 offset:32
	s_wait_dscnt 0x0
	v_mul_f64_e32 v[132:133], v[132:133], v[134:135]
	scratch_store_b64 off, v[132:133], off offset:32
.LBB127_27:
	s_wait_xcnt 0x0
	s_or_b32 exec_lo, exec_lo, s0
	s_wait_storecnt 0x0
	s_barrier_signal -1
	s_barrier_wait -1
	scratch_load_b64 v[132:133], off, off offset:40
	;; [unrolled: 40-line block ×20, first 2 shown]
	s_mov_b32 s0, exec_lo
	s_wait_loadcnt 0x0
	ds_store_b64 v1, v[132:133]
	s_wait_dscnt 0x0
	s_barrier_signal -1
	s_barrier_wait -1
	v_cmpx_gt_u32_e32 23, v0
	s_cbranch_execz .LBB127_103
; %bb.100:
	v_mov_b64_e32 v[132:133], 0
	v_dual_add_nc_u32 v9, -1, v0 :: v_dual_mov_b32 v13, v2
	v_or_b32_e32 v11, 0x200, v2
	s_mov_b32 s1, 0
.LBB127_101:                            ; =>This Inner Loop Header: Depth=1
	scratch_load_b64 v[134:135], v13, off
	ds_load_b64 v[136:137], v11
	v_dual_add_nc_u32 v9, 1, v9 :: v_dual_add_nc_u32 v11, 8, v11
	s_wait_xcnt 0x0
	v_add_nc_u32_e32 v13, 8, v13
	s_delay_alu instid0(VALU_DEP_2)
	v_cmp_lt_u32_e32 vcc_lo, 21, v9
	s_or_b32 s1, vcc_lo, s1
	s_wait_loadcnt_dscnt 0x0
	v_fmac_f64_e32 v[132:133], v[134:135], v[136:137]
	s_and_not1_b32 exec_lo, exec_lo, s1
	s_cbranch_execnz .LBB127_101
; %bb.102:
	s_or_b32 exec_lo, exec_lo, s1
	v_mov_b32_e32 v9, 0
	ds_load_b64 v[134:135], v9 offset:184
	s_wait_dscnt 0x0
	v_mul_f64_e32 v[132:133], v[132:133], v[134:135]
	scratch_store_b64 off, v[132:133], off offset:184
.LBB127_103:
	s_wait_xcnt 0x0
	s_or_b32 exec_lo, exec_lo, s0
	s_wait_storecnt 0x0
	s_barrier_signal -1
	s_barrier_wait -1
	scratch_load_b64 v[132:133], off, off offset:192
	s_mov_b32 s0, exec_lo
	s_wait_loadcnt 0x0
	ds_store_b64 v1, v[132:133]
	s_wait_dscnt 0x0
	s_barrier_signal -1
	s_barrier_wait -1
	v_cmpx_gt_u32_e32 24, v0
	s_cbranch_execz .LBB127_107
; %bb.104:
	v_mov_b64_e32 v[132:133], 0
	v_dual_add_nc_u32 v9, -1, v0 :: v_dual_mov_b32 v13, v2
	v_or_b32_e32 v11, 0x200, v2
	s_mov_b32 s1, 0
.LBB127_105:                            ; =>This Inner Loop Header: Depth=1
	scratch_load_b64 v[134:135], v13, off
	ds_load_b64 v[136:137], v11
	v_dual_add_nc_u32 v9, 1, v9 :: v_dual_add_nc_u32 v11, 8, v11
	s_wait_xcnt 0x0
	v_add_nc_u32_e32 v13, 8, v13
	s_delay_alu instid0(VALU_DEP_2)
	v_cmp_lt_u32_e32 vcc_lo, 22, v9
	s_or_b32 s1, vcc_lo, s1
	s_wait_loadcnt_dscnt 0x0
	v_fmac_f64_e32 v[132:133], v[134:135], v[136:137]
	s_and_not1_b32 exec_lo, exec_lo, s1
	s_cbranch_execnz .LBB127_105
; %bb.106:
	s_or_b32 exec_lo, exec_lo, s1
	v_mov_b32_e32 v9, 0
	ds_load_b64 v[134:135], v9 offset:192
	s_wait_dscnt 0x0
	v_mul_f64_e32 v[132:133], v[132:133], v[134:135]
	scratch_store_b64 off, v[132:133], off offset:192
.LBB127_107:
	s_wait_xcnt 0x0
	s_or_b32 exec_lo, exec_lo, s0
	s_wait_storecnt 0x0
	s_barrier_signal -1
	s_barrier_wait -1
	scratch_load_b64 v[132:133], off, off offset:200
	;; [unrolled: 40-line block ×40, first 2 shown]
	s_mov_b32 s0, exec_lo
	s_wait_loadcnt 0x0
	ds_store_b64 v1, v[132:133]
	s_wait_dscnt 0x0
	s_barrier_signal -1
	s_barrier_wait -1
	v_cmpx_ne_u32_e32 63, v0
	s_cbranch_execz .LBB127_263
; %bb.260:
	v_mov_b64_e32 v[132:133], 0
	s_mov_b32 s1, 0
.LBB127_261:                            ; =>This Inner Loop Header: Depth=1
	scratch_load_b64 v[134:135], v2, off
	ds_load_b64 v[136:137], v1
	v_dual_add_nc_u32 v3, 1, v3 :: v_dual_add_nc_u32 v1, 8, v1
	s_wait_xcnt 0x0
	v_add_nc_u32_e32 v2, 8, v2
	s_delay_alu instid0(VALU_DEP_2)
	v_cmp_lt_u32_e32 vcc_lo, 61, v3
	s_or_b32 s1, vcc_lo, s1
	s_wait_loadcnt_dscnt 0x0
	v_fmac_f64_e32 v[132:133], v[134:135], v[136:137]
	s_and_not1_b32 exec_lo, exec_lo, s1
	s_cbranch_execnz .LBB127_261
; %bb.262:
	s_or_b32 exec_lo, exec_lo, s1
	v_mov_b32_e32 v1, 0
	ds_load_b64 v[2:3], v1 offset:504
	s_wait_dscnt 0x0
	v_mul_f64_e32 v[2:3], v[132:133], v[2:3]
	scratch_store_b64 off, v[2:3], off offset:504
.LBB127_263:
	s_wait_xcnt 0x0
	s_or_b32 exec_lo, exec_lo, s0
	s_mov_b32 s1, -1
	s_wait_storecnt 0x0
	s_barrier_signal -1
	s_barrier_wait -1
.LBB127_264:
	s_and_b32 vcc_lo, exec_lo, s1
	s_cbranch_vccz .LBB127_266
; %bb.265:
	v_mov_b32_e32 v1, 0
	s_lshl_b64 s[0:1], s[10:11], 2
	s_delay_alu instid0(SALU_CYCLE_1)
	s_add_nc_u64 s[0:1], s[6:7], s[0:1]
	global_load_b32 v1, v1, s[0:1]
	s_wait_loadcnt 0x0
	v_cmp_ne_u32_e32 vcc_lo, 0, v1
	s_cbranch_vccz .LBB127_267
.LBB127_266:
	s_sendmsg sendmsg(MSG_DEALLOC_VGPRS)
	s_endpgm
.LBB127_267:
	s_wait_xcnt 0x0
	v_lshl_or_b32 v1, v0, 3, 0x200
	s_mov_b32 s0, exec_lo
	v_cmpx_eq_u32_e32 63, v0
	s_cbranch_execz .LBB127_269
; %bb.268:
	scratch_load_b64 v[2:3], off, off offset:496
	v_mov_b64_e32 v[132:133], 0
	scratch_store_b64 off, v[132:133], off offset:496
	s_wait_loadcnt 0x0
	ds_store_b64 v1, v[2:3]
.LBB127_269:
	s_wait_xcnt 0x0
	s_or_b32 exec_lo, exec_lo, s0
	s_wait_storecnt_dscnt 0x0
	s_barrier_signal -1
	s_barrier_wait -1
	scratch_load_b128 v[132:135], off, off offset:496
	v_mov_b32_e32 v2, 0
	s_mov_b32 s0, exec_lo
	ds_load_b64 v[136:137], v2 offset:1016
	s_wait_loadcnt_dscnt 0x0
	v_fma_f64 v[134:135], v[134:135], v[136:137], 0
	s_delay_alu instid0(VALU_DEP_1)
	v_add_f64_e64 v[132:133], v[132:133], -v[134:135]
	scratch_store_b64 off, v[132:133], off offset:496
	s_wait_xcnt 0x0
	v_cmpx_lt_u32_e32 61, v0
	s_cbranch_execz .LBB127_271
; %bb.270:
	scratch_load_b64 v[132:133], off, off offset:488
	v_mov_b64_e32 v[134:135], 0
	scratch_store_b64 off, v[134:135], off offset:488
	s_wait_loadcnt 0x0
	ds_store_b64 v1, v[132:133]
.LBB127_271:
	s_wait_xcnt 0x0
	s_or_b32 exec_lo, exec_lo, s0
	s_wait_storecnt_dscnt 0x0
	s_barrier_signal -1
	s_barrier_wait -1
	s_clause 0x1
	scratch_load_b128 v[132:135], off, off offset:488
	scratch_load_b64 v[140:141], off, off offset:504
	ds_load_b128 v[136:139], v2 offset:1008
	s_mov_b32 s0, exec_lo
	s_wait_loadcnt_dscnt 0x100
	v_fma_f64 v[2:3], v[134:135], v[136:137], 0
	s_wait_loadcnt 0x0
	s_delay_alu instid0(VALU_DEP_1) | instskip(NEXT) | instid1(VALU_DEP_1)
	v_fmac_f64_e32 v[2:3], v[140:141], v[138:139]
	v_add_f64_e64 v[2:3], v[132:133], -v[2:3]
	scratch_store_b64 off, v[2:3], off offset:488
	s_wait_xcnt 0x0
	v_cmpx_lt_u32_e32 60, v0
	s_cbranch_execz .LBB127_273
; %bb.272:
	scratch_load_b64 v[2:3], off, off offset:480
	v_mov_b64_e32 v[132:133], 0
	scratch_store_b64 off, v[132:133], off offset:480
	s_wait_loadcnt 0x0
	ds_store_b64 v1, v[2:3]
.LBB127_273:
	s_wait_xcnt 0x0
	s_or_b32 exec_lo, exec_lo, s0
	s_wait_storecnt_dscnt 0x0
	s_barrier_signal -1
	s_barrier_wait -1
	s_clause 0x1
	scratch_load_b128 v[132:135], off, off offset:480
	scratch_load_b128 v[136:139], off, off offset:496
	v_mov_b32_e32 v2, 0
	ds_load_2addr_b64 v[140:143], v2 offset0:125 offset1:126
	ds_load_b64 v[144:145], v2 offset:1016
	s_mov_b32 s0, exec_lo
	s_wait_loadcnt_dscnt 0x101
	v_fma_f64 v[134:135], v[134:135], v[140:141], 0
	s_wait_loadcnt 0x0
	s_delay_alu instid0(VALU_DEP_1) | instskip(SKIP_1) | instid1(VALU_DEP_1)
	v_fmac_f64_e32 v[134:135], v[136:137], v[142:143]
	s_wait_dscnt 0x0
	v_fmac_f64_e32 v[134:135], v[138:139], v[144:145]
	s_delay_alu instid0(VALU_DEP_1)
	v_add_f64_e64 v[132:133], v[132:133], -v[134:135]
	scratch_store_b64 off, v[132:133], off offset:480
	s_wait_xcnt 0x0
	v_cmpx_lt_u32_e32 59, v0
	s_cbranch_execz .LBB127_275
; %bb.274:
	scratch_load_b64 v[132:133], off, off offset:472
	v_mov_b64_e32 v[134:135], 0
	scratch_store_b64 off, v[134:135], off offset:472
	s_wait_loadcnt 0x0
	ds_store_b64 v1, v[132:133]
.LBB127_275:
	s_wait_xcnt 0x0
	s_or_b32 exec_lo, exec_lo, s0
	s_wait_storecnt_dscnt 0x0
	s_barrier_signal -1
	s_barrier_wait -1
	s_clause 0x2
	scratch_load_b128 v[132:135], off, off offset:472
	scratch_load_b128 v[136:139], off, off offset:488
	scratch_load_b64 v[148:149], off, off offset:504
	ds_load_b128 v[140:143], v2 offset:992
	ds_load_b128 v[144:147], v2 offset:1008
	s_mov_b32 s0, exec_lo
	s_wait_loadcnt_dscnt 0x201
	v_fma_f64 v[2:3], v[134:135], v[140:141], 0
	s_wait_loadcnt 0x1
	s_delay_alu instid0(VALU_DEP_1) | instskip(SKIP_1) | instid1(VALU_DEP_1)
	v_fmac_f64_e32 v[2:3], v[136:137], v[142:143]
	s_wait_dscnt 0x0
	v_fmac_f64_e32 v[2:3], v[138:139], v[144:145]
	s_wait_loadcnt 0x0
	s_delay_alu instid0(VALU_DEP_1) | instskip(NEXT) | instid1(VALU_DEP_1)
	v_fmac_f64_e32 v[2:3], v[148:149], v[146:147]
	v_add_f64_e64 v[2:3], v[132:133], -v[2:3]
	scratch_store_b64 off, v[2:3], off offset:472
	s_wait_xcnt 0x0
	v_cmpx_lt_u32_e32 58, v0
	s_cbranch_execz .LBB127_277
; %bb.276:
	scratch_load_b64 v[2:3], off, off offset:464
	v_mov_b64_e32 v[132:133], 0
	scratch_store_b64 off, v[132:133], off offset:464
	s_wait_loadcnt 0x0
	ds_store_b64 v1, v[2:3]
.LBB127_277:
	s_wait_xcnt 0x0
	s_or_b32 exec_lo, exec_lo, s0
	s_wait_storecnt_dscnt 0x0
	s_barrier_signal -1
	s_barrier_wait -1
	s_clause 0x2
	scratch_load_b128 v[132:135], off, off offset:464
	scratch_load_b128 v[136:139], off, off offset:480
	;; [unrolled: 1-line block ×3, first 2 shown]
	v_mov_b32_e32 v2, 0
	ds_load_2addr_b64 v[144:147], v2 offset0:123 offset1:124
	ds_load_2addr_b64 v[148:151], v2 offset0:125 offset1:126
	s_mov_b32 s0, exec_lo
	s_wait_loadcnt_dscnt 0x201
	v_fma_f64 v[134:135], v[134:135], v[144:145], 0
	s_wait_loadcnt 0x1
	s_delay_alu instid0(VALU_DEP_1) | instskip(SKIP_4) | instid1(VALU_DEP_1)
	v_fmac_f64_e32 v[134:135], v[136:137], v[146:147]
	ds_load_b64 v[136:137], v2 offset:1016
	s_wait_dscnt 0x1
	v_fmac_f64_e32 v[134:135], v[138:139], v[148:149]
	s_wait_loadcnt 0x0
	v_fmac_f64_e32 v[134:135], v[140:141], v[150:151]
	s_wait_dscnt 0x0
	s_delay_alu instid0(VALU_DEP_1) | instskip(NEXT) | instid1(VALU_DEP_1)
	v_fmac_f64_e32 v[134:135], v[142:143], v[136:137]
	v_add_f64_e64 v[132:133], v[132:133], -v[134:135]
	scratch_store_b64 off, v[132:133], off offset:464
	s_wait_xcnt 0x0
	v_cmpx_lt_u32_e32 57, v0
	s_cbranch_execz .LBB127_279
; %bb.278:
	scratch_load_b64 v[132:133], off, off offset:456
	v_mov_b64_e32 v[134:135], 0
	scratch_store_b64 off, v[134:135], off offset:456
	s_wait_loadcnt 0x0
	ds_store_b64 v1, v[132:133]
.LBB127_279:
	s_wait_xcnt 0x0
	s_or_b32 exec_lo, exec_lo, s0
	s_wait_storecnt_dscnt 0x0
	s_barrier_signal -1
	s_barrier_wait -1
	s_clause 0x3
	scratch_load_b128 v[132:135], off, off offset:456
	scratch_load_b128 v[136:139], off, off offset:472
	scratch_load_b128 v[140:143], off, off offset:488
	scratch_load_b64 v[152:153], off, off offset:504
	ds_load_b128 v[144:147], v2 offset:976
	ds_load_b128 v[148:151], v2 offset:992
	s_mov_b32 s0, exec_lo
	s_wait_loadcnt_dscnt 0x301
	v_fma_f64 v[144:145], v[134:135], v[144:145], 0
	s_wait_loadcnt 0x2
	s_delay_alu instid0(VALU_DEP_1) | instskip(SKIP_4) | instid1(VALU_DEP_1)
	v_fmac_f64_e32 v[144:145], v[136:137], v[146:147]
	ds_load_b128 v[134:137], v2 offset:1008
	s_wait_dscnt 0x1
	v_fmac_f64_e32 v[144:145], v[138:139], v[148:149]
	s_wait_loadcnt 0x1
	v_fmac_f64_e32 v[144:145], v[140:141], v[150:151]
	s_wait_dscnt 0x0
	s_delay_alu instid0(VALU_DEP_1) | instskip(SKIP_1) | instid1(VALU_DEP_1)
	v_fmac_f64_e32 v[144:145], v[142:143], v[134:135]
	s_wait_loadcnt 0x0
	v_fmac_f64_e32 v[144:145], v[152:153], v[136:137]
	s_delay_alu instid0(VALU_DEP_1)
	v_add_f64_e64 v[2:3], v[132:133], -v[144:145]
	scratch_store_b64 off, v[2:3], off offset:456
	s_wait_xcnt 0x0
	v_cmpx_lt_u32_e32 56, v0
	s_cbranch_execz .LBB127_281
; %bb.280:
	scratch_load_b64 v[2:3], off, off offset:448
	v_mov_b64_e32 v[132:133], 0
	scratch_store_b64 off, v[132:133], off offset:448
	s_wait_loadcnt 0x0
	ds_store_b64 v1, v[2:3]
.LBB127_281:
	s_wait_xcnt 0x0
	s_or_b32 exec_lo, exec_lo, s0
	s_wait_storecnt_dscnt 0x0
	s_barrier_signal -1
	s_barrier_wait -1
	s_clause 0x3
	scratch_load_b128 v[132:135], off, off offset:448
	scratch_load_b128 v[136:139], off, off offset:464
	;; [unrolled: 1-line block ×4, first 2 shown]
	v_mov_b32_e32 v2, 0
	ds_load_2addr_b64 v[148:151], v2 offset0:121 offset1:122
	ds_load_2addr_b64 v[152:155], v2 offset0:123 offset1:124
	s_mov_b32 s0, exec_lo
	s_wait_loadcnt_dscnt 0x301
	v_fma_f64 v[148:149], v[134:135], v[148:149], 0
	s_wait_loadcnt 0x2
	s_delay_alu instid0(VALU_DEP_1) | instskip(SKIP_1) | instid1(VALU_DEP_1)
	v_fmac_f64_e32 v[148:149], v[136:137], v[150:151]
	s_wait_dscnt 0x0
	v_fmac_f64_e32 v[148:149], v[138:139], v[152:153]
	ds_load_2addr_b64 v[134:137], v2 offset0:125 offset1:126
	ds_load_b64 v[138:139], v2 offset:1016
	s_wait_loadcnt 0x1
	v_fmac_f64_e32 v[148:149], v[140:141], v[154:155]
	s_wait_dscnt 0x1
	s_delay_alu instid0(VALU_DEP_1) | instskip(SKIP_1) | instid1(VALU_DEP_1)
	v_fmac_f64_e32 v[148:149], v[142:143], v[134:135]
	s_wait_loadcnt 0x0
	v_fmac_f64_e32 v[148:149], v[144:145], v[136:137]
	s_wait_dscnt 0x0
	s_delay_alu instid0(VALU_DEP_1) | instskip(NEXT) | instid1(VALU_DEP_1)
	v_fmac_f64_e32 v[148:149], v[146:147], v[138:139]
	v_add_f64_e64 v[132:133], v[132:133], -v[148:149]
	scratch_store_b64 off, v[132:133], off offset:448
	s_wait_xcnt 0x0
	v_cmpx_lt_u32_e32 55, v0
	s_cbranch_execz .LBB127_283
; %bb.282:
	scratch_load_b64 v[132:133], off, off offset:440
	v_mov_b64_e32 v[134:135], 0
	scratch_store_b64 off, v[134:135], off offset:440
	s_wait_loadcnt 0x0
	ds_store_b64 v1, v[132:133]
.LBB127_283:
	s_wait_xcnt 0x0
	s_or_b32 exec_lo, exec_lo, s0
	s_wait_storecnt_dscnt 0x0
	s_barrier_signal -1
	s_barrier_wait -1
	s_clause 0x4
	scratch_load_b128 v[132:135], off, off offset:440
	scratch_load_b128 v[136:139], off, off offset:456
	;; [unrolled: 1-line block ×4, first 2 shown]
	scratch_load_b64 v[156:157], off, off offset:504
	ds_load_b128 v[148:151], v2 offset:960
	ds_load_b128 v[152:155], v2 offset:976
	s_mov_b32 s0, exec_lo
	s_wait_loadcnt_dscnt 0x401
	v_fma_f64 v[148:149], v[134:135], v[148:149], 0
	s_wait_loadcnt 0x3
	s_delay_alu instid0(VALU_DEP_1) | instskip(SKIP_1) | instid1(VALU_DEP_1)
	v_fmac_f64_e32 v[148:149], v[136:137], v[150:151]
	s_wait_dscnt 0x0
	v_fmac_f64_e32 v[148:149], v[138:139], v[152:153]
	s_wait_loadcnt 0x2
	s_delay_alu instid0(VALU_DEP_1)
	v_fmac_f64_e32 v[148:149], v[140:141], v[154:155]
	ds_load_b128 v[134:137], v2 offset:992
	ds_load_b128 v[138:141], v2 offset:1008
	s_wait_dscnt 0x1
	v_fmac_f64_e32 v[148:149], v[142:143], v[134:135]
	s_wait_loadcnt 0x1
	s_delay_alu instid0(VALU_DEP_1) | instskip(SKIP_1) | instid1(VALU_DEP_1)
	v_fmac_f64_e32 v[148:149], v[144:145], v[136:137]
	s_wait_dscnt 0x0
	v_fmac_f64_e32 v[148:149], v[146:147], v[138:139]
	s_wait_loadcnt 0x0
	s_delay_alu instid0(VALU_DEP_1) | instskip(NEXT) | instid1(VALU_DEP_1)
	v_fmac_f64_e32 v[148:149], v[156:157], v[140:141]
	v_add_f64_e64 v[2:3], v[132:133], -v[148:149]
	scratch_store_b64 off, v[2:3], off offset:440
	s_wait_xcnt 0x0
	v_cmpx_lt_u32_e32 54, v0
	s_cbranch_execz .LBB127_285
; %bb.284:
	scratch_load_b64 v[2:3], off, off offset:432
	v_mov_b64_e32 v[132:133], 0
	scratch_store_b64 off, v[132:133], off offset:432
	s_wait_loadcnt 0x0
	ds_store_b64 v1, v[2:3]
.LBB127_285:
	s_wait_xcnt 0x0
	s_or_b32 exec_lo, exec_lo, s0
	s_wait_storecnt_dscnt 0x0
	s_barrier_signal -1
	s_barrier_wait -1
	s_clause 0x4
	scratch_load_b128 v[132:135], off, off offset:432
	scratch_load_b128 v[136:139], off, off offset:448
	;; [unrolled: 1-line block ×5, first 2 shown]
	v_mov_b32_e32 v2, 0
	ds_load_2addr_b64 v[152:155], v2 offset0:119 offset1:120
	ds_load_2addr_b64 v[156:159], v2 offset0:121 offset1:122
	s_mov_b32 s0, exec_lo
	s_wait_loadcnt_dscnt 0x401
	v_fma_f64 v[152:153], v[134:135], v[152:153], 0
	s_wait_loadcnt 0x3
	s_delay_alu instid0(VALU_DEP_1) | instskip(SKIP_1) | instid1(VALU_DEP_1)
	v_fmac_f64_e32 v[152:153], v[136:137], v[154:155]
	s_wait_dscnt 0x0
	v_fmac_f64_e32 v[152:153], v[138:139], v[156:157]
	s_wait_loadcnt 0x2
	s_delay_alu instid0(VALU_DEP_1)
	v_fmac_f64_e32 v[152:153], v[140:141], v[158:159]
	ds_load_2addr_b64 v[134:137], v2 offset0:123 offset1:124
	ds_load_2addr_b64 v[138:141], v2 offset0:125 offset1:126
	s_wait_dscnt 0x1
	v_fmac_f64_e32 v[152:153], v[142:143], v[134:135]
	ds_load_b64 v[134:135], v2 offset:1016
	s_wait_loadcnt 0x1
	v_fmac_f64_e32 v[152:153], v[144:145], v[136:137]
	s_wait_dscnt 0x1
	s_delay_alu instid0(VALU_DEP_1) | instskip(SKIP_1) | instid1(VALU_DEP_1)
	v_fmac_f64_e32 v[152:153], v[146:147], v[138:139]
	s_wait_loadcnt 0x0
	v_fmac_f64_e32 v[152:153], v[148:149], v[140:141]
	s_wait_dscnt 0x0
	s_delay_alu instid0(VALU_DEP_1) | instskip(NEXT) | instid1(VALU_DEP_1)
	v_fmac_f64_e32 v[152:153], v[150:151], v[134:135]
	v_add_f64_e64 v[132:133], v[132:133], -v[152:153]
	scratch_store_b64 off, v[132:133], off offset:432
	s_wait_xcnt 0x0
	v_cmpx_lt_u32_e32 53, v0
	s_cbranch_execz .LBB127_287
; %bb.286:
	scratch_load_b64 v[132:133], off, off offset:424
	v_mov_b64_e32 v[134:135], 0
	scratch_store_b64 off, v[134:135], off offset:424
	s_wait_loadcnt 0x0
	ds_store_b64 v1, v[132:133]
.LBB127_287:
	s_wait_xcnt 0x0
	s_or_b32 exec_lo, exec_lo, s0
	s_wait_storecnt_dscnt 0x0
	s_barrier_signal -1
	s_barrier_wait -1
	s_clause 0x5
	scratch_load_b128 v[132:135], off, off offset:424
	scratch_load_b128 v[136:139], off, off offset:440
	;; [unrolled: 1-line block ×5, first 2 shown]
	scratch_load_b64 v[160:161], off, off offset:504
	ds_load_b128 v[152:155], v2 offset:944
	ds_load_b128 v[156:159], v2 offset:960
	s_mov_b32 s0, exec_lo
	s_wait_loadcnt_dscnt 0x501
	v_fma_f64 v[152:153], v[134:135], v[152:153], 0
	s_wait_loadcnt 0x4
	s_delay_alu instid0(VALU_DEP_1) | instskip(SKIP_1) | instid1(VALU_DEP_1)
	v_fmac_f64_e32 v[152:153], v[136:137], v[154:155]
	s_wait_dscnt 0x0
	v_fmac_f64_e32 v[152:153], v[138:139], v[156:157]
	s_wait_loadcnt 0x3
	s_delay_alu instid0(VALU_DEP_1)
	v_fmac_f64_e32 v[152:153], v[140:141], v[158:159]
	ds_load_b128 v[134:137], v2 offset:976
	ds_load_b128 v[138:141], v2 offset:992
	s_wait_dscnt 0x1
	v_fmac_f64_e32 v[152:153], v[142:143], v[134:135]
	s_wait_loadcnt 0x2
	s_delay_alu instid0(VALU_DEP_1) | instskip(SKIP_4) | instid1(VALU_DEP_1)
	v_fmac_f64_e32 v[152:153], v[144:145], v[136:137]
	ds_load_b128 v[134:137], v2 offset:1008
	s_wait_dscnt 0x1
	v_fmac_f64_e32 v[152:153], v[146:147], v[138:139]
	s_wait_loadcnt 0x1
	v_fmac_f64_e32 v[152:153], v[148:149], v[140:141]
	s_wait_dscnt 0x0
	s_delay_alu instid0(VALU_DEP_1) | instskip(SKIP_1) | instid1(VALU_DEP_1)
	v_fmac_f64_e32 v[152:153], v[150:151], v[134:135]
	s_wait_loadcnt 0x0
	v_fmac_f64_e32 v[152:153], v[160:161], v[136:137]
	s_delay_alu instid0(VALU_DEP_1)
	v_add_f64_e64 v[2:3], v[132:133], -v[152:153]
	scratch_store_b64 off, v[2:3], off offset:424
	s_wait_xcnt 0x0
	v_cmpx_lt_u32_e32 52, v0
	s_cbranch_execz .LBB127_289
; %bb.288:
	scratch_load_b64 v[2:3], off, off offset:416
	v_mov_b64_e32 v[132:133], 0
	scratch_store_b64 off, v[132:133], off offset:416
	s_wait_loadcnt 0x0
	ds_store_b64 v1, v[2:3]
.LBB127_289:
	s_wait_xcnt 0x0
	s_or_b32 exec_lo, exec_lo, s0
	s_wait_storecnt_dscnt 0x0
	s_barrier_signal -1
	s_barrier_wait -1
	s_clause 0x5
	scratch_load_b128 v[132:135], off, off offset:416
	scratch_load_b128 v[136:139], off, off offset:432
	;; [unrolled: 1-line block ×6, first 2 shown]
	v_mov_b32_e32 v2, 0
	ds_load_2addr_b64 v[156:159], v2 offset0:117 offset1:118
	ds_load_2addr_b64 v[160:163], v2 offset0:119 offset1:120
	s_mov_b32 s0, exec_lo
	s_wait_loadcnt_dscnt 0x501
	v_fma_f64 v[156:157], v[134:135], v[156:157], 0
	s_wait_loadcnt 0x4
	s_delay_alu instid0(VALU_DEP_1) | instskip(SKIP_1) | instid1(VALU_DEP_1)
	v_fmac_f64_e32 v[156:157], v[136:137], v[158:159]
	s_wait_dscnt 0x0
	v_fmac_f64_e32 v[156:157], v[138:139], v[160:161]
	s_wait_loadcnt 0x3
	s_delay_alu instid0(VALU_DEP_1)
	v_fmac_f64_e32 v[156:157], v[140:141], v[162:163]
	ds_load_2addr_b64 v[134:137], v2 offset0:121 offset1:122
	ds_load_2addr_b64 v[138:141], v2 offset0:123 offset1:124
	s_wait_dscnt 0x1
	v_fmac_f64_e32 v[156:157], v[142:143], v[134:135]
	s_wait_loadcnt 0x2
	s_delay_alu instid0(VALU_DEP_1) | instskip(SKIP_1) | instid1(VALU_DEP_1)
	v_fmac_f64_e32 v[156:157], v[144:145], v[136:137]
	s_wait_dscnt 0x0
	v_fmac_f64_e32 v[156:157], v[146:147], v[138:139]
	ds_load_2addr_b64 v[134:137], v2 offset0:125 offset1:126
	ds_load_b64 v[138:139], v2 offset:1016
	s_wait_loadcnt 0x1
	v_fmac_f64_e32 v[156:157], v[148:149], v[140:141]
	s_wait_dscnt 0x1
	s_delay_alu instid0(VALU_DEP_1) | instskip(SKIP_1) | instid1(VALU_DEP_1)
	v_fmac_f64_e32 v[156:157], v[150:151], v[134:135]
	s_wait_loadcnt 0x0
	v_fmac_f64_e32 v[156:157], v[152:153], v[136:137]
	s_wait_dscnt 0x0
	s_delay_alu instid0(VALU_DEP_1) | instskip(NEXT) | instid1(VALU_DEP_1)
	v_fmac_f64_e32 v[156:157], v[154:155], v[138:139]
	v_add_f64_e64 v[132:133], v[132:133], -v[156:157]
	scratch_store_b64 off, v[132:133], off offset:416
	s_wait_xcnt 0x0
	v_cmpx_lt_u32_e32 51, v0
	s_cbranch_execz .LBB127_291
; %bb.290:
	scratch_load_b64 v[132:133], off, off offset:408
	v_mov_b64_e32 v[134:135], 0
	scratch_store_b64 off, v[134:135], off offset:408
	s_wait_loadcnt 0x0
	ds_store_b64 v1, v[132:133]
.LBB127_291:
	s_wait_xcnt 0x0
	s_or_b32 exec_lo, exec_lo, s0
	s_wait_storecnt_dscnt 0x0
	s_barrier_signal -1
	s_barrier_wait -1
	s_clause 0x5
	scratch_load_b128 v[132:135], off, off offset:408
	scratch_load_b128 v[136:139], off, off offset:424
	;; [unrolled: 1-line block ×6, first 2 shown]
	ds_load_b128 v[156:159], v2 offset:928
	ds_load_b128 v[160:163], v2 offset:944
	s_mov_b32 s0, exec_lo
	s_wait_loadcnt_dscnt 0x501
	v_fma_f64 v[156:157], v[134:135], v[156:157], 0
	s_wait_loadcnt 0x4
	s_delay_alu instid0(VALU_DEP_1) | instskip(SKIP_4) | instid1(VALU_DEP_1)
	v_fmac_f64_e32 v[156:157], v[136:137], v[158:159]
	scratch_load_b64 v[158:159], off, off offset:504
	s_wait_dscnt 0x0
	v_fmac_f64_e32 v[156:157], v[138:139], v[160:161]
	s_wait_loadcnt 0x4
	v_fmac_f64_e32 v[156:157], v[140:141], v[162:163]
	ds_load_b128 v[134:137], v2 offset:960
	ds_load_b128 v[138:141], v2 offset:976
	s_wait_dscnt 0x1
	v_fmac_f64_e32 v[156:157], v[142:143], v[134:135]
	s_wait_loadcnt 0x3
	s_delay_alu instid0(VALU_DEP_1) | instskip(SKIP_1) | instid1(VALU_DEP_1)
	v_fmac_f64_e32 v[156:157], v[144:145], v[136:137]
	s_wait_dscnt 0x0
	v_fmac_f64_e32 v[156:157], v[146:147], v[138:139]
	s_wait_loadcnt 0x2
	s_delay_alu instid0(VALU_DEP_1)
	v_fmac_f64_e32 v[156:157], v[148:149], v[140:141]
	ds_load_b128 v[134:137], v2 offset:992
	ds_load_b128 v[138:141], v2 offset:1008
	s_wait_dscnt 0x1
	v_fmac_f64_e32 v[156:157], v[150:151], v[134:135]
	s_wait_loadcnt 0x1
	s_delay_alu instid0(VALU_DEP_1) | instskip(SKIP_1) | instid1(VALU_DEP_1)
	v_fmac_f64_e32 v[156:157], v[152:153], v[136:137]
	s_wait_dscnt 0x0
	v_fmac_f64_e32 v[156:157], v[154:155], v[138:139]
	s_wait_loadcnt 0x0
	s_delay_alu instid0(VALU_DEP_1) | instskip(NEXT) | instid1(VALU_DEP_1)
	v_fmac_f64_e32 v[156:157], v[158:159], v[140:141]
	v_add_f64_e64 v[2:3], v[132:133], -v[156:157]
	scratch_store_b64 off, v[2:3], off offset:408
	s_wait_xcnt 0x0
	v_cmpx_lt_u32_e32 50, v0
	s_cbranch_execz .LBB127_293
; %bb.292:
	scratch_load_b64 v[2:3], off, off offset:400
	v_mov_b64_e32 v[132:133], 0
	scratch_store_b64 off, v[132:133], off offset:400
	s_wait_loadcnt 0x0
	ds_store_b64 v1, v[2:3]
.LBB127_293:
	s_wait_xcnt 0x0
	s_or_b32 exec_lo, exec_lo, s0
	s_wait_storecnt_dscnt 0x0
	s_barrier_signal -1
	s_barrier_wait -1
	s_clause 0x5
	scratch_load_b128 v[132:135], off, off offset:400
	scratch_load_b128 v[136:139], off, off offset:416
	;; [unrolled: 1-line block ×6, first 2 shown]
	v_mov_b32_e32 v2, 0
	ds_load_2addr_b64 v[156:159], v2 offset0:115 offset1:116
	ds_load_2addr_b64 v[160:163], v2 offset0:117 offset1:118
	s_mov_b32 s0, exec_lo
	s_wait_loadcnt_dscnt 0x501
	v_fma_f64 v[164:165], v[134:135], v[156:157], 0
	s_wait_loadcnt 0x4
	s_delay_alu instid0(VALU_DEP_1) | instskip(SKIP_4) | instid1(VALU_DEP_1)
	v_fmac_f64_e32 v[164:165], v[136:137], v[158:159]
	scratch_load_b128 v[134:137], off, off offset:496
	s_wait_dscnt 0x0
	v_fmac_f64_e32 v[164:165], v[138:139], v[160:161]
	s_wait_loadcnt 0x4
	v_fmac_f64_e32 v[164:165], v[140:141], v[162:163]
	ds_load_2addr_b64 v[138:141], v2 offset0:119 offset1:120
	ds_load_2addr_b64 v[156:159], v2 offset0:121 offset1:122
	s_wait_dscnt 0x1
	v_fmac_f64_e32 v[164:165], v[142:143], v[138:139]
	s_wait_loadcnt 0x3
	s_delay_alu instid0(VALU_DEP_1)
	v_fmac_f64_e32 v[164:165], v[144:145], v[140:141]
	ds_load_2addr_b64 v[138:141], v2 offset0:123 offset1:124
	ds_load_2addr_b64 v[142:145], v2 offset0:125 offset1:126
	s_wait_dscnt 0x2
	v_fmac_f64_e32 v[164:165], v[146:147], v[156:157]
	s_wait_loadcnt 0x2
	s_delay_alu instid0(VALU_DEP_1) | instskip(SKIP_1) | instid1(VALU_DEP_1)
	v_fmac_f64_e32 v[164:165], v[148:149], v[158:159]
	s_wait_dscnt 0x1
	v_fmac_f64_e32 v[164:165], v[150:151], v[138:139]
	s_wait_loadcnt 0x1
	s_delay_alu instid0(VALU_DEP_1) | instskip(SKIP_1) | instid1(VALU_DEP_1)
	v_fmac_f64_e32 v[164:165], v[152:153], v[140:141]
	s_wait_dscnt 0x0
	v_fmac_f64_e32 v[164:165], v[154:155], v[142:143]
	s_wait_loadcnt 0x0
	s_delay_alu instid0(VALU_DEP_1) | instskip(SKIP_3) | instid1(VALU_DEP_1)
	v_fmac_f64_e32 v[164:165], v[134:135], v[144:145]
	ds_load_b64 v[134:135], v2 offset:1016
	s_wait_dscnt 0x0
	v_fmac_f64_e32 v[164:165], v[136:137], v[134:135]
	v_add_f64_e64 v[132:133], v[132:133], -v[164:165]
	scratch_store_b64 off, v[132:133], off offset:400
	s_wait_xcnt 0x0
	v_cmpx_lt_u32_e32 49, v0
	s_cbranch_execz .LBB127_295
; %bb.294:
	scratch_load_b64 v[132:133], off, off offset:392
	v_mov_b64_e32 v[134:135], 0
	scratch_store_b64 off, v[134:135], off offset:392
	s_wait_loadcnt 0x0
	ds_store_b64 v1, v[132:133]
.LBB127_295:
	s_wait_xcnt 0x0
	s_or_b32 exec_lo, exec_lo, s0
	s_wait_storecnt_dscnt 0x0
	s_barrier_signal -1
	s_barrier_wait -1
	s_clause 0x5
	scratch_load_b128 v[132:135], off, off offset:392
	scratch_load_b128 v[136:139], off, off offset:408
	;; [unrolled: 1-line block ×6, first 2 shown]
	ds_load_b128 v[156:159], v2 offset:912
	ds_load_b128 v[160:163], v2 offset:928
	s_mov_b32 s0, exec_lo
	s_wait_loadcnt_dscnt 0x501
	v_fma_f64 v[164:165], v[134:135], v[156:157], 0
	s_wait_loadcnt 0x4
	s_delay_alu instid0(VALU_DEP_1)
	v_fmac_f64_e32 v[164:165], v[136:137], v[158:159]
	scratch_load_b128 v[134:137], off, off offset:488
	s_wait_dscnt 0x0
	v_fmac_f64_e32 v[164:165], v[138:139], v[160:161]
	scratch_load_b64 v[160:161], off, off offset:504
	s_wait_loadcnt 0x5
	v_fmac_f64_e32 v[164:165], v[140:141], v[162:163]
	ds_load_b128 v[138:141], v2 offset:944
	ds_load_b128 v[156:159], v2 offset:960
	s_wait_dscnt 0x1
	v_fmac_f64_e32 v[164:165], v[142:143], v[138:139]
	s_wait_loadcnt 0x4
	s_delay_alu instid0(VALU_DEP_1)
	v_fmac_f64_e32 v[164:165], v[144:145], v[140:141]
	ds_load_b128 v[138:141], v2 offset:976
	ds_load_b128 v[142:145], v2 offset:992
	s_wait_dscnt 0x2
	v_fmac_f64_e32 v[164:165], v[146:147], v[156:157]
	s_wait_loadcnt 0x3
	s_delay_alu instid0(VALU_DEP_1) | instskip(SKIP_1) | instid1(VALU_DEP_1)
	v_fmac_f64_e32 v[164:165], v[148:149], v[158:159]
	s_wait_dscnt 0x1
	v_fmac_f64_e32 v[164:165], v[150:151], v[138:139]
	s_wait_loadcnt 0x2
	s_delay_alu instid0(VALU_DEP_1) | instskip(SKIP_4) | instid1(VALU_DEP_1)
	v_fmac_f64_e32 v[164:165], v[152:153], v[140:141]
	ds_load_b128 v[138:141], v2 offset:1008
	s_wait_dscnt 0x1
	v_fmac_f64_e32 v[164:165], v[154:155], v[142:143]
	s_wait_loadcnt 0x1
	v_fmac_f64_e32 v[164:165], v[134:135], v[144:145]
	s_wait_dscnt 0x0
	s_delay_alu instid0(VALU_DEP_1) | instskip(SKIP_1) | instid1(VALU_DEP_1)
	v_fmac_f64_e32 v[164:165], v[136:137], v[138:139]
	s_wait_loadcnt 0x0
	v_fmac_f64_e32 v[164:165], v[160:161], v[140:141]
	s_delay_alu instid0(VALU_DEP_1)
	v_add_f64_e64 v[2:3], v[132:133], -v[164:165]
	scratch_store_b64 off, v[2:3], off offset:392
	s_wait_xcnt 0x0
	v_cmpx_lt_u32_e32 48, v0
	s_cbranch_execz .LBB127_297
; %bb.296:
	scratch_load_b64 v[2:3], off, off offset:384
	v_mov_b64_e32 v[132:133], 0
	scratch_store_b64 off, v[132:133], off offset:384
	s_wait_loadcnt 0x0
	ds_store_b64 v1, v[2:3]
.LBB127_297:
	s_wait_xcnt 0x0
	s_or_b32 exec_lo, exec_lo, s0
	s_wait_storecnt_dscnt 0x0
	s_barrier_signal -1
	s_barrier_wait -1
	s_clause 0x5
	scratch_load_b128 v[132:135], off, off offset:384
	scratch_load_b128 v[136:139], off, off offset:400
	scratch_load_b128 v[140:143], off, off offset:416
	scratch_load_b128 v[144:147], off, off offset:432
	scratch_load_b128 v[148:151], off, off offset:448
	scratch_load_b128 v[152:155], off, off offset:464
	v_mov_b32_e32 v2, 0
	ds_load_2addr_b64 v[156:159], v2 offset0:113 offset1:114
	ds_load_2addr_b64 v[160:163], v2 offset0:115 offset1:116
	s_mov_b32 s0, exec_lo
	s_wait_loadcnt_dscnt 0x501
	v_fma_f64 v[164:165], v[134:135], v[156:157], 0
	s_wait_loadcnt 0x4
	s_delay_alu instid0(VALU_DEP_1) | instskip(SKIP_4) | instid1(VALU_DEP_1)
	v_fmac_f64_e32 v[164:165], v[136:137], v[158:159]
	scratch_load_b128 v[134:137], off, off offset:480
	s_wait_dscnt 0x0
	v_fmac_f64_e32 v[164:165], v[138:139], v[160:161]
	s_wait_loadcnt 0x4
	v_fmac_f64_e32 v[164:165], v[140:141], v[162:163]
	scratch_load_b128 v[138:141], off, off offset:496
	ds_load_2addr_b64 v[156:159], v2 offset0:117 offset1:118
	ds_load_2addr_b64 v[160:163], v2 offset0:119 offset1:120
	s_wait_dscnt 0x1
	v_fmac_f64_e32 v[164:165], v[142:143], v[156:157]
	s_wait_loadcnt 0x4
	s_delay_alu instid0(VALU_DEP_1) | instskip(SKIP_1) | instid1(VALU_DEP_1)
	v_fmac_f64_e32 v[164:165], v[144:145], v[158:159]
	s_wait_dscnt 0x0
	v_fmac_f64_e32 v[164:165], v[146:147], v[160:161]
	s_wait_loadcnt 0x3
	s_delay_alu instid0(VALU_DEP_1)
	v_fmac_f64_e32 v[164:165], v[148:149], v[162:163]
	ds_load_2addr_b64 v[142:145], v2 offset0:121 offset1:122
	ds_load_2addr_b64 v[146:149], v2 offset0:123 offset1:124
	s_wait_dscnt 0x1
	v_fmac_f64_e32 v[164:165], v[150:151], v[142:143]
	s_wait_loadcnt 0x2
	s_delay_alu instid0(VALU_DEP_1) | instskip(SKIP_1) | instid1(VALU_DEP_1)
	v_fmac_f64_e32 v[164:165], v[152:153], v[144:145]
	s_wait_dscnt 0x0
	v_fmac_f64_e32 v[164:165], v[154:155], v[146:147]
	s_wait_loadcnt 0x1
	s_delay_alu instid0(VALU_DEP_1)
	v_fmac_f64_e32 v[164:165], v[134:135], v[148:149]
	ds_load_2addr_b64 v[142:145], v2 offset0:125 offset1:126
	ds_load_b64 v[134:135], v2 offset:1016
	s_wait_dscnt 0x1
	v_fmac_f64_e32 v[164:165], v[136:137], v[142:143]
	s_wait_loadcnt 0x0
	s_delay_alu instid0(VALU_DEP_1) | instskip(SKIP_1) | instid1(VALU_DEP_1)
	v_fmac_f64_e32 v[164:165], v[138:139], v[144:145]
	s_wait_dscnt 0x0
	v_fmac_f64_e32 v[164:165], v[140:141], v[134:135]
	s_delay_alu instid0(VALU_DEP_1)
	v_add_f64_e64 v[132:133], v[132:133], -v[164:165]
	scratch_store_b64 off, v[132:133], off offset:384
	s_wait_xcnt 0x0
	v_cmpx_lt_u32_e32 47, v0
	s_cbranch_execz .LBB127_299
; %bb.298:
	scratch_load_b64 v[132:133], off, off offset:376
	v_mov_b64_e32 v[134:135], 0
	scratch_store_b64 off, v[134:135], off offset:376
	s_wait_loadcnt 0x0
	ds_store_b64 v1, v[132:133]
.LBB127_299:
	s_wait_xcnt 0x0
	s_or_b32 exec_lo, exec_lo, s0
	s_wait_storecnt_dscnt 0x0
	s_barrier_signal -1
	s_barrier_wait -1
	s_clause 0x5
	scratch_load_b128 v[132:135], off, off offset:376
	scratch_load_b128 v[136:139], off, off offset:392
	scratch_load_b128 v[140:143], off, off offset:408
	scratch_load_b128 v[144:147], off, off offset:424
	scratch_load_b128 v[148:151], off, off offset:440
	scratch_load_b128 v[152:155], off, off offset:456
	ds_load_b128 v[156:159], v2 offset:896
	ds_load_b128 v[160:163], v2 offset:912
	s_mov_b32 s0, exec_lo
	s_wait_loadcnt_dscnt 0x501
	v_fma_f64 v[164:165], v[134:135], v[156:157], 0
	s_wait_loadcnt 0x4
	s_delay_alu instid0(VALU_DEP_1) | instskip(SKIP_4) | instid1(VALU_DEP_1)
	v_fmac_f64_e32 v[164:165], v[136:137], v[158:159]
	scratch_load_b128 v[134:137], off, off offset:472
	s_wait_dscnt 0x0
	v_fmac_f64_e32 v[164:165], v[138:139], v[160:161]
	s_wait_loadcnt 0x4
	v_fmac_f64_e32 v[164:165], v[140:141], v[162:163]
	scratch_load_b128 v[138:141], off, off offset:488
	ds_load_b128 v[156:159], v2 offset:928
	ds_load_b128 v[160:163], v2 offset:944
	s_wait_dscnt 0x1
	v_fmac_f64_e32 v[164:165], v[142:143], v[156:157]
	scratch_load_b64 v[156:157], off, off offset:504
	s_wait_loadcnt 0x5
	v_fmac_f64_e32 v[164:165], v[144:145], v[158:159]
	s_wait_dscnt 0x0
	s_delay_alu instid0(VALU_DEP_1) | instskip(SKIP_1) | instid1(VALU_DEP_1)
	v_fmac_f64_e32 v[164:165], v[146:147], v[160:161]
	s_wait_loadcnt 0x4
	v_fmac_f64_e32 v[164:165], v[148:149], v[162:163]
	ds_load_b128 v[142:145], v2 offset:960
	ds_load_b128 v[146:149], v2 offset:976
	s_wait_dscnt 0x1
	v_fmac_f64_e32 v[164:165], v[150:151], v[142:143]
	s_wait_loadcnt 0x3
	s_delay_alu instid0(VALU_DEP_1) | instskip(SKIP_1) | instid1(VALU_DEP_1)
	v_fmac_f64_e32 v[164:165], v[152:153], v[144:145]
	s_wait_dscnt 0x0
	v_fmac_f64_e32 v[164:165], v[154:155], v[146:147]
	s_wait_loadcnt 0x2
	s_delay_alu instid0(VALU_DEP_1)
	v_fmac_f64_e32 v[164:165], v[134:135], v[148:149]
	ds_load_b128 v[142:145], v2 offset:992
	ds_load_b128 v[146:149], v2 offset:1008
	s_wait_dscnt 0x1
	v_fmac_f64_e32 v[164:165], v[136:137], v[142:143]
	s_wait_loadcnt 0x1
	s_delay_alu instid0(VALU_DEP_1) | instskip(SKIP_1) | instid1(VALU_DEP_1)
	v_fmac_f64_e32 v[164:165], v[138:139], v[144:145]
	s_wait_dscnt 0x0
	v_fmac_f64_e32 v[164:165], v[140:141], v[146:147]
	s_wait_loadcnt 0x0
	s_delay_alu instid0(VALU_DEP_1) | instskip(NEXT) | instid1(VALU_DEP_1)
	v_fmac_f64_e32 v[164:165], v[156:157], v[148:149]
	v_add_f64_e64 v[2:3], v[132:133], -v[164:165]
	scratch_store_b64 off, v[2:3], off offset:376
	s_wait_xcnt 0x0
	v_cmpx_lt_u32_e32 46, v0
	s_cbranch_execz .LBB127_301
; %bb.300:
	scratch_load_b64 v[2:3], off, off offset:368
	v_mov_b64_e32 v[132:133], 0
	scratch_store_b64 off, v[132:133], off offset:368
	s_wait_loadcnt 0x0
	ds_store_b64 v1, v[2:3]
.LBB127_301:
	s_wait_xcnt 0x0
	s_or_b32 exec_lo, exec_lo, s0
	s_wait_storecnt_dscnt 0x0
	s_barrier_signal -1
	s_barrier_wait -1
	s_clause 0x5
	scratch_load_b128 v[132:135], off, off offset:368
	scratch_load_b128 v[136:139], off, off offset:384
	;; [unrolled: 1-line block ×6, first 2 shown]
	v_mov_b32_e32 v2, 0
	ds_load_2addr_b64 v[156:159], v2 offset0:111 offset1:112
	ds_load_2addr_b64 v[160:163], v2 offset0:113 offset1:114
	s_mov_b32 s0, exec_lo
	s_wait_loadcnt_dscnt 0x501
	v_fma_f64 v[164:165], v[134:135], v[156:157], 0
	s_wait_loadcnt 0x4
	s_delay_alu instid0(VALU_DEP_1) | instskip(SKIP_4) | instid1(VALU_DEP_1)
	v_fmac_f64_e32 v[164:165], v[136:137], v[158:159]
	scratch_load_b128 v[134:137], off, off offset:464
	s_wait_dscnt 0x0
	v_fmac_f64_e32 v[164:165], v[138:139], v[160:161]
	s_wait_loadcnt 0x4
	v_fmac_f64_e32 v[164:165], v[140:141], v[162:163]
	scratch_load_b128 v[138:141], off, off offset:480
	ds_load_2addr_b64 v[156:159], v2 offset0:115 offset1:116
	ds_load_2addr_b64 v[160:163], v2 offset0:117 offset1:118
	s_wait_dscnt 0x1
	v_fmac_f64_e32 v[164:165], v[142:143], v[156:157]
	s_wait_loadcnt 0x4
	s_delay_alu instid0(VALU_DEP_1) | instskip(SKIP_4) | instid1(VALU_DEP_1)
	v_fmac_f64_e32 v[164:165], v[144:145], v[158:159]
	scratch_load_b128 v[142:145], off, off offset:496
	s_wait_dscnt 0x0
	v_fmac_f64_e32 v[164:165], v[146:147], v[160:161]
	s_wait_loadcnt 0x4
	v_fmac_f64_e32 v[164:165], v[148:149], v[162:163]
	ds_load_2addr_b64 v[146:149], v2 offset0:119 offset1:120
	ds_load_2addr_b64 v[156:159], v2 offset0:121 offset1:122
	s_wait_dscnt 0x1
	v_fmac_f64_e32 v[164:165], v[150:151], v[146:147]
	s_wait_loadcnt 0x3
	s_delay_alu instid0(VALU_DEP_1)
	v_fmac_f64_e32 v[164:165], v[152:153], v[148:149]
	ds_load_2addr_b64 v[146:149], v2 offset0:123 offset1:124
	ds_load_2addr_b64 v[150:153], v2 offset0:125 offset1:126
	s_wait_dscnt 0x2
	v_fmac_f64_e32 v[164:165], v[154:155], v[156:157]
	s_wait_loadcnt 0x2
	s_delay_alu instid0(VALU_DEP_1) | instskip(SKIP_4) | instid1(VALU_DEP_1)
	v_fmac_f64_e32 v[164:165], v[134:135], v[158:159]
	ds_load_b64 v[134:135], v2 offset:1016
	s_wait_dscnt 0x2
	v_fmac_f64_e32 v[164:165], v[136:137], v[146:147]
	s_wait_loadcnt 0x1
	v_fmac_f64_e32 v[164:165], v[138:139], v[148:149]
	s_wait_dscnt 0x1
	s_delay_alu instid0(VALU_DEP_1) | instskip(SKIP_1) | instid1(VALU_DEP_1)
	v_fmac_f64_e32 v[164:165], v[140:141], v[150:151]
	s_wait_loadcnt 0x0
	v_fmac_f64_e32 v[164:165], v[142:143], v[152:153]
	s_wait_dscnt 0x0
	s_delay_alu instid0(VALU_DEP_1) | instskip(NEXT) | instid1(VALU_DEP_1)
	v_fmac_f64_e32 v[164:165], v[144:145], v[134:135]
	v_add_f64_e64 v[132:133], v[132:133], -v[164:165]
	scratch_store_b64 off, v[132:133], off offset:368
	s_wait_xcnt 0x0
	v_cmpx_lt_u32_e32 45, v0
	s_cbranch_execz .LBB127_303
; %bb.302:
	scratch_load_b64 v[132:133], off, off offset:360
	v_mov_b64_e32 v[134:135], 0
	scratch_store_b64 off, v[134:135], off offset:360
	s_wait_loadcnt 0x0
	ds_store_b64 v1, v[132:133]
.LBB127_303:
	s_wait_xcnt 0x0
	s_or_b32 exec_lo, exec_lo, s0
	s_wait_storecnt_dscnt 0x0
	s_barrier_signal -1
	s_barrier_wait -1
	s_clause 0x5
	scratch_load_b128 v[132:135], off, off offset:360
	scratch_load_b128 v[136:139], off, off offset:376
	;; [unrolled: 1-line block ×6, first 2 shown]
	ds_load_b128 v[156:159], v2 offset:880
	ds_load_b128 v[160:163], v2 offset:896
	s_mov_b32 s0, exec_lo
	s_wait_loadcnt_dscnt 0x501
	v_fma_f64 v[164:165], v[134:135], v[156:157], 0
	s_wait_loadcnt 0x4
	s_delay_alu instid0(VALU_DEP_1) | instskip(SKIP_4) | instid1(VALU_DEP_1)
	v_fmac_f64_e32 v[164:165], v[136:137], v[158:159]
	scratch_load_b128 v[134:137], off, off offset:456
	s_wait_dscnt 0x0
	v_fmac_f64_e32 v[164:165], v[138:139], v[160:161]
	s_wait_loadcnt 0x4
	v_fmac_f64_e32 v[164:165], v[140:141], v[162:163]
	scratch_load_b128 v[138:141], off, off offset:472
	ds_load_b128 v[156:159], v2 offset:912
	ds_load_b128 v[160:163], v2 offset:928
	s_wait_dscnt 0x1
	v_fmac_f64_e32 v[164:165], v[142:143], v[156:157]
	s_wait_loadcnt 0x4
	s_delay_alu instid0(VALU_DEP_1)
	v_fmac_f64_e32 v[164:165], v[144:145], v[158:159]
	scratch_load_b128 v[142:145], off, off offset:488
	s_wait_dscnt 0x0
	v_fmac_f64_e32 v[164:165], v[146:147], v[160:161]
	scratch_load_b64 v[160:161], off, off offset:504
	s_wait_loadcnt 0x5
	v_fmac_f64_e32 v[164:165], v[148:149], v[162:163]
	ds_load_b128 v[146:149], v2 offset:944
	ds_load_b128 v[156:159], v2 offset:960
	s_wait_dscnt 0x1
	v_fmac_f64_e32 v[164:165], v[150:151], v[146:147]
	s_wait_loadcnt 0x4
	s_delay_alu instid0(VALU_DEP_1)
	v_fmac_f64_e32 v[164:165], v[152:153], v[148:149]
	ds_load_b128 v[146:149], v2 offset:976
	ds_load_b128 v[150:153], v2 offset:992
	s_wait_dscnt 0x2
	v_fmac_f64_e32 v[164:165], v[154:155], v[156:157]
	s_wait_loadcnt 0x3
	s_delay_alu instid0(VALU_DEP_1) | instskip(SKIP_1) | instid1(VALU_DEP_1)
	v_fmac_f64_e32 v[164:165], v[134:135], v[158:159]
	s_wait_dscnt 0x1
	v_fmac_f64_e32 v[164:165], v[136:137], v[146:147]
	ds_load_b128 v[134:137], v2 offset:1008
	s_wait_loadcnt 0x2
	v_fmac_f64_e32 v[164:165], v[138:139], v[148:149]
	s_wait_dscnt 0x1
	s_delay_alu instid0(VALU_DEP_1) | instskip(SKIP_1) | instid1(VALU_DEP_1)
	v_fmac_f64_e32 v[164:165], v[140:141], v[150:151]
	s_wait_loadcnt 0x1
	v_fmac_f64_e32 v[164:165], v[142:143], v[152:153]
	s_wait_dscnt 0x0
	s_delay_alu instid0(VALU_DEP_1) | instskip(SKIP_1) | instid1(VALU_DEP_1)
	v_fmac_f64_e32 v[164:165], v[144:145], v[134:135]
	s_wait_loadcnt 0x0
	v_fmac_f64_e32 v[164:165], v[160:161], v[136:137]
	s_delay_alu instid0(VALU_DEP_1)
	v_add_f64_e64 v[2:3], v[132:133], -v[164:165]
	scratch_store_b64 off, v[2:3], off offset:360
	s_wait_xcnt 0x0
	v_cmpx_lt_u32_e32 44, v0
	s_cbranch_execz .LBB127_305
; %bb.304:
	scratch_load_b64 v[2:3], off, off offset:352
	v_mov_b64_e32 v[132:133], 0
	scratch_store_b64 off, v[132:133], off offset:352
	s_wait_loadcnt 0x0
	ds_store_b64 v1, v[2:3]
.LBB127_305:
	s_wait_xcnt 0x0
	s_or_b32 exec_lo, exec_lo, s0
	s_wait_storecnt_dscnt 0x0
	s_barrier_signal -1
	s_barrier_wait -1
	s_clause 0x5
	scratch_load_b128 v[132:135], off, off offset:352
	scratch_load_b128 v[136:139], off, off offset:368
	;; [unrolled: 1-line block ×6, first 2 shown]
	v_mov_b32_e32 v2, 0
	ds_load_2addr_b64 v[156:159], v2 offset0:109 offset1:110
	ds_load_2addr_b64 v[160:163], v2 offset0:111 offset1:112
	s_mov_b32 s0, exec_lo
	s_wait_loadcnt_dscnt 0x501
	v_fma_f64 v[164:165], v[134:135], v[156:157], 0
	s_wait_loadcnt 0x4
	s_delay_alu instid0(VALU_DEP_1) | instskip(SKIP_4) | instid1(VALU_DEP_1)
	v_fmac_f64_e32 v[164:165], v[136:137], v[158:159]
	scratch_load_b128 v[134:137], off, off offset:448
	s_wait_dscnt 0x0
	v_fmac_f64_e32 v[164:165], v[138:139], v[160:161]
	s_wait_loadcnt 0x4
	v_fmac_f64_e32 v[164:165], v[140:141], v[162:163]
	scratch_load_b128 v[138:141], off, off offset:464
	ds_load_2addr_b64 v[156:159], v2 offset0:113 offset1:114
	ds_load_2addr_b64 v[160:163], v2 offset0:115 offset1:116
	s_wait_dscnt 0x1
	v_fmac_f64_e32 v[164:165], v[142:143], v[156:157]
	s_wait_loadcnt 0x4
	s_delay_alu instid0(VALU_DEP_1) | instskip(SKIP_4) | instid1(VALU_DEP_1)
	v_fmac_f64_e32 v[164:165], v[144:145], v[158:159]
	scratch_load_b128 v[142:145], off, off offset:480
	s_wait_dscnt 0x0
	v_fmac_f64_e32 v[164:165], v[146:147], v[160:161]
	s_wait_loadcnt 0x4
	v_fmac_f64_e32 v[164:165], v[148:149], v[162:163]
	scratch_load_b128 v[146:149], off, off offset:496
	ds_load_2addr_b64 v[156:159], v2 offset0:117 offset1:118
	ds_load_2addr_b64 v[160:163], v2 offset0:119 offset1:120
	s_wait_dscnt 0x1
	v_fmac_f64_e32 v[164:165], v[150:151], v[156:157]
	s_wait_loadcnt 0x4
	s_delay_alu instid0(VALU_DEP_1) | instskip(SKIP_1) | instid1(VALU_DEP_1)
	v_fmac_f64_e32 v[164:165], v[152:153], v[158:159]
	s_wait_dscnt 0x0
	v_fmac_f64_e32 v[164:165], v[154:155], v[160:161]
	ds_load_2addr_b64 v[150:153], v2 offset0:121 offset1:122
	ds_load_2addr_b64 v[154:157], v2 offset0:123 offset1:124
	s_wait_loadcnt 0x3
	v_fmac_f64_e32 v[164:165], v[134:135], v[162:163]
	s_wait_dscnt 0x1
	s_delay_alu instid0(VALU_DEP_1) | instskip(SKIP_1) | instid1(VALU_DEP_1)
	v_fmac_f64_e32 v[164:165], v[136:137], v[150:151]
	s_wait_loadcnt 0x2
	v_fmac_f64_e32 v[164:165], v[138:139], v[152:153]
	ds_load_2addr_b64 v[134:137], v2 offset0:125 offset1:126
	ds_load_b64 v[138:139], v2 offset:1016
	s_wait_dscnt 0x2
	v_fmac_f64_e32 v[164:165], v[140:141], v[154:155]
	s_wait_loadcnt 0x1
	s_delay_alu instid0(VALU_DEP_1) | instskip(SKIP_1) | instid1(VALU_DEP_1)
	v_fmac_f64_e32 v[164:165], v[142:143], v[156:157]
	s_wait_dscnt 0x1
	v_fmac_f64_e32 v[164:165], v[144:145], v[134:135]
	s_wait_loadcnt 0x0
	s_delay_alu instid0(VALU_DEP_1) | instskip(SKIP_1) | instid1(VALU_DEP_1)
	v_fmac_f64_e32 v[164:165], v[146:147], v[136:137]
	s_wait_dscnt 0x0
	v_fmac_f64_e32 v[164:165], v[148:149], v[138:139]
	s_delay_alu instid0(VALU_DEP_1)
	v_add_f64_e64 v[132:133], v[132:133], -v[164:165]
	scratch_store_b64 off, v[132:133], off offset:352
	s_wait_xcnt 0x0
	v_cmpx_lt_u32_e32 43, v0
	s_cbranch_execz .LBB127_307
; %bb.306:
	scratch_load_b64 v[132:133], off, off offset:344
	v_mov_b64_e32 v[134:135], 0
	scratch_store_b64 off, v[134:135], off offset:344
	s_wait_loadcnt 0x0
	ds_store_b64 v1, v[132:133]
.LBB127_307:
	s_wait_xcnt 0x0
	s_or_b32 exec_lo, exec_lo, s0
	s_wait_storecnt_dscnt 0x0
	s_barrier_signal -1
	s_barrier_wait -1
	s_clause 0x5
	scratch_load_b128 v[132:135], off, off offset:344
	scratch_load_b128 v[136:139], off, off offset:360
	;; [unrolled: 1-line block ×6, first 2 shown]
	ds_load_b128 v[156:159], v2 offset:864
	ds_load_b128 v[160:163], v2 offset:880
	s_mov_b32 s0, exec_lo
	s_wait_loadcnt_dscnt 0x501
	v_fma_f64 v[164:165], v[134:135], v[156:157], 0
	s_wait_loadcnt 0x4
	s_delay_alu instid0(VALU_DEP_1) | instskip(SKIP_4) | instid1(VALU_DEP_1)
	v_fmac_f64_e32 v[164:165], v[136:137], v[158:159]
	scratch_load_b128 v[134:137], off, off offset:440
	s_wait_dscnt 0x0
	v_fmac_f64_e32 v[164:165], v[138:139], v[160:161]
	s_wait_loadcnt 0x4
	v_fmac_f64_e32 v[164:165], v[140:141], v[162:163]
	scratch_load_b128 v[138:141], off, off offset:456
	ds_load_b128 v[156:159], v2 offset:896
	ds_load_b128 v[160:163], v2 offset:912
	s_wait_dscnt 0x1
	v_fmac_f64_e32 v[164:165], v[142:143], v[156:157]
	s_wait_loadcnt 0x4
	s_delay_alu instid0(VALU_DEP_1) | instskip(SKIP_4) | instid1(VALU_DEP_1)
	v_fmac_f64_e32 v[164:165], v[144:145], v[158:159]
	scratch_load_b128 v[142:145], off, off offset:472
	s_wait_dscnt 0x0
	v_fmac_f64_e32 v[164:165], v[146:147], v[160:161]
	s_wait_loadcnt 0x4
	v_fmac_f64_e32 v[164:165], v[148:149], v[162:163]
	scratch_load_b128 v[146:149], off, off offset:488
	ds_load_b128 v[156:159], v2 offset:928
	ds_load_b128 v[160:163], v2 offset:944
	s_wait_dscnt 0x1
	v_fmac_f64_e32 v[164:165], v[150:151], v[156:157]
	s_wait_loadcnt 0x4
	s_delay_alu instid0(VALU_DEP_1)
	v_fmac_f64_e32 v[164:165], v[152:153], v[158:159]
	scratch_load_b64 v[158:159], off, off offset:504
	s_wait_dscnt 0x0
	v_fmac_f64_e32 v[164:165], v[154:155], v[160:161]
	ds_load_b128 v[150:153], v2 offset:960
	ds_load_b128 v[154:157], v2 offset:976
	s_wait_loadcnt 0x4
	v_fmac_f64_e32 v[164:165], v[134:135], v[162:163]
	s_wait_dscnt 0x1
	s_delay_alu instid0(VALU_DEP_1) | instskip(SKIP_1) | instid1(VALU_DEP_1)
	v_fmac_f64_e32 v[164:165], v[136:137], v[150:151]
	s_wait_loadcnt 0x3
	v_fmac_f64_e32 v[164:165], v[138:139], v[152:153]
	s_wait_dscnt 0x0
	s_delay_alu instid0(VALU_DEP_1)
	v_fmac_f64_e32 v[164:165], v[140:141], v[154:155]
	ds_load_b128 v[134:137], v2 offset:992
	ds_load_b128 v[138:141], v2 offset:1008
	s_wait_loadcnt 0x2
	v_fmac_f64_e32 v[164:165], v[142:143], v[156:157]
	s_wait_dscnt 0x1
	s_delay_alu instid0(VALU_DEP_1) | instskip(SKIP_1) | instid1(VALU_DEP_1)
	v_fmac_f64_e32 v[164:165], v[144:145], v[134:135]
	s_wait_loadcnt 0x1
	v_fmac_f64_e32 v[164:165], v[146:147], v[136:137]
	s_wait_dscnt 0x0
	s_delay_alu instid0(VALU_DEP_1) | instskip(SKIP_1) | instid1(VALU_DEP_1)
	v_fmac_f64_e32 v[164:165], v[148:149], v[138:139]
	s_wait_loadcnt 0x0
	v_fmac_f64_e32 v[164:165], v[158:159], v[140:141]
	s_delay_alu instid0(VALU_DEP_1)
	v_add_f64_e64 v[2:3], v[132:133], -v[164:165]
	scratch_store_b64 off, v[2:3], off offset:344
	s_wait_xcnt 0x0
	v_cmpx_lt_u32_e32 42, v0
	s_cbranch_execz .LBB127_309
; %bb.308:
	scratch_load_b64 v[2:3], off, off offset:336
	v_mov_b64_e32 v[132:133], 0
	scratch_store_b64 off, v[132:133], off offset:336
	s_wait_loadcnt 0x0
	ds_store_b64 v1, v[2:3]
.LBB127_309:
	s_wait_xcnt 0x0
	s_or_b32 exec_lo, exec_lo, s0
	s_wait_storecnt_dscnt 0x0
	s_barrier_signal -1
	s_barrier_wait -1
	s_clause 0x5
	scratch_load_b128 v[132:135], off, off offset:336
	scratch_load_b128 v[136:139], off, off offset:352
	;; [unrolled: 1-line block ×6, first 2 shown]
	v_mov_b32_e32 v2, 0
	ds_load_2addr_b64 v[156:159], v2 offset0:107 offset1:108
	ds_load_2addr_b64 v[160:163], v2 offset0:109 offset1:110
	s_mov_b32 s0, exec_lo
	s_wait_loadcnt_dscnt 0x501
	v_fma_f64 v[164:165], v[134:135], v[156:157], 0
	s_wait_loadcnt 0x4
	s_delay_alu instid0(VALU_DEP_1) | instskip(SKIP_4) | instid1(VALU_DEP_1)
	v_fmac_f64_e32 v[164:165], v[136:137], v[158:159]
	scratch_load_b128 v[134:137], off, off offset:432
	s_wait_dscnt 0x0
	v_fmac_f64_e32 v[164:165], v[138:139], v[160:161]
	s_wait_loadcnt 0x4
	v_fmac_f64_e32 v[164:165], v[140:141], v[162:163]
	scratch_load_b128 v[138:141], off, off offset:448
	ds_load_2addr_b64 v[156:159], v2 offset0:111 offset1:112
	ds_load_2addr_b64 v[160:163], v2 offset0:113 offset1:114
	s_wait_dscnt 0x1
	v_fmac_f64_e32 v[164:165], v[142:143], v[156:157]
	s_wait_loadcnt 0x4
	s_delay_alu instid0(VALU_DEP_1) | instskip(SKIP_4) | instid1(VALU_DEP_1)
	v_fmac_f64_e32 v[164:165], v[144:145], v[158:159]
	scratch_load_b128 v[142:145], off, off offset:464
	s_wait_dscnt 0x0
	v_fmac_f64_e32 v[164:165], v[146:147], v[160:161]
	s_wait_loadcnt 0x4
	v_fmac_f64_e32 v[164:165], v[148:149], v[162:163]
	scratch_load_b128 v[146:149], off, off offset:480
	ds_load_2addr_b64 v[156:159], v2 offset0:115 offset1:116
	ds_load_2addr_b64 v[160:163], v2 offset0:117 offset1:118
	s_wait_dscnt 0x1
	v_fmac_f64_e32 v[164:165], v[150:151], v[156:157]
	s_wait_loadcnt 0x4
	s_delay_alu instid0(VALU_DEP_1)
	v_fmac_f64_e32 v[164:165], v[152:153], v[158:159]
	scratch_load_b128 v[150:153], off, off offset:496
	s_wait_dscnt 0x0
	v_fmac_f64_e32 v[164:165], v[154:155], v[160:161]
	ds_load_2addr_b64 v[154:157], v2 offset0:119 offset1:120
	ds_load_2addr_b64 v[158:161], v2 offset0:121 offset1:122
	s_wait_loadcnt 0x4
	v_fmac_f64_e32 v[164:165], v[134:135], v[162:163]
	s_wait_dscnt 0x1
	s_delay_alu instid0(VALU_DEP_1) | instskip(SKIP_1) | instid1(VALU_DEP_1)
	v_fmac_f64_e32 v[164:165], v[136:137], v[154:155]
	s_wait_loadcnt 0x3
	v_fmac_f64_e32 v[164:165], v[138:139], v[156:157]
	s_wait_dscnt 0x0
	s_delay_alu instid0(VALU_DEP_1)
	v_fmac_f64_e32 v[164:165], v[140:141], v[158:159]
	ds_load_2addr_b64 v[134:137], v2 offset0:123 offset1:124
	ds_load_2addr_b64 v[138:141], v2 offset0:125 offset1:126
	s_wait_loadcnt 0x2
	v_fmac_f64_e32 v[164:165], v[142:143], v[160:161]
	s_wait_dscnt 0x1
	s_delay_alu instid0(VALU_DEP_1) | instskip(SKIP_4) | instid1(VALU_DEP_1)
	v_fmac_f64_e32 v[164:165], v[144:145], v[134:135]
	ds_load_b64 v[134:135], v2 offset:1016
	s_wait_loadcnt 0x1
	v_fmac_f64_e32 v[164:165], v[146:147], v[136:137]
	s_wait_dscnt 0x1
	v_fmac_f64_e32 v[164:165], v[148:149], v[138:139]
	s_wait_loadcnt 0x0
	s_delay_alu instid0(VALU_DEP_1) | instskip(SKIP_1) | instid1(VALU_DEP_1)
	v_fmac_f64_e32 v[164:165], v[150:151], v[140:141]
	s_wait_dscnt 0x0
	v_fmac_f64_e32 v[164:165], v[152:153], v[134:135]
	s_delay_alu instid0(VALU_DEP_1)
	v_add_f64_e64 v[132:133], v[132:133], -v[164:165]
	scratch_store_b64 off, v[132:133], off offset:336
	s_wait_xcnt 0x0
	v_cmpx_lt_u32_e32 41, v0
	s_cbranch_execz .LBB127_311
; %bb.310:
	scratch_load_b64 v[132:133], off, off offset:328
	v_mov_b64_e32 v[134:135], 0
	scratch_store_b64 off, v[134:135], off offset:328
	s_wait_loadcnt 0x0
	ds_store_b64 v1, v[132:133]
.LBB127_311:
	s_wait_xcnt 0x0
	s_or_b32 exec_lo, exec_lo, s0
	s_wait_storecnt_dscnt 0x0
	s_barrier_signal -1
	s_barrier_wait -1
	s_clause 0x5
	scratch_load_b128 v[132:135], off, off offset:328
	scratch_load_b128 v[136:139], off, off offset:344
	;; [unrolled: 1-line block ×6, first 2 shown]
	ds_load_b128 v[156:159], v2 offset:848
	ds_load_b128 v[160:163], v2 offset:864
	scratch_load_b128 v[164:167], off, off offset:424
	s_mov_b32 s0, exec_lo
	s_wait_loadcnt_dscnt 0x601
	v_fma_f64 v[168:169], v[134:135], v[156:157], 0
	s_wait_loadcnt 0x5
	s_delay_alu instid0(VALU_DEP_1) | instskip(SKIP_4) | instid1(VALU_DEP_1)
	v_fmac_f64_e32 v[168:169], v[136:137], v[158:159]
	scratch_load_b128 v[134:137], off, off offset:440
	s_wait_dscnt 0x0
	v_fmac_f64_e32 v[168:169], v[138:139], v[160:161]
	s_wait_loadcnt 0x5
	v_fmac_f64_e32 v[168:169], v[140:141], v[162:163]
	ds_load_b128 v[138:141], v2 offset:880
	ds_load_b128 v[156:159], v2 offset:896
	s_wait_dscnt 0x1
	v_fmac_f64_e32 v[168:169], v[142:143], v[138:139]
	s_wait_loadcnt 0x4
	s_delay_alu instid0(VALU_DEP_1)
	v_fmac_f64_e32 v[168:169], v[144:145], v[140:141]
	s_clause 0x1
	scratch_load_b128 v[138:141], off, off offset:456
	scratch_load_b128 v[142:145], off, off offset:472
	s_wait_dscnt 0x0
	v_fmac_f64_e32 v[168:169], v[146:147], v[156:157]
	s_wait_loadcnt 0x5
	s_delay_alu instid0(VALU_DEP_1)
	v_fmac_f64_e32 v[168:169], v[148:149], v[158:159]
	ds_load_b128 v[146:149], v2 offset:912
	ds_load_b128 v[156:159], v2 offset:928
	s_wait_dscnt 0x1
	v_fmac_f64_e32 v[168:169], v[150:151], v[146:147]
	s_wait_loadcnt 0x4
	s_delay_alu instid0(VALU_DEP_1) | instskip(SKIP_4) | instid1(VALU_DEP_1)
	v_fmac_f64_e32 v[168:169], v[152:153], v[148:149]
	scratch_load_b128 v[146:149], off, off offset:488
	s_wait_dscnt 0x0
	v_fmac_f64_e32 v[168:169], v[154:155], v[156:157]
	s_wait_loadcnt 0x4
	v_fmac_f64_e32 v[168:169], v[164:165], v[158:159]
	scratch_load_b64 v[158:159], off, off offset:504
	ds_load_b128 v[150:153], v2 offset:944
	ds_load_b128 v[154:157], v2 offset:960
	s_wait_dscnt 0x1
	v_fmac_f64_e32 v[168:169], v[166:167], v[150:151]
	s_wait_loadcnt 0x4
	s_delay_alu instid0(VALU_DEP_1) | instskip(SKIP_1) | instid1(VALU_DEP_1)
	v_fmac_f64_e32 v[168:169], v[134:135], v[152:153]
	s_wait_dscnt 0x0
	v_fmac_f64_e32 v[168:169], v[136:137], v[154:155]
	ds_load_b128 v[134:137], v2 offset:976
	ds_load_b128 v[150:153], v2 offset:992
	s_wait_loadcnt 0x3
	v_fmac_f64_e32 v[168:169], v[138:139], v[156:157]
	s_wait_dscnt 0x1
	s_delay_alu instid0(VALU_DEP_1) | instskip(SKIP_1) | instid1(VALU_DEP_1)
	v_fmac_f64_e32 v[168:169], v[140:141], v[134:135]
	s_wait_loadcnt 0x2
	v_fmac_f64_e32 v[168:169], v[142:143], v[136:137]
	ds_load_b128 v[134:137], v2 offset:1008
	s_wait_dscnt 0x1
	v_fmac_f64_e32 v[168:169], v[144:145], v[150:151]
	s_wait_loadcnt 0x1
	s_delay_alu instid0(VALU_DEP_1) | instskip(SKIP_1) | instid1(VALU_DEP_1)
	v_fmac_f64_e32 v[168:169], v[146:147], v[152:153]
	s_wait_dscnt 0x0
	v_fmac_f64_e32 v[168:169], v[148:149], v[134:135]
	s_wait_loadcnt 0x0
	s_delay_alu instid0(VALU_DEP_1) | instskip(NEXT) | instid1(VALU_DEP_1)
	v_fmac_f64_e32 v[168:169], v[158:159], v[136:137]
	v_add_f64_e64 v[2:3], v[132:133], -v[168:169]
	scratch_store_b64 off, v[2:3], off offset:328
	s_wait_xcnt 0x0
	v_cmpx_lt_u32_e32 40, v0
	s_cbranch_execz .LBB127_313
; %bb.312:
	scratch_load_b64 v[2:3], off, off offset:320
	v_mov_b64_e32 v[132:133], 0
	scratch_store_b64 off, v[132:133], off offset:320
	s_wait_loadcnt 0x0
	ds_store_b64 v1, v[2:3]
.LBB127_313:
	s_wait_xcnt 0x0
	s_or_b32 exec_lo, exec_lo, s0
	s_wait_storecnt_dscnt 0x0
	s_barrier_signal -1
	s_barrier_wait -1
	s_clause 0x5
	scratch_load_b128 v[132:135], off, off offset:320
	scratch_load_b128 v[136:139], off, off offset:336
	scratch_load_b128 v[140:143], off, off offset:352
	scratch_load_b128 v[144:147], off, off offset:368
	scratch_load_b128 v[148:151], off, off offset:384
	scratch_load_b128 v[152:155], off, off offset:400
	v_mov_b32_e32 v2, 0
	ds_load_2addr_b64 v[156:159], v2 offset0:105 offset1:106
	ds_load_2addr_b64 v[160:163], v2 offset0:107 offset1:108
	scratch_load_b128 v[164:167], off, off offset:416
	s_mov_b32 s0, exec_lo
	s_wait_loadcnt_dscnt 0x601
	v_fma_f64 v[168:169], v[134:135], v[156:157], 0
	s_wait_loadcnt 0x5
	s_delay_alu instid0(VALU_DEP_1) | instskip(SKIP_4) | instid1(VALU_DEP_1)
	v_fmac_f64_e32 v[168:169], v[136:137], v[158:159]
	scratch_load_b128 v[134:137], off, off offset:432
	s_wait_dscnt 0x0
	v_fmac_f64_e32 v[168:169], v[138:139], v[160:161]
	s_wait_loadcnt 0x5
	v_fmac_f64_e32 v[168:169], v[140:141], v[162:163]
	ds_load_2addr_b64 v[138:141], v2 offset0:109 offset1:110
	ds_load_2addr_b64 v[156:159], v2 offset0:111 offset1:112
	s_wait_dscnt 0x1
	v_fmac_f64_e32 v[168:169], v[142:143], v[138:139]
	s_wait_loadcnt 0x4
	s_delay_alu instid0(VALU_DEP_1)
	v_fmac_f64_e32 v[168:169], v[144:145], v[140:141]
	s_clause 0x1
	scratch_load_b128 v[138:141], off, off offset:448
	scratch_load_b128 v[142:145], off, off offset:464
	s_wait_dscnt 0x0
	v_fmac_f64_e32 v[168:169], v[146:147], v[156:157]
	s_wait_loadcnt 0x5
	s_delay_alu instid0(VALU_DEP_1)
	v_fmac_f64_e32 v[168:169], v[148:149], v[158:159]
	ds_load_2addr_b64 v[146:149], v2 offset0:113 offset1:114
	ds_load_2addr_b64 v[156:159], v2 offset0:115 offset1:116
	s_wait_dscnt 0x1
	v_fmac_f64_e32 v[168:169], v[150:151], v[146:147]
	s_wait_loadcnt 0x4
	s_delay_alu instid0(VALU_DEP_1)
	v_fmac_f64_e32 v[168:169], v[152:153], v[148:149]
	s_clause 0x1
	scratch_load_b128 v[146:149], off, off offset:480
	scratch_load_b128 v[150:153], off, off offset:496
	s_wait_dscnt 0x0
	v_fmac_f64_e32 v[168:169], v[154:155], v[156:157]
	s_wait_loadcnt 0x5
	s_delay_alu instid0(VALU_DEP_1)
	v_fmac_f64_e32 v[168:169], v[164:165], v[158:159]
	ds_load_2addr_b64 v[154:157], v2 offset0:117 offset1:118
	ds_load_2addr_b64 v[158:161], v2 offset0:119 offset1:120
	s_wait_dscnt 0x1
	v_fmac_f64_e32 v[168:169], v[166:167], v[154:155]
	s_wait_loadcnt 0x4
	s_delay_alu instid0(VALU_DEP_1) | instskip(SKIP_1) | instid1(VALU_DEP_1)
	v_fmac_f64_e32 v[168:169], v[134:135], v[156:157]
	s_wait_dscnt 0x0
	v_fmac_f64_e32 v[168:169], v[136:137], v[158:159]
	ds_load_2addr_b64 v[134:137], v2 offset0:121 offset1:122
	ds_load_2addr_b64 v[154:157], v2 offset0:123 offset1:124
	s_wait_loadcnt 0x3
	v_fmac_f64_e32 v[168:169], v[138:139], v[160:161]
	s_wait_dscnt 0x1
	s_delay_alu instid0(VALU_DEP_1) | instskip(SKIP_1) | instid1(VALU_DEP_1)
	v_fmac_f64_e32 v[168:169], v[140:141], v[134:135]
	s_wait_loadcnt 0x2
	v_fmac_f64_e32 v[168:169], v[142:143], v[136:137]
	ds_load_2addr_b64 v[134:137], v2 offset0:125 offset1:126
	ds_load_b64 v[138:139], v2 offset:1016
	s_wait_dscnt 0x2
	v_fmac_f64_e32 v[168:169], v[144:145], v[154:155]
	s_wait_loadcnt 0x1
	s_delay_alu instid0(VALU_DEP_1) | instskip(SKIP_1) | instid1(VALU_DEP_1)
	v_fmac_f64_e32 v[168:169], v[146:147], v[156:157]
	s_wait_dscnt 0x1
	v_fmac_f64_e32 v[168:169], v[148:149], v[134:135]
	s_wait_loadcnt 0x0
	s_delay_alu instid0(VALU_DEP_1) | instskip(SKIP_1) | instid1(VALU_DEP_1)
	v_fmac_f64_e32 v[168:169], v[150:151], v[136:137]
	s_wait_dscnt 0x0
	v_fmac_f64_e32 v[168:169], v[152:153], v[138:139]
	s_delay_alu instid0(VALU_DEP_1)
	v_add_f64_e64 v[132:133], v[132:133], -v[168:169]
	scratch_store_b64 off, v[132:133], off offset:320
	s_wait_xcnt 0x0
	v_cmpx_lt_u32_e32 39, v0
	s_cbranch_execz .LBB127_315
; %bb.314:
	scratch_load_b64 v[132:133], off, off offset:312
	v_mov_b64_e32 v[134:135], 0
	scratch_store_b64 off, v[134:135], off offset:312
	s_wait_loadcnt 0x0
	ds_store_b64 v1, v[132:133]
.LBB127_315:
	s_wait_xcnt 0x0
	s_or_b32 exec_lo, exec_lo, s0
	s_wait_storecnt_dscnt 0x0
	s_barrier_signal -1
	s_barrier_wait -1
	s_clause 0x5
	scratch_load_b128 v[132:135], off, off offset:312
	scratch_load_b128 v[136:139], off, off offset:328
	;; [unrolled: 1-line block ×6, first 2 shown]
	ds_load_b128 v[156:159], v2 offset:832
	ds_load_b128 v[160:163], v2 offset:848
	scratch_load_b128 v[164:167], off, off offset:408
	s_mov_b32 s0, exec_lo
	s_wait_loadcnt_dscnt 0x601
	v_fma_f64 v[168:169], v[134:135], v[156:157], 0
	s_wait_loadcnt 0x5
	s_delay_alu instid0(VALU_DEP_1) | instskip(SKIP_4) | instid1(VALU_DEP_1)
	v_fmac_f64_e32 v[168:169], v[136:137], v[158:159]
	scratch_load_b128 v[134:137], off, off offset:424
	s_wait_dscnt 0x0
	v_fmac_f64_e32 v[168:169], v[138:139], v[160:161]
	s_wait_loadcnt 0x5
	v_fmac_f64_e32 v[168:169], v[140:141], v[162:163]
	ds_load_b128 v[138:141], v2 offset:864
	ds_load_b128 v[156:159], v2 offset:880
	s_wait_dscnt 0x1
	v_fmac_f64_e32 v[168:169], v[142:143], v[138:139]
	s_wait_loadcnt 0x4
	s_delay_alu instid0(VALU_DEP_1)
	v_fmac_f64_e32 v[168:169], v[144:145], v[140:141]
	s_clause 0x1
	scratch_load_b128 v[138:141], off, off offset:440
	scratch_load_b128 v[142:145], off, off offset:456
	s_wait_dscnt 0x0
	v_fmac_f64_e32 v[168:169], v[146:147], v[156:157]
	s_wait_loadcnt 0x5
	s_delay_alu instid0(VALU_DEP_1)
	v_fmac_f64_e32 v[168:169], v[148:149], v[158:159]
	ds_load_b128 v[146:149], v2 offset:896
	ds_load_b128 v[156:159], v2 offset:912
	s_wait_dscnt 0x1
	v_fmac_f64_e32 v[168:169], v[150:151], v[146:147]
	s_wait_loadcnt 0x4
	s_delay_alu instid0(VALU_DEP_1)
	v_fmac_f64_e32 v[168:169], v[152:153], v[148:149]
	s_clause 0x1
	scratch_load_b128 v[146:149], off, off offset:472
	scratch_load_b128 v[150:153], off, off offset:488
	s_wait_dscnt 0x0
	v_fmac_f64_e32 v[168:169], v[154:155], v[156:157]
	s_wait_loadcnt 0x5
	s_delay_alu instid0(VALU_DEP_1)
	v_fmac_f64_e32 v[168:169], v[164:165], v[158:159]
	ds_load_b128 v[154:157], v2 offset:928
	ds_load_b128 v[158:161], v2 offset:944
	scratch_load_b64 v[162:163], off, off offset:504
	s_wait_dscnt 0x1
	v_fmac_f64_e32 v[168:169], v[166:167], v[154:155]
	s_wait_loadcnt 0x5
	s_delay_alu instid0(VALU_DEP_1) | instskip(SKIP_1) | instid1(VALU_DEP_1)
	v_fmac_f64_e32 v[168:169], v[134:135], v[156:157]
	s_wait_dscnt 0x0
	v_fmac_f64_e32 v[168:169], v[136:137], v[158:159]
	ds_load_b128 v[134:137], v2 offset:960
	ds_load_b128 v[154:157], v2 offset:976
	s_wait_loadcnt 0x4
	v_fmac_f64_e32 v[168:169], v[138:139], v[160:161]
	s_wait_dscnt 0x1
	s_delay_alu instid0(VALU_DEP_1) | instskip(SKIP_1) | instid1(VALU_DEP_1)
	v_fmac_f64_e32 v[168:169], v[140:141], v[134:135]
	s_wait_loadcnt 0x3
	v_fmac_f64_e32 v[168:169], v[142:143], v[136:137]
	ds_load_b128 v[134:137], v2 offset:992
	ds_load_b128 v[138:141], v2 offset:1008
	s_wait_dscnt 0x2
	v_fmac_f64_e32 v[168:169], v[144:145], v[154:155]
	s_wait_loadcnt 0x2
	s_delay_alu instid0(VALU_DEP_1) | instskip(SKIP_1) | instid1(VALU_DEP_1)
	v_fmac_f64_e32 v[168:169], v[146:147], v[156:157]
	s_wait_dscnt 0x1
	v_fmac_f64_e32 v[168:169], v[148:149], v[134:135]
	s_wait_loadcnt 0x1
	s_delay_alu instid0(VALU_DEP_1) | instskip(SKIP_1) | instid1(VALU_DEP_1)
	v_fmac_f64_e32 v[168:169], v[150:151], v[136:137]
	s_wait_dscnt 0x0
	v_fmac_f64_e32 v[168:169], v[152:153], v[138:139]
	s_wait_loadcnt 0x0
	s_delay_alu instid0(VALU_DEP_1) | instskip(NEXT) | instid1(VALU_DEP_1)
	v_fmac_f64_e32 v[168:169], v[162:163], v[140:141]
	v_add_f64_e64 v[2:3], v[132:133], -v[168:169]
	scratch_store_b64 off, v[2:3], off offset:312
	s_wait_xcnt 0x0
	v_cmpx_lt_u32_e32 38, v0
	s_cbranch_execz .LBB127_317
; %bb.316:
	scratch_load_b64 v[2:3], off, off offset:304
	v_mov_b64_e32 v[132:133], 0
	scratch_store_b64 off, v[132:133], off offset:304
	s_wait_loadcnt 0x0
	ds_store_b64 v1, v[2:3]
.LBB127_317:
	s_wait_xcnt 0x0
	s_or_b32 exec_lo, exec_lo, s0
	s_wait_storecnt_dscnt 0x0
	s_barrier_signal -1
	s_barrier_wait -1
	s_clause 0x5
	scratch_load_b128 v[132:135], off, off offset:304
	scratch_load_b128 v[136:139], off, off offset:320
	;; [unrolled: 1-line block ×6, first 2 shown]
	v_mov_b32_e32 v2, 0
	ds_load_2addr_b64 v[156:159], v2 offset0:103 offset1:104
	ds_load_2addr_b64 v[160:163], v2 offset0:105 offset1:106
	scratch_load_b128 v[164:167], off, off offset:400
	s_mov_b32 s0, exec_lo
	s_wait_loadcnt_dscnt 0x601
	v_fma_f64 v[168:169], v[134:135], v[156:157], 0
	s_wait_loadcnt 0x5
	s_delay_alu instid0(VALU_DEP_1) | instskip(SKIP_4) | instid1(VALU_DEP_1)
	v_fmac_f64_e32 v[168:169], v[136:137], v[158:159]
	scratch_load_b128 v[134:137], off, off offset:416
	s_wait_dscnt 0x0
	v_fmac_f64_e32 v[168:169], v[138:139], v[160:161]
	s_wait_loadcnt 0x5
	v_fmac_f64_e32 v[168:169], v[140:141], v[162:163]
	ds_load_2addr_b64 v[138:141], v2 offset0:107 offset1:108
	ds_load_2addr_b64 v[156:159], v2 offset0:109 offset1:110
	s_wait_dscnt 0x1
	v_fmac_f64_e32 v[168:169], v[142:143], v[138:139]
	s_wait_loadcnt 0x4
	s_delay_alu instid0(VALU_DEP_1)
	v_fmac_f64_e32 v[168:169], v[144:145], v[140:141]
	s_clause 0x1
	scratch_load_b128 v[138:141], off, off offset:432
	scratch_load_b128 v[142:145], off, off offset:448
	s_wait_dscnt 0x0
	v_fmac_f64_e32 v[168:169], v[146:147], v[156:157]
	s_wait_loadcnt 0x5
	s_delay_alu instid0(VALU_DEP_1)
	v_fmac_f64_e32 v[168:169], v[148:149], v[158:159]
	ds_load_2addr_b64 v[146:149], v2 offset0:111 offset1:112
	ds_load_2addr_b64 v[156:159], v2 offset0:113 offset1:114
	s_wait_dscnt 0x1
	v_fmac_f64_e32 v[168:169], v[150:151], v[146:147]
	s_wait_loadcnt 0x4
	s_delay_alu instid0(VALU_DEP_1)
	v_fmac_f64_e32 v[168:169], v[152:153], v[148:149]
	s_clause 0x1
	scratch_load_b128 v[146:149], off, off offset:464
	scratch_load_b128 v[150:153], off, off offset:480
	s_wait_dscnt 0x0
	v_fmac_f64_e32 v[168:169], v[154:155], v[156:157]
	s_wait_loadcnt 0x5
	s_delay_alu instid0(VALU_DEP_1)
	v_fmac_f64_e32 v[168:169], v[164:165], v[158:159]
	ds_load_2addr_b64 v[154:157], v2 offset0:115 offset1:116
	ds_load_2addr_b64 v[158:161], v2 offset0:117 offset1:118
	s_wait_dscnt 0x1
	v_fmac_f64_e32 v[168:169], v[166:167], v[154:155]
	s_wait_loadcnt 0x4
	s_delay_alu instid0(VALU_DEP_1) | instskip(SKIP_4) | instid1(VALU_DEP_1)
	v_fmac_f64_e32 v[168:169], v[134:135], v[156:157]
	scratch_load_b128 v[154:157], off, off offset:496
	s_wait_dscnt 0x0
	v_fmac_f64_e32 v[168:169], v[136:137], v[158:159]
	s_wait_loadcnt 0x4
	v_fmac_f64_e32 v[168:169], v[138:139], v[160:161]
	ds_load_2addr_b64 v[134:137], v2 offset0:119 offset1:120
	ds_load_2addr_b64 v[158:161], v2 offset0:121 offset1:122
	s_wait_dscnt 0x1
	v_fmac_f64_e32 v[168:169], v[140:141], v[134:135]
	s_wait_loadcnt 0x3
	s_delay_alu instid0(VALU_DEP_1)
	v_fmac_f64_e32 v[168:169], v[142:143], v[136:137]
	ds_load_2addr_b64 v[134:137], v2 offset0:123 offset1:124
	ds_load_2addr_b64 v[138:141], v2 offset0:125 offset1:126
	s_wait_dscnt 0x2
	v_fmac_f64_e32 v[168:169], v[144:145], v[158:159]
	s_wait_loadcnt 0x2
	s_delay_alu instid0(VALU_DEP_1) | instskip(SKIP_1) | instid1(VALU_DEP_1)
	v_fmac_f64_e32 v[168:169], v[146:147], v[160:161]
	s_wait_dscnt 0x1
	v_fmac_f64_e32 v[168:169], v[148:149], v[134:135]
	ds_load_b64 v[134:135], v2 offset:1016
	s_wait_loadcnt 0x1
	v_fmac_f64_e32 v[168:169], v[150:151], v[136:137]
	s_wait_dscnt 0x1
	s_delay_alu instid0(VALU_DEP_1) | instskip(SKIP_1) | instid1(VALU_DEP_1)
	v_fmac_f64_e32 v[168:169], v[152:153], v[138:139]
	s_wait_loadcnt 0x0
	v_fmac_f64_e32 v[168:169], v[154:155], v[140:141]
	s_wait_dscnt 0x0
	s_delay_alu instid0(VALU_DEP_1) | instskip(NEXT) | instid1(VALU_DEP_1)
	v_fmac_f64_e32 v[168:169], v[156:157], v[134:135]
	v_add_f64_e64 v[132:133], v[132:133], -v[168:169]
	scratch_store_b64 off, v[132:133], off offset:304
	s_wait_xcnt 0x0
	v_cmpx_lt_u32_e32 37, v0
	s_cbranch_execz .LBB127_319
; %bb.318:
	scratch_load_b64 v[132:133], off, off offset:296
	v_mov_b64_e32 v[134:135], 0
	scratch_store_b64 off, v[134:135], off offset:296
	s_wait_loadcnt 0x0
	ds_store_b64 v1, v[132:133]
.LBB127_319:
	s_wait_xcnt 0x0
	s_or_b32 exec_lo, exec_lo, s0
	s_wait_storecnt_dscnt 0x0
	s_barrier_signal -1
	s_barrier_wait -1
	s_clause 0x5
	scratch_load_b128 v[132:135], off, off offset:296
	scratch_load_b128 v[136:139], off, off offset:312
	;; [unrolled: 1-line block ×6, first 2 shown]
	ds_load_b128 v[156:159], v2 offset:816
	ds_load_b128 v[160:163], v2 offset:832
	scratch_load_b128 v[164:167], off, off offset:392
	s_mov_b32 s0, exec_lo
	s_wait_loadcnt_dscnt 0x601
	v_fma_f64 v[168:169], v[134:135], v[156:157], 0
	s_wait_loadcnt 0x5
	s_delay_alu instid0(VALU_DEP_1) | instskip(SKIP_4) | instid1(VALU_DEP_1)
	v_fmac_f64_e32 v[168:169], v[136:137], v[158:159]
	scratch_load_b128 v[134:137], off, off offset:408
	s_wait_dscnt 0x0
	v_fmac_f64_e32 v[168:169], v[138:139], v[160:161]
	s_wait_loadcnt 0x5
	v_fmac_f64_e32 v[168:169], v[140:141], v[162:163]
	ds_load_b128 v[138:141], v2 offset:848
	ds_load_b128 v[156:159], v2 offset:864
	scratch_load_b128 v[160:163], off, off offset:424
	s_wait_dscnt 0x1
	v_fmac_f64_e32 v[168:169], v[142:143], v[138:139]
	s_wait_loadcnt 0x5
	s_delay_alu instid0(VALU_DEP_1) | instskip(SKIP_4) | instid1(VALU_DEP_1)
	v_fmac_f64_e32 v[168:169], v[144:145], v[140:141]
	scratch_load_b128 v[138:141], off, off offset:440
	s_wait_dscnt 0x0
	v_fmac_f64_e32 v[168:169], v[146:147], v[156:157]
	s_wait_loadcnt 0x5
	v_fmac_f64_e32 v[168:169], v[148:149], v[158:159]
	ds_load_b128 v[142:145], v2 offset:880
	ds_load_b128 v[146:149], v2 offset:896
	s_wait_dscnt 0x1
	v_fmac_f64_e32 v[168:169], v[150:151], v[142:143]
	s_wait_loadcnt 0x4
	s_delay_alu instid0(VALU_DEP_1) | instskip(SKIP_4) | instid1(VALU_DEP_1)
	v_fmac_f64_e32 v[168:169], v[152:153], v[144:145]
	scratch_load_b128 v[142:145], off, off offset:456
	s_wait_dscnt 0x0
	v_fmac_f64_e32 v[168:169], v[154:155], v[146:147]
	s_wait_loadcnt 0x4
	v_fmac_f64_e32 v[168:169], v[164:165], v[148:149]
	scratch_load_b128 v[146:149], off, off offset:472
	ds_load_b128 v[150:153], v2 offset:912
	ds_load_b128 v[154:157], v2 offset:928
	scratch_load_b64 v[158:159], off, off offset:504
	s_wait_dscnt 0x1
	v_fmac_f64_e32 v[168:169], v[166:167], v[150:151]
	s_wait_loadcnt 0x5
	s_delay_alu instid0(VALU_DEP_1) | instskip(SKIP_4) | instid1(VALU_DEP_1)
	v_fmac_f64_e32 v[168:169], v[134:135], v[152:153]
	scratch_load_b128 v[150:153], off, off offset:488
	s_wait_dscnt 0x0
	v_fmac_f64_e32 v[168:169], v[136:137], v[154:155]
	s_wait_loadcnt 0x5
	v_fmac_f64_e32 v[168:169], v[160:161], v[156:157]
	ds_load_b128 v[134:137], v2 offset:944
	ds_load_b128 v[154:157], v2 offset:960
	s_wait_dscnt 0x1
	v_fmac_f64_e32 v[168:169], v[162:163], v[134:135]
	s_wait_loadcnt 0x4
	s_delay_alu instid0(VALU_DEP_1) | instskip(SKIP_1) | instid1(VALU_DEP_1)
	v_fmac_f64_e32 v[168:169], v[138:139], v[136:137]
	s_wait_dscnt 0x0
	v_fmac_f64_e32 v[168:169], v[140:141], v[154:155]
	ds_load_b128 v[134:137], v2 offset:976
	ds_load_b128 v[138:141], v2 offset:992
	s_wait_loadcnt 0x3
	v_fmac_f64_e32 v[168:169], v[142:143], v[156:157]
	s_wait_dscnt 0x1
	s_delay_alu instid0(VALU_DEP_1) | instskip(SKIP_1) | instid1(VALU_DEP_1)
	v_fmac_f64_e32 v[168:169], v[144:145], v[134:135]
	s_wait_loadcnt 0x2
	v_fmac_f64_e32 v[168:169], v[146:147], v[136:137]
	ds_load_b128 v[134:137], v2 offset:1008
	s_wait_dscnt 0x1
	v_fmac_f64_e32 v[168:169], v[148:149], v[138:139]
	s_wait_loadcnt 0x0
	s_delay_alu instid0(VALU_DEP_1) | instskip(SKIP_1) | instid1(VALU_DEP_1)
	v_fmac_f64_e32 v[168:169], v[150:151], v[140:141]
	s_wait_dscnt 0x0
	v_fmac_f64_e32 v[168:169], v[152:153], v[134:135]
	s_delay_alu instid0(VALU_DEP_1) | instskip(NEXT) | instid1(VALU_DEP_1)
	v_fmac_f64_e32 v[168:169], v[158:159], v[136:137]
	v_add_f64_e64 v[2:3], v[132:133], -v[168:169]
	scratch_store_b64 off, v[2:3], off offset:296
	s_wait_xcnt 0x0
	v_cmpx_lt_u32_e32 36, v0
	s_cbranch_execz .LBB127_321
; %bb.320:
	scratch_load_b64 v[2:3], off, off offset:288
	v_mov_b64_e32 v[132:133], 0
	scratch_store_b64 off, v[132:133], off offset:288
	s_wait_loadcnt 0x0
	ds_store_b64 v1, v[2:3]
.LBB127_321:
	s_wait_xcnt 0x0
	s_or_b32 exec_lo, exec_lo, s0
	s_wait_storecnt_dscnt 0x0
	s_barrier_signal -1
	s_barrier_wait -1
	s_clause 0x5
	scratch_load_b128 v[132:135], off, off offset:288
	scratch_load_b128 v[136:139], off, off offset:304
	;; [unrolled: 1-line block ×6, first 2 shown]
	v_mov_b32_e32 v2, 0
	ds_load_2addr_b64 v[156:159], v2 offset0:101 offset1:102
	ds_load_2addr_b64 v[160:163], v2 offset0:103 offset1:104
	scratch_load_b128 v[164:167], off, off offset:384
	s_mov_b32 s0, exec_lo
	s_wait_loadcnt_dscnt 0x601
	v_fma_f64 v[168:169], v[134:135], v[156:157], 0
	s_wait_loadcnt 0x5
	s_delay_alu instid0(VALU_DEP_1) | instskip(SKIP_4) | instid1(VALU_DEP_1)
	v_fmac_f64_e32 v[168:169], v[136:137], v[158:159]
	scratch_load_b128 v[134:137], off, off offset:400
	s_wait_dscnt 0x0
	v_fmac_f64_e32 v[168:169], v[138:139], v[160:161]
	s_wait_loadcnt 0x5
	v_fmac_f64_e32 v[168:169], v[140:141], v[162:163]
	ds_load_2addr_b64 v[138:141], v2 offset0:105 offset1:106
	ds_load_2addr_b64 v[156:159], v2 offset0:107 offset1:108
	scratch_load_b128 v[160:163], off, off offset:416
	s_wait_dscnt 0x1
	v_fmac_f64_e32 v[168:169], v[142:143], v[138:139]
	s_wait_loadcnt 0x5
	s_delay_alu instid0(VALU_DEP_1) | instskip(SKIP_4) | instid1(VALU_DEP_1)
	v_fmac_f64_e32 v[168:169], v[144:145], v[140:141]
	scratch_load_b128 v[138:141], off, off offset:432
	s_wait_dscnt 0x0
	v_fmac_f64_e32 v[168:169], v[146:147], v[156:157]
	s_wait_loadcnt 0x5
	v_fmac_f64_e32 v[168:169], v[148:149], v[158:159]
	ds_load_2addr_b64 v[142:145], v2 offset0:109 offset1:110
	ds_load_2addr_b64 v[146:149], v2 offset0:111 offset1:112
	s_wait_dscnt 0x1
	v_fmac_f64_e32 v[168:169], v[150:151], v[142:143]
	s_wait_loadcnt 0x4
	s_delay_alu instid0(VALU_DEP_1) | instskip(SKIP_4) | instid1(VALU_DEP_1)
	v_fmac_f64_e32 v[168:169], v[152:153], v[144:145]
	scratch_load_b128 v[142:145], off, off offset:448
	s_wait_dscnt 0x0
	v_fmac_f64_e32 v[168:169], v[154:155], v[146:147]
	s_wait_loadcnt 0x4
	v_fmac_f64_e32 v[168:169], v[164:165], v[148:149]
	scratch_load_b128 v[146:149], off, off offset:464
	ds_load_2addr_b64 v[150:153], v2 offset0:113 offset1:114
	ds_load_2addr_b64 v[154:157], v2 offset0:115 offset1:116
	s_wait_dscnt 0x1
	v_fmac_f64_e32 v[168:169], v[166:167], v[150:151]
	s_wait_loadcnt 0x4
	s_delay_alu instid0(VALU_DEP_1)
	v_fmac_f64_e32 v[168:169], v[134:135], v[152:153]
	scratch_load_b128 v[150:153], off, off offset:480
	s_wait_dscnt 0x0
	v_fmac_f64_e32 v[168:169], v[136:137], v[154:155]
	scratch_load_b128 v[134:137], off, off offset:496
	s_wait_loadcnt 0x5
	v_fmac_f64_e32 v[168:169], v[160:161], v[156:157]
	ds_load_2addr_b64 v[154:157], v2 offset0:117 offset1:118
	ds_load_2addr_b64 v[158:161], v2 offset0:119 offset1:120
	s_wait_dscnt 0x1
	v_fmac_f64_e32 v[168:169], v[162:163], v[154:155]
	s_wait_loadcnt 0x4
	s_delay_alu instid0(VALU_DEP_1) | instskip(SKIP_1) | instid1(VALU_DEP_1)
	v_fmac_f64_e32 v[168:169], v[138:139], v[156:157]
	s_wait_dscnt 0x0
	v_fmac_f64_e32 v[168:169], v[140:141], v[158:159]
	ds_load_2addr_b64 v[138:141], v2 offset0:121 offset1:122
	ds_load_2addr_b64 v[154:157], v2 offset0:123 offset1:124
	s_wait_loadcnt 0x3
	v_fmac_f64_e32 v[168:169], v[142:143], v[160:161]
	s_wait_dscnt 0x1
	s_delay_alu instid0(VALU_DEP_1) | instskip(SKIP_1) | instid1(VALU_DEP_1)
	v_fmac_f64_e32 v[168:169], v[144:145], v[138:139]
	s_wait_loadcnt 0x2
	v_fmac_f64_e32 v[168:169], v[146:147], v[140:141]
	ds_load_2addr_b64 v[138:141], v2 offset0:125 offset1:126
	ds_load_b64 v[142:143], v2 offset:1016
	s_wait_dscnt 0x2
	v_fmac_f64_e32 v[168:169], v[148:149], v[154:155]
	s_wait_loadcnt 0x1
	s_delay_alu instid0(VALU_DEP_1) | instskip(SKIP_1) | instid1(VALU_DEP_1)
	v_fmac_f64_e32 v[168:169], v[150:151], v[156:157]
	s_wait_dscnt 0x1
	v_fmac_f64_e32 v[168:169], v[152:153], v[138:139]
	s_wait_loadcnt 0x0
	s_delay_alu instid0(VALU_DEP_1) | instskip(SKIP_1) | instid1(VALU_DEP_1)
	v_fmac_f64_e32 v[168:169], v[134:135], v[140:141]
	s_wait_dscnt 0x0
	v_fmac_f64_e32 v[168:169], v[136:137], v[142:143]
	s_delay_alu instid0(VALU_DEP_1)
	v_add_f64_e64 v[132:133], v[132:133], -v[168:169]
	scratch_store_b64 off, v[132:133], off offset:288
	s_wait_xcnt 0x0
	v_cmpx_lt_u32_e32 35, v0
	s_cbranch_execz .LBB127_323
; %bb.322:
	scratch_load_b64 v[132:133], off, off offset:280
	v_mov_b64_e32 v[134:135], 0
	scratch_store_b64 off, v[134:135], off offset:280
	s_wait_loadcnt 0x0
	ds_store_b64 v1, v[132:133]
.LBB127_323:
	s_wait_xcnt 0x0
	s_or_b32 exec_lo, exec_lo, s0
	s_wait_storecnt_dscnt 0x0
	s_barrier_signal -1
	s_barrier_wait -1
	s_clause 0x5
	scratch_load_b128 v[132:135], off, off offset:280
	scratch_load_b128 v[136:139], off, off offset:296
	;; [unrolled: 1-line block ×6, first 2 shown]
	ds_load_b128 v[156:159], v2 offset:800
	ds_load_b128 v[160:163], v2 offset:816
	scratch_load_b128 v[164:167], off, off offset:376
	s_mov_b32 s0, exec_lo
	s_wait_loadcnt_dscnt 0x601
	v_fma_f64 v[168:169], v[134:135], v[156:157], 0
	s_wait_loadcnt 0x5
	s_delay_alu instid0(VALU_DEP_1) | instskip(SKIP_4) | instid1(VALU_DEP_1)
	v_fmac_f64_e32 v[168:169], v[136:137], v[158:159]
	scratch_load_b128 v[134:137], off, off offset:392
	s_wait_dscnt 0x0
	v_fmac_f64_e32 v[168:169], v[138:139], v[160:161]
	s_wait_loadcnt 0x5
	v_fmac_f64_e32 v[168:169], v[140:141], v[162:163]
	ds_load_b128 v[138:141], v2 offset:832
	ds_load_b128 v[156:159], v2 offset:848
	scratch_load_b128 v[160:163], off, off offset:408
	s_wait_dscnt 0x1
	v_fmac_f64_e32 v[168:169], v[142:143], v[138:139]
	s_wait_loadcnt 0x5
	s_delay_alu instid0(VALU_DEP_1) | instskip(SKIP_4) | instid1(VALU_DEP_1)
	v_fmac_f64_e32 v[168:169], v[144:145], v[140:141]
	scratch_load_b128 v[138:141], off, off offset:424
	s_wait_dscnt 0x0
	v_fmac_f64_e32 v[168:169], v[146:147], v[156:157]
	s_wait_loadcnt 0x5
	v_fmac_f64_e32 v[168:169], v[148:149], v[158:159]
	ds_load_b128 v[142:145], v2 offset:864
	ds_load_b128 v[146:149], v2 offset:880
	s_wait_dscnt 0x1
	v_fmac_f64_e32 v[168:169], v[150:151], v[142:143]
	s_wait_loadcnt 0x4
	s_delay_alu instid0(VALU_DEP_1) | instskip(SKIP_4) | instid1(VALU_DEP_1)
	v_fmac_f64_e32 v[168:169], v[152:153], v[144:145]
	scratch_load_b128 v[142:145], off, off offset:440
	s_wait_dscnt 0x0
	v_fmac_f64_e32 v[168:169], v[154:155], v[146:147]
	s_wait_loadcnt 0x4
	v_fmac_f64_e32 v[168:169], v[164:165], v[148:149]
	scratch_load_b128 v[146:149], off, off offset:456
	ds_load_b128 v[150:153], v2 offset:896
	ds_load_b128 v[154:157], v2 offset:912
	s_wait_dscnt 0x1
	v_fmac_f64_e32 v[168:169], v[166:167], v[150:151]
	s_wait_loadcnt 0x4
	s_delay_alu instid0(VALU_DEP_1)
	v_fmac_f64_e32 v[168:169], v[134:135], v[152:153]
	scratch_load_b128 v[150:153], off, off offset:472
	s_wait_dscnt 0x0
	v_fmac_f64_e32 v[168:169], v[136:137], v[154:155]
	scratch_load_b128 v[134:137], off, off offset:488
	s_wait_loadcnt 0x5
	v_fmac_f64_e32 v[168:169], v[160:161], v[156:157]
	ds_load_b128 v[154:157], v2 offset:928
	ds_load_b128 v[158:161], v2 offset:944
	s_wait_dscnt 0x1
	v_fmac_f64_e32 v[168:169], v[162:163], v[154:155]
	scratch_load_b64 v[162:163], off, off offset:504
	s_wait_loadcnt 0x5
	v_fmac_f64_e32 v[168:169], v[138:139], v[156:157]
	s_wait_dscnt 0x0
	s_delay_alu instid0(VALU_DEP_1)
	v_fmac_f64_e32 v[168:169], v[140:141], v[158:159]
	ds_load_b128 v[138:141], v2 offset:960
	ds_load_b128 v[154:157], v2 offset:976
	s_wait_loadcnt 0x4
	v_fmac_f64_e32 v[168:169], v[142:143], v[160:161]
	s_wait_dscnt 0x1
	s_delay_alu instid0(VALU_DEP_1) | instskip(SKIP_1) | instid1(VALU_DEP_1)
	v_fmac_f64_e32 v[168:169], v[144:145], v[138:139]
	s_wait_loadcnt 0x3
	v_fmac_f64_e32 v[168:169], v[146:147], v[140:141]
	ds_load_b128 v[138:141], v2 offset:992
	ds_load_b128 v[142:145], v2 offset:1008
	s_wait_dscnt 0x2
	v_fmac_f64_e32 v[168:169], v[148:149], v[154:155]
	s_wait_loadcnt 0x2
	s_delay_alu instid0(VALU_DEP_1) | instskip(SKIP_1) | instid1(VALU_DEP_1)
	v_fmac_f64_e32 v[168:169], v[150:151], v[156:157]
	s_wait_dscnt 0x1
	v_fmac_f64_e32 v[168:169], v[152:153], v[138:139]
	s_wait_loadcnt 0x1
	s_delay_alu instid0(VALU_DEP_1) | instskip(SKIP_1) | instid1(VALU_DEP_1)
	v_fmac_f64_e32 v[168:169], v[134:135], v[140:141]
	s_wait_dscnt 0x0
	v_fmac_f64_e32 v[168:169], v[136:137], v[142:143]
	s_wait_loadcnt 0x0
	s_delay_alu instid0(VALU_DEP_1) | instskip(NEXT) | instid1(VALU_DEP_1)
	v_fmac_f64_e32 v[168:169], v[162:163], v[144:145]
	v_add_f64_e64 v[2:3], v[132:133], -v[168:169]
	scratch_store_b64 off, v[2:3], off offset:280
	s_wait_xcnt 0x0
	v_cmpx_lt_u32_e32 34, v0
	s_cbranch_execz .LBB127_325
; %bb.324:
	scratch_load_b64 v[2:3], off, off offset:272
	v_mov_b64_e32 v[132:133], 0
	scratch_store_b64 off, v[132:133], off offset:272
	s_wait_loadcnt 0x0
	ds_store_b64 v1, v[2:3]
.LBB127_325:
	s_wait_xcnt 0x0
	s_or_b32 exec_lo, exec_lo, s0
	s_wait_storecnt_dscnt 0x0
	s_barrier_signal -1
	s_barrier_wait -1
	s_clause 0x5
	scratch_load_b128 v[132:135], off, off offset:272
	scratch_load_b128 v[136:139], off, off offset:288
	;; [unrolled: 1-line block ×6, first 2 shown]
	v_mov_b32_e32 v2, 0
	ds_load_2addr_b64 v[156:159], v2 offset0:99 offset1:100
	ds_load_2addr_b64 v[160:163], v2 offset0:101 offset1:102
	scratch_load_b128 v[164:167], off, off offset:368
	s_mov_b32 s0, exec_lo
	s_wait_loadcnt_dscnt 0x601
	v_fma_f64 v[168:169], v[134:135], v[156:157], 0
	s_wait_loadcnt 0x5
	s_delay_alu instid0(VALU_DEP_1) | instskip(SKIP_4) | instid1(VALU_DEP_1)
	v_fmac_f64_e32 v[168:169], v[136:137], v[158:159]
	scratch_load_b128 v[134:137], off, off offset:384
	s_wait_dscnt 0x0
	v_fmac_f64_e32 v[168:169], v[138:139], v[160:161]
	s_wait_loadcnt 0x5
	v_fmac_f64_e32 v[168:169], v[140:141], v[162:163]
	ds_load_2addr_b64 v[138:141], v2 offset0:103 offset1:104
	ds_load_2addr_b64 v[156:159], v2 offset0:105 offset1:106
	scratch_load_b128 v[160:163], off, off offset:400
	s_wait_dscnt 0x1
	v_fmac_f64_e32 v[168:169], v[142:143], v[138:139]
	s_wait_loadcnt 0x5
	s_delay_alu instid0(VALU_DEP_1) | instskip(SKIP_4) | instid1(VALU_DEP_1)
	v_fmac_f64_e32 v[168:169], v[144:145], v[140:141]
	scratch_load_b128 v[138:141], off, off offset:416
	s_wait_dscnt 0x0
	v_fmac_f64_e32 v[168:169], v[146:147], v[156:157]
	s_wait_loadcnt 0x5
	v_fmac_f64_e32 v[168:169], v[148:149], v[158:159]
	ds_load_2addr_b64 v[142:145], v2 offset0:107 offset1:108
	ds_load_2addr_b64 v[146:149], v2 offset0:109 offset1:110
	s_wait_dscnt 0x1
	v_fmac_f64_e32 v[168:169], v[150:151], v[142:143]
	s_wait_loadcnt 0x4
	s_delay_alu instid0(VALU_DEP_1) | instskip(SKIP_4) | instid1(VALU_DEP_1)
	v_fmac_f64_e32 v[168:169], v[152:153], v[144:145]
	scratch_load_b128 v[142:145], off, off offset:432
	s_wait_dscnt 0x0
	v_fmac_f64_e32 v[168:169], v[154:155], v[146:147]
	s_wait_loadcnt 0x4
	v_fmac_f64_e32 v[168:169], v[164:165], v[148:149]
	scratch_load_b128 v[146:149], off, off offset:448
	ds_load_2addr_b64 v[150:153], v2 offset0:111 offset1:112
	ds_load_2addr_b64 v[154:157], v2 offset0:113 offset1:114
	s_wait_dscnt 0x1
	v_fmac_f64_e32 v[168:169], v[166:167], v[150:151]
	s_wait_loadcnt 0x4
	s_delay_alu instid0(VALU_DEP_1)
	v_fmac_f64_e32 v[168:169], v[134:135], v[152:153]
	scratch_load_b128 v[150:153], off, off offset:464
	s_wait_dscnt 0x0
	v_fmac_f64_e32 v[168:169], v[136:137], v[154:155]
	scratch_load_b128 v[134:137], off, off offset:480
	s_wait_loadcnt 0x5
	v_fmac_f64_e32 v[168:169], v[160:161], v[156:157]
	ds_load_2addr_b64 v[154:157], v2 offset0:115 offset1:116
	ds_load_2addr_b64 v[158:161], v2 offset0:117 offset1:118
	s_wait_dscnt 0x1
	v_fmac_f64_e32 v[168:169], v[162:163], v[154:155]
	s_wait_loadcnt 0x4
	s_delay_alu instid0(VALU_DEP_1) | instskip(SKIP_4) | instid1(VALU_DEP_1)
	v_fmac_f64_e32 v[168:169], v[138:139], v[156:157]
	scratch_load_b128 v[154:157], off, off offset:496
	s_wait_dscnt 0x0
	v_fmac_f64_e32 v[168:169], v[140:141], v[158:159]
	s_wait_loadcnt 0x4
	v_fmac_f64_e32 v[168:169], v[142:143], v[160:161]
	ds_load_2addr_b64 v[138:141], v2 offset0:119 offset1:120
	ds_load_2addr_b64 v[158:161], v2 offset0:121 offset1:122
	s_wait_dscnt 0x1
	v_fmac_f64_e32 v[168:169], v[144:145], v[138:139]
	s_wait_loadcnt 0x3
	s_delay_alu instid0(VALU_DEP_1)
	v_fmac_f64_e32 v[168:169], v[146:147], v[140:141]
	ds_load_2addr_b64 v[138:141], v2 offset0:123 offset1:124
	ds_load_2addr_b64 v[142:145], v2 offset0:125 offset1:126
	s_wait_dscnt 0x2
	v_fmac_f64_e32 v[168:169], v[148:149], v[158:159]
	s_wait_loadcnt 0x2
	s_delay_alu instid0(VALU_DEP_1) | instskip(SKIP_1) | instid1(VALU_DEP_1)
	v_fmac_f64_e32 v[168:169], v[150:151], v[160:161]
	s_wait_dscnt 0x1
	v_fmac_f64_e32 v[168:169], v[152:153], v[138:139]
	s_wait_loadcnt 0x1
	s_delay_alu instid0(VALU_DEP_1) | instskip(SKIP_4) | instid1(VALU_DEP_1)
	v_fmac_f64_e32 v[168:169], v[134:135], v[140:141]
	ds_load_b64 v[134:135], v2 offset:1016
	s_wait_dscnt 0x1
	v_fmac_f64_e32 v[168:169], v[136:137], v[142:143]
	s_wait_loadcnt 0x0
	v_fmac_f64_e32 v[168:169], v[154:155], v[144:145]
	s_wait_dscnt 0x0
	s_delay_alu instid0(VALU_DEP_1) | instskip(NEXT) | instid1(VALU_DEP_1)
	v_fmac_f64_e32 v[168:169], v[156:157], v[134:135]
	v_add_f64_e64 v[132:133], v[132:133], -v[168:169]
	scratch_store_b64 off, v[132:133], off offset:272
	s_wait_xcnt 0x0
	v_cmpx_lt_u32_e32 33, v0
	s_cbranch_execz .LBB127_327
; %bb.326:
	scratch_load_b64 v[132:133], off, off offset:264
	v_mov_b64_e32 v[134:135], 0
	scratch_store_b64 off, v[134:135], off offset:264
	s_wait_loadcnt 0x0
	ds_store_b64 v1, v[132:133]
.LBB127_327:
	s_wait_xcnt 0x0
	s_or_b32 exec_lo, exec_lo, s0
	s_wait_storecnt_dscnt 0x0
	s_barrier_signal -1
	s_barrier_wait -1
	s_clause 0x5
	scratch_load_b128 v[132:135], off, off offset:264
	scratch_load_b128 v[136:139], off, off offset:280
	;; [unrolled: 1-line block ×6, first 2 shown]
	ds_load_b128 v[156:159], v2 offset:784
	ds_load_b128 v[160:163], v2 offset:800
	scratch_load_b128 v[164:167], off, off offset:360
	s_mov_b32 s0, exec_lo
	s_wait_loadcnt_dscnt 0x601
	v_fma_f64 v[168:169], v[134:135], v[156:157], 0
	s_wait_loadcnt 0x5
	s_delay_alu instid0(VALU_DEP_1) | instskip(SKIP_4) | instid1(VALU_DEP_1)
	v_fmac_f64_e32 v[168:169], v[136:137], v[158:159]
	scratch_load_b128 v[134:137], off, off offset:376
	s_wait_dscnt 0x0
	v_fmac_f64_e32 v[168:169], v[138:139], v[160:161]
	s_wait_loadcnt 0x5
	v_fmac_f64_e32 v[168:169], v[140:141], v[162:163]
	ds_load_b128 v[138:141], v2 offset:816
	ds_load_b128 v[156:159], v2 offset:832
	scratch_load_b128 v[160:163], off, off offset:392
	s_wait_dscnt 0x1
	v_fmac_f64_e32 v[168:169], v[142:143], v[138:139]
	s_wait_loadcnt 0x5
	s_delay_alu instid0(VALU_DEP_1) | instskip(SKIP_4) | instid1(VALU_DEP_1)
	v_fmac_f64_e32 v[168:169], v[144:145], v[140:141]
	scratch_load_b128 v[138:141], off, off offset:408
	s_wait_dscnt 0x0
	v_fmac_f64_e32 v[168:169], v[146:147], v[156:157]
	s_wait_loadcnt 0x5
	v_fmac_f64_e32 v[168:169], v[148:149], v[158:159]
	ds_load_b128 v[142:145], v2 offset:848
	ds_load_b128 v[146:149], v2 offset:864
	scratch_load_b128 v[156:159], off, off offset:424
	s_wait_dscnt 0x1
	v_fmac_f64_e32 v[168:169], v[150:151], v[142:143]
	s_wait_loadcnt 0x5
	s_delay_alu instid0(VALU_DEP_1) | instskip(SKIP_4) | instid1(VALU_DEP_1)
	v_fmac_f64_e32 v[168:169], v[152:153], v[144:145]
	scratch_load_b128 v[142:145], off, off offset:440
	s_wait_dscnt 0x0
	v_fmac_f64_e32 v[168:169], v[154:155], v[146:147]
	s_wait_loadcnt 0x5
	v_fmac_f64_e32 v[168:169], v[164:165], v[148:149]
	ds_load_b128 v[146:149], v2 offset:880
	ds_load_b128 v[150:153], v2 offset:896
	s_wait_dscnt 0x1
	v_fmac_f64_e32 v[168:169], v[166:167], v[146:147]
	s_wait_loadcnt 0x4
	s_delay_alu instid0(VALU_DEP_1)
	v_fmac_f64_e32 v[168:169], v[134:135], v[148:149]
	scratch_load_b128 v[146:149], off, off offset:456
	s_wait_dscnt 0x0
	v_fmac_f64_e32 v[168:169], v[136:137], v[150:151]
	scratch_load_b128 v[134:137], off, off offset:472
	s_wait_loadcnt 0x5
	v_fmac_f64_e32 v[168:169], v[160:161], v[152:153]
	ds_load_b128 v[150:153], v2 offset:912
	ds_load_b128 v[164:167], v2 offset:928
	scratch_load_b64 v[160:161], off, off offset:504
	s_wait_dscnt 0x1
	v_fmac_f64_e32 v[168:169], v[162:163], v[150:151]
	s_wait_loadcnt 0x5
	s_delay_alu instid0(VALU_DEP_1) | instskip(SKIP_4) | instid1(VALU_DEP_1)
	v_fmac_f64_e32 v[168:169], v[138:139], v[152:153]
	scratch_load_b128 v[150:153], off, off offset:488
	s_wait_dscnt 0x0
	v_fmac_f64_e32 v[168:169], v[140:141], v[164:165]
	s_wait_loadcnt 0x5
	v_fmac_f64_e32 v[168:169], v[156:157], v[166:167]
	ds_load_b128 v[138:141], v2 offset:944
	ds_load_b128 v[154:157], v2 offset:960
	s_wait_dscnt 0x1
	v_fmac_f64_e32 v[168:169], v[158:159], v[138:139]
	s_wait_loadcnt 0x4
	s_delay_alu instid0(VALU_DEP_1) | instskip(SKIP_1) | instid1(VALU_DEP_1)
	v_fmac_f64_e32 v[168:169], v[142:143], v[140:141]
	s_wait_dscnt 0x0
	v_fmac_f64_e32 v[168:169], v[144:145], v[154:155]
	ds_load_b128 v[138:141], v2 offset:976
	ds_load_b128 v[142:145], v2 offset:992
	s_wait_loadcnt 0x3
	v_fmac_f64_e32 v[168:169], v[146:147], v[156:157]
	s_wait_dscnt 0x1
	s_delay_alu instid0(VALU_DEP_1) | instskip(SKIP_1) | instid1(VALU_DEP_1)
	v_fmac_f64_e32 v[168:169], v[148:149], v[138:139]
	s_wait_loadcnt 0x2
	v_fmac_f64_e32 v[168:169], v[134:135], v[140:141]
	s_wait_dscnt 0x0
	s_delay_alu instid0(VALU_DEP_1) | instskip(SKIP_4) | instid1(VALU_DEP_1)
	v_fmac_f64_e32 v[168:169], v[136:137], v[142:143]
	ds_load_b128 v[134:137], v2 offset:1008
	s_wait_loadcnt 0x0
	v_fmac_f64_e32 v[168:169], v[150:151], v[144:145]
	s_wait_dscnt 0x0
	v_fmac_f64_e32 v[168:169], v[152:153], v[134:135]
	s_delay_alu instid0(VALU_DEP_1) | instskip(NEXT) | instid1(VALU_DEP_1)
	v_fmac_f64_e32 v[168:169], v[160:161], v[136:137]
	v_add_f64_e64 v[2:3], v[132:133], -v[168:169]
	scratch_store_b64 off, v[2:3], off offset:264
	s_wait_xcnt 0x0
	v_cmpx_lt_u32_e32 32, v0
	s_cbranch_execz .LBB127_329
; %bb.328:
	scratch_load_b64 v[2:3], off, off offset:256
	v_mov_b64_e32 v[132:133], 0
	scratch_store_b64 off, v[132:133], off offset:256
	s_wait_loadcnt 0x0
	ds_store_b64 v1, v[2:3]
.LBB127_329:
	s_wait_xcnt 0x0
	s_or_b32 exec_lo, exec_lo, s0
	s_wait_storecnt_dscnt 0x0
	s_barrier_signal -1
	s_barrier_wait -1
	s_clause 0x5
	scratch_load_b128 v[132:135], off, off offset:256
	scratch_load_b128 v[136:139], off, off offset:272
	;; [unrolled: 1-line block ×6, first 2 shown]
	v_mov_b32_e32 v2, 0
	ds_load_2addr_b64 v[156:159], v2 offset0:97 offset1:98
	ds_load_2addr_b64 v[160:163], v2 offset0:99 offset1:100
	scratch_load_b128 v[164:167], off, off offset:352
	s_mov_b32 s0, exec_lo
	s_wait_loadcnt_dscnt 0x601
	v_fma_f64 v[168:169], v[134:135], v[156:157], 0
	s_wait_loadcnt 0x5
	s_delay_alu instid0(VALU_DEP_1) | instskip(SKIP_4) | instid1(VALU_DEP_1)
	v_fmac_f64_e32 v[168:169], v[136:137], v[158:159]
	scratch_load_b128 v[134:137], off, off offset:368
	s_wait_dscnt 0x0
	v_fmac_f64_e32 v[168:169], v[138:139], v[160:161]
	s_wait_loadcnt 0x5
	v_fmac_f64_e32 v[168:169], v[140:141], v[162:163]
	ds_load_2addr_b64 v[138:141], v2 offset0:101 offset1:102
	ds_load_2addr_b64 v[156:159], v2 offset0:103 offset1:104
	scratch_load_b128 v[160:163], off, off offset:384
	s_wait_dscnt 0x1
	v_fmac_f64_e32 v[168:169], v[142:143], v[138:139]
	s_wait_loadcnt 0x5
	s_delay_alu instid0(VALU_DEP_1) | instskip(SKIP_4) | instid1(VALU_DEP_1)
	v_fmac_f64_e32 v[168:169], v[144:145], v[140:141]
	scratch_load_b128 v[138:141], off, off offset:400
	s_wait_dscnt 0x0
	v_fmac_f64_e32 v[168:169], v[146:147], v[156:157]
	s_wait_loadcnt 0x5
	v_fmac_f64_e32 v[168:169], v[148:149], v[158:159]
	ds_load_2addr_b64 v[142:145], v2 offset0:105 offset1:106
	ds_load_2addr_b64 v[146:149], v2 offset0:107 offset1:108
	scratch_load_b128 v[156:159], off, off offset:416
	s_wait_dscnt 0x1
	v_fmac_f64_e32 v[168:169], v[150:151], v[142:143]
	s_wait_loadcnt 0x5
	s_delay_alu instid0(VALU_DEP_1) | instskip(SKIP_4) | instid1(VALU_DEP_1)
	v_fmac_f64_e32 v[168:169], v[152:153], v[144:145]
	scratch_load_b128 v[142:145], off, off offset:432
	s_wait_dscnt 0x0
	v_fmac_f64_e32 v[168:169], v[154:155], v[146:147]
	s_wait_loadcnt 0x5
	v_fmac_f64_e32 v[168:169], v[164:165], v[148:149]
	ds_load_2addr_b64 v[146:149], v2 offset0:109 offset1:110
	ds_load_2addr_b64 v[150:153], v2 offset0:111 offset1:112
	s_wait_dscnt 0x1
	v_fmac_f64_e32 v[168:169], v[166:167], v[146:147]
	s_wait_loadcnt 0x4
	s_delay_alu instid0(VALU_DEP_1)
	v_fmac_f64_e32 v[168:169], v[134:135], v[148:149]
	scratch_load_b128 v[146:149], off, off offset:448
	s_wait_dscnt 0x0
	v_fmac_f64_e32 v[168:169], v[136:137], v[150:151]
	scratch_load_b128 v[134:137], off, off offset:464
	s_wait_loadcnt 0x5
	v_fmac_f64_e32 v[168:169], v[160:161], v[152:153]
	ds_load_2addr_b64 v[150:153], v2 offset0:113 offset1:114
	ds_load_2addr_b64 v[164:167], v2 offset0:115 offset1:116
	s_wait_dscnt 0x1
	v_fmac_f64_e32 v[168:169], v[162:163], v[150:151]
	s_wait_loadcnt 0x4
	s_delay_alu instid0(VALU_DEP_1)
	v_fmac_f64_e32 v[168:169], v[138:139], v[152:153]
	scratch_load_b128 v[150:153], off, off offset:480
	s_wait_dscnt 0x0
	v_fmac_f64_e32 v[168:169], v[140:141], v[164:165]
	scratch_load_b128 v[138:141], off, off offset:496
	s_wait_loadcnt 0x5
	v_fmac_f64_e32 v[168:169], v[156:157], v[166:167]
	ds_load_2addr_b64 v[154:157], v2 offset0:117 offset1:118
	ds_load_2addr_b64 v[160:163], v2 offset0:119 offset1:120
	s_wait_dscnt 0x1
	v_fmac_f64_e32 v[168:169], v[158:159], v[154:155]
	s_wait_loadcnt 0x4
	s_delay_alu instid0(VALU_DEP_1) | instskip(SKIP_1) | instid1(VALU_DEP_1)
	v_fmac_f64_e32 v[168:169], v[142:143], v[156:157]
	s_wait_dscnt 0x0
	v_fmac_f64_e32 v[168:169], v[144:145], v[160:161]
	ds_load_2addr_b64 v[142:145], v2 offset0:121 offset1:122
	ds_load_2addr_b64 v[154:157], v2 offset0:123 offset1:124
	s_wait_loadcnt 0x3
	v_fmac_f64_e32 v[168:169], v[146:147], v[162:163]
	s_wait_dscnt 0x1
	s_delay_alu instid0(VALU_DEP_1) | instskip(SKIP_1) | instid1(VALU_DEP_1)
	v_fmac_f64_e32 v[168:169], v[148:149], v[142:143]
	s_wait_loadcnt 0x2
	v_fmac_f64_e32 v[168:169], v[134:135], v[144:145]
	s_wait_dscnt 0x0
	s_delay_alu instid0(VALU_DEP_1)
	v_fmac_f64_e32 v[168:169], v[136:137], v[154:155]
	ds_load_2addr_b64 v[134:137], v2 offset0:125 offset1:126
	ds_load_b64 v[142:143], v2 offset:1016
	s_wait_loadcnt 0x1
	v_fmac_f64_e32 v[168:169], v[150:151], v[156:157]
	s_wait_dscnt 0x1
	s_delay_alu instid0(VALU_DEP_1) | instskip(SKIP_1) | instid1(VALU_DEP_1)
	v_fmac_f64_e32 v[168:169], v[152:153], v[134:135]
	s_wait_loadcnt 0x0
	v_fmac_f64_e32 v[168:169], v[138:139], v[136:137]
	s_wait_dscnt 0x0
	s_delay_alu instid0(VALU_DEP_1) | instskip(NEXT) | instid1(VALU_DEP_1)
	v_fmac_f64_e32 v[168:169], v[140:141], v[142:143]
	v_add_f64_e64 v[132:133], v[132:133], -v[168:169]
	scratch_store_b64 off, v[132:133], off offset:256
	s_wait_xcnt 0x0
	v_cmpx_lt_u32_e32 31, v0
	s_cbranch_execz .LBB127_331
; %bb.330:
	scratch_load_b64 v[132:133], off, off offset:248
	v_mov_b64_e32 v[134:135], 0
	scratch_store_b64 off, v[134:135], off offset:248
	s_wait_loadcnt 0x0
	ds_store_b64 v1, v[132:133]
.LBB127_331:
	s_wait_xcnt 0x0
	s_or_b32 exec_lo, exec_lo, s0
	s_wait_storecnt_dscnt 0x0
	s_barrier_signal -1
	s_barrier_wait -1
	s_clause 0x5
	scratch_load_b128 v[132:135], off, off offset:248
	scratch_load_b128 v[136:139], off, off offset:264
	;; [unrolled: 1-line block ×6, first 2 shown]
	ds_load_b128 v[156:159], v2 offset:768
	ds_load_b128 v[160:163], v2 offset:784
	scratch_load_b128 v[164:167], off, off offset:344
	s_mov_b32 s0, exec_lo
	s_wait_loadcnt_dscnt 0x601
	v_fma_f64 v[168:169], v[134:135], v[156:157], 0
	s_wait_loadcnt 0x5
	s_delay_alu instid0(VALU_DEP_1) | instskip(SKIP_4) | instid1(VALU_DEP_1)
	v_fmac_f64_e32 v[168:169], v[136:137], v[158:159]
	scratch_load_b128 v[134:137], off, off offset:360
	s_wait_dscnt 0x0
	v_fmac_f64_e32 v[168:169], v[138:139], v[160:161]
	s_wait_loadcnt 0x5
	v_fmac_f64_e32 v[168:169], v[140:141], v[162:163]
	ds_load_b128 v[138:141], v2 offset:800
	ds_load_b128 v[156:159], v2 offset:816
	scratch_load_b128 v[160:163], off, off offset:376
	s_wait_dscnt 0x1
	v_fmac_f64_e32 v[168:169], v[142:143], v[138:139]
	s_wait_loadcnt 0x5
	s_delay_alu instid0(VALU_DEP_1) | instskip(SKIP_4) | instid1(VALU_DEP_1)
	v_fmac_f64_e32 v[168:169], v[144:145], v[140:141]
	scratch_load_b128 v[138:141], off, off offset:392
	s_wait_dscnt 0x0
	v_fmac_f64_e32 v[168:169], v[146:147], v[156:157]
	s_wait_loadcnt 0x5
	v_fmac_f64_e32 v[168:169], v[148:149], v[158:159]
	ds_load_b128 v[142:145], v2 offset:832
	ds_load_b128 v[146:149], v2 offset:848
	scratch_load_b128 v[156:159], off, off offset:408
	s_wait_dscnt 0x1
	v_fmac_f64_e32 v[168:169], v[150:151], v[142:143]
	s_wait_loadcnt 0x5
	s_delay_alu instid0(VALU_DEP_1) | instskip(SKIP_4) | instid1(VALU_DEP_1)
	v_fmac_f64_e32 v[168:169], v[152:153], v[144:145]
	scratch_load_b128 v[142:145], off, off offset:424
	s_wait_dscnt 0x0
	v_fmac_f64_e32 v[168:169], v[154:155], v[146:147]
	s_wait_loadcnt 0x5
	v_fmac_f64_e32 v[168:169], v[164:165], v[148:149]
	ds_load_b128 v[146:149], v2 offset:864
	ds_load_b128 v[150:153], v2 offset:880
	s_wait_dscnt 0x1
	v_fmac_f64_e32 v[168:169], v[166:167], v[146:147]
	s_wait_loadcnt 0x4
	s_delay_alu instid0(VALU_DEP_1)
	v_fmac_f64_e32 v[168:169], v[134:135], v[148:149]
	scratch_load_b128 v[146:149], off, off offset:440
	s_wait_dscnt 0x0
	v_fmac_f64_e32 v[168:169], v[136:137], v[150:151]
	scratch_load_b128 v[134:137], off, off offset:456
	s_wait_loadcnt 0x5
	v_fmac_f64_e32 v[168:169], v[160:161], v[152:153]
	ds_load_b128 v[150:153], v2 offset:896
	ds_load_b128 v[164:167], v2 offset:912
	s_wait_dscnt 0x1
	v_fmac_f64_e32 v[168:169], v[162:163], v[150:151]
	s_wait_loadcnt 0x4
	s_delay_alu instid0(VALU_DEP_1)
	v_fmac_f64_e32 v[168:169], v[138:139], v[152:153]
	scratch_load_b128 v[150:153], off, off offset:472
	s_wait_dscnt 0x0
	v_fmac_f64_e32 v[168:169], v[140:141], v[164:165]
	scratch_load_b128 v[138:141], off, off offset:488
	s_wait_loadcnt 0x5
	v_fmac_f64_e32 v[168:169], v[156:157], v[166:167]
	ds_load_b128 v[154:157], v2 offset:928
	ds_load_b128 v[160:163], v2 offset:944
	s_wait_dscnt 0x1
	v_fmac_f64_e32 v[168:169], v[158:159], v[154:155]
	scratch_load_b64 v[158:159], off, off offset:504
	s_wait_loadcnt 0x5
	v_fmac_f64_e32 v[168:169], v[142:143], v[156:157]
	s_wait_dscnt 0x0
	s_delay_alu instid0(VALU_DEP_1)
	v_fmac_f64_e32 v[168:169], v[144:145], v[160:161]
	ds_load_b128 v[142:145], v2 offset:960
	ds_load_b128 v[154:157], v2 offset:976
	s_wait_loadcnt 0x4
	v_fmac_f64_e32 v[168:169], v[146:147], v[162:163]
	s_wait_dscnt 0x1
	s_delay_alu instid0(VALU_DEP_1) | instskip(SKIP_1) | instid1(VALU_DEP_1)
	v_fmac_f64_e32 v[168:169], v[148:149], v[142:143]
	s_wait_loadcnt 0x3
	v_fmac_f64_e32 v[168:169], v[134:135], v[144:145]
	s_wait_dscnt 0x0
	s_delay_alu instid0(VALU_DEP_1)
	v_fmac_f64_e32 v[168:169], v[136:137], v[154:155]
	ds_load_b128 v[134:137], v2 offset:992
	ds_load_b128 v[142:145], v2 offset:1008
	s_wait_loadcnt 0x2
	v_fmac_f64_e32 v[168:169], v[150:151], v[156:157]
	s_wait_dscnt 0x1
	s_delay_alu instid0(VALU_DEP_1) | instskip(SKIP_1) | instid1(VALU_DEP_1)
	v_fmac_f64_e32 v[168:169], v[152:153], v[134:135]
	s_wait_loadcnt 0x1
	v_fmac_f64_e32 v[168:169], v[138:139], v[136:137]
	s_wait_dscnt 0x0
	s_delay_alu instid0(VALU_DEP_1) | instskip(SKIP_1) | instid1(VALU_DEP_1)
	v_fmac_f64_e32 v[168:169], v[140:141], v[142:143]
	s_wait_loadcnt 0x0
	v_fmac_f64_e32 v[168:169], v[158:159], v[144:145]
	s_delay_alu instid0(VALU_DEP_1)
	v_add_f64_e64 v[2:3], v[132:133], -v[168:169]
	scratch_store_b64 off, v[2:3], off offset:248
	s_wait_xcnt 0x0
	v_cmpx_lt_u32_e32 30, v0
	s_cbranch_execz .LBB127_333
; %bb.332:
	scratch_load_b64 v[2:3], off, off offset:240
	v_mov_b64_e32 v[132:133], 0
	scratch_store_b64 off, v[132:133], off offset:240
	s_wait_loadcnt 0x0
	ds_store_b64 v1, v[2:3]
.LBB127_333:
	s_wait_xcnt 0x0
	s_or_b32 exec_lo, exec_lo, s0
	s_wait_storecnt_dscnt 0x0
	s_barrier_signal -1
	s_barrier_wait -1
	s_clause 0x5
	scratch_load_b128 v[132:135], off, off offset:240
	scratch_load_b128 v[136:139], off, off offset:256
	;; [unrolled: 1-line block ×6, first 2 shown]
	v_mov_b32_e32 v2, 0
	ds_load_2addr_b64 v[156:159], v2 offset0:95 offset1:96
	ds_load_2addr_b64 v[160:163], v2 offset0:97 offset1:98
	scratch_load_b128 v[164:167], off, off offset:336
	s_mov_b32 s0, exec_lo
	s_wait_loadcnt_dscnt 0x601
	v_fma_f64 v[168:169], v[134:135], v[156:157], 0
	s_wait_loadcnt 0x5
	s_delay_alu instid0(VALU_DEP_1) | instskip(SKIP_4) | instid1(VALU_DEP_1)
	v_fmac_f64_e32 v[168:169], v[136:137], v[158:159]
	scratch_load_b128 v[134:137], off, off offset:352
	s_wait_dscnt 0x0
	v_fmac_f64_e32 v[168:169], v[138:139], v[160:161]
	s_wait_loadcnt 0x5
	v_fmac_f64_e32 v[168:169], v[140:141], v[162:163]
	ds_load_2addr_b64 v[138:141], v2 offset0:99 offset1:100
	ds_load_2addr_b64 v[156:159], v2 offset0:101 offset1:102
	scratch_load_b128 v[160:163], off, off offset:368
	s_wait_dscnt 0x1
	v_fmac_f64_e32 v[168:169], v[142:143], v[138:139]
	s_wait_loadcnt 0x5
	s_delay_alu instid0(VALU_DEP_1) | instskip(SKIP_4) | instid1(VALU_DEP_1)
	v_fmac_f64_e32 v[168:169], v[144:145], v[140:141]
	scratch_load_b128 v[138:141], off, off offset:384
	s_wait_dscnt 0x0
	v_fmac_f64_e32 v[168:169], v[146:147], v[156:157]
	s_wait_loadcnt 0x5
	v_fmac_f64_e32 v[168:169], v[148:149], v[158:159]
	ds_load_2addr_b64 v[142:145], v2 offset0:103 offset1:104
	ds_load_2addr_b64 v[146:149], v2 offset0:105 offset1:106
	scratch_load_b128 v[156:159], off, off offset:400
	s_wait_dscnt 0x1
	v_fmac_f64_e32 v[168:169], v[150:151], v[142:143]
	s_wait_loadcnt 0x5
	s_delay_alu instid0(VALU_DEP_1) | instskip(SKIP_4) | instid1(VALU_DEP_1)
	v_fmac_f64_e32 v[168:169], v[152:153], v[144:145]
	scratch_load_b128 v[142:145], off, off offset:416
	s_wait_dscnt 0x0
	v_fmac_f64_e32 v[168:169], v[154:155], v[146:147]
	s_wait_loadcnt 0x5
	v_fmac_f64_e32 v[168:169], v[164:165], v[148:149]
	ds_load_2addr_b64 v[146:149], v2 offset0:107 offset1:108
	ds_load_2addr_b64 v[150:153], v2 offset0:109 offset1:110
	s_wait_dscnt 0x1
	v_fmac_f64_e32 v[168:169], v[166:167], v[146:147]
	s_wait_loadcnt 0x4
	s_delay_alu instid0(VALU_DEP_1)
	v_fmac_f64_e32 v[168:169], v[134:135], v[148:149]
	scratch_load_b128 v[146:149], off, off offset:432
	s_wait_dscnt 0x0
	v_fmac_f64_e32 v[168:169], v[136:137], v[150:151]
	scratch_load_b128 v[134:137], off, off offset:448
	s_wait_loadcnt 0x5
	v_fmac_f64_e32 v[168:169], v[160:161], v[152:153]
	ds_load_2addr_b64 v[150:153], v2 offset0:111 offset1:112
	ds_load_2addr_b64 v[164:167], v2 offset0:113 offset1:114
	s_wait_dscnt 0x1
	v_fmac_f64_e32 v[168:169], v[162:163], v[150:151]
	s_wait_loadcnt 0x4
	s_delay_alu instid0(VALU_DEP_1)
	v_fmac_f64_e32 v[168:169], v[138:139], v[152:153]
	scratch_load_b128 v[150:153], off, off offset:464
	s_wait_dscnt 0x0
	v_fmac_f64_e32 v[168:169], v[140:141], v[164:165]
	scratch_load_b128 v[138:141], off, off offset:480
	s_wait_loadcnt 0x5
	v_fmac_f64_e32 v[168:169], v[156:157], v[166:167]
	ds_load_2addr_b64 v[154:157], v2 offset0:115 offset1:116
	ds_load_2addr_b64 v[160:163], v2 offset0:117 offset1:118
	s_wait_dscnt 0x1
	v_fmac_f64_e32 v[168:169], v[158:159], v[154:155]
	s_wait_loadcnt 0x4
	s_delay_alu instid0(VALU_DEP_1)
	v_fmac_f64_e32 v[168:169], v[142:143], v[156:157]
	scratch_load_b128 v[154:157], off, off offset:496
	s_wait_dscnt 0x0
	v_fmac_f64_e32 v[168:169], v[144:145], v[160:161]
	ds_load_2addr_b64 v[142:145], v2 offset0:119 offset1:120
	ds_load_2addr_b64 v[158:161], v2 offset0:121 offset1:122
	s_wait_loadcnt 0x4
	v_fmac_f64_e32 v[168:169], v[146:147], v[162:163]
	s_wait_dscnt 0x1
	s_delay_alu instid0(VALU_DEP_1) | instskip(SKIP_1) | instid1(VALU_DEP_1)
	v_fmac_f64_e32 v[168:169], v[148:149], v[142:143]
	s_wait_loadcnt 0x3
	v_fmac_f64_e32 v[168:169], v[134:135], v[144:145]
	s_wait_dscnt 0x0
	s_delay_alu instid0(VALU_DEP_1)
	v_fmac_f64_e32 v[168:169], v[136:137], v[158:159]
	ds_load_2addr_b64 v[134:137], v2 offset0:123 offset1:124
	ds_load_2addr_b64 v[142:145], v2 offset0:125 offset1:126
	s_wait_loadcnt 0x2
	v_fmac_f64_e32 v[168:169], v[150:151], v[160:161]
	s_wait_dscnt 0x1
	s_delay_alu instid0(VALU_DEP_1) | instskip(SKIP_4) | instid1(VALU_DEP_1)
	v_fmac_f64_e32 v[168:169], v[152:153], v[134:135]
	ds_load_b64 v[134:135], v2 offset:1016
	s_wait_loadcnt 0x1
	v_fmac_f64_e32 v[168:169], v[138:139], v[136:137]
	s_wait_dscnt 0x1
	v_fmac_f64_e32 v[168:169], v[140:141], v[142:143]
	s_wait_loadcnt 0x0
	s_delay_alu instid0(VALU_DEP_1) | instskip(SKIP_1) | instid1(VALU_DEP_1)
	v_fmac_f64_e32 v[168:169], v[154:155], v[144:145]
	s_wait_dscnt 0x0
	v_fmac_f64_e32 v[168:169], v[156:157], v[134:135]
	s_delay_alu instid0(VALU_DEP_1)
	v_add_f64_e64 v[132:133], v[132:133], -v[168:169]
	scratch_store_b64 off, v[132:133], off offset:240
	s_wait_xcnt 0x0
	v_cmpx_lt_u32_e32 29, v0
	s_cbranch_execz .LBB127_335
; %bb.334:
	scratch_load_b64 v[132:133], off, off offset:232
	v_mov_b64_e32 v[134:135], 0
	scratch_store_b64 off, v[134:135], off offset:232
	s_wait_loadcnt 0x0
	ds_store_b64 v1, v[132:133]
.LBB127_335:
	s_wait_xcnt 0x0
	s_or_b32 exec_lo, exec_lo, s0
	s_wait_storecnt_dscnt 0x0
	s_barrier_signal -1
	s_barrier_wait -1
	s_clause 0x5
	scratch_load_b128 v[132:135], off, off offset:232
	scratch_load_b128 v[136:139], off, off offset:248
	;; [unrolled: 1-line block ×6, first 2 shown]
	ds_load_b128 v[156:159], v2 offset:752
	ds_load_b128 v[160:163], v2 offset:768
	scratch_load_b128 v[164:167], off, off offset:328
	s_mov_b32 s0, exec_lo
	s_wait_loadcnt_dscnt 0x601
	v_fma_f64 v[168:169], v[134:135], v[156:157], 0
	s_wait_loadcnt 0x5
	s_delay_alu instid0(VALU_DEP_1) | instskip(SKIP_4) | instid1(VALU_DEP_1)
	v_fmac_f64_e32 v[168:169], v[136:137], v[158:159]
	scratch_load_b128 v[134:137], off, off offset:344
	s_wait_dscnt 0x0
	v_fmac_f64_e32 v[168:169], v[138:139], v[160:161]
	s_wait_loadcnt 0x5
	v_fmac_f64_e32 v[168:169], v[140:141], v[162:163]
	ds_load_b128 v[138:141], v2 offset:784
	ds_load_b128 v[156:159], v2 offset:800
	scratch_load_b128 v[160:163], off, off offset:360
	s_wait_dscnt 0x1
	v_fmac_f64_e32 v[168:169], v[142:143], v[138:139]
	s_wait_loadcnt 0x5
	s_delay_alu instid0(VALU_DEP_1) | instskip(SKIP_4) | instid1(VALU_DEP_1)
	v_fmac_f64_e32 v[168:169], v[144:145], v[140:141]
	scratch_load_b128 v[138:141], off, off offset:376
	s_wait_dscnt 0x0
	v_fmac_f64_e32 v[168:169], v[146:147], v[156:157]
	s_wait_loadcnt 0x5
	v_fmac_f64_e32 v[168:169], v[148:149], v[158:159]
	ds_load_b128 v[142:145], v2 offset:816
	ds_load_b128 v[146:149], v2 offset:832
	scratch_load_b128 v[156:159], off, off offset:392
	s_wait_dscnt 0x1
	v_fmac_f64_e32 v[168:169], v[150:151], v[142:143]
	s_wait_loadcnt 0x5
	s_delay_alu instid0(VALU_DEP_1) | instskip(SKIP_4) | instid1(VALU_DEP_1)
	v_fmac_f64_e32 v[168:169], v[152:153], v[144:145]
	scratch_load_b128 v[142:145], off, off offset:408
	s_wait_dscnt 0x0
	v_fmac_f64_e32 v[168:169], v[154:155], v[146:147]
	s_wait_loadcnt 0x5
	v_fmac_f64_e32 v[168:169], v[164:165], v[148:149]
	ds_load_b128 v[146:149], v2 offset:848
	ds_load_b128 v[150:153], v2 offset:864
	s_wait_dscnt 0x1
	v_fmac_f64_e32 v[168:169], v[166:167], v[146:147]
	scratch_load_b128 v[164:167], off, off offset:424
	s_wait_loadcnt 0x5
	v_fmac_f64_e32 v[168:169], v[134:135], v[148:149]
	s_wait_dscnt 0x0
	s_delay_alu instid0(VALU_DEP_1)
	v_fmac_f64_e32 v[168:169], v[136:137], v[150:151]
	scratch_load_b128 v[134:137], off, off offset:440
	s_wait_loadcnt 0x5
	v_fmac_f64_e32 v[168:169], v[160:161], v[152:153]
	ds_load_b128 v[146:149], v2 offset:880
	ds_load_b128 v[150:153], v2 offset:896
	s_wait_dscnt 0x1
	v_fmac_f64_e32 v[168:169], v[162:163], v[146:147]
	s_wait_loadcnt 0x4
	s_delay_alu instid0(VALU_DEP_1)
	v_fmac_f64_e32 v[168:169], v[138:139], v[148:149]
	scratch_load_b128 v[146:149], off, off offset:456
	s_wait_dscnt 0x0
	v_fmac_f64_e32 v[168:169], v[140:141], v[150:151]
	scratch_load_b128 v[138:141], off, off offset:472
	s_wait_loadcnt 0x5
	v_fmac_f64_e32 v[168:169], v[156:157], v[152:153]
	ds_load_b128 v[150:153], v2 offset:912
	ds_load_b128 v[154:157], v2 offset:928
	s_wait_dscnt 0x1
	v_fmac_f64_e32 v[168:169], v[158:159], v[150:151]
	scratch_load_b64 v[158:159], off, off offset:504
	s_wait_loadcnt 0x5
	v_fmac_f64_e32 v[168:169], v[142:143], v[152:153]
	scratch_load_b128 v[150:153], off, off offset:488
	s_wait_dscnt 0x0
	v_fmac_f64_e32 v[168:169], v[144:145], v[154:155]
	s_wait_loadcnt 0x5
	s_delay_alu instid0(VALU_DEP_1)
	v_fmac_f64_e32 v[168:169], v[164:165], v[156:157]
	ds_load_b128 v[142:145], v2 offset:944
	ds_load_b128 v[154:157], v2 offset:960
	s_wait_dscnt 0x1
	v_fmac_f64_e32 v[168:169], v[166:167], v[142:143]
	s_wait_loadcnt 0x4
	s_delay_alu instid0(VALU_DEP_1) | instskip(SKIP_1) | instid1(VALU_DEP_1)
	v_fmac_f64_e32 v[168:169], v[134:135], v[144:145]
	s_wait_dscnt 0x0
	v_fmac_f64_e32 v[168:169], v[136:137], v[154:155]
	ds_load_b128 v[134:137], v2 offset:976
	ds_load_b128 v[142:145], v2 offset:992
	s_wait_loadcnt 0x3
	v_fmac_f64_e32 v[168:169], v[146:147], v[156:157]
	s_wait_dscnt 0x1
	s_delay_alu instid0(VALU_DEP_1) | instskip(SKIP_1) | instid1(VALU_DEP_1)
	v_fmac_f64_e32 v[168:169], v[148:149], v[134:135]
	s_wait_loadcnt 0x2
	v_fmac_f64_e32 v[168:169], v[138:139], v[136:137]
	ds_load_b128 v[134:137], v2 offset:1008
	s_wait_dscnt 0x1
	v_fmac_f64_e32 v[168:169], v[140:141], v[142:143]
	s_wait_loadcnt 0x0
	s_delay_alu instid0(VALU_DEP_1) | instskip(SKIP_1) | instid1(VALU_DEP_1)
	v_fmac_f64_e32 v[168:169], v[150:151], v[144:145]
	s_wait_dscnt 0x0
	v_fmac_f64_e32 v[168:169], v[152:153], v[134:135]
	s_delay_alu instid0(VALU_DEP_1) | instskip(NEXT) | instid1(VALU_DEP_1)
	v_fmac_f64_e32 v[168:169], v[158:159], v[136:137]
	v_add_f64_e64 v[2:3], v[132:133], -v[168:169]
	scratch_store_b64 off, v[2:3], off offset:232
	s_wait_xcnt 0x0
	v_cmpx_lt_u32_e32 28, v0
	s_cbranch_execz .LBB127_337
; %bb.336:
	scratch_load_b64 v[2:3], off, off offset:224
	v_mov_b64_e32 v[132:133], 0
	scratch_store_b64 off, v[132:133], off offset:224
	s_wait_loadcnt 0x0
	ds_store_b64 v1, v[2:3]
.LBB127_337:
	s_wait_xcnt 0x0
	s_or_b32 exec_lo, exec_lo, s0
	s_wait_storecnt_dscnt 0x0
	s_barrier_signal -1
	s_barrier_wait -1
	s_clause 0x5
	scratch_load_b128 v[132:135], off, off offset:224
	scratch_load_b128 v[136:139], off, off offset:240
	;; [unrolled: 1-line block ×6, first 2 shown]
	v_mov_b32_e32 v2, 0
	ds_load_2addr_b64 v[156:159], v2 offset0:93 offset1:94
	ds_load_2addr_b64 v[160:163], v2 offset0:95 offset1:96
	scratch_load_b128 v[164:167], off, off offset:320
	s_mov_b32 s0, exec_lo
	s_wait_loadcnt_dscnt 0x601
	v_fma_f64 v[168:169], v[134:135], v[156:157], 0
	s_wait_loadcnt 0x5
	s_delay_alu instid0(VALU_DEP_1) | instskip(SKIP_4) | instid1(VALU_DEP_1)
	v_fmac_f64_e32 v[168:169], v[136:137], v[158:159]
	scratch_load_b128 v[134:137], off, off offset:336
	s_wait_dscnt 0x0
	v_fmac_f64_e32 v[168:169], v[138:139], v[160:161]
	s_wait_loadcnt 0x5
	v_fmac_f64_e32 v[168:169], v[140:141], v[162:163]
	ds_load_2addr_b64 v[138:141], v2 offset0:97 offset1:98
	ds_load_2addr_b64 v[156:159], v2 offset0:99 offset1:100
	scratch_load_b128 v[160:163], off, off offset:352
	s_wait_dscnt 0x1
	v_fmac_f64_e32 v[168:169], v[142:143], v[138:139]
	s_wait_loadcnt 0x5
	s_delay_alu instid0(VALU_DEP_1) | instskip(SKIP_4) | instid1(VALU_DEP_1)
	v_fmac_f64_e32 v[168:169], v[144:145], v[140:141]
	scratch_load_b128 v[138:141], off, off offset:368
	s_wait_dscnt 0x0
	v_fmac_f64_e32 v[168:169], v[146:147], v[156:157]
	s_wait_loadcnt 0x5
	v_fmac_f64_e32 v[168:169], v[148:149], v[158:159]
	ds_load_2addr_b64 v[142:145], v2 offset0:101 offset1:102
	ds_load_2addr_b64 v[146:149], v2 offset0:103 offset1:104
	scratch_load_b128 v[156:159], off, off offset:384
	s_wait_dscnt 0x1
	v_fmac_f64_e32 v[168:169], v[150:151], v[142:143]
	s_wait_loadcnt 0x5
	s_delay_alu instid0(VALU_DEP_1) | instskip(SKIP_4) | instid1(VALU_DEP_1)
	v_fmac_f64_e32 v[168:169], v[152:153], v[144:145]
	scratch_load_b128 v[142:145], off, off offset:400
	s_wait_dscnt 0x0
	v_fmac_f64_e32 v[168:169], v[154:155], v[146:147]
	s_wait_loadcnt 0x5
	v_fmac_f64_e32 v[168:169], v[164:165], v[148:149]
	ds_load_2addr_b64 v[146:149], v2 offset0:105 offset1:106
	ds_load_2addr_b64 v[150:153], v2 offset0:107 offset1:108
	s_wait_dscnt 0x1
	v_fmac_f64_e32 v[168:169], v[166:167], v[146:147]
	scratch_load_b128 v[164:167], off, off offset:416
	s_wait_loadcnt 0x5
	v_fmac_f64_e32 v[168:169], v[134:135], v[148:149]
	s_wait_dscnt 0x0
	s_delay_alu instid0(VALU_DEP_1)
	v_fmac_f64_e32 v[168:169], v[136:137], v[150:151]
	scratch_load_b128 v[134:137], off, off offset:432
	s_wait_loadcnt 0x5
	v_fmac_f64_e32 v[168:169], v[160:161], v[152:153]
	ds_load_2addr_b64 v[146:149], v2 offset0:109 offset1:110
	ds_load_2addr_b64 v[150:153], v2 offset0:111 offset1:112
	s_wait_dscnt 0x1
	v_fmac_f64_e32 v[168:169], v[162:163], v[146:147]
	s_wait_loadcnt 0x4
	s_delay_alu instid0(VALU_DEP_1)
	v_fmac_f64_e32 v[168:169], v[138:139], v[148:149]
	scratch_load_b128 v[146:149], off, off offset:448
	s_wait_dscnt 0x0
	v_fmac_f64_e32 v[168:169], v[140:141], v[150:151]
	scratch_load_b128 v[138:141], off, off offset:464
	s_wait_loadcnt 0x5
	v_fmac_f64_e32 v[168:169], v[156:157], v[152:153]
	ds_load_2addr_b64 v[150:153], v2 offset0:113 offset1:114
	ds_load_2addr_b64 v[154:157], v2 offset0:115 offset1:116
	s_wait_dscnt 0x1
	v_fmac_f64_e32 v[168:169], v[158:159], v[150:151]
	s_wait_loadcnt 0x4
	s_delay_alu instid0(VALU_DEP_1)
	v_fmac_f64_e32 v[168:169], v[142:143], v[152:153]
	scratch_load_b128 v[150:153], off, off offset:480
	s_wait_dscnt 0x0
	v_fmac_f64_e32 v[168:169], v[144:145], v[154:155]
	scratch_load_b128 v[142:145], off, off offset:496
	s_wait_loadcnt 0x5
	v_fmac_f64_e32 v[168:169], v[164:165], v[156:157]
	ds_load_2addr_b64 v[154:157], v2 offset0:117 offset1:118
	ds_load_2addr_b64 v[158:161], v2 offset0:119 offset1:120
	s_wait_dscnt 0x1
	v_fmac_f64_e32 v[168:169], v[166:167], v[154:155]
	s_wait_loadcnt 0x4
	s_delay_alu instid0(VALU_DEP_1) | instskip(SKIP_1) | instid1(VALU_DEP_1)
	v_fmac_f64_e32 v[168:169], v[134:135], v[156:157]
	s_wait_dscnt 0x0
	v_fmac_f64_e32 v[168:169], v[136:137], v[158:159]
	ds_load_2addr_b64 v[134:137], v2 offset0:121 offset1:122
	ds_load_2addr_b64 v[154:157], v2 offset0:123 offset1:124
	s_wait_loadcnt 0x3
	v_fmac_f64_e32 v[168:169], v[146:147], v[160:161]
	s_wait_dscnt 0x1
	s_delay_alu instid0(VALU_DEP_1) | instskip(SKIP_1) | instid1(VALU_DEP_1)
	v_fmac_f64_e32 v[168:169], v[148:149], v[134:135]
	s_wait_loadcnt 0x2
	v_fmac_f64_e32 v[168:169], v[138:139], v[136:137]
	ds_load_2addr_b64 v[134:137], v2 offset0:125 offset1:126
	ds_load_b64 v[138:139], v2 offset:1016
	s_wait_dscnt 0x2
	v_fmac_f64_e32 v[168:169], v[140:141], v[154:155]
	s_wait_loadcnt 0x1
	s_delay_alu instid0(VALU_DEP_1) | instskip(SKIP_1) | instid1(VALU_DEP_1)
	v_fmac_f64_e32 v[168:169], v[150:151], v[156:157]
	s_wait_dscnt 0x1
	v_fmac_f64_e32 v[168:169], v[152:153], v[134:135]
	s_wait_loadcnt 0x0
	s_delay_alu instid0(VALU_DEP_1) | instskip(SKIP_1) | instid1(VALU_DEP_1)
	v_fmac_f64_e32 v[168:169], v[142:143], v[136:137]
	s_wait_dscnt 0x0
	v_fmac_f64_e32 v[168:169], v[144:145], v[138:139]
	s_delay_alu instid0(VALU_DEP_1)
	v_add_f64_e64 v[132:133], v[132:133], -v[168:169]
	scratch_store_b64 off, v[132:133], off offset:224
	s_wait_xcnt 0x0
	v_cmpx_lt_u32_e32 27, v0
	s_cbranch_execz .LBB127_339
; %bb.338:
	scratch_load_b64 v[132:133], off, off offset:216
	v_mov_b64_e32 v[134:135], 0
	scratch_store_b64 off, v[134:135], off offset:216
	s_wait_loadcnt 0x0
	ds_store_b64 v1, v[132:133]
.LBB127_339:
	s_wait_xcnt 0x0
	s_or_b32 exec_lo, exec_lo, s0
	s_wait_storecnt_dscnt 0x0
	s_barrier_signal -1
	s_barrier_wait -1
	s_clause 0x5
	scratch_load_b128 v[132:135], off, off offset:216
	scratch_load_b128 v[136:139], off, off offset:232
	;; [unrolled: 1-line block ×6, first 2 shown]
	ds_load_b128 v[156:159], v2 offset:736
	ds_load_b128 v[160:163], v2 offset:752
	scratch_load_b128 v[164:167], off, off offset:312
	s_mov_b32 s0, exec_lo
	s_wait_loadcnt_dscnt 0x601
	v_fma_f64 v[168:169], v[134:135], v[156:157], 0
	s_wait_loadcnt 0x5
	s_delay_alu instid0(VALU_DEP_1) | instskip(SKIP_4) | instid1(VALU_DEP_1)
	v_fmac_f64_e32 v[168:169], v[136:137], v[158:159]
	scratch_load_b128 v[134:137], off, off offset:328
	s_wait_dscnt 0x0
	v_fmac_f64_e32 v[168:169], v[138:139], v[160:161]
	s_wait_loadcnt 0x5
	v_fmac_f64_e32 v[168:169], v[140:141], v[162:163]
	ds_load_b128 v[138:141], v2 offset:768
	ds_load_b128 v[156:159], v2 offset:784
	scratch_load_b128 v[160:163], off, off offset:344
	s_wait_dscnt 0x1
	v_fmac_f64_e32 v[168:169], v[142:143], v[138:139]
	s_wait_loadcnt 0x5
	s_delay_alu instid0(VALU_DEP_1) | instskip(SKIP_4) | instid1(VALU_DEP_1)
	v_fmac_f64_e32 v[168:169], v[144:145], v[140:141]
	scratch_load_b128 v[138:141], off, off offset:360
	s_wait_dscnt 0x0
	v_fmac_f64_e32 v[168:169], v[146:147], v[156:157]
	s_wait_loadcnt 0x5
	v_fmac_f64_e32 v[168:169], v[148:149], v[158:159]
	ds_load_b128 v[142:145], v2 offset:800
	ds_load_b128 v[146:149], v2 offset:816
	scratch_load_b128 v[156:159], off, off offset:376
	s_wait_dscnt 0x1
	v_fmac_f64_e32 v[168:169], v[150:151], v[142:143]
	s_wait_loadcnt 0x5
	s_delay_alu instid0(VALU_DEP_1) | instskip(SKIP_4) | instid1(VALU_DEP_1)
	v_fmac_f64_e32 v[168:169], v[152:153], v[144:145]
	scratch_load_b128 v[142:145], off, off offset:392
	s_wait_dscnt 0x0
	v_fmac_f64_e32 v[168:169], v[154:155], v[146:147]
	s_wait_loadcnt 0x5
	v_fmac_f64_e32 v[168:169], v[164:165], v[148:149]
	ds_load_b128 v[146:149], v2 offset:832
	ds_load_b128 v[150:153], v2 offset:848
	s_wait_dscnt 0x1
	v_fmac_f64_e32 v[168:169], v[166:167], v[146:147]
	scratch_load_b128 v[164:167], off, off offset:408
	s_wait_loadcnt 0x5
	v_fmac_f64_e32 v[168:169], v[134:135], v[148:149]
	s_wait_dscnt 0x0
	s_delay_alu instid0(VALU_DEP_1)
	v_fmac_f64_e32 v[168:169], v[136:137], v[150:151]
	scratch_load_b128 v[134:137], off, off offset:424
	s_wait_loadcnt 0x5
	v_fmac_f64_e32 v[168:169], v[160:161], v[152:153]
	ds_load_b128 v[146:149], v2 offset:864
	ds_load_b128 v[150:153], v2 offset:880
	s_wait_dscnt 0x1
	v_fmac_f64_e32 v[168:169], v[162:163], v[146:147]
	s_wait_loadcnt 0x4
	s_delay_alu instid0(VALU_DEP_1)
	v_fmac_f64_e32 v[168:169], v[138:139], v[148:149]
	scratch_load_b128 v[146:149], off, off offset:440
	s_wait_dscnt 0x0
	v_fmac_f64_e32 v[168:169], v[140:141], v[150:151]
	scratch_load_b128 v[138:141], off, off offset:456
	s_wait_loadcnt 0x5
	v_fmac_f64_e32 v[168:169], v[156:157], v[152:153]
	ds_load_b128 v[150:153], v2 offset:896
	ds_load_b128 v[154:157], v2 offset:912
	s_wait_dscnt 0x1
	v_fmac_f64_e32 v[168:169], v[158:159], v[150:151]
	s_wait_loadcnt 0x4
	s_delay_alu instid0(VALU_DEP_1)
	v_fmac_f64_e32 v[168:169], v[142:143], v[152:153]
	scratch_load_b128 v[150:153], off, off offset:472
	s_wait_dscnt 0x0
	v_fmac_f64_e32 v[168:169], v[144:145], v[154:155]
	scratch_load_b128 v[142:145], off, off offset:488
	s_wait_loadcnt 0x5
	v_fmac_f64_e32 v[168:169], v[164:165], v[156:157]
	ds_load_b128 v[154:157], v2 offset:928
	ds_load_b128 v[158:161], v2 offset:944
	scratch_load_b64 v[162:163], off, off offset:504
	s_wait_dscnt 0x1
	v_fmac_f64_e32 v[168:169], v[166:167], v[154:155]
	s_wait_loadcnt 0x5
	s_delay_alu instid0(VALU_DEP_1) | instskip(SKIP_1) | instid1(VALU_DEP_1)
	v_fmac_f64_e32 v[168:169], v[134:135], v[156:157]
	s_wait_dscnt 0x0
	v_fmac_f64_e32 v[168:169], v[136:137], v[158:159]
	ds_load_b128 v[134:137], v2 offset:960
	ds_load_b128 v[154:157], v2 offset:976
	s_wait_loadcnt 0x4
	v_fmac_f64_e32 v[168:169], v[146:147], v[160:161]
	s_wait_dscnt 0x1
	s_delay_alu instid0(VALU_DEP_1) | instskip(SKIP_1) | instid1(VALU_DEP_1)
	v_fmac_f64_e32 v[168:169], v[148:149], v[134:135]
	s_wait_loadcnt 0x3
	v_fmac_f64_e32 v[168:169], v[138:139], v[136:137]
	s_wait_dscnt 0x0
	s_delay_alu instid0(VALU_DEP_1)
	v_fmac_f64_e32 v[168:169], v[140:141], v[154:155]
	ds_load_b128 v[134:137], v2 offset:992
	ds_load_b128 v[138:141], v2 offset:1008
	s_wait_loadcnt 0x2
	v_fmac_f64_e32 v[168:169], v[150:151], v[156:157]
	s_wait_dscnt 0x1
	s_delay_alu instid0(VALU_DEP_1) | instskip(SKIP_1) | instid1(VALU_DEP_1)
	v_fmac_f64_e32 v[168:169], v[152:153], v[134:135]
	s_wait_loadcnt 0x1
	v_fmac_f64_e32 v[168:169], v[142:143], v[136:137]
	s_wait_dscnt 0x0
	s_delay_alu instid0(VALU_DEP_1) | instskip(SKIP_1) | instid1(VALU_DEP_1)
	v_fmac_f64_e32 v[168:169], v[144:145], v[138:139]
	s_wait_loadcnt 0x0
	v_fmac_f64_e32 v[168:169], v[162:163], v[140:141]
	s_delay_alu instid0(VALU_DEP_1)
	v_add_f64_e64 v[2:3], v[132:133], -v[168:169]
	scratch_store_b64 off, v[2:3], off offset:216
	s_wait_xcnt 0x0
	v_cmpx_lt_u32_e32 26, v0
	s_cbranch_execz .LBB127_341
; %bb.340:
	scratch_load_b64 v[2:3], off, off offset:208
	v_mov_b64_e32 v[132:133], 0
	scratch_store_b64 off, v[132:133], off offset:208
	s_wait_loadcnt 0x0
	ds_store_b64 v1, v[2:3]
.LBB127_341:
	s_wait_xcnt 0x0
	s_or_b32 exec_lo, exec_lo, s0
	s_wait_storecnt_dscnt 0x0
	s_barrier_signal -1
	s_barrier_wait -1
	s_clause 0x5
	scratch_load_b128 v[132:135], off, off offset:208
	scratch_load_b128 v[136:139], off, off offset:224
	scratch_load_b128 v[140:143], off, off offset:240
	scratch_load_b128 v[144:147], off, off offset:256
	scratch_load_b128 v[148:151], off, off offset:272
	scratch_load_b128 v[152:155], off, off offset:288
	v_mov_b32_e32 v2, 0
	ds_load_2addr_b64 v[156:159], v2 offset0:91 offset1:92
	ds_load_2addr_b64 v[160:163], v2 offset0:93 offset1:94
	scratch_load_b128 v[164:167], off, off offset:304
	s_mov_b32 s0, exec_lo
	s_wait_loadcnt_dscnt 0x601
	v_fma_f64 v[168:169], v[134:135], v[156:157], 0
	s_wait_loadcnt 0x5
	s_delay_alu instid0(VALU_DEP_1) | instskip(SKIP_4) | instid1(VALU_DEP_1)
	v_fmac_f64_e32 v[168:169], v[136:137], v[158:159]
	scratch_load_b128 v[134:137], off, off offset:320
	s_wait_dscnt 0x0
	v_fmac_f64_e32 v[168:169], v[138:139], v[160:161]
	s_wait_loadcnt 0x5
	v_fmac_f64_e32 v[168:169], v[140:141], v[162:163]
	ds_load_2addr_b64 v[138:141], v2 offset0:95 offset1:96
	ds_load_2addr_b64 v[156:159], v2 offset0:97 offset1:98
	scratch_load_b128 v[160:163], off, off offset:336
	s_wait_dscnt 0x1
	v_fmac_f64_e32 v[168:169], v[142:143], v[138:139]
	s_wait_loadcnt 0x5
	s_delay_alu instid0(VALU_DEP_1) | instskip(SKIP_4) | instid1(VALU_DEP_1)
	v_fmac_f64_e32 v[168:169], v[144:145], v[140:141]
	scratch_load_b128 v[138:141], off, off offset:352
	s_wait_dscnt 0x0
	v_fmac_f64_e32 v[168:169], v[146:147], v[156:157]
	s_wait_loadcnt 0x5
	v_fmac_f64_e32 v[168:169], v[148:149], v[158:159]
	ds_load_2addr_b64 v[142:145], v2 offset0:99 offset1:100
	ds_load_2addr_b64 v[146:149], v2 offset0:101 offset1:102
	scratch_load_b128 v[156:159], off, off offset:368
	s_wait_dscnt 0x1
	v_fmac_f64_e32 v[168:169], v[150:151], v[142:143]
	s_wait_loadcnt 0x5
	s_delay_alu instid0(VALU_DEP_1) | instskip(SKIP_4) | instid1(VALU_DEP_1)
	v_fmac_f64_e32 v[168:169], v[152:153], v[144:145]
	scratch_load_b128 v[142:145], off, off offset:384
	s_wait_dscnt 0x0
	v_fmac_f64_e32 v[168:169], v[154:155], v[146:147]
	s_wait_loadcnt 0x5
	v_fmac_f64_e32 v[168:169], v[164:165], v[148:149]
	ds_load_2addr_b64 v[146:149], v2 offset0:103 offset1:104
	ds_load_2addr_b64 v[150:153], v2 offset0:105 offset1:106
	s_wait_dscnt 0x1
	v_fmac_f64_e32 v[168:169], v[166:167], v[146:147]
	scratch_load_b128 v[164:167], off, off offset:400
	s_wait_loadcnt 0x5
	v_fmac_f64_e32 v[168:169], v[134:135], v[148:149]
	s_wait_dscnt 0x0
	s_delay_alu instid0(VALU_DEP_1)
	v_fmac_f64_e32 v[168:169], v[136:137], v[150:151]
	scratch_load_b128 v[134:137], off, off offset:416
	s_wait_loadcnt 0x5
	v_fmac_f64_e32 v[168:169], v[160:161], v[152:153]
	ds_load_2addr_b64 v[146:149], v2 offset0:107 offset1:108
	ds_load_2addr_b64 v[150:153], v2 offset0:109 offset1:110
	s_wait_dscnt 0x1
	v_fmac_f64_e32 v[168:169], v[162:163], v[146:147]
	s_wait_loadcnt 0x4
	s_delay_alu instid0(VALU_DEP_1)
	v_fmac_f64_e32 v[168:169], v[138:139], v[148:149]
	scratch_load_b128 v[146:149], off, off offset:432
	s_wait_dscnt 0x0
	v_fmac_f64_e32 v[168:169], v[140:141], v[150:151]
	scratch_load_b128 v[138:141], off, off offset:448
	s_wait_loadcnt 0x5
	v_fmac_f64_e32 v[168:169], v[156:157], v[152:153]
	ds_load_2addr_b64 v[150:153], v2 offset0:111 offset1:112
	ds_load_2addr_b64 v[154:157], v2 offset0:113 offset1:114
	s_wait_dscnt 0x1
	v_fmac_f64_e32 v[168:169], v[158:159], v[150:151]
	s_wait_loadcnt 0x4
	s_delay_alu instid0(VALU_DEP_1)
	v_fmac_f64_e32 v[168:169], v[142:143], v[152:153]
	scratch_load_b128 v[150:153], off, off offset:464
	s_wait_dscnt 0x0
	v_fmac_f64_e32 v[168:169], v[144:145], v[154:155]
	scratch_load_b128 v[142:145], off, off offset:480
	s_wait_loadcnt 0x5
	v_fmac_f64_e32 v[168:169], v[164:165], v[156:157]
	ds_load_2addr_b64 v[154:157], v2 offset0:115 offset1:116
	ds_load_2addr_b64 v[158:161], v2 offset0:117 offset1:118
	s_wait_dscnt 0x1
	v_fmac_f64_e32 v[168:169], v[166:167], v[154:155]
	s_wait_loadcnt 0x4
	s_delay_alu instid0(VALU_DEP_1) | instskip(SKIP_4) | instid1(VALU_DEP_1)
	v_fmac_f64_e32 v[168:169], v[134:135], v[156:157]
	scratch_load_b128 v[154:157], off, off offset:496
	s_wait_dscnt 0x0
	v_fmac_f64_e32 v[168:169], v[136:137], v[158:159]
	s_wait_loadcnt 0x4
	v_fmac_f64_e32 v[168:169], v[146:147], v[160:161]
	ds_load_2addr_b64 v[134:137], v2 offset0:119 offset1:120
	ds_load_2addr_b64 v[158:161], v2 offset0:121 offset1:122
	s_wait_dscnt 0x1
	v_fmac_f64_e32 v[168:169], v[148:149], v[134:135]
	s_wait_loadcnt 0x3
	s_delay_alu instid0(VALU_DEP_1) | instskip(SKIP_1) | instid1(VALU_DEP_1)
	v_fmac_f64_e32 v[168:169], v[138:139], v[136:137]
	s_wait_dscnt 0x0
	v_fmac_f64_e32 v[168:169], v[140:141], v[158:159]
	ds_load_2addr_b64 v[134:137], v2 offset0:123 offset1:124
	ds_load_2addr_b64 v[138:141], v2 offset0:125 offset1:126
	s_wait_loadcnt 0x2
	v_fmac_f64_e32 v[168:169], v[150:151], v[160:161]
	s_wait_dscnt 0x1
	s_delay_alu instid0(VALU_DEP_1) | instskip(SKIP_4) | instid1(VALU_DEP_1)
	v_fmac_f64_e32 v[168:169], v[152:153], v[134:135]
	ds_load_b64 v[134:135], v2 offset:1016
	s_wait_loadcnt 0x1
	v_fmac_f64_e32 v[168:169], v[142:143], v[136:137]
	s_wait_dscnt 0x1
	v_fmac_f64_e32 v[168:169], v[144:145], v[138:139]
	s_wait_loadcnt 0x0
	s_delay_alu instid0(VALU_DEP_1) | instskip(SKIP_1) | instid1(VALU_DEP_1)
	v_fmac_f64_e32 v[168:169], v[154:155], v[140:141]
	s_wait_dscnt 0x0
	v_fmac_f64_e32 v[168:169], v[156:157], v[134:135]
	s_delay_alu instid0(VALU_DEP_1)
	v_add_f64_e64 v[132:133], v[132:133], -v[168:169]
	scratch_store_b64 off, v[132:133], off offset:208
	s_wait_xcnt 0x0
	v_cmpx_lt_u32_e32 25, v0
	s_cbranch_execz .LBB127_343
; %bb.342:
	scratch_load_b64 v[132:133], off, off offset:200
	v_mov_b64_e32 v[134:135], 0
	scratch_store_b64 off, v[134:135], off offset:200
	s_wait_loadcnt 0x0
	ds_store_b64 v1, v[132:133]
.LBB127_343:
	s_wait_xcnt 0x0
	s_or_b32 exec_lo, exec_lo, s0
	s_wait_storecnt_dscnt 0x0
	s_barrier_signal -1
	s_barrier_wait -1
	s_clause 0x5
	scratch_load_b128 v[132:135], off, off offset:200
	scratch_load_b128 v[136:139], off, off offset:216
	;; [unrolled: 1-line block ×6, first 2 shown]
	ds_load_b128 v[156:159], v2 offset:720
	ds_load_b128 v[160:163], v2 offset:736
	scratch_load_b128 v[164:167], off, off offset:296
	s_mov_b32 s0, exec_lo
	s_wait_loadcnt_dscnt 0x601
	v_fma_f64 v[168:169], v[134:135], v[156:157], 0
	s_wait_loadcnt 0x5
	s_delay_alu instid0(VALU_DEP_1) | instskip(SKIP_4) | instid1(VALU_DEP_1)
	v_fmac_f64_e32 v[168:169], v[136:137], v[158:159]
	scratch_load_b128 v[134:137], off, off offset:312
	s_wait_dscnt 0x0
	v_fmac_f64_e32 v[168:169], v[138:139], v[160:161]
	s_wait_loadcnt 0x5
	v_fmac_f64_e32 v[168:169], v[140:141], v[162:163]
	ds_load_b128 v[138:141], v2 offset:752
	ds_load_b128 v[156:159], v2 offset:768
	scratch_load_b128 v[160:163], off, off offset:328
	s_wait_dscnt 0x1
	v_fmac_f64_e32 v[168:169], v[142:143], v[138:139]
	s_wait_loadcnt 0x5
	s_delay_alu instid0(VALU_DEP_1) | instskip(SKIP_4) | instid1(VALU_DEP_1)
	v_fmac_f64_e32 v[168:169], v[144:145], v[140:141]
	scratch_load_b128 v[138:141], off, off offset:344
	s_wait_dscnt 0x0
	v_fmac_f64_e32 v[168:169], v[146:147], v[156:157]
	s_wait_loadcnt 0x5
	v_fmac_f64_e32 v[168:169], v[148:149], v[158:159]
	ds_load_b128 v[142:145], v2 offset:784
	ds_load_b128 v[146:149], v2 offset:800
	scratch_load_b128 v[156:159], off, off offset:360
	s_wait_dscnt 0x1
	v_fmac_f64_e32 v[168:169], v[150:151], v[142:143]
	s_wait_loadcnt 0x5
	s_delay_alu instid0(VALU_DEP_1) | instskip(SKIP_4) | instid1(VALU_DEP_1)
	v_fmac_f64_e32 v[168:169], v[152:153], v[144:145]
	scratch_load_b128 v[142:145], off, off offset:376
	s_wait_dscnt 0x0
	v_fmac_f64_e32 v[168:169], v[154:155], v[146:147]
	s_wait_loadcnt 0x5
	v_fmac_f64_e32 v[168:169], v[164:165], v[148:149]
	ds_load_b128 v[146:149], v2 offset:816
	ds_load_b128 v[150:153], v2 offset:832
	s_wait_dscnt 0x1
	v_fmac_f64_e32 v[168:169], v[166:167], v[146:147]
	scratch_load_b128 v[164:167], off, off offset:392
	s_wait_loadcnt 0x5
	v_fmac_f64_e32 v[168:169], v[134:135], v[148:149]
	s_wait_dscnt 0x0
	s_delay_alu instid0(VALU_DEP_1)
	v_fmac_f64_e32 v[168:169], v[136:137], v[150:151]
	scratch_load_b128 v[134:137], off, off offset:408
	s_wait_loadcnt 0x5
	v_fmac_f64_e32 v[168:169], v[160:161], v[152:153]
	ds_load_b128 v[146:149], v2 offset:848
	ds_load_b128 v[150:153], v2 offset:864
	s_wait_dscnt 0x1
	v_fmac_f64_e32 v[168:169], v[162:163], v[146:147]
	scratch_load_b128 v[160:163], off, off offset:424
	s_wait_loadcnt 0x5
	v_fmac_f64_e32 v[168:169], v[138:139], v[148:149]
	s_wait_dscnt 0x0
	s_delay_alu instid0(VALU_DEP_1)
	v_fmac_f64_e32 v[168:169], v[140:141], v[150:151]
	scratch_load_b128 v[138:141], off, off offset:440
	s_wait_loadcnt 0x5
	v_fmac_f64_e32 v[168:169], v[156:157], v[152:153]
	ds_load_b128 v[146:149], v2 offset:880
	ds_load_b128 v[150:153], v2 offset:896
	s_wait_dscnt 0x1
	v_fmac_f64_e32 v[168:169], v[158:159], v[146:147]
	s_wait_loadcnt 0x4
	s_delay_alu instid0(VALU_DEP_1)
	v_fmac_f64_e32 v[168:169], v[142:143], v[148:149]
	scratch_load_b128 v[146:149], off, off offset:456
	s_wait_dscnt 0x0
	v_fmac_f64_e32 v[168:169], v[144:145], v[150:151]
	scratch_load_b128 v[142:145], off, off offset:472
	s_wait_loadcnt 0x5
	v_fmac_f64_e32 v[168:169], v[164:165], v[152:153]
	ds_load_b128 v[150:153], v2 offset:912
	ds_load_b128 v[154:157], v2 offset:928
	scratch_load_b64 v[158:159], off, off offset:504
	s_wait_dscnt 0x1
	v_fmac_f64_e32 v[168:169], v[166:167], v[150:151]
	s_wait_loadcnt 0x5
	s_delay_alu instid0(VALU_DEP_1) | instskip(SKIP_4) | instid1(VALU_DEP_1)
	v_fmac_f64_e32 v[168:169], v[134:135], v[152:153]
	scratch_load_b128 v[150:153], off, off offset:488
	s_wait_dscnt 0x0
	v_fmac_f64_e32 v[168:169], v[136:137], v[154:155]
	s_wait_loadcnt 0x5
	v_fmac_f64_e32 v[168:169], v[160:161], v[156:157]
	ds_load_b128 v[134:137], v2 offset:944
	ds_load_b128 v[154:157], v2 offset:960
	s_wait_dscnt 0x1
	v_fmac_f64_e32 v[168:169], v[162:163], v[134:135]
	s_wait_loadcnt 0x4
	s_delay_alu instid0(VALU_DEP_1) | instskip(SKIP_1) | instid1(VALU_DEP_1)
	v_fmac_f64_e32 v[168:169], v[138:139], v[136:137]
	s_wait_dscnt 0x0
	v_fmac_f64_e32 v[168:169], v[140:141], v[154:155]
	ds_load_b128 v[134:137], v2 offset:976
	ds_load_b128 v[138:141], v2 offset:992
	s_wait_loadcnt 0x3
	v_fmac_f64_e32 v[168:169], v[146:147], v[156:157]
	s_wait_dscnt 0x1
	s_delay_alu instid0(VALU_DEP_1) | instskip(SKIP_1) | instid1(VALU_DEP_1)
	v_fmac_f64_e32 v[168:169], v[148:149], v[134:135]
	s_wait_loadcnt 0x2
	v_fmac_f64_e32 v[168:169], v[142:143], v[136:137]
	ds_load_b128 v[134:137], v2 offset:1008
	s_wait_dscnt 0x1
	v_fmac_f64_e32 v[168:169], v[144:145], v[138:139]
	s_wait_loadcnt 0x0
	s_delay_alu instid0(VALU_DEP_1) | instskip(SKIP_1) | instid1(VALU_DEP_1)
	v_fmac_f64_e32 v[168:169], v[150:151], v[140:141]
	s_wait_dscnt 0x0
	v_fmac_f64_e32 v[168:169], v[152:153], v[134:135]
	s_delay_alu instid0(VALU_DEP_1) | instskip(NEXT) | instid1(VALU_DEP_1)
	v_fmac_f64_e32 v[168:169], v[158:159], v[136:137]
	v_add_f64_e64 v[2:3], v[132:133], -v[168:169]
	scratch_store_b64 off, v[2:3], off offset:200
	s_wait_xcnt 0x0
	v_cmpx_lt_u32_e32 24, v0
	s_cbranch_execz .LBB127_345
; %bb.344:
	scratch_load_b64 v[2:3], off, off offset:192
	v_mov_b64_e32 v[132:133], 0
	scratch_store_b64 off, v[132:133], off offset:192
	s_wait_loadcnt 0x0
	ds_store_b64 v1, v[2:3]
.LBB127_345:
	s_wait_xcnt 0x0
	s_or_b32 exec_lo, exec_lo, s0
	s_wait_storecnt_dscnt 0x0
	s_barrier_signal -1
	s_barrier_wait -1
	s_clause 0x5
	scratch_load_b128 v[132:135], off, off offset:192
	scratch_load_b128 v[136:139], off, off offset:208
	scratch_load_b128 v[140:143], off, off offset:224
	scratch_load_b128 v[144:147], off, off offset:240
	scratch_load_b128 v[148:151], off, off offset:256
	scratch_load_b128 v[152:155], off, off offset:272
	v_mov_b32_e32 v2, 0
	ds_load_2addr_b64 v[156:159], v2 offset0:89 offset1:90
	ds_load_2addr_b64 v[160:163], v2 offset0:91 offset1:92
	scratch_load_b128 v[164:167], off, off offset:288
	s_mov_b32 s0, exec_lo
	s_wait_loadcnt_dscnt 0x601
	v_fma_f64 v[168:169], v[134:135], v[156:157], 0
	s_wait_loadcnt 0x5
	s_delay_alu instid0(VALU_DEP_1) | instskip(SKIP_4) | instid1(VALU_DEP_1)
	v_fmac_f64_e32 v[168:169], v[136:137], v[158:159]
	scratch_load_b128 v[134:137], off, off offset:304
	s_wait_dscnt 0x0
	v_fmac_f64_e32 v[168:169], v[138:139], v[160:161]
	s_wait_loadcnt 0x5
	v_fmac_f64_e32 v[168:169], v[140:141], v[162:163]
	ds_load_2addr_b64 v[138:141], v2 offset0:93 offset1:94
	ds_load_2addr_b64 v[156:159], v2 offset0:95 offset1:96
	scratch_load_b128 v[160:163], off, off offset:320
	s_wait_dscnt 0x1
	v_fmac_f64_e32 v[168:169], v[142:143], v[138:139]
	s_wait_loadcnt 0x5
	s_delay_alu instid0(VALU_DEP_1) | instskip(SKIP_4) | instid1(VALU_DEP_1)
	v_fmac_f64_e32 v[168:169], v[144:145], v[140:141]
	scratch_load_b128 v[138:141], off, off offset:336
	s_wait_dscnt 0x0
	v_fmac_f64_e32 v[168:169], v[146:147], v[156:157]
	s_wait_loadcnt 0x5
	v_fmac_f64_e32 v[168:169], v[148:149], v[158:159]
	ds_load_2addr_b64 v[142:145], v2 offset0:97 offset1:98
	ds_load_2addr_b64 v[146:149], v2 offset0:99 offset1:100
	scratch_load_b128 v[156:159], off, off offset:352
	s_wait_dscnt 0x1
	v_fmac_f64_e32 v[168:169], v[150:151], v[142:143]
	s_wait_loadcnt 0x5
	s_delay_alu instid0(VALU_DEP_1) | instskip(SKIP_4) | instid1(VALU_DEP_1)
	v_fmac_f64_e32 v[168:169], v[152:153], v[144:145]
	scratch_load_b128 v[142:145], off, off offset:368
	s_wait_dscnt 0x0
	v_fmac_f64_e32 v[168:169], v[154:155], v[146:147]
	s_wait_loadcnt 0x5
	v_fmac_f64_e32 v[168:169], v[164:165], v[148:149]
	ds_load_2addr_b64 v[146:149], v2 offset0:101 offset1:102
	ds_load_2addr_b64 v[150:153], v2 offset0:103 offset1:104
	s_wait_dscnt 0x1
	v_fmac_f64_e32 v[168:169], v[166:167], v[146:147]
	scratch_load_b128 v[164:167], off, off offset:384
	s_wait_loadcnt 0x5
	v_fmac_f64_e32 v[168:169], v[134:135], v[148:149]
	s_wait_dscnt 0x0
	s_delay_alu instid0(VALU_DEP_1)
	v_fmac_f64_e32 v[168:169], v[136:137], v[150:151]
	scratch_load_b128 v[134:137], off, off offset:400
	s_wait_loadcnt 0x5
	v_fmac_f64_e32 v[168:169], v[160:161], v[152:153]
	ds_load_2addr_b64 v[146:149], v2 offset0:105 offset1:106
	ds_load_2addr_b64 v[150:153], v2 offset0:107 offset1:108
	s_wait_dscnt 0x1
	v_fmac_f64_e32 v[168:169], v[162:163], v[146:147]
	scratch_load_b128 v[160:163], off, off offset:416
	s_wait_loadcnt 0x5
	v_fmac_f64_e32 v[168:169], v[138:139], v[148:149]
	s_wait_dscnt 0x0
	s_delay_alu instid0(VALU_DEP_1)
	v_fmac_f64_e32 v[168:169], v[140:141], v[150:151]
	scratch_load_b128 v[138:141], off, off offset:432
	s_wait_loadcnt 0x5
	v_fmac_f64_e32 v[168:169], v[156:157], v[152:153]
	ds_load_2addr_b64 v[146:149], v2 offset0:109 offset1:110
	ds_load_2addr_b64 v[150:153], v2 offset0:111 offset1:112
	s_wait_dscnt 0x1
	v_fmac_f64_e32 v[168:169], v[158:159], v[146:147]
	s_wait_loadcnt 0x4
	s_delay_alu instid0(VALU_DEP_1)
	v_fmac_f64_e32 v[168:169], v[142:143], v[148:149]
	scratch_load_b128 v[146:149], off, off offset:448
	s_wait_dscnt 0x0
	v_fmac_f64_e32 v[168:169], v[144:145], v[150:151]
	scratch_load_b128 v[142:145], off, off offset:464
	s_wait_loadcnt 0x5
	v_fmac_f64_e32 v[168:169], v[164:165], v[152:153]
	ds_load_2addr_b64 v[150:153], v2 offset0:113 offset1:114
	ds_load_2addr_b64 v[154:157], v2 offset0:115 offset1:116
	s_wait_dscnt 0x1
	v_fmac_f64_e32 v[168:169], v[166:167], v[150:151]
	s_wait_loadcnt 0x4
	s_delay_alu instid0(VALU_DEP_1)
	v_fmac_f64_e32 v[168:169], v[134:135], v[152:153]
	scratch_load_b128 v[150:153], off, off offset:480
	s_wait_dscnt 0x0
	v_fmac_f64_e32 v[168:169], v[136:137], v[154:155]
	scratch_load_b128 v[134:137], off, off offset:496
	s_wait_loadcnt 0x5
	v_fmac_f64_e32 v[168:169], v[160:161], v[156:157]
	ds_load_2addr_b64 v[154:157], v2 offset0:117 offset1:118
	ds_load_2addr_b64 v[158:161], v2 offset0:119 offset1:120
	s_wait_dscnt 0x1
	v_fmac_f64_e32 v[168:169], v[162:163], v[154:155]
	s_wait_loadcnt 0x4
	s_delay_alu instid0(VALU_DEP_1) | instskip(SKIP_1) | instid1(VALU_DEP_1)
	v_fmac_f64_e32 v[168:169], v[138:139], v[156:157]
	s_wait_dscnt 0x0
	v_fmac_f64_e32 v[168:169], v[140:141], v[158:159]
	ds_load_2addr_b64 v[138:141], v2 offset0:121 offset1:122
	ds_load_2addr_b64 v[154:157], v2 offset0:123 offset1:124
	s_wait_loadcnt 0x3
	v_fmac_f64_e32 v[168:169], v[146:147], v[160:161]
	s_wait_dscnt 0x1
	s_delay_alu instid0(VALU_DEP_1) | instskip(SKIP_1) | instid1(VALU_DEP_1)
	v_fmac_f64_e32 v[168:169], v[148:149], v[138:139]
	s_wait_loadcnt 0x2
	v_fmac_f64_e32 v[168:169], v[142:143], v[140:141]
	ds_load_2addr_b64 v[138:141], v2 offset0:125 offset1:126
	ds_load_b64 v[142:143], v2 offset:1016
	s_wait_dscnt 0x2
	v_fmac_f64_e32 v[168:169], v[144:145], v[154:155]
	s_wait_loadcnt 0x1
	s_delay_alu instid0(VALU_DEP_1) | instskip(SKIP_1) | instid1(VALU_DEP_1)
	v_fmac_f64_e32 v[168:169], v[150:151], v[156:157]
	s_wait_dscnt 0x1
	v_fmac_f64_e32 v[168:169], v[152:153], v[138:139]
	s_wait_loadcnt 0x0
	s_delay_alu instid0(VALU_DEP_1) | instskip(SKIP_1) | instid1(VALU_DEP_1)
	v_fmac_f64_e32 v[168:169], v[134:135], v[140:141]
	s_wait_dscnt 0x0
	v_fmac_f64_e32 v[168:169], v[136:137], v[142:143]
	s_delay_alu instid0(VALU_DEP_1)
	v_add_f64_e64 v[132:133], v[132:133], -v[168:169]
	scratch_store_b64 off, v[132:133], off offset:192
	s_wait_xcnt 0x0
	v_cmpx_lt_u32_e32 23, v0
	s_cbranch_execz .LBB127_347
; %bb.346:
	scratch_load_b64 v[132:133], off, off offset:184
	v_mov_b64_e32 v[134:135], 0
	scratch_store_b64 off, v[134:135], off offset:184
	s_wait_loadcnt 0x0
	ds_store_b64 v1, v[132:133]
.LBB127_347:
	s_wait_xcnt 0x0
	s_or_b32 exec_lo, exec_lo, s0
	s_wait_storecnt_dscnt 0x0
	s_barrier_signal -1
	s_barrier_wait -1
	s_clause 0x5
	scratch_load_b128 v[132:135], off, off offset:184
	scratch_load_b128 v[136:139], off, off offset:200
	;; [unrolled: 1-line block ×6, first 2 shown]
	ds_load_b128 v[156:159], v2 offset:704
	ds_load_b128 v[160:163], v2 offset:720
	scratch_load_b128 v[164:167], off, off offset:280
	s_mov_b32 s0, exec_lo
	s_wait_loadcnt_dscnt 0x601
	v_fma_f64 v[168:169], v[134:135], v[156:157], 0
	s_wait_loadcnt 0x5
	s_delay_alu instid0(VALU_DEP_1) | instskip(SKIP_4) | instid1(VALU_DEP_1)
	v_fmac_f64_e32 v[168:169], v[136:137], v[158:159]
	scratch_load_b128 v[134:137], off, off offset:296
	s_wait_dscnt 0x0
	v_fmac_f64_e32 v[168:169], v[138:139], v[160:161]
	s_wait_loadcnt 0x5
	v_fmac_f64_e32 v[168:169], v[140:141], v[162:163]
	ds_load_b128 v[138:141], v2 offset:736
	ds_load_b128 v[156:159], v2 offset:752
	scratch_load_b128 v[160:163], off, off offset:312
	s_wait_dscnt 0x1
	v_fmac_f64_e32 v[168:169], v[142:143], v[138:139]
	s_wait_loadcnt 0x5
	s_delay_alu instid0(VALU_DEP_1) | instskip(SKIP_4) | instid1(VALU_DEP_1)
	v_fmac_f64_e32 v[168:169], v[144:145], v[140:141]
	scratch_load_b128 v[138:141], off, off offset:328
	s_wait_dscnt 0x0
	v_fmac_f64_e32 v[168:169], v[146:147], v[156:157]
	s_wait_loadcnt 0x5
	v_fmac_f64_e32 v[168:169], v[148:149], v[158:159]
	ds_load_b128 v[142:145], v2 offset:768
	ds_load_b128 v[146:149], v2 offset:784
	scratch_load_b128 v[156:159], off, off offset:344
	s_wait_dscnt 0x1
	v_fmac_f64_e32 v[168:169], v[150:151], v[142:143]
	s_wait_loadcnt 0x5
	s_delay_alu instid0(VALU_DEP_1) | instskip(SKIP_4) | instid1(VALU_DEP_1)
	v_fmac_f64_e32 v[168:169], v[152:153], v[144:145]
	scratch_load_b128 v[142:145], off, off offset:360
	s_wait_dscnt 0x0
	v_fmac_f64_e32 v[168:169], v[154:155], v[146:147]
	s_wait_loadcnt 0x5
	v_fmac_f64_e32 v[168:169], v[164:165], v[148:149]
	ds_load_b128 v[146:149], v2 offset:800
	ds_load_b128 v[150:153], v2 offset:816
	s_wait_dscnt 0x1
	v_fmac_f64_e32 v[168:169], v[166:167], v[146:147]
	scratch_load_b128 v[164:167], off, off offset:376
	s_wait_loadcnt 0x5
	v_fmac_f64_e32 v[168:169], v[134:135], v[148:149]
	s_wait_dscnt 0x0
	s_delay_alu instid0(VALU_DEP_1)
	v_fmac_f64_e32 v[168:169], v[136:137], v[150:151]
	scratch_load_b128 v[134:137], off, off offset:392
	s_wait_loadcnt 0x5
	v_fmac_f64_e32 v[168:169], v[160:161], v[152:153]
	ds_load_b128 v[146:149], v2 offset:832
	ds_load_b128 v[150:153], v2 offset:848
	s_wait_dscnt 0x1
	v_fmac_f64_e32 v[168:169], v[162:163], v[146:147]
	scratch_load_b128 v[160:163], off, off offset:408
	s_wait_loadcnt 0x5
	v_fmac_f64_e32 v[168:169], v[138:139], v[148:149]
	s_wait_dscnt 0x0
	s_delay_alu instid0(VALU_DEP_1)
	v_fmac_f64_e32 v[168:169], v[140:141], v[150:151]
	scratch_load_b128 v[138:141], off, off offset:424
	s_wait_loadcnt 0x5
	v_fmac_f64_e32 v[168:169], v[156:157], v[152:153]
	ds_load_b128 v[146:149], v2 offset:864
	ds_load_b128 v[150:153], v2 offset:880
	s_wait_dscnt 0x1
	v_fmac_f64_e32 v[168:169], v[158:159], v[146:147]
	s_wait_loadcnt 0x4
	s_delay_alu instid0(VALU_DEP_1)
	v_fmac_f64_e32 v[168:169], v[142:143], v[148:149]
	scratch_load_b128 v[146:149], off, off offset:440
	s_wait_dscnt 0x0
	v_fmac_f64_e32 v[168:169], v[144:145], v[150:151]
	scratch_load_b128 v[142:145], off, off offset:456
	s_wait_loadcnt 0x5
	v_fmac_f64_e32 v[168:169], v[164:165], v[152:153]
	ds_load_b128 v[150:153], v2 offset:896
	ds_load_b128 v[154:157], v2 offset:912
	s_wait_dscnt 0x1
	v_fmac_f64_e32 v[168:169], v[166:167], v[150:151]
	s_wait_loadcnt 0x4
	s_delay_alu instid0(VALU_DEP_1)
	v_fmac_f64_e32 v[168:169], v[134:135], v[152:153]
	scratch_load_b128 v[150:153], off, off offset:472
	s_wait_dscnt 0x0
	v_fmac_f64_e32 v[168:169], v[136:137], v[154:155]
	scratch_load_b128 v[134:137], off, off offset:488
	s_wait_loadcnt 0x5
	v_fmac_f64_e32 v[168:169], v[160:161], v[156:157]
	ds_load_b128 v[154:157], v2 offset:928
	ds_load_b128 v[158:161], v2 offset:944
	s_wait_dscnt 0x1
	v_fmac_f64_e32 v[168:169], v[162:163], v[154:155]
	scratch_load_b64 v[162:163], off, off offset:504
	s_wait_loadcnt 0x5
	v_fmac_f64_e32 v[168:169], v[138:139], v[156:157]
	s_wait_dscnt 0x0
	s_delay_alu instid0(VALU_DEP_1)
	v_fmac_f64_e32 v[168:169], v[140:141], v[158:159]
	ds_load_b128 v[138:141], v2 offset:960
	ds_load_b128 v[154:157], v2 offset:976
	s_wait_loadcnt 0x4
	v_fmac_f64_e32 v[168:169], v[146:147], v[160:161]
	s_wait_dscnt 0x1
	s_delay_alu instid0(VALU_DEP_1) | instskip(SKIP_1) | instid1(VALU_DEP_1)
	v_fmac_f64_e32 v[168:169], v[148:149], v[138:139]
	s_wait_loadcnt 0x3
	v_fmac_f64_e32 v[168:169], v[142:143], v[140:141]
	s_wait_dscnt 0x0
	s_delay_alu instid0(VALU_DEP_1)
	v_fmac_f64_e32 v[168:169], v[144:145], v[154:155]
	ds_load_b128 v[138:141], v2 offset:992
	ds_load_b128 v[142:145], v2 offset:1008
	s_wait_loadcnt 0x2
	v_fmac_f64_e32 v[168:169], v[150:151], v[156:157]
	s_wait_dscnt 0x1
	s_delay_alu instid0(VALU_DEP_1) | instskip(SKIP_1) | instid1(VALU_DEP_1)
	v_fmac_f64_e32 v[168:169], v[152:153], v[138:139]
	s_wait_loadcnt 0x1
	v_fmac_f64_e32 v[168:169], v[134:135], v[140:141]
	s_wait_dscnt 0x0
	s_delay_alu instid0(VALU_DEP_1) | instskip(SKIP_1) | instid1(VALU_DEP_1)
	v_fmac_f64_e32 v[168:169], v[136:137], v[142:143]
	s_wait_loadcnt 0x0
	v_fmac_f64_e32 v[168:169], v[162:163], v[144:145]
	s_delay_alu instid0(VALU_DEP_1)
	v_add_f64_e64 v[2:3], v[132:133], -v[168:169]
	scratch_store_b64 off, v[2:3], off offset:184
	s_wait_xcnt 0x0
	v_cmpx_lt_u32_e32 22, v0
	s_cbranch_execz .LBB127_349
; %bb.348:
	scratch_load_b64 v[2:3], off, off offset:176
	v_mov_b64_e32 v[132:133], 0
	scratch_store_b64 off, v[132:133], off offset:176
	s_wait_loadcnt 0x0
	ds_store_b64 v1, v[2:3]
.LBB127_349:
	s_wait_xcnt 0x0
	s_or_b32 exec_lo, exec_lo, s0
	s_wait_storecnt_dscnt 0x0
	s_barrier_signal -1
	s_barrier_wait -1
	s_clause 0x5
	scratch_load_b128 v[132:135], off, off offset:176
	scratch_load_b128 v[136:139], off, off offset:192
	;; [unrolled: 1-line block ×6, first 2 shown]
	v_mov_b32_e32 v2, 0
	ds_load_2addr_b64 v[156:159], v2 offset0:87 offset1:88
	ds_load_2addr_b64 v[160:163], v2 offset0:89 offset1:90
	scratch_load_b128 v[164:167], off, off offset:272
	s_mov_b32 s0, exec_lo
	s_wait_loadcnt_dscnt 0x601
	v_fma_f64 v[168:169], v[134:135], v[156:157], 0
	s_wait_loadcnt 0x5
	s_delay_alu instid0(VALU_DEP_1) | instskip(SKIP_4) | instid1(VALU_DEP_1)
	v_fmac_f64_e32 v[168:169], v[136:137], v[158:159]
	scratch_load_b128 v[134:137], off, off offset:288
	s_wait_dscnt 0x0
	v_fmac_f64_e32 v[168:169], v[138:139], v[160:161]
	s_wait_loadcnt 0x5
	v_fmac_f64_e32 v[168:169], v[140:141], v[162:163]
	ds_load_2addr_b64 v[138:141], v2 offset0:91 offset1:92
	ds_load_2addr_b64 v[156:159], v2 offset0:93 offset1:94
	scratch_load_b128 v[160:163], off, off offset:304
	s_wait_dscnt 0x1
	v_fmac_f64_e32 v[168:169], v[142:143], v[138:139]
	s_wait_loadcnt 0x5
	s_delay_alu instid0(VALU_DEP_1) | instskip(SKIP_4) | instid1(VALU_DEP_1)
	v_fmac_f64_e32 v[168:169], v[144:145], v[140:141]
	scratch_load_b128 v[138:141], off, off offset:320
	s_wait_dscnt 0x0
	v_fmac_f64_e32 v[168:169], v[146:147], v[156:157]
	s_wait_loadcnt 0x5
	v_fmac_f64_e32 v[168:169], v[148:149], v[158:159]
	ds_load_2addr_b64 v[142:145], v2 offset0:95 offset1:96
	ds_load_2addr_b64 v[146:149], v2 offset0:97 offset1:98
	scratch_load_b128 v[156:159], off, off offset:336
	s_wait_dscnt 0x1
	v_fmac_f64_e32 v[168:169], v[150:151], v[142:143]
	s_wait_loadcnt 0x5
	s_delay_alu instid0(VALU_DEP_1) | instskip(SKIP_4) | instid1(VALU_DEP_1)
	v_fmac_f64_e32 v[168:169], v[152:153], v[144:145]
	scratch_load_b128 v[142:145], off, off offset:352
	s_wait_dscnt 0x0
	v_fmac_f64_e32 v[168:169], v[154:155], v[146:147]
	s_wait_loadcnt 0x5
	v_fmac_f64_e32 v[168:169], v[164:165], v[148:149]
	ds_load_2addr_b64 v[146:149], v2 offset0:99 offset1:100
	ds_load_2addr_b64 v[150:153], v2 offset0:101 offset1:102
	s_wait_dscnt 0x1
	v_fmac_f64_e32 v[168:169], v[166:167], v[146:147]
	scratch_load_b128 v[164:167], off, off offset:368
	s_wait_loadcnt 0x5
	v_fmac_f64_e32 v[168:169], v[134:135], v[148:149]
	s_wait_dscnt 0x0
	s_delay_alu instid0(VALU_DEP_1)
	v_fmac_f64_e32 v[168:169], v[136:137], v[150:151]
	scratch_load_b128 v[134:137], off, off offset:384
	s_wait_loadcnt 0x5
	v_fmac_f64_e32 v[168:169], v[160:161], v[152:153]
	ds_load_2addr_b64 v[146:149], v2 offset0:103 offset1:104
	ds_load_2addr_b64 v[150:153], v2 offset0:105 offset1:106
	s_wait_dscnt 0x1
	v_fmac_f64_e32 v[168:169], v[162:163], v[146:147]
	scratch_load_b128 v[160:163], off, off offset:400
	s_wait_loadcnt 0x5
	v_fmac_f64_e32 v[168:169], v[138:139], v[148:149]
	s_wait_dscnt 0x0
	s_delay_alu instid0(VALU_DEP_1)
	v_fmac_f64_e32 v[168:169], v[140:141], v[150:151]
	scratch_load_b128 v[138:141], off, off offset:416
	s_wait_loadcnt 0x5
	v_fmac_f64_e32 v[168:169], v[156:157], v[152:153]
	ds_load_2addr_b64 v[146:149], v2 offset0:107 offset1:108
	ds_load_2addr_b64 v[150:153], v2 offset0:109 offset1:110
	s_wait_dscnt 0x1
	v_fmac_f64_e32 v[168:169], v[158:159], v[146:147]
	s_wait_loadcnt 0x4
	s_delay_alu instid0(VALU_DEP_1)
	v_fmac_f64_e32 v[168:169], v[142:143], v[148:149]
	scratch_load_b128 v[146:149], off, off offset:432
	s_wait_dscnt 0x0
	v_fmac_f64_e32 v[168:169], v[144:145], v[150:151]
	scratch_load_b128 v[142:145], off, off offset:448
	s_wait_loadcnt 0x5
	v_fmac_f64_e32 v[168:169], v[164:165], v[152:153]
	ds_load_2addr_b64 v[150:153], v2 offset0:111 offset1:112
	ds_load_2addr_b64 v[154:157], v2 offset0:113 offset1:114
	s_wait_dscnt 0x1
	v_fmac_f64_e32 v[168:169], v[166:167], v[150:151]
	s_wait_loadcnt 0x4
	s_delay_alu instid0(VALU_DEP_1)
	v_fmac_f64_e32 v[168:169], v[134:135], v[152:153]
	scratch_load_b128 v[150:153], off, off offset:464
	s_wait_dscnt 0x0
	v_fmac_f64_e32 v[168:169], v[136:137], v[154:155]
	scratch_load_b128 v[134:137], off, off offset:480
	s_wait_loadcnt 0x5
	v_fmac_f64_e32 v[168:169], v[160:161], v[156:157]
	ds_load_2addr_b64 v[154:157], v2 offset0:115 offset1:116
	ds_load_2addr_b64 v[158:161], v2 offset0:117 offset1:118
	s_wait_dscnt 0x1
	v_fmac_f64_e32 v[168:169], v[162:163], v[154:155]
	s_wait_loadcnt 0x4
	s_delay_alu instid0(VALU_DEP_1) | instskip(SKIP_4) | instid1(VALU_DEP_1)
	v_fmac_f64_e32 v[168:169], v[138:139], v[156:157]
	scratch_load_b128 v[154:157], off, off offset:496
	s_wait_dscnt 0x0
	v_fmac_f64_e32 v[168:169], v[140:141], v[158:159]
	s_wait_loadcnt 0x4
	v_fmac_f64_e32 v[168:169], v[146:147], v[160:161]
	ds_load_2addr_b64 v[138:141], v2 offset0:119 offset1:120
	ds_load_2addr_b64 v[158:161], v2 offset0:121 offset1:122
	s_wait_dscnt 0x1
	v_fmac_f64_e32 v[168:169], v[148:149], v[138:139]
	s_wait_loadcnt 0x3
	s_delay_alu instid0(VALU_DEP_1) | instskip(SKIP_1) | instid1(VALU_DEP_1)
	v_fmac_f64_e32 v[168:169], v[142:143], v[140:141]
	s_wait_dscnt 0x0
	v_fmac_f64_e32 v[168:169], v[144:145], v[158:159]
	ds_load_2addr_b64 v[138:141], v2 offset0:123 offset1:124
	ds_load_2addr_b64 v[142:145], v2 offset0:125 offset1:126
	s_wait_loadcnt 0x2
	v_fmac_f64_e32 v[168:169], v[150:151], v[160:161]
	s_wait_dscnt 0x1
	s_delay_alu instid0(VALU_DEP_1) | instskip(SKIP_1) | instid1(VALU_DEP_1)
	v_fmac_f64_e32 v[168:169], v[152:153], v[138:139]
	s_wait_loadcnt 0x1
	v_fmac_f64_e32 v[168:169], v[134:135], v[140:141]
	ds_load_b64 v[134:135], v2 offset:1016
	s_wait_dscnt 0x1
	v_fmac_f64_e32 v[168:169], v[136:137], v[142:143]
	s_wait_loadcnt 0x0
	s_delay_alu instid0(VALU_DEP_1) | instskip(SKIP_1) | instid1(VALU_DEP_1)
	v_fmac_f64_e32 v[168:169], v[154:155], v[144:145]
	s_wait_dscnt 0x0
	v_fmac_f64_e32 v[168:169], v[156:157], v[134:135]
	s_delay_alu instid0(VALU_DEP_1)
	v_add_f64_e64 v[132:133], v[132:133], -v[168:169]
	scratch_store_b64 off, v[132:133], off offset:176
	s_wait_xcnt 0x0
	v_cmpx_lt_u32_e32 21, v0
	s_cbranch_execz .LBB127_351
; %bb.350:
	scratch_load_b64 v[132:133], off, off offset:168
	v_mov_b64_e32 v[134:135], 0
	scratch_store_b64 off, v[134:135], off offset:168
	s_wait_loadcnt 0x0
	ds_store_b64 v1, v[132:133]
.LBB127_351:
	s_wait_xcnt 0x0
	s_or_b32 exec_lo, exec_lo, s0
	s_wait_storecnt_dscnt 0x0
	s_barrier_signal -1
	s_barrier_wait -1
	s_clause 0x5
	scratch_load_b128 v[132:135], off, off offset:168
	scratch_load_b128 v[136:139], off, off offset:184
	;; [unrolled: 1-line block ×6, first 2 shown]
	ds_load_b128 v[156:159], v2 offset:688
	ds_load_b128 v[160:163], v2 offset:704
	scratch_load_b128 v[164:167], off, off offset:264
	s_mov_b32 s0, exec_lo
	s_wait_loadcnt_dscnt 0x601
	v_fma_f64 v[168:169], v[134:135], v[156:157], 0
	s_wait_loadcnt 0x5
	s_delay_alu instid0(VALU_DEP_1) | instskip(SKIP_4) | instid1(VALU_DEP_1)
	v_fmac_f64_e32 v[168:169], v[136:137], v[158:159]
	scratch_load_b128 v[134:137], off, off offset:280
	s_wait_dscnt 0x0
	v_fmac_f64_e32 v[168:169], v[138:139], v[160:161]
	s_wait_loadcnt 0x5
	v_fmac_f64_e32 v[168:169], v[140:141], v[162:163]
	ds_load_b128 v[138:141], v2 offset:720
	ds_load_b128 v[156:159], v2 offset:736
	scratch_load_b128 v[160:163], off, off offset:296
	s_wait_dscnt 0x1
	v_fmac_f64_e32 v[168:169], v[142:143], v[138:139]
	s_wait_loadcnt 0x5
	s_delay_alu instid0(VALU_DEP_1) | instskip(SKIP_4) | instid1(VALU_DEP_1)
	v_fmac_f64_e32 v[168:169], v[144:145], v[140:141]
	scratch_load_b128 v[138:141], off, off offset:312
	s_wait_dscnt 0x0
	v_fmac_f64_e32 v[168:169], v[146:147], v[156:157]
	s_wait_loadcnt 0x5
	v_fmac_f64_e32 v[168:169], v[148:149], v[158:159]
	ds_load_b128 v[142:145], v2 offset:752
	ds_load_b128 v[146:149], v2 offset:768
	scratch_load_b128 v[156:159], off, off offset:328
	s_wait_dscnt 0x1
	v_fmac_f64_e32 v[168:169], v[150:151], v[142:143]
	s_wait_loadcnt 0x5
	s_delay_alu instid0(VALU_DEP_1) | instskip(SKIP_4) | instid1(VALU_DEP_1)
	v_fmac_f64_e32 v[168:169], v[152:153], v[144:145]
	scratch_load_b128 v[142:145], off, off offset:344
	s_wait_dscnt 0x0
	v_fmac_f64_e32 v[168:169], v[154:155], v[146:147]
	s_wait_loadcnt 0x5
	v_fmac_f64_e32 v[168:169], v[164:165], v[148:149]
	ds_load_b128 v[146:149], v2 offset:784
	ds_load_b128 v[150:153], v2 offset:800
	s_wait_dscnt 0x1
	v_fmac_f64_e32 v[168:169], v[166:167], v[146:147]
	scratch_load_b128 v[164:167], off, off offset:360
	s_wait_loadcnt 0x5
	v_fmac_f64_e32 v[168:169], v[134:135], v[148:149]
	s_wait_dscnt 0x0
	s_delay_alu instid0(VALU_DEP_1)
	v_fmac_f64_e32 v[168:169], v[136:137], v[150:151]
	scratch_load_b128 v[134:137], off, off offset:376
	s_wait_loadcnt 0x5
	v_fmac_f64_e32 v[168:169], v[160:161], v[152:153]
	ds_load_b128 v[146:149], v2 offset:816
	ds_load_b128 v[150:153], v2 offset:832
	s_wait_dscnt 0x1
	v_fmac_f64_e32 v[168:169], v[162:163], v[146:147]
	scratch_load_b128 v[160:163], off, off offset:392
	s_wait_loadcnt 0x5
	v_fmac_f64_e32 v[168:169], v[138:139], v[148:149]
	s_wait_dscnt 0x0
	s_delay_alu instid0(VALU_DEP_1)
	v_fmac_f64_e32 v[168:169], v[140:141], v[150:151]
	scratch_load_b128 v[138:141], off, off offset:408
	s_wait_loadcnt 0x5
	v_fmac_f64_e32 v[168:169], v[156:157], v[152:153]
	ds_load_b128 v[146:149], v2 offset:848
	ds_load_b128 v[150:153], v2 offset:864
	scratch_load_b128 v[154:157], off, off offset:424
	s_wait_dscnt 0x1
	v_fmac_f64_e32 v[168:169], v[158:159], v[146:147]
	s_wait_loadcnt 0x5
	s_delay_alu instid0(VALU_DEP_1) | instskip(SKIP_1) | instid1(VALU_DEP_1)
	v_fmac_f64_e32 v[168:169], v[142:143], v[148:149]
	s_wait_dscnt 0x0
	v_fmac_f64_e32 v[168:169], v[144:145], v[150:151]
	scratch_load_b128 v[142:145], off, off offset:440
	s_wait_loadcnt 0x5
	v_fmac_f64_e32 v[168:169], v[164:165], v[152:153]
	ds_load_b128 v[146:149], v2 offset:880
	ds_load_b128 v[150:153], v2 offset:896
	s_wait_dscnt 0x1
	v_fmac_f64_e32 v[168:169], v[166:167], v[146:147]
	s_wait_loadcnt 0x4
	s_delay_alu instid0(VALU_DEP_1)
	v_fmac_f64_e32 v[168:169], v[134:135], v[148:149]
	scratch_load_b128 v[146:149], off, off offset:456
	s_wait_dscnt 0x0
	v_fmac_f64_e32 v[168:169], v[136:137], v[150:151]
	scratch_load_b128 v[134:137], off, off offset:472
	s_wait_loadcnt 0x5
	v_fmac_f64_e32 v[168:169], v[160:161], v[152:153]
	ds_load_b128 v[150:153], v2 offset:912
	ds_load_b128 v[158:161], v2 offset:928
	s_wait_dscnt 0x1
	v_fmac_f64_e32 v[168:169], v[162:163], v[150:151]
	s_wait_loadcnt 0x4
	s_delay_alu instid0(VALU_DEP_1) | instskip(SKIP_4) | instid1(VALU_DEP_1)
	v_fmac_f64_e32 v[168:169], v[138:139], v[152:153]
	scratch_load_b128 v[150:153], off, off offset:488
	s_wait_dscnt 0x0
	v_fmac_f64_e32 v[168:169], v[140:141], v[158:159]
	s_wait_loadcnt 0x4
	v_fmac_f64_e32 v[168:169], v[154:155], v[160:161]
	scratch_load_b64 v[154:155], off, off offset:504
	ds_load_b128 v[138:141], v2 offset:944
	ds_load_b128 v[158:161], v2 offset:960
	s_wait_dscnt 0x1
	v_fmac_f64_e32 v[168:169], v[156:157], v[138:139]
	s_wait_loadcnt 0x4
	s_delay_alu instid0(VALU_DEP_1) | instskip(SKIP_1) | instid1(VALU_DEP_1)
	v_fmac_f64_e32 v[168:169], v[142:143], v[140:141]
	s_wait_dscnt 0x0
	v_fmac_f64_e32 v[168:169], v[144:145], v[158:159]
	ds_load_b128 v[138:141], v2 offset:976
	ds_load_b128 v[142:145], v2 offset:992
	s_wait_loadcnt 0x3
	v_fmac_f64_e32 v[168:169], v[146:147], v[160:161]
	s_wait_dscnt 0x1
	s_delay_alu instid0(VALU_DEP_1) | instskip(SKIP_1) | instid1(VALU_DEP_1)
	v_fmac_f64_e32 v[168:169], v[148:149], v[138:139]
	s_wait_loadcnt 0x2
	v_fmac_f64_e32 v[168:169], v[134:135], v[140:141]
	s_wait_dscnt 0x0
	s_delay_alu instid0(VALU_DEP_1) | instskip(SKIP_4) | instid1(VALU_DEP_1)
	v_fmac_f64_e32 v[168:169], v[136:137], v[142:143]
	ds_load_b128 v[134:137], v2 offset:1008
	s_wait_loadcnt 0x1
	v_fmac_f64_e32 v[168:169], v[150:151], v[144:145]
	s_wait_dscnt 0x0
	v_fmac_f64_e32 v[168:169], v[152:153], v[134:135]
	s_wait_loadcnt 0x0
	s_delay_alu instid0(VALU_DEP_1) | instskip(NEXT) | instid1(VALU_DEP_1)
	v_fmac_f64_e32 v[168:169], v[154:155], v[136:137]
	v_add_f64_e64 v[2:3], v[132:133], -v[168:169]
	scratch_store_b64 off, v[2:3], off offset:168
	s_wait_xcnt 0x0
	v_cmpx_lt_u32_e32 20, v0
	s_cbranch_execz .LBB127_353
; %bb.352:
	scratch_load_b64 v[2:3], off, off offset:160
	v_mov_b64_e32 v[132:133], 0
	scratch_store_b64 off, v[132:133], off offset:160
	s_wait_loadcnt 0x0
	ds_store_b64 v1, v[2:3]
.LBB127_353:
	s_wait_xcnt 0x0
	s_or_b32 exec_lo, exec_lo, s0
	s_wait_storecnt_dscnt 0x0
	s_barrier_signal -1
	s_barrier_wait -1
	s_clause 0x5
	scratch_load_b128 v[132:135], off, off offset:160
	scratch_load_b128 v[136:139], off, off offset:176
	;; [unrolled: 1-line block ×6, first 2 shown]
	v_mov_b32_e32 v2, 0
	ds_load_2addr_b64 v[156:159], v2 offset0:85 offset1:86
	ds_load_2addr_b64 v[160:163], v2 offset0:87 offset1:88
	scratch_load_b128 v[164:167], off, off offset:256
	s_mov_b32 s0, exec_lo
	s_wait_loadcnt_dscnt 0x601
	v_fma_f64 v[168:169], v[134:135], v[156:157], 0
	s_wait_loadcnt 0x5
	s_delay_alu instid0(VALU_DEP_1) | instskip(SKIP_4) | instid1(VALU_DEP_1)
	v_fmac_f64_e32 v[168:169], v[136:137], v[158:159]
	scratch_load_b128 v[134:137], off, off offset:272
	s_wait_dscnt 0x0
	v_fmac_f64_e32 v[168:169], v[138:139], v[160:161]
	s_wait_loadcnt 0x5
	v_fmac_f64_e32 v[168:169], v[140:141], v[162:163]
	ds_load_2addr_b64 v[138:141], v2 offset0:89 offset1:90
	ds_load_2addr_b64 v[156:159], v2 offset0:91 offset1:92
	scratch_load_b128 v[160:163], off, off offset:288
	s_wait_dscnt 0x1
	v_fmac_f64_e32 v[168:169], v[142:143], v[138:139]
	s_wait_loadcnt 0x5
	s_delay_alu instid0(VALU_DEP_1) | instskip(SKIP_4) | instid1(VALU_DEP_1)
	v_fmac_f64_e32 v[168:169], v[144:145], v[140:141]
	scratch_load_b128 v[138:141], off, off offset:304
	s_wait_dscnt 0x0
	v_fmac_f64_e32 v[168:169], v[146:147], v[156:157]
	s_wait_loadcnt 0x5
	v_fmac_f64_e32 v[168:169], v[148:149], v[158:159]
	ds_load_2addr_b64 v[142:145], v2 offset0:93 offset1:94
	ds_load_2addr_b64 v[146:149], v2 offset0:95 offset1:96
	scratch_load_b128 v[156:159], off, off offset:320
	s_wait_dscnt 0x1
	v_fmac_f64_e32 v[168:169], v[150:151], v[142:143]
	s_wait_loadcnt 0x5
	s_delay_alu instid0(VALU_DEP_1) | instskip(SKIP_4) | instid1(VALU_DEP_1)
	v_fmac_f64_e32 v[168:169], v[152:153], v[144:145]
	scratch_load_b128 v[142:145], off, off offset:336
	s_wait_dscnt 0x0
	v_fmac_f64_e32 v[168:169], v[154:155], v[146:147]
	s_wait_loadcnt 0x5
	v_fmac_f64_e32 v[168:169], v[164:165], v[148:149]
	ds_load_2addr_b64 v[146:149], v2 offset0:97 offset1:98
	ds_load_2addr_b64 v[150:153], v2 offset0:99 offset1:100
	s_wait_dscnt 0x1
	v_fmac_f64_e32 v[168:169], v[166:167], v[146:147]
	scratch_load_b128 v[164:167], off, off offset:352
	s_wait_loadcnt 0x5
	v_fmac_f64_e32 v[168:169], v[134:135], v[148:149]
	s_wait_dscnt 0x0
	s_delay_alu instid0(VALU_DEP_1)
	v_fmac_f64_e32 v[168:169], v[136:137], v[150:151]
	scratch_load_b128 v[134:137], off, off offset:368
	s_wait_loadcnt 0x5
	v_fmac_f64_e32 v[168:169], v[160:161], v[152:153]
	ds_load_2addr_b64 v[146:149], v2 offset0:101 offset1:102
	ds_load_2addr_b64 v[150:153], v2 offset0:103 offset1:104
	s_wait_dscnt 0x1
	v_fmac_f64_e32 v[168:169], v[162:163], v[146:147]
	scratch_load_b128 v[160:163], off, off offset:384
	s_wait_loadcnt 0x5
	v_fmac_f64_e32 v[168:169], v[138:139], v[148:149]
	s_wait_dscnt 0x0
	s_delay_alu instid0(VALU_DEP_1)
	v_fmac_f64_e32 v[168:169], v[140:141], v[150:151]
	scratch_load_b128 v[138:141], off, off offset:400
	s_wait_loadcnt 0x5
	v_fmac_f64_e32 v[168:169], v[156:157], v[152:153]
	ds_load_2addr_b64 v[146:149], v2 offset0:105 offset1:106
	ds_load_2addr_b64 v[150:153], v2 offset0:107 offset1:108
	scratch_load_b128 v[154:157], off, off offset:416
	s_wait_dscnt 0x1
	v_fmac_f64_e32 v[168:169], v[158:159], v[146:147]
	s_wait_loadcnt 0x5
	s_delay_alu instid0(VALU_DEP_1) | instskip(SKIP_1) | instid1(VALU_DEP_1)
	v_fmac_f64_e32 v[168:169], v[142:143], v[148:149]
	s_wait_dscnt 0x0
	v_fmac_f64_e32 v[168:169], v[144:145], v[150:151]
	scratch_load_b128 v[142:145], off, off offset:432
	s_wait_loadcnt 0x5
	v_fmac_f64_e32 v[168:169], v[164:165], v[152:153]
	ds_load_2addr_b64 v[146:149], v2 offset0:109 offset1:110
	ds_load_2addr_b64 v[150:153], v2 offset0:111 offset1:112
	s_wait_dscnt 0x1
	v_fmac_f64_e32 v[168:169], v[166:167], v[146:147]
	s_wait_loadcnt 0x4
	s_delay_alu instid0(VALU_DEP_1)
	v_fmac_f64_e32 v[168:169], v[134:135], v[148:149]
	scratch_load_b128 v[146:149], off, off offset:448
	s_wait_dscnt 0x0
	v_fmac_f64_e32 v[168:169], v[136:137], v[150:151]
	scratch_load_b128 v[134:137], off, off offset:464
	s_wait_loadcnt 0x5
	v_fmac_f64_e32 v[168:169], v[160:161], v[152:153]
	ds_load_2addr_b64 v[150:153], v2 offset0:113 offset1:114
	ds_load_2addr_b64 v[158:161], v2 offset0:115 offset1:116
	s_wait_dscnt 0x1
	v_fmac_f64_e32 v[168:169], v[162:163], v[150:151]
	s_wait_loadcnt 0x4
	s_delay_alu instid0(VALU_DEP_1)
	v_fmac_f64_e32 v[168:169], v[138:139], v[152:153]
	scratch_load_b128 v[150:153], off, off offset:480
	s_wait_dscnt 0x0
	v_fmac_f64_e32 v[168:169], v[140:141], v[158:159]
	scratch_load_b128 v[138:141], off, off offset:496
	s_wait_loadcnt 0x5
	v_fmac_f64_e32 v[168:169], v[154:155], v[160:161]
	ds_load_2addr_b64 v[158:161], v2 offset0:117 offset1:118
	ds_load_2addr_b64 v[162:165], v2 offset0:119 offset1:120
	s_wait_dscnt 0x1
	v_fmac_f64_e32 v[168:169], v[156:157], v[158:159]
	s_wait_loadcnt 0x4
	s_delay_alu instid0(VALU_DEP_1) | instskip(SKIP_1) | instid1(VALU_DEP_1)
	v_fmac_f64_e32 v[168:169], v[142:143], v[160:161]
	s_wait_dscnt 0x0
	v_fmac_f64_e32 v[168:169], v[144:145], v[162:163]
	ds_load_2addr_b64 v[142:145], v2 offset0:121 offset1:122
	ds_load_2addr_b64 v[154:157], v2 offset0:123 offset1:124
	s_wait_loadcnt 0x3
	v_fmac_f64_e32 v[168:169], v[146:147], v[164:165]
	s_wait_dscnt 0x1
	s_delay_alu instid0(VALU_DEP_1) | instskip(SKIP_1) | instid1(VALU_DEP_1)
	v_fmac_f64_e32 v[168:169], v[148:149], v[142:143]
	s_wait_loadcnt 0x2
	v_fmac_f64_e32 v[168:169], v[134:135], v[144:145]
	s_wait_dscnt 0x0
	s_delay_alu instid0(VALU_DEP_1)
	v_fmac_f64_e32 v[168:169], v[136:137], v[154:155]
	ds_load_2addr_b64 v[134:137], v2 offset0:125 offset1:126
	ds_load_b64 v[142:143], v2 offset:1016
	s_wait_loadcnt 0x1
	v_fmac_f64_e32 v[168:169], v[150:151], v[156:157]
	s_wait_dscnt 0x1
	s_delay_alu instid0(VALU_DEP_1) | instskip(SKIP_1) | instid1(VALU_DEP_1)
	v_fmac_f64_e32 v[168:169], v[152:153], v[134:135]
	s_wait_loadcnt 0x0
	v_fmac_f64_e32 v[168:169], v[138:139], v[136:137]
	s_wait_dscnt 0x0
	s_delay_alu instid0(VALU_DEP_1) | instskip(NEXT) | instid1(VALU_DEP_1)
	v_fmac_f64_e32 v[168:169], v[140:141], v[142:143]
	v_add_f64_e64 v[132:133], v[132:133], -v[168:169]
	scratch_store_b64 off, v[132:133], off offset:160
	s_wait_xcnt 0x0
	v_cmpx_lt_u32_e32 19, v0
	s_cbranch_execz .LBB127_355
; %bb.354:
	scratch_load_b64 v[132:133], off, off offset:152
	v_mov_b64_e32 v[134:135], 0
	scratch_store_b64 off, v[134:135], off offset:152
	s_wait_loadcnt 0x0
	ds_store_b64 v1, v[132:133]
.LBB127_355:
	s_wait_xcnt 0x0
	s_or_b32 exec_lo, exec_lo, s0
	s_wait_storecnt_dscnt 0x0
	s_barrier_signal -1
	s_barrier_wait -1
	s_clause 0x5
	scratch_load_b128 v[132:135], off, off offset:152
	scratch_load_b128 v[136:139], off, off offset:168
	;; [unrolled: 1-line block ×6, first 2 shown]
	ds_load_b128 v[156:159], v2 offset:672
	ds_load_b128 v[160:163], v2 offset:688
	scratch_load_b128 v[164:167], off, off offset:248
	s_mov_b32 s0, exec_lo
	s_wait_loadcnt_dscnt 0x601
	v_fma_f64 v[168:169], v[134:135], v[156:157], 0
	s_wait_loadcnt 0x5
	s_delay_alu instid0(VALU_DEP_1) | instskip(SKIP_4) | instid1(VALU_DEP_1)
	v_fmac_f64_e32 v[168:169], v[136:137], v[158:159]
	scratch_load_b128 v[134:137], off, off offset:264
	s_wait_dscnt 0x0
	v_fmac_f64_e32 v[168:169], v[138:139], v[160:161]
	s_wait_loadcnt 0x5
	v_fmac_f64_e32 v[168:169], v[140:141], v[162:163]
	ds_load_b128 v[138:141], v2 offset:704
	ds_load_b128 v[156:159], v2 offset:720
	scratch_load_b128 v[160:163], off, off offset:280
	s_wait_dscnt 0x1
	v_fmac_f64_e32 v[168:169], v[142:143], v[138:139]
	s_wait_loadcnt 0x5
	s_delay_alu instid0(VALU_DEP_1) | instskip(SKIP_4) | instid1(VALU_DEP_1)
	v_fmac_f64_e32 v[168:169], v[144:145], v[140:141]
	scratch_load_b128 v[138:141], off, off offset:296
	s_wait_dscnt 0x0
	v_fmac_f64_e32 v[168:169], v[146:147], v[156:157]
	s_wait_loadcnt 0x5
	v_fmac_f64_e32 v[168:169], v[148:149], v[158:159]
	ds_load_b128 v[142:145], v2 offset:736
	ds_load_b128 v[146:149], v2 offset:752
	scratch_load_b128 v[156:159], off, off offset:312
	s_wait_dscnt 0x1
	v_fmac_f64_e32 v[168:169], v[150:151], v[142:143]
	s_wait_loadcnt 0x5
	s_delay_alu instid0(VALU_DEP_1) | instskip(SKIP_4) | instid1(VALU_DEP_1)
	v_fmac_f64_e32 v[168:169], v[152:153], v[144:145]
	scratch_load_b128 v[142:145], off, off offset:328
	s_wait_dscnt 0x0
	v_fmac_f64_e32 v[168:169], v[154:155], v[146:147]
	s_wait_loadcnt 0x5
	v_fmac_f64_e32 v[168:169], v[164:165], v[148:149]
	ds_load_b128 v[146:149], v2 offset:768
	ds_load_b128 v[150:153], v2 offset:784
	s_wait_dscnt 0x1
	v_fmac_f64_e32 v[168:169], v[166:167], v[146:147]
	scratch_load_b128 v[164:167], off, off offset:344
	s_wait_loadcnt 0x5
	v_fmac_f64_e32 v[168:169], v[134:135], v[148:149]
	s_wait_dscnt 0x0
	s_delay_alu instid0(VALU_DEP_1)
	v_fmac_f64_e32 v[168:169], v[136:137], v[150:151]
	scratch_load_b128 v[134:137], off, off offset:360
	s_wait_loadcnt 0x5
	v_fmac_f64_e32 v[168:169], v[160:161], v[152:153]
	ds_load_b128 v[146:149], v2 offset:800
	ds_load_b128 v[150:153], v2 offset:816
	s_wait_dscnt 0x1
	v_fmac_f64_e32 v[168:169], v[162:163], v[146:147]
	scratch_load_b128 v[160:163], off, off offset:376
	s_wait_loadcnt 0x5
	v_fmac_f64_e32 v[168:169], v[138:139], v[148:149]
	s_wait_dscnt 0x0
	s_delay_alu instid0(VALU_DEP_1)
	v_fmac_f64_e32 v[168:169], v[140:141], v[150:151]
	scratch_load_b128 v[138:141], off, off offset:392
	s_wait_loadcnt 0x5
	v_fmac_f64_e32 v[168:169], v[156:157], v[152:153]
	ds_load_b128 v[146:149], v2 offset:832
	ds_load_b128 v[150:153], v2 offset:848
	scratch_load_b128 v[154:157], off, off offset:408
	s_wait_dscnt 0x1
	v_fmac_f64_e32 v[168:169], v[158:159], v[146:147]
	s_wait_loadcnt 0x5
	s_delay_alu instid0(VALU_DEP_1) | instskip(SKIP_1) | instid1(VALU_DEP_1)
	v_fmac_f64_e32 v[168:169], v[142:143], v[148:149]
	s_wait_dscnt 0x0
	v_fmac_f64_e32 v[168:169], v[144:145], v[150:151]
	scratch_load_b128 v[142:145], off, off offset:424
	s_wait_loadcnt 0x5
	v_fmac_f64_e32 v[168:169], v[164:165], v[152:153]
	ds_load_b128 v[146:149], v2 offset:864
	ds_load_b128 v[150:153], v2 offset:880
	s_wait_dscnt 0x1
	v_fmac_f64_e32 v[168:169], v[166:167], v[146:147]
	s_wait_loadcnt 0x4
	s_delay_alu instid0(VALU_DEP_1)
	v_fmac_f64_e32 v[168:169], v[134:135], v[148:149]
	scratch_load_b128 v[146:149], off, off offset:440
	s_wait_dscnt 0x0
	v_fmac_f64_e32 v[168:169], v[136:137], v[150:151]
	scratch_load_b128 v[134:137], off, off offset:456
	s_wait_loadcnt 0x5
	v_fmac_f64_e32 v[168:169], v[160:161], v[152:153]
	ds_load_b128 v[150:153], v2 offset:896
	ds_load_b128 v[158:161], v2 offset:912
	s_wait_dscnt 0x1
	v_fmac_f64_e32 v[168:169], v[162:163], v[150:151]
	s_wait_loadcnt 0x4
	s_delay_alu instid0(VALU_DEP_1)
	v_fmac_f64_e32 v[168:169], v[138:139], v[152:153]
	scratch_load_b128 v[150:153], off, off offset:472
	s_wait_dscnt 0x0
	v_fmac_f64_e32 v[168:169], v[140:141], v[158:159]
	scratch_load_b128 v[138:141], off, off offset:488
	s_wait_loadcnt 0x5
	v_fmac_f64_e32 v[168:169], v[154:155], v[160:161]
	ds_load_b128 v[158:161], v2 offset:928
	ds_load_b128 v[162:165], v2 offset:944
	s_wait_dscnt 0x1
	v_fmac_f64_e32 v[168:169], v[156:157], v[158:159]
	scratch_load_b64 v[158:159], off, off offset:504
	s_wait_loadcnt 0x5
	v_fmac_f64_e32 v[168:169], v[142:143], v[160:161]
	s_wait_dscnt 0x0
	s_delay_alu instid0(VALU_DEP_1)
	v_fmac_f64_e32 v[168:169], v[144:145], v[162:163]
	ds_load_b128 v[142:145], v2 offset:960
	ds_load_b128 v[154:157], v2 offset:976
	s_wait_loadcnt 0x4
	v_fmac_f64_e32 v[168:169], v[146:147], v[164:165]
	s_wait_dscnt 0x1
	s_delay_alu instid0(VALU_DEP_1) | instskip(SKIP_1) | instid1(VALU_DEP_1)
	v_fmac_f64_e32 v[168:169], v[148:149], v[142:143]
	s_wait_loadcnt 0x3
	v_fmac_f64_e32 v[168:169], v[134:135], v[144:145]
	s_wait_dscnt 0x0
	s_delay_alu instid0(VALU_DEP_1)
	v_fmac_f64_e32 v[168:169], v[136:137], v[154:155]
	ds_load_b128 v[134:137], v2 offset:992
	ds_load_b128 v[142:145], v2 offset:1008
	s_wait_loadcnt 0x2
	v_fmac_f64_e32 v[168:169], v[150:151], v[156:157]
	s_wait_dscnt 0x1
	s_delay_alu instid0(VALU_DEP_1) | instskip(SKIP_1) | instid1(VALU_DEP_1)
	v_fmac_f64_e32 v[168:169], v[152:153], v[134:135]
	s_wait_loadcnt 0x1
	v_fmac_f64_e32 v[168:169], v[138:139], v[136:137]
	s_wait_dscnt 0x0
	s_delay_alu instid0(VALU_DEP_1) | instskip(SKIP_1) | instid1(VALU_DEP_1)
	v_fmac_f64_e32 v[168:169], v[140:141], v[142:143]
	s_wait_loadcnt 0x0
	v_fmac_f64_e32 v[168:169], v[158:159], v[144:145]
	s_delay_alu instid0(VALU_DEP_1)
	v_add_f64_e64 v[2:3], v[132:133], -v[168:169]
	scratch_store_b64 off, v[2:3], off offset:152
	s_wait_xcnt 0x0
	v_cmpx_lt_u32_e32 18, v0
	s_cbranch_execz .LBB127_357
; %bb.356:
	scratch_load_b64 v[2:3], off, off offset:144
	v_mov_b64_e32 v[132:133], 0
	scratch_store_b64 off, v[132:133], off offset:144
	s_wait_loadcnt 0x0
	ds_store_b64 v1, v[2:3]
.LBB127_357:
	s_wait_xcnt 0x0
	s_or_b32 exec_lo, exec_lo, s0
	s_wait_storecnt_dscnt 0x0
	s_barrier_signal -1
	s_barrier_wait -1
	s_clause 0x5
	scratch_load_b128 v[132:135], off, off offset:144
	scratch_load_b128 v[136:139], off, off offset:160
	;; [unrolled: 1-line block ×6, first 2 shown]
	v_mov_b32_e32 v2, 0
	ds_load_2addr_b64 v[156:159], v2 offset0:83 offset1:84
	ds_load_2addr_b64 v[160:163], v2 offset0:85 offset1:86
	scratch_load_b128 v[164:167], off, off offset:240
	s_mov_b32 s0, exec_lo
	s_wait_loadcnt_dscnt 0x601
	v_fma_f64 v[168:169], v[134:135], v[156:157], 0
	s_wait_loadcnt 0x5
	s_delay_alu instid0(VALU_DEP_1) | instskip(SKIP_4) | instid1(VALU_DEP_1)
	v_fmac_f64_e32 v[168:169], v[136:137], v[158:159]
	scratch_load_b128 v[134:137], off, off offset:256
	s_wait_dscnt 0x0
	v_fmac_f64_e32 v[168:169], v[138:139], v[160:161]
	s_wait_loadcnt 0x5
	v_fmac_f64_e32 v[168:169], v[140:141], v[162:163]
	ds_load_2addr_b64 v[138:141], v2 offset0:87 offset1:88
	ds_load_2addr_b64 v[156:159], v2 offset0:89 offset1:90
	scratch_load_b128 v[160:163], off, off offset:272
	s_wait_dscnt 0x1
	v_fmac_f64_e32 v[168:169], v[142:143], v[138:139]
	s_wait_loadcnt 0x5
	s_delay_alu instid0(VALU_DEP_1) | instskip(SKIP_4) | instid1(VALU_DEP_1)
	v_fmac_f64_e32 v[168:169], v[144:145], v[140:141]
	scratch_load_b128 v[138:141], off, off offset:288
	s_wait_dscnt 0x0
	v_fmac_f64_e32 v[168:169], v[146:147], v[156:157]
	s_wait_loadcnt 0x5
	v_fmac_f64_e32 v[168:169], v[148:149], v[158:159]
	ds_load_2addr_b64 v[142:145], v2 offset0:91 offset1:92
	ds_load_2addr_b64 v[146:149], v2 offset0:93 offset1:94
	scratch_load_b128 v[156:159], off, off offset:304
	s_wait_dscnt 0x1
	v_fmac_f64_e32 v[168:169], v[150:151], v[142:143]
	s_wait_loadcnt 0x5
	s_delay_alu instid0(VALU_DEP_1) | instskip(SKIP_4) | instid1(VALU_DEP_1)
	v_fmac_f64_e32 v[168:169], v[152:153], v[144:145]
	scratch_load_b128 v[142:145], off, off offset:320
	s_wait_dscnt 0x0
	v_fmac_f64_e32 v[168:169], v[154:155], v[146:147]
	s_wait_loadcnt 0x5
	v_fmac_f64_e32 v[168:169], v[164:165], v[148:149]
	ds_load_2addr_b64 v[146:149], v2 offset0:95 offset1:96
	ds_load_2addr_b64 v[150:153], v2 offset0:97 offset1:98
	s_wait_dscnt 0x1
	v_fmac_f64_e32 v[168:169], v[166:167], v[146:147]
	scratch_load_b128 v[164:167], off, off offset:336
	s_wait_loadcnt 0x5
	v_fmac_f64_e32 v[168:169], v[134:135], v[148:149]
	s_wait_dscnt 0x0
	s_delay_alu instid0(VALU_DEP_1)
	v_fmac_f64_e32 v[168:169], v[136:137], v[150:151]
	scratch_load_b128 v[134:137], off, off offset:352
	s_wait_loadcnt 0x5
	v_fmac_f64_e32 v[168:169], v[160:161], v[152:153]
	ds_load_2addr_b64 v[146:149], v2 offset0:99 offset1:100
	ds_load_2addr_b64 v[150:153], v2 offset0:101 offset1:102
	s_wait_dscnt 0x1
	v_fmac_f64_e32 v[168:169], v[162:163], v[146:147]
	scratch_load_b128 v[160:163], off, off offset:368
	s_wait_loadcnt 0x5
	v_fmac_f64_e32 v[168:169], v[138:139], v[148:149]
	s_wait_dscnt 0x0
	s_delay_alu instid0(VALU_DEP_1)
	v_fmac_f64_e32 v[168:169], v[140:141], v[150:151]
	scratch_load_b128 v[138:141], off, off offset:384
	s_wait_loadcnt 0x5
	v_fmac_f64_e32 v[168:169], v[156:157], v[152:153]
	ds_load_2addr_b64 v[146:149], v2 offset0:103 offset1:104
	ds_load_2addr_b64 v[150:153], v2 offset0:105 offset1:106
	scratch_load_b128 v[154:157], off, off offset:400
	s_wait_dscnt 0x1
	v_fmac_f64_e32 v[168:169], v[158:159], v[146:147]
	s_wait_loadcnt 0x5
	s_delay_alu instid0(VALU_DEP_1) | instskip(SKIP_1) | instid1(VALU_DEP_1)
	v_fmac_f64_e32 v[168:169], v[142:143], v[148:149]
	s_wait_dscnt 0x0
	v_fmac_f64_e32 v[168:169], v[144:145], v[150:151]
	scratch_load_b128 v[142:145], off, off offset:416
	s_wait_loadcnt 0x5
	v_fmac_f64_e32 v[168:169], v[164:165], v[152:153]
	ds_load_2addr_b64 v[146:149], v2 offset0:107 offset1:108
	ds_load_2addr_b64 v[150:153], v2 offset0:109 offset1:110
	s_wait_dscnt 0x1
	v_fmac_f64_e32 v[168:169], v[166:167], v[146:147]
	s_wait_loadcnt 0x4
	s_delay_alu instid0(VALU_DEP_1)
	v_fmac_f64_e32 v[168:169], v[134:135], v[148:149]
	scratch_load_b128 v[146:149], off, off offset:432
	s_wait_dscnt 0x0
	v_fmac_f64_e32 v[168:169], v[136:137], v[150:151]
	scratch_load_b128 v[134:137], off, off offset:448
	s_wait_loadcnt 0x5
	v_fmac_f64_e32 v[168:169], v[160:161], v[152:153]
	ds_load_2addr_b64 v[150:153], v2 offset0:111 offset1:112
	ds_load_2addr_b64 v[158:161], v2 offset0:113 offset1:114
	s_wait_dscnt 0x1
	v_fmac_f64_e32 v[168:169], v[162:163], v[150:151]
	s_wait_loadcnt 0x4
	s_delay_alu instid0(VALU_DEP_1)
	v_fmac_f64_e32 v[168:169], v[138:139], v[152:153]
	scratch_load_b128 v[150:153], off, off offset:464
	s_wait_dscnt 0x0
	v_fmac_f64_e32 v[168:169], v[140:141], v[158:159]
	scratch_load_b128 v[138:141], off, off offset:480
	s_wait_loadcnt 0x5
	v_fmac_f64_e32 v[168:169], v[154:155], v[160:161]
	ds_load_2addr_b64 v[158:161], v2 offset0:115 offset1:116
	ds_load_2addr_b64 v[162:165], v2 offset0:117 offset1:118
	s_wait_dscnt 0x1
	v_fmac_f64_e32 v[168:169], v[156:157], v[158:159]
	scratch_load_b128 v[154:157], off, off offset:496
	s_wait_loadcnt 0x5
	v_fmac_f64_e32 v[168:169], v[142:143], v[160:161]
	s_wait_dscnt 0x0
	s_delay_alu instid0(VALU_DEP_1)
	v_fmac_f64_e32 v[168:169], v[144:145], v[162:163]
	ds_load_2addr_b64 v[142:145], v2 offset0:119 offset1:120
	ds_load_2addr_b64 v[158:161], v2 offset0:121 offset1:122
	s_wait_loadcnt 0x4
	v_fmac_f64_e32 v[168:169], v[146:147], v[164:165]
	s_wait_dscnt 0x1
	s_delay_alu instid0(VALU_DEP_1) | instskip(SKIP_1) | instid1(VALU_DEP_1)
	v_fmac_f64_e32 v[168:169], v[148:149], v[142:143]
	s_wait_loadcnt 0x3
	v_fmac_f64_e32 v[168:169], v[134:135], v[144:145]
	s_wait_dscnt 0x0
	s_delay_alu instid0(VALU_DEP_1)
	v_fmac_f64_e32 v[168:169], v[136:137], v[158:159]
	ds_load_2addr_b64 v[134:137], v2 offset0:123 offset1:124
	ds_load_2addr_b64 v[142:145], v2 offset0:125 offset1:126
	s_wait_loadcnt 0x2
	v_fmac_f64_e32 v[168:169], v[150:151], v[160:161]
	s_wait_dscnt 0x1
	s_delay_alu instid0(VALU_DEP_1) | instskip(SKIP_4) | instid1(VALU_DEP_1)
	v_fmac_f64_e32 v[168:169], v[152:153], v[134:135]
	ds_load_b64 v[134:135], v2 offset:1016
	s_wait_loadcnt 0x1
	v_fmac_f64_e32 v[168:169], v[138:139], v[136:137]
	s_wait_dscnt 0x1
	v_fmac_f64_e32 v[168:169], v[140:141], v[142:143]
	s_wait_loadcnt 0x0
	s_delay_alu instid0(VALU_DEP_1) | instskip(SKIP_1) | instid1(VALU_DEP_1)
	v_fmac_f64_e32 v[168:169], v[154:155], v[144:145]
	s_wait_dscnt 0x0
	v_fmac_f64_e32 v[168:169], v[156:157], v[134:135]
	s_delay_alu instid0(VALU_DEP_1)
	v_add_f64_e64 v[132:133], v[132:133], -v[168:169]
	scratch_store_b64 off, v[132:133], off offset:144
	s_wait_xcnt 0x0
	v_cmpx_lt_u32_e32 17, v0
	s_cbranch_execz .LBB127_359
; %bb.358:
	scratch_load_b64 v[132:133], off, off offset:136
	v_mov_b64_e32 v[134:135], 0
	scratch_store_b64 off, v[134:135], off offset:136
	s_wait_loadcnt 0x0
	ds_store_b64 v1, v[132:133]
.LBB127_359:
	s_wait_xcnt 0x0
	s_or_b32 exec_lo, exec_lo, s0
	s_wait_storecnt_dscnt 0x0
	s_barrier_signal -1
	s_barrier_wait -1
	s_clause 0x5
	scratch_load_b128 v[132:135], off, off offset:136
	scratch_load_b128 v[136:139], off, off offset:152
	;; [unrolled: 1-line block ×6, first 2 shown]
	ds_load_b128 v[156:159], v2 offset:656
	ds_load_b128 v[160:163], v2 offset:672
	scratch_load_b128 v[164:167], off, off offset:232
	s_mov_b32 s0, exec_lo
	s_wait_loadcnt_dscnt 0x601
	v_fma_f64 v[168:169], v[134:135], v[156:157], 0
	s_wait_loadcnt 0x5
	s_delay_alu instid0(VALU_DEP_1) | instskip(SKIP_4) | instid1(VALU_DEP_1)
	v_fmac_f64_e32 v[168:169], v[136:137], v[158:159]
	scratch_load_b128 v[134:137], off, off offset:248
	s_wait_dscnt 0x0
	v_fmac_f64_e32 v[168:169], v[138:139], v[160:161]
	s_wait_loadcnt 0x5
	v_fmac_f64_e32 v[168:169], v[140:141], v[162:163]
	ds_load_b128 v[138:141], v2 offset:688
	ds_load_b128 v[156:159], v2 offset:704
	scratch_load_b128 v[160:163], off, off offset:264
	s_wait_dscnt 0x1
	v_fmac_f64_e32 v[168:169], v[142:143], v[138:139]
	s_wait_loadcnt 0x5
	s_delay_alu instid0(VALU_DEP_1) | instskip(SKIP_4) | instid1(VALU_DEP_1)
	v_fmac_f64_e32 v[168:169], v[144:145], v[140:141]
	scratch_load_b128 v[138:141], off, off offset:280
	s_wait_dscnt 0x0
	v_fmac_f64_e32 v[168:169], v[146:147], v[156:157]
	s_wait_loadcnt 0x5
	v_fmac_f64_e32 v[168:169], v[148:149], v[158:159]
	ds_load_b128 v[142:145], v2 offset:720
	ds_load_b128 v[146:149], v2 offset:736
	scratch_load_b128 v[156:159], off, off offset:296
	s_wait_dscnt 0x1
	v_fmac_f64_e32 v[168:169], v[150:151], v[142:143]
	s_wait_loadcnt 0x5
	s_delay_alu instid0(VALU_DEP_1) | instskip(SKIP_4) | instid1(VALU_DEP_1)
	v_fmac_f64_e32 v[168:169], v[152:153], v[144:145]
	scratch_load_b128 v[142:145], off, off offset:312
	s_wait_dscnt 0x0
	v_fmac_f64_e32 v[168:169], v[154:155], v[146:147]
	s_wait_loadcnt 0x5
	v_fmac_f64_e32 v[168:169], v[164:165], v[148:149]
	ds_load_b128 v[146:149], v2 offset:752
	ds_load_b128 v[150:153], v2 offset:768
	s_wait_dscnt 0x1
	v_fmac_f64_e32 v[168:169], v[166:167], v[146:147]
	scratch_load_b128 v[164:167], off, off offset:328
	s_wait_loadcnt 0x5
	v_fmac_f64_e32 v[168:169], v[134:135], v[148:149]
	s_wait_dscnt 0x0
	s_delay_alu instid0(VALU_DEP_1)
	v_fmac_f64_e32 v[168:169], v[136:137], v[150:151]
	scratch_load_b128 v[134:137], off, off offset:344
	s_wait_loadcnt 0x5
	v_fmac_f64_e32 v[168:169], v[160:161], v[152:153]
	ds_load_b128 v[146:149], v2 offset:784
	ds_load_b128 v[150:153], v2 offset:800
	s_wait_dscnt 0x1
	v_fmac_f64_e32 v[168:169], v[162:163], v[146:147]
	scratch_load_b128 v[160:163], off, off offset:360
	s_wait_loadcnt 0x5
	v_fmac_f64_e32 v[168:169], v[138:139], v[148:149]
	s_wait_dscnt 0x0
	s_delay_alu instid0(VALU_DEP_1)
	v_fmac_f64_e32 v[168:169], v[140:141], v[150:151]
	scratch_load_b128 v[138:141], off, off offset:376
	s_wait_loadcnt 0x5
	v_fmac_f64_e32 v[168:169], v[156:157], v[152:153]
	ds_load_b128 v[146:149], v2 offset:816
	ds_load_b128 v[150:153], v2 offset:832
	scratch_load_b128 v[154:157], off, off offset:392
	s_wait_dscnt 0x1
	v_fmac_f64_e32 v[168:169], v[158:159], v[146:147]
	s_wait_loadcnt 0x5
	s_delay_alu instid0(VALU_DEP_1) | instskip(SKIP_1) | instid1(VALU_DEP_1)
	v_fmac_f64_e32 v[168:169], v[142:143], v[148:149]
	s_wait_dscnt 0x0
	v_fmac_f64_e32 v[168:169], v[144:145], v[150:151]
	scratch_load_b128 v[142:145], off, off offset:408
	s_wait_loadcnt 0x5
	v_fmac_f64_e32 v[168:169], v[164:165], v[152:153]
	ds_load_b128 v[146:149], v2 offset:848
	ds_load_b128 v[150:153], v2 offset:864
	s_wait_dscnt 0x1
	v_fmac_f64_e32 v[168:169], v[166:167], v[146:147]
	scratch_load_b128 v[164:167], off, off offset:424
	s_wait_loadcnt 0x5
	v_fmac_f64_e32 v[168:169], v[134:135], v[148:149]
	s_wait_dscnt 0x0
	s_delay_alu instid0(VALU_DEP_1)
	v_fmac_f64_e32 v[168:169], v[136:137], v[150:151]
	scratch_load_b128 v[134:137], off, off offset:440
	s_wait_loadcnt 0x5
	v_fmac_f64_e32 v[168:169], v[160:161], v[152:153]
	ds_load_b128 v[146:149], v2 offset:880
	ds_load_b128 v[150:153], v2 offset:896
	s_wait_dscnt 0x1
	v_fmac_f64_e32 v[168:169], v[162:163], v[146:147]
	s_wait_loadcnt 0x4
	s_delay_alu instid0(VALU_DEP_1)
	v_fmac_f64_e32 v[168:169], v[138:139], v[148:149]
	scratch_load_b128 v[146:149], off, off offset:456
	s_wait_dscnt 0x0
	v_fmac_f64_e32 v[168:169], v[140:141], v[150:151]
	scratch_load_b128 v[138:141], off, off offset:472
	s_wait_loadcnt 0x5
	v_fmac_f64_e32 v[168:169], v[154:155], v[152:153]
	ds_load_b128 v[150:153], v2 offset:912
	ds_load_b128 v[158:161], v2 offset:928
	s_wait_dscnt 0x1
	v_fmac_f64_e32 v[168:169], v[156:157], v[150:151]
	s_wait_loadcnt 0x4
	s_delay_alu instid0(VALU_DEP_1)
	v_fmac_f64_e32 v[168:169], v[142:143], v[152:153]
	scratch_load_b128 v[150:153], off, off offset:488
	s_wait_dscnt 0x0
	v_fmac_f64_e32 v[168:169], v[144:145], v[158:159]
	scratch_load_b64 v[158:159], off, off offset:504
	ds_load_b128 v[142:145], v2 offset:944
	ds_load_b128 v[154:157], v2 offset:960
	s_wait_loadcnt 0x5
	v_fmac_f64_e32 v[168:169], v[164:165], v[160:161]
	s_wait_dscnt 0x1
	s_delay_alu instid0(VALU_DEP_1) | instskip(SKIP_1) | instid1(VALU_DEP_1)
	v_fmac_f64_e32 v[168:169], v[166:167], v[142:143]
	s_wait_loadcnt 0x4
	v_fmac_f64_e32 v[168:169], v[134:135], v[144:145]
	s_wait_dscnt 0x0
	s_delay_alu instid0(VALU_DEP_1)
	v_fmac_f64_e32 v[168:169], v[136:137], v[154:155]
	ds_load_b128 v[134:137], v2 offset:976
	ds_load_b128 v[142:145], v2 offset:992
	s_wait_loadcnt 0x3
	v_fmac_f64_e32 v[168:169], v[146:147], v[156:157]
	s_wait_dscnt 0x1
	s_delay_alu instid0(VALU_DEP_1) | instskip(SKIP_1) | instid1(VALU_DEP_1)
	v_fmac_f64_e32 v[168:169], v[148:149], v[134:135]
	s_wait_loadcnt 0x2
	v_fmac_f64_e32 v[168:169], v[138:139], v[136:137]
	ds_load_b128 v[134:137], v2 offset:1008
	s_wait_dscnt 0x1
	v_fmac_f64_e32 v[168:169], v[140:141], v[142:143]
	s_wait_loadcnt 0x1
	s_delay_alu instid0(VALU_DEP_1) | instskip(SKIP_1) | instid1(VALU_DEP_1)
	v_fmac_f64_e32 v[168:169], v[150:151], v[144:145]
	s_wait_dscnt 0x0
	v_fmac_f64_e32 v[168:169], v[152:153], v[134:135]
	s_wait_loadcnt 0x0
	s_delay_alu instid0(VALU_DEP_1) | instskip(NEXT) | instid1(VALU_DEP_1)
	v_fmac_f64_e32 v[168:169], v[158:159], v[136:137]
	v_add_f64_e64 v[2:3], v[132:133], -v[168:169]
	scratch_store_b64 off, v[2:3], off offset:136
	s_wait_xcnt 0x0
	v_cmpx_lt_u32_e32 16, v0
	s_cbranch_execz .LBB127_361
; %bb.360:
	scratch_load_b64 v[2:3], off, off offset:128
	v_mov_b64_e32 v[132:133], 0
	scratch_store_b64 off, v[132:133], off offset:128
	s_wait_loadcnt 0x0
	ds_store_b64 v1, v[2:3]
.LBB127_361:
	s_wait_xcnt 0x0
	s_or_b32 exec_lo, exec_lo, s0
	s_wait_storecnt_dscnt 0x0
	s_barrier_signal -1
	s_barrier_wait -1
	s_clause 0x5
	scratch_load_b128 v[132:135], off, off offset:128
	scratch_load_b128 v[136:139], off, off offset:144
	;; [unrolled: 1-line block ×6, first 2 shown]
	v_mov_b32_e32 v2, 0
	ds_load_2addr_b64 v[156:159], v2 offset0:81 offset1:82
	ds_load_2addr_b64 v[160:163], v2 offset0:83 offset1:84
	scratch_load_b128 v[164:167], off, off offset:224
	s_mov_b32 s0, exec_lo
	s_wait_loadcnt_dscnt 0x601
	v_fma_f64 v[168:169], v[134:135], v[156:157], 0
	s_wait_loadcnt 0x5
	s_delay_alu instid0(VALU_DEP_1) | instskip(SKIP_4) | instid1(VALU_DEP_1)
	v_fmac_f64_e32 v[168:169], v[136:137], v[158:159]
	scratch_load_b128 v[134:137], off, off offset:240
	s_wait_dscnt 0x0
	v_fmac_f64_e32 v[168:169], v[138:139], v[160:161]
	s_wait_loadcnt 0x5
	v_fmac_f64_e32 v[168:169], v[140:141], v[162:163]
	ds_load_2addr_b64 v[138:141], v2 offset0:85 offset1:86
	ds_load_2addr_b64 v[156:159], v2 offset0:87 offset1:88
	scratch_load_b128 v[160:163], off, off offset:256
	s_wait_dscnt 0x1
	v_fmac_f64_e32 v[168:169], v[142:143], v[138:139]
	s_wait_loadcnt 0x5
	s_delay_alu instid0(VALU_DEP_1) | instskip(SKIP_4) | instid1(VALU_DEP_1)
	v_fmac_f64_e32 v[168:169], v[144:145], v[140:141]
	scratch_load_b128 v[138:141], off, off offset:272
	s_wait_dscnt 0x0
	v_fmac_f64_e32 v[168:169], v[146:147], v[156:157]
	s_wait_loadcnt 0x5
	v_fmac_f64_e32 v[168:169], v[148:149], v[158:159]
	ds_load_2addr_b64 v[142:145], v2 offset0:89 offset1:90
	ds_load_2addr_b64 v[146:149], v2 offset0:91 offset1:92
	scratch_load_b128 v[156:159], off, off offset:288
	s_wait_dscnt 0x1
	v_fmac_f64_e32 v[168:169], v[150:151], v[142:143]
	s_wait_loadcnt 0x5
	s_delay_alu instid0(VALU_DEP_1) | instskip(SKIP_4) | instid1(VALU_DEP_1)
	v_fmac_f64_e32 v[168:169], v[152:153], v[144:145]
	scratch_load_b128 v[142:145], off, off offset:304
	s_wait_dscnt 0x0
	v_fmac_f64_e32 v[168:169], v[154:155], v[146:147]
	s_wait_loadcnt 0x5
	v_fmac_f64_e32 v[168:169], v[164:165], v[148:149]
	ds_load_2addr_b64 v[146:149], v2 offset0:93 offset1:94
	ds_load_2addr_b64 v[150:153], v2 offset0:95 offset1:96
	s_wait_dscnt 0x1
	v_fmac_f64_e32 v[168:169], v[166:167], v[146:147]
	scratch_load_b128 v[164:167], off, off offset:320
	s_wait_loadcnt 0x5
	v_fmac_f64_e32 v[168:169], v[134:135], v[148:149]
	s_wait_dscnt 0x0
	s_delay_alu instid0(VALU_DEP_1)
	v_fmac_f64_e32 v[168:169], v[136:137], v[150:151]
	scratch_load_b128 v[134:137], off, off offset:336
	s_wait_loadcnt 0x5
	v_fmac_f64_e32 v[168:169], v[160:161], v[152:153]
	ds_load_2addr_b64 v[146:149], v2 offset0:97 offset1:98
	ds_load_2addr_b64 v[150:153], v2 offset0:99 offset1:100
	s_wait_dscnt 0x1
	v_fmac_f64_e32 v[168:169], v[162:163], v[146:147]
	scratch_load_b128 v[160:163], off, off offset:352
	s_wait_loadcnt 0x5
	v_fmac_f64_e32 v[168:169], v[138:139], v[148:149]
	s_wait_dscnt 0x0
	s_delay_alu instid0(VALU_DEP_1)
	v_fmac_f64_e32 v[168:169], v[140:141], v[150:151]
	scratch_load_b128 v[138:141], off, off offset:368
	s_wait_loadcnt 0x5
	v_fmac_f64_e32 v[168:169], v[156:157], v[152:153]
	ds_load_2addr_b64 v[146:149], v2 offset0:101 offset1:102
	ds_load_2addr_b64 v[150:153], v2 offset0:103 offset1:104
	scratch_load_b128 v[154:157], off, off offset:384
	s_wait_dscnt 0x1
	v_fmac_f64_e32 v[168:169], v[158:159], v[146:147]
	s_wait_loadcnt 0x5
	s_delay_alu instid0(VALU_DEP_1) | instskip(SKIP_1) | instid1(VALU_DEP_1)
	v_fmac_f64_e32 v[168:169], v[142:143], v[148:149]
	s_wait_dscnt 0x0
	v_fmac_f64_e32 v[168:169], v[144:145], v[150:151]
	scratch_load_b128 v[142:145], off, off offset:400
	s_wait_loadcnt 0x5
	v_fmac_f64_e32 v[168:169], v[164:165], v[152:153]
	ds_load_2addr_b64 v[146:149], v2 offset0:105 offset1:106
	ds_load_2addr_b64 v[150:153], v2 offset0:107 offset1:108
	s_wait_dscnt 0x1
	v_fmac_f64_e32 v[168:169], v[166:167], v[146:147]
	scratch_load_b128 v[164:167], off, off offset:416
	s_wait_loadcnt 0x5
	v_fmac_f64_e32 v[168:169], v[134:135], v[148:149]
	s_wait_dscnt 0x0
	s_delay_alu instid0(VALU_DEP_1)
	v_fmac_f64_e32 v[168:169], v[136:137], v[150:151]
	scratch_load_b128 v[134:137], off, off offset:432
	s_wait_loadcnt 0x5
	v_fmac_f64_e32 v[168:169], v[160:161], v[152:153]
	ds_load_2addr_b64 v[146:149], v2 offset0:109 offset1:110
	ds_load_2addr_b64 v[150:153], v2 offset0:111 offset1:112
	s_wait_dscnt 0x1
	v_fmac_f64_e32 v[168:169], v[162:163], v[146:147]
	s_wait_loadcnt 0x4
	s_delay_alu instid0(VALU_DEP_1)
	v_fmac_f64_e32 v[168:169], v[138:139], v[148:149]
	scratch_load_b128 v[146:149], off, off offset:448
	s_wait_dscnt 0x0
	v_fmac_f64_e32 v[168:169], v[140:141], v[150:151]
	scratch_load_b128 v[138:141], off, off offset:464
	s_wait_loadcnt 0x5
	v_fmac_f64_e32 v[168:169], v[154:155], v[152:153]
	ds_load_2addr_b64 v[150:153], v2 offset0:113 offset1:114
	ds_load_2addr_b64 v[158:161], v2 offset0:115 offset1:116
	s_wait_dscnt 0x1
	v_fmac_f64_e32 v[168:169], v[156:157], v[150:151]
	s_wait_loadcnt 0x4
	s_delay_alu instid0(VALU_DEP_1)
	v_fmac_f64_e32 v[168:169], v[142:143], v[152:153]
	scratch_load_b128 v[150:153], off, off offset:480
	s_wait_dscnt 0x0
	v_fmac_f64_e32 v[168:169], v[144:145], v[158:159]
	scratch_load_b128 v[142:145], off, off offset:496
	s_wait_loadcnt 0x5
	v_fmac_f64_e32 v[168:169], v[164:165], v[160:161]
	ds_load_2addr_b64 v[154:157], v2 offset0:117 offset1:118
	ds_load_2addr_b64 v[158:161], v2 offset0:119 offset1:120
	s_wait_dscnt 0x1
	v_fmac_f64_e32 v[168:169], v[166:167], v[154:155]
	s_wait_loadcnt 0x4
	s_delay_alu instid0(VALU_DEP_1) | instskip(SKIP_1) | instid1(VALU_DEP_1)
	v_fmac_f64_e32 v[168:169], v[134:135], v[156:157]
	s_wait_dscnt 0x0
	v_fmac_f64_e32 v[168:169], v[136:137], v[158:159]
	ds_load_2addr_b64 v[134:137], v2 offset0:121 offset1:122
	ds_load_2addr_b64 v[154:157], v2 offset0:123 offset1:124
	s_wait_loadcnt 0x3
	v_fmac_f64_e32 v[168:169], v[146:147], v[160:161]
	s_wait_dscnt 0x1
	s_delay_alu instid0(VALU_DEP_1) | instskip(SKIP_1) | instid1(VALU_DEP_1)
	v_fmac_f64_e32 v[168:169], v[148:149], v[134:135]
	s_wait_loadcnt 0x2
	v_fmac_f64_e32 v[168:169], v[138:139], v[136:137]
	ds_load_2addr_b64 v[134:137], v2 offset0:125 offset1:126
	ds_load_b64 v[138:139], v2 offset:1016
	s_wait_dscnt 0x2
	v_fmac_f64_e32 v[168:169], v[140:141], v[154:155]
	s_wait_loadcnt 0x1
	s_delay_alu instid0(VALU_DEP_1) | instskip(SKIP_1) | instid1(VALU_DEP_1)
	v_fmac_f64_e32 v[168:169], v[150:151], v[156:157]
	s_wait_dscnt 0x1
	v_fmac_f64_e32 v[168:169], v[152:153], v[134:135]
	s_wait_loadcnt 0x0
	s_delay_alu instid0(VALU_DEP_1) | instskip(SKIP_1) | instid1(VALU_DEP_1)
	v_fmac_f64_e32 v[168:169], v[142:143], v[136:137]
	s_wait_dscnt 0x0
	v_fmac_f64_e32 v[168:169], v[144:145], v[138:139]
	s_delay_alu instid0(VALU_DEP_1)
	v_add_f64_e64 v[132:133], v[132:133], -v[168:169]
	scratch_store_b64 off, v[132:133], off offset:128
	s_wait_xcnt 0x0
	v_cmpx_lt_u32_e32 15, v0
	s_cbranch_execz .LBB127_363
; %bb.362:
	scratch_load_b64 v[132:133], off, off offset:120
	v_mov_b64_e32 v[134:135], 0
	scratch_store_b64 off, v[134:135], off offset:120
	s_wait_loadcnt 0x0
	ds_store_b64 v1, v[132:133]
.LBB127_363:
	s_wait_xcnt 0x0
	s_or_b32 exec_lo, exec_lo, s0
	s_wait_storecnt_dscnt 0x0
	s_barrier_signal -1
	s_barrier_wait -1
	s_clause 0x5
	scratch_load_b128 v[132:135], off, off offset:120
	scratch_load_b128 v[136:139], off, off offset:136
	;; [unrolled: 1-line block ×6, first 2 shown]
	ds_load_b128 v[156:159], v2 offset:640
	ds_load_b128 v[160:163], v2 offset:656
	scratch_load_b128 v[164:167], off, off offset:216
	s_mov_b32 s0, exec_lo
	s_wait_loadcnt_dscnt 0x601
	v_fma_f64 v[168:169], v[134:135], v[156:157], 0
	s_wait_loadcnt 0x5
	s_delay_alu instid0(VALU_DEP_1) | instskip(SKIP_4) | instid1(VALU_DEP_1)
	v_fmac_f64_e32 v[168:169], v[136:137], v[158:159]
	scratch_load_b128 v[134:137], off, off offset:232
	s_wait_dscnt 0x0
	v_fmac_f64_e32 v[168:169], v[138:139], v[160:161]
	s_wait_loadcnt 0x5
	v_fmac_f64_e32 v[168:169], v[140:141], v[162:163]
	ds_load_b128 v[138:141], v2 offset:672
	ds_load_b128 v[156:159], v2 offset:688
	scratch_load_b128 v[160:163], off, off offset:248
	s_wait_dscnt 0x1
	v_fmac_f64_e32 v[168:169], v[142:143], v[138:139]
	s_wait_loadcnt 0x5
	s_delay_alu instid0(VALU_DEP_1) | instskip(SKIP_4) | instid1(VALU_DEP_1)
	v_fmac_f64_e32 v[168:169], v[144:145], v[140:141]
	scratch_load_b128 v[138:141], off, off offset:264
	s_wait_dscnt 0x0
	v_fmac_f64_e32 v[168:169], v[146:147], v[156:157]
	s_wait_loadcnt 0x5
	v_fmac_f64_e32 v[168:169], v[148:149], v[158:159]
	ds_load_b128 v[142:145], v2 offset:704
	ds_load_b128 v[146:149], v2 offset:720
	scratch_load_b128 v[156:159], off, off offset:280
	s_wait_dscnt 0x1
	v_fmac_f64_e32 v[168:169], v[150:151], v[142:143]
	s_wait_loadcnt 0x5
	s_delay_alu instid0(VALU_DEP_1) | instskip(SKIP_4) | instid1(VALU_DEP_1)
	v_fmac_f64_e32 v[168:169], v[152:153], v[144:145]
	scratch_load_b128 v[142:145], off, off offset:296
	s_wait_dscnt 0x0
	v_fmac_f64_e32 v[168:169], v[154:155], v[146:147]
	s_wait_loadcnt 0x5
	v_fmac_f64_e32 v[168:169], v[164:165], v[148:149]
	ds_load_b128 v[146:149], v2 offset:736
	ds_load_b128 v[150:153], v2 offset:752
	s_wait_dscnt 0x1
	v_fmac_f64_e32 v[168:169], v[166:167], v[146:147]
	scratch_load_b128 v[164:167], off, off offset:312
	s_wait_loadcnt 0x5
	v_fmac_f64_e32 v[168:169], v[134:135], v[148:149]
	s_wait_dscnt 0x0
	s_delay_alu instid0(VALU_DEP_1)
	v_fmac_f64_e32 v[168:169], v[136:137], v[150:151]
	scratch_load_b128 v[134:137], off, off offset:328
	s_wait_loadcnt 0x5
	v_fmac_f64_e32 v[168:169], v[160:161], v[152:153]
	ds_load_b128 v[146:149], v2 offset:768
	ds_load_b128 v[150:153], v2 offset:784
	s_wait_dscnt 0x1
	v_fmac_f64_e32 v[168:169], v[162:163], v[146:147]
	scratch_load_b128 v[160:163], off, off offset:344
	s_wait_loadcnt 0x5
	v_fmac_f64_e32 v[168:169], v[138:139], v[148:149]
	s_wait_dscnt 0x0
	s_delay_alu instid0(VALU_DEP_1)
	v_fmac_f64_e32 v[168:169], v[140:141], v[150:151]
	scratch_load_b128 v[138:141], off, off offset:360
	s_wait_loadcnt 0x5
	v_fmac_f64_e32 v[168:169], v[156:157], v[152:153]
	ds_load_b128 v[146:149], v2 offset:800
	ds_load_b128 v[150:153], v2 offset:816
	scratch_load_b128 v[154:157], off, off offset:376
	s_wait_dscnt 0x1
	v_fmac_f64_e32 v[168:169], v[158:159], v[146:147]
	s_wait_loadcnt 0x5
	s_delay_alu instid0(VALU_DEP_1) | instskip(SKIP_1) | instid1(VALU_DEP_1)
	v_fmac_f64_e32 v[168:169], v[142:143], v[148:149]
	s_wait_dscnt 0x0
	v_fmac_f64_e32 v[168:169], v[144:145], v[150:151]
	scratch_load_b128 v[142:145], off, off offset:392
	s_wait_loadcnt 0x5
	v_fmac_f64_e32 v[168:169], v[164:165], v[152:153]
	ds_load_b128 v[146:149], v2 offset:832
	ds_load_b128 v[150:153], v2 offset:848
	s_wait_dscnt 0x1
	v_fmac_f64_e32 v[168:169], v[166:167], v[146:147]
	scratch_load_b128 v[164:167], off, off offset:408
	s_wait_loadcnt 0x5
	v_fmac_f64_e32 v[168:169], v[134:135], v[148:149]
	s_wait_dscnt 0x0
	s_delay_alu instid0(VALU_DEP_1)
	v_fmac_f64_e32 v[168:169], v[136:137], v[150:151]
	scratch_load_b128 v[134:137], off, off offset:424
	s_wait_loadcnt 0x5
	v_fmac_f64_e32 v[168:169], v[160:161], v[152:153]
	ds_load_b128 v[146:149], v2 offset:864
	ds_load_b128 v[150:153], v2 offset:880
	s_wait_dscnt 0x1
	v_fmac_f64_e32 v[168:169], v[162:163], v[146:147]
	s_wait_loadcnt 0x4
	s_delay_alu instid0(VALU_DEP_1)
	v_fmac_f64_e32 v[168:169], v[138:139], v[148:149]
	scratch_load_b128 v[146:149], off, off offset:440
	s_wait_dscnt 0x0
	v_fmac_f64_e32 v[168:169], v[140:141], v[150:151]
	scratch_load_b128 v[138:141], off, off offset:456
	s_wait_loadcnt 0x5
	v_fmac_f64_e32 v[168:169], v[154:155], v[152:153]
	ds_load_b128 v[150:153], v2 offset:896
	ds_load_b128 v[158:161], v2 offset:912
	s_wait_dscnt 0x1
	v_fmac_f64_e32 v[168:169], v[156:157], v[150:151]
	s_wait_loadcnt 0x4
	s_delay_alu instid0(VALU_DEP_1)
	v_fmac_f64_e32 v[168:169], v[142:143], v[152:153]
	scratch_load_b128 v[150:153], off, off offset:472
	s_wait_dscnt 0x0
	v_fmac_f64_e32 v[168:169], v[144:145], v[158:159]
	scratch_load_b128 v[142:145], off, off offset:488
	s_wait_loadcnt 0x5
	v_fmac_f64_e32 v[168:169], v[164:165], v[160:161]
	ds_load_b128 v[154:157], v2 offset:928
	ds_load_b128 v[158:161], v2 offset:944
	scratch_load_b64 v[162:163], off, off offset:504
	s_wait_dscnt 0x1
	v_fmac_f64_e32 v[168:169], v[166:167], v[154:155]
	s_wait_loadcnt 0x5
	s_delay_alu instid0(VALU_DEP_1) | instskip(SKIP_1) | instid1(VALU_DEP_1)
	v_fmac_f64_e32 v[168:169], v[134:135], v[156:157]
	s_wait_dscnt 0x0
	v_fmac_f64_e32 v[168:169], v[136:137], v[158:159]
	ds_load_b128 v[134:137], v2 offset:960
	ds_load_b128 v[154:157], v2 offset:976
	s_wait_loadcnt 0x4
	v_fmac_f64_e32 v[168:169], v[146:147], v[160:161]
	s_wait_dscnt 0x1
	s_delay_alu instid0(VALU_DEP_1) | instskip(SKIP_1) | instid1(VALU_DEP_1)
	v_fmac_f64_e32 v[168:169], v[148:149], v[134:135]
	s_wait_loadcnt 0x3
	v_fmac_f64_e32 v[168:169], v[138:139], v[136:137]
	s_wait_dscnt 0x0
	s_delay_alu instid0(VALU_DEP_1)
	v_fmac_f64_e32 v[168:169], v[140:141], v[154:155]
	ds_load_b128 v[134:137], v2 offset:992
	ds_load_b128 v[138:141], v2 offset:1008
	s_wait_loadcnt 0x2
	v_fmac_f64_e32 v[168:169], v[150:151], v[156:157]
	s_wait_dscnt 0x1
	s_delay_alu instid0(VALU_DEP_1) | instskip(SKIP_1) | instid1(VALU_DEP_1)
	v_fmac_f64_e32 v[168:169], v[152:153], v[134:135]
	s_wait_loadcnt 0x1
	v_fmac_f64_e32 v[168:169], v[142:143], v[136:137]
	s_wait_dscnt 0x0
	s_delay_alu instid0(VALU_DEP_1) | instskip(SKIP_1) | instid1(VALU_DEP_1)
	v_fmac_f64_e32 v[168:169], v[144:145], v[138:139]
	s_wait_loadcnt 0x0
	v_fmac_f64_e32 v[168:169], v[162:163], v[140:141]
	s_delay_alu instid0(VALU_DEP_1)
	v_add_f64_e64 v[2:3], v[132:133], -v[168:169]
	scratch_store_b64 off, v[2:3], off offset:120
	s_wait_xcnt 0x0
	v_cmpx_lt_u32_e32 14, v0
	s_cbranch_execz .LBB127_365
; %bb.364:
	scratch_load_b64 v[2:3], off, off offset:112
	v_mov_b64_e32 v[132:133], 0
	scratch_store_b64 off, v[132:133], off offset:112
	s_wait_loadcnt 0x0
	ds_store_b64 v1, v[2:3]
.LBB127_365:
	s_wait_xcnt 0x0
	s_or_b32 exec_lo, exec_lo, s0
	s_wait_storecnt_dscnt 0x0
	s_barrier_signal -1
	s_barrier_wait -1
	s_clause 0x5
	scratch_load_b128 v[132:135], off, off offset:112
	scratch_load_b128 v[136:139], off, off offset:128
	;; [unrolled: 1-line block ×6, first 2 shown]
	v_mov_b32_e32 v2, 0
	ds_load_2addr_b64 v[156:159], v2 offset0:79 offset1:80
	ds_load_2addr_b64 v[160:163], v2 offset0:81 offset1:82
	scratch_load_b128 v[164:167], off, off offset:208
	s_mov_b32 s0, exec_lo
	s_wait_loadcnt_dscnt 0x601
	v_fma_f64 v[168:169], v[134:135], v[156:157], 0
	s_wait_loadcnt 0x5
	s_delay_alu instid0(VALU_DEP_1) | instskip(SKIP_4) | instid1(VALU_DEP_1)
	v_fmac_f64_e32 v[168:169], v[136:137], v[158:159]
	scratch_load_b128 v[134:137], off, off offset:224
	s_wait_dscnt 0x0
	v_fmac_f64_e32 v[168:169], v[138:139], v[160:161]
	s_wait_loadcnt 0x5
	v_fmac_f64_e32 v[168:169], v[140:141], v[162:163]
	ds_load_2addr_b64 v[138:141], v2 offset0:83 offset1:84
	ds_load_2addr_b64 v[156:159], v2 offset0:85 offset1:86
	scratch_load_b128 v[160:163], off, off offset:240
	s_wait_dscnt 0x1
	v_fmac_f64_e32 v[168:169], v[142:143], v[138:139]
	s_wait_loadcnt 0x5
	s_delay_alu instid0(VALU_DEP_1) | instskip(SKIP_4) | instid1(VALU_DEP_1)
	v_fmac_f64_e32 v[168:169], v[144:145], v[140:141]
	scratch_load_b128 v[138:141], off, off offset:256
	s_wait_dscnt 0x0
	v_fmac_f64_e32 v[168:169], v[146:147], v[156:157]
	s_wait_loadcnt 0x5
	v_fmac_f64_e32 v[168:169], v[148:149], v[158:159]
	ds_load_2addr_b64 v[142:145], v2 offset0:87 offset1:88
	ds_load_2addr_b64 v[146:149], v2 offset0:89 offset1:90
	scratch_load_b128 v[156:159], off, off offset:272
	s_wait_dscnt 0x1
	v_fmac_f64_e32 v[168:169], v[150:151], v[142:143]
	s_wait_loadcnt 0x5
	s_delay_alu instid0(VALU_DEP_1) | instskip(SKIP_4) | instid1(VALU_DEP_1)
	v_fmac_f64_e32 v[168:169], v[152:153], v[144:145]
	scratch_load_b128 v[142:145], off, off offset:288
	s_wait_dscnt 0x0
	v_fmac_f64_e32 v[168:169], v[154:155], v[146:147]
	s_wait_loadcnt 0x5
	v_fmac_f64_e32 v[168:169], v[164:165], v[148:149]
	ds_load_2addr_b64 v[146:149], v2 offset0:91 offset1:92
	ds_load_2addr_b64 v[150:153], v2 offset0:93 offset1:94
	s_wait_dscnt 0x1
	v_fmac_f64_e32 v[168:169], v[166:167], v[146:147]
	scratch_load_b128 v[164:167], off, off offset:304
	s_wait_loadcnt 0x5
	v_fmac_f64_e32 v[168:169], v[134:135], v[148:149]
	s_wait_dscnt 0x0
	s_delay_alu instid0(VALU_DEP_1)
	v_fmac_f64_e32 v[168:169], v[136:137], v[150:151]
	scratch_load_b128 v[134:137], off, off offset:320
	s_wait_loadcnt 0x5
	v_fmac_f64_e32 v[168:169], v[160:161], v[152:153]
	ds_load_2addr_b64 v[146:149], v2 offset0:95 offset1:96
	ds_load_2addr_b64 v[150:153], v2 offset0:97 offset1:98
	s_wait_dscnt 0x1
	v_fmac_f64_e32 v[168:169], v[162:163], v[146:147]
	scratch_load_b128 v[160:163], off, off offset:336
	s_wait_loadcnt 0x5
	v_fmac_f64_e32 v[168:169], v[138:139], v[148:149]
	s_wait_dscnt 0x0
	s_delay_alu instid0(VALU_DEP_1)
	v_fmac_f64_e32 v[168:169], v[140:141], v[150:151]
	scratch_load_b128 v[138:141], off, off offset:352
	s_wait_loadcnt 0x5
	v_fmac_f64_e32 v[168:169], v[156:157], v[152:153]
	ds_load_2addr_b64 v[146:149], v2 offset0:99 offset1:100
	ds_load_2addr_b64 v[150:153], v2 offset0:101 offset1:102
	scratch_load_b128 v[154:157], off, off offset:368
	s_wait_dscnt 0x1
	v_fmac_f64_e32 v[168:169], v[158:159], v[146:147]
	s_wait_loadcnt 0x5
	s_delay_alu instid0(VALU_DEP_1) | instskip(SKIP_1) | instid1(VALU_DEP_1)
	v_fmac_f64_e32 v[168:169], v[142:143], v[148:149]
	s_wait_dscnt 0x0
	v_fmac_f64_e32 v[168:169], v[144:145], v[150:151]
	scratch_load_b128 v[142:145], off, off offset:384
	s_wait_loadcnt 0x5
	v_fmac_f64_e32 v[168:169], v[164:165], v[152:153]
	ds_load_2addr_b64 v[146:149], v2 offset0:103 offset1:104
	ds_load_2addr_b64 v[150:153], v2 offset0:105 offset1:106
	s_wait_dscnt 0x1
	v_fmac_f64_e32 v[168:169], v[166:167], v[146:147]
	scratch_load_b128 v[164:167], off, off offset:400
	s_wait_loadcnt 0x5
	v_fmac_f64_e32 v[168:169], v[134:135], v[148:149]
	s_wait_dscnt 0x0
	s_delay_alu instid0(VALU_DEP_1)
	v_fmac_f64_e32 v[168:169], v[136:137], v[150:151]
	scratch_load_b128 v[134:137], off, off offset:416
	s_wait_loadcnt 0x5
	v_fmac_f64_e32 v[168:169], v[160:161], v[152:153]
	ds_load_2addr_b64 v[146:149], v2 offset0:107 offset1:108
	ds_load_2addr_b64 v[150:153], v2 offset0:109 offset1:110
	s_wait_dscnt 0x1
	v_fmac_f64_e32 v[168:169], v[162:163], v[146:147]
	s_wait_loadcnt 0x4
	s_delay_alu instid0(VALU_DEP_1)
	v_fmac_f64_e32 v[168:169], v[138:139], v[148:149]
	scratch_load_b128 v[146:149], off, off offset:432
	s_wait_dscnt 0x0
	v_fmac_f64_e32 v[168:169], v[140:141], v[150:151]
	scratch_load_b128 v[138:141], off, off offset:448
	s_wait_loadcnt 0x5
	v_fmac_f64_e32 v[168:169], v[154:155], v[152:153]
	ds_load_2addr_b64 v[150:153], v2 offset0:111 offset1:112
	ds_load_2addr_b64 v[158:161], v2 offset0:113 offset1:114
	s_wait_dscnt 0x1
	v_fmac_f64_e32 v[168:169], v[156:157], v[150:151]
	s_wait_loadcnt 0x4
	s_delay_alu instid0(VALU_DEP_1)
	v_fmac_f64_e32 v[168:169], v[142:143], v[152:153]
	scratch_load_b128 v[150:153], off, off offset:464
	s_wait_dscnt 0x0
	v_fmac_f64_e32 v[168:169], v[144:145], v[158:159]
	scratch_load_b128 v[142:145], off, off offset:480
	s_wait_loadcnt 0x5
	v_fmac_f64_e32 v[168:169], v[164:165], v[160:161]
	ds_load_2addr_b64 v[154:157], v2 offset0:115 offset1:116
	ds_load_2addr_b64 v[158:161], v2 offset0:117 offset1:118
	s_wait_dscnt 0x1
	v_fmac_f64_e32 v[168:169], v[166:167], v[154:155]
	s_wait_loadcnt 0x4
	s_delay_alu instid0(VALU_DEP_1) | instskip(SKIP_4) | instid1(VALU_DEP_1)
	v_fmac_f64_e32 v[168:169], v[134:135], v[156:157]
	scratch_load_b128 v[154:157], off, off offset:496
	s_wait_dscnt 0x0
	v_fmac_f64_e32 v[168:169], v[136:137], v[158:159]
	s_wait_loadcnt 0x4
	v_fmac_f64_e32 v[168:169], v[146:147], v[160:161]
	ds_load_2addr_b64 v[134:137], v2 offset0:119 offset1:120
	ds_load_2addr_b64 v[158:161], v2 offset0:121 offset1:122
	s_wait_dscnt 0x1
	v_fmac_f64_e32 v[168:169], v[148:149], v[134:135]
	s_wait_loadcnt 0x3
	s_delay_alu instid0(VALU_DEP_1) | instskip(SKIP_1) | instid1(VALU_DEP_1)
	v_fmac_f64_e32 v[168:169], v[138:139], v[136:137]
	s_wait_dscnt 0x0
	v_fmac_f64_e32 v[168:169], v[140:141], v[158:159]
	ds_load_2addr_b64 v[134:137], v2 offset0:123 offset1:124
	ds_load_2addr_b64 v[138:141], v2 offset0:125 offset1:126
	s_wait_loadcnt 0x2
	v_fmac_f64_e32 v[168:169], v[150:151], v[160:161]
	s_wait_dscnt 0x1
	s_delay_alu instid0(VALU_DEP_1) | instskip(SKIP_4) | instid1(VALU_DEP_1)
	v_fmac_f64_e32 v[168:169], v[152:153], v[134:135]
	ds_load_b64 v[134:135], v2 offset:1016
	s_wait_loadcnt 0x1
	v_fmac_f64_e32 v[168:169], v[142:143], v[136:137]
	s_wait_dscnt 0x1
	v_fmac_f64_e32 v[168:169], v[144:145], v[138:139]
	s_wait_loadcnt 0x0
	s_delay_alu instid0(VALU_DEP_1) | instskip(SKIP_1) | instid1(VALU_DEP_1)
	v_fmac_f64_e32 v[168:169], v[154:155], v[140:141]
	s_wait_dscnt 0x0
	v_fmac_f64_e32 v[168:169], v[156:157], v[134:135]
	s_delay_alu instid0(VALU_DEP_1)
	v_add_f64_e64 v[132:133], v[132:133], -v[168:169]
	scratch_store_b64 off, v[132:133], off offset:112
	s_wait_xcnt 0x0
	v_cmpx_lt_u32_e32 13, v0
	s_cbranch_execz .LBB127_367
; %bb.366:
	scratch_load_b64 v[132:133], off, off offset:104
	v_mov_b64_e32 v[134:135], 0
	scratch_store_b64 off, v[134:135], off offset:104
	s_wait_loadcnt 0x0
	ds_store_b64 v1, v[132:133]
.LBB127_367:
	s_wait_xcnt 0x0
	s_or_b32 exec_lo, exec_lo, s0
	s_wait_storecnt_dscnt 0x0
	s_barrier_signal -1
	s_barrier_wait -1
	s_clause 0x5
	scratch_load_b128 v[132:135], off, off offset:104
	scratch_load_b128 v[136:139], off, off offset:120
	;; [unrolled: 1-line block ×6, first 2 shown]
	ds_load_b128 v[156:159], v2 offset:624
	ds_load_b128 v[160:163], v2 offset:640
	scratch_load_b128 v[164:167], off, off offset:200
	s_mov_b32 s0, exec_lo
	s_wait_loadcnt_dscnt 0x601
	v_fma_f64 v[168:169], v[134:135], v[156:157], 0
	s_wait_loadcnt 0x5
	s_delay_alu instid0(VALU_DEP_1) | instskip(SKIP_4) | instid1(VALU_DEP_1)
	v_fmac_f64_e32 v[168:169], v[136:137], v[158:159]
	scratch_load_b128 v[134:137], off, off offset:216
	s_wait_dscnt 0x0
	v_fmac_f64_e32 v[168:169], v[138:139], v[160:161]
	s_wait_loadcnt 0x5
	v_fmac_f64_e32 v[168:169], v[140:141], v[162:163]
	ds_load_b128 v[138:141], v2 offset:656
	ds_load_b128 v[156:159], v2 offset:672
	scratch_load_b128 v[160:163], off, off offset:232
	s_wait_dscnt 0x1
	v_fmac_f64_e32 v[168:169], v[142:143], v[138:139]
	s_wait_loadcnt 0x5
	s_delay_alu instid0(VALU_DEP_1) | instskip(SKIP_4) | instid1(VALU_DEP_1)
	v_fmac_f64_e32 v[168:169], v[144:145], v[140:141]
	scratch_load_b128 v[138:141], off, off offset:248
	s_wait_dscnt 0x0
	v_fmac_f64_e32 v[168:169], v[146:147], v[156:157]
	s_wait_loadcnt 0x5
	v_fmac_f64_e32 v[168:169], v[148:149], v[158:159]
	ds_load_b128 v[142:145], v2 offset:688
	ds_load_b128 v[146:149], v2 offset:704
	scratch_load_b128 v[156:159], off, off offset:264
	s_wait_dscnt 0x1
	v_fmac_f64_e32 v[168:169], v[150:151], v[142:143]
	s_wait_loadcnt 0x5
	s_delay_alu instid0(VALU_DEP_1) | instskip(SKIP_4) | instid1(VALU_DEP_1)
	v_fmac_f64_e32 v[168:169], v[152:153], v[144:145]
	scratch_load_b128 v[142:145], off, off offset:280
	s_wait_dscnt 0x0
	v_fmac_f64_e32 v[168:169], v[154:155], v[146:147]
	s_wait_loadcnt 0x5
	v_fmac_f64_e32 v[168:169], v[164:165], v[148:149]
	ds_load_b128 v[146:149], v2 offset:720
	ds_load_b128 v[150:153], v2 offset:736
	s_wait_dscnt 0x1
	v_fmac_f64_e32 v[168:169], v[166:167], v[146:147]
	scratch_load_b128 v[164:167], off, off offset:296
	s_wait_loadcnt 0x5
	v_fmac_f64_e32 v[168:169], v[134:135], v[148:149]
	s_wait_dscnt 0x0
	s_delay_alu instid0(VALU_DEP_1)
	v_fmac_f64_e32 v[168:169], v[136:137], v[150:151]
	scratch_load_b128 v[134:137], off, off offset:312
	s_wait_loadcnt 0x5
	v_fmac_f64_e32 v[168:169], v[160:161], v[152:153]
	ds_load_b128 v[146:149], v2 offset:752
	ds_load_b128 v[150:153], v2 offset:768
	s_wait_dscnt 0x1
	v_fmac_f64_e32 v[168:169], v[162:163], v[146:147]
	scratch_load_b128 v[160:163], off, off offset:328
	s_wait_loadcnt 0x5
	v_fmac_f64_e32 v[168:169], v[138:139], v[148:149]
	s_wait_dscnt 0x0
	s_delay_alu instid0(VALU_DEP_1)
	v_fmac_f64_e32 v[168:169], v[140:141], v[150:151]
	scratch_load_b128 v[138:141], off, off offset:344
	s_wait_loadcnt 0x5
	v_fmac_f64_e32 v[168:169], v[156:157], v[152:153]
	ds_load_b128 v[146:149], v2 offset:784
	ds_load_b128 v[150:153], v2 offset:800
	scratch_load_b128 v[154:157], off, off offset:360
	s_wait_dscnt 0x1
	v_fmac_f64_e32 v[168:169], v[158:159], v[146:147]
	s_wait_loadcnt 0x5
	s_delay_alu instid0(VALU_DEP_1) | instskip(SKIP_1) | instid1(VALU_DEP_1)
	v_fmac_f64_e32 v[168:169], v[142:143], v[148:149]
	s_wait_dscnt 0x0
	v_fmac_f64_e32 v[168:169], v[144:145], v[150:151]
	scratch_load_b128 v[142:145], off, off offset:376
	s_wait_loadcnt 0x5
	v_fmac_f64_e32 v[168:169], v[164:165], v[152:153]
	ds_load_b128 v[146:149], v2 offset:816
	ds_load_b128 v[150:153], v2 offset:832
	s_wait_dscnt 0x1
	v_fmac_f64_e32 v[168:169], v[166:167], v[146:147]
	scratch_load_b128 v[164:167], off, off offset:392
	s_wait_loadcnt 0x5
	v_fmac_f64_e32 v[168:169], v[134:135], v[148:149]
	s_wait_dscnt 0x0
	s_delay_alu instid0(VALU_DEP_1)
	v_fmac_f64_e32 v[168:169], v[136:137], v[150:151]
	scratch_load_b128 v[134:137], off, off offset:408
	s_wait_loadcnt 0x5
	v_fmac_f64_e32 v[168:169], v[160:161], v[152:153]
	ds_load_b128 v[146:149], v2 offset:848
	ds_load_b128 v[150:153], v2 offset:864
	scratch_load_b128 v[158:161], off, off offset:424
	s_wait_dscnt 0x1
	v_fmac_f64_e32 v[168:169], v[162:163], v[146:147]
	s_wait_loadcnt 0x5
	s_delay_alu instid0(VALU_DEP_1) | instskip(SKIP_1) | instid1(VALU_DEP_1)
	v_fmac_f64_e32 v[168:169], v[138:139], v[148:149]
	s_wait_dscnt 0x0
	v_fmac_f64_e32 v[168:169], v[140:141], v[150:151]
	scratch_load_b128 v[138:141], off, off offset:440
	s_wait_loadcnt 0x5
	v_fmac_f64_e32 v[168:169], v[154:155], v[152:153]
	ds_load_b128 v[146:149], v2 offset:880
	ds_load_b128 v[150:153], v2 offset:896
	s_wait_dscnt 0x1
	v_fmac_f64_e32 v[168:169], v[156:157], v[146:147]
	s_wait_loadcnt 0x4
	s_delay_alu instid0(VALU_DEP_1)
	v_fmac_f64_e32 v[168:169], v[142:143], v[148:149]
	scratch_load_b128 v[146:149], off, off offset:456
	s_wait_dscnt 0x0
	v_fmac_f64_e32 v[168:169], v[144:145], v[150:151]
	scratch_load_b128 v[142:145], off, off offset:472
	s_wait_loadcnt 0x5
	v_fmac_f64_e32 v[168:169], v[164:165], v[152:153]
	ds_load_b128 v[150:153], v2 offset:912
	ds_load_b128 v[154:157], v2 offset:928
	s_wait_dscnt 0x1
	v_fmac_f64_e32 v[168:169], v[166:167], v[150:151]
	s_wait_loadcnt 0x4
	s_delay_alu instid0(VALU_DEP_1) | instskip(SKIP_4) | instid1(VALU_DEP_1)
	v_fmac_f64_e32 v[168:169], v[134:135], v[152:153]
	scratch_load_b128 v[150:153], off, off offset:488
	s_wait_dscnt 0x0
	v_fmac_f64_e32 v[168:169], v[136:137], v[154:155]
	s_wait_loadcnt 0x4
	v_fmac_f64_e32 v[168:169], v[158:159], v[156:157]
	scratch_load_b64 v[158:159], off, off offset:504
	ds_load_b128 v[134:137], v2 offset:944
	ds_load_b128 v[154:157], v2 offset:960
	s_wait_dscnt 0x1
	v_fmac_f64_e32 v[168:169], v[160:161], v[134:135]
	s_wait_loadcnt 0x4
	s_delay_alu instid0(VALU_DEP_1) | instskip(SKIP_1) | instid1(VALU_DEP_1)
	v_fmac_f64_e32 v[168:169], v[138:139], v[136:137]
	s_wait_dscnt 0x0
	v_fmac_f64_e32 v[168:169], v[140:141], v[154:155]
	ds_load_b128 v[134:137], v2 offset:976
	ds_load_b128 v[138:141], v2 offset:992
	s_wait_loadcnt 0x3
	v_fmac_f64_e32 v[168:169], v[146:147], v[156:157]
	s_wait_dscnt 0x1
	s_delay_alu instid0(VALU_DEP_1) | instskip(SKIP_1) | instid1(VALU_DEP_1)
	v_fmac_f64_e32 v[168:169], v[148:149], v[134:135]
	s_wait_loadcnt 0x2
	v_fmac_f64_e32 v[168:169], v[142:143], v[136:137]
	ds_load_b128 v[134:137], v2 offset:1008
	s_wait_dscnt 0x1
	v_fmac_f64_e32 v[168:169], v[144:145], v[138:139]
	s_wait_loadcnt 0x1
	s_delay_alu instid0(VALU_DEP_1) | instskip(SKIP_1) | instid1(VALU_DEP_1)
	v_fmac_f64_e32 v[168:169], v[150:151], v[140:141]
	s_wait_dscnt 0x0
	v_fmac_f64_e32 v[168:169], v[152:153], v[134:135]
	s_wait_loadcnt 0x0
	s_delay_alu instid0(VALU_DEP_1) | instskip(NEXT) | instid1(VALU_DEP_1)
	v_fmac_f64_e32 v[168:169], v[158:159], v[136:137]
	v_add_f64_e64 v[2:3], v[132:133], -v[168:169]
	scratch_store_b64 off, v[2:3], off offset:104
	s_wait_xcnt 0x0
	v_cmpx_lt_u32_e32 12, v0
	s_cbranch_execz .LBB127_369
; %bb.368:
	scratch_load_b64 v[2:3], off, off offset:96
	v_mov_b64_e32 v[132:133], 0
	scratch_store_b64 off, v[132:133], off offset:96
	s_wait_loadcnt 0x0
	ds_store_b64 v1, v[2:3]
.LBB127_369:
	s_wait_xcnt 0x0
	s_or_b32 exec_lo, exec_lo, s0
	s_wait_storecnt_dscnt 0x0
	s_barrier_signal -1
	s_barrier_wait -1
	s_clause 0x5
	scratch_load_b128 v[132:135], off, off offset:96
	scratch_load_b128 v[136:139], off, off offset:112
	;; [unrolled: 1-line block ×6, first 2 shown]
	v_mov_b32_e32 v2, 0
	ds_load_2addr_b64 v[156:159], v2 offset0:77 offset1:78
	ds_load_2addr_b64 v[160:163], v2 offset0:79 offset1:80
	scratch_load_b128 v[164:167], off, off offset:192
	s_mov_b32 s0, exec_lo
	s_wait_loadcnt_dscnt 0x601
	v_fma_f64 v[168:169], v[134:135], v[156:157], 0
	s_wait_loadcnt 0x5
	s_delay_alu instid0(VALU_DEP_1) | instskip(SKIP_4) | instid1(VALU_DEP_1)
	v_fmac_f64_e32 v[168:169], v[136:137], v[158:159]
	scratch_load_b128 v[134:137], off, off offset:208
	s_wait_dscnt 0x0
	v_fmac_f64_e32 v[168:169], v[138:139], v[160:161]
	s_wait_loadcnt 0x5
	v_fmac_f64_e32 v[168:169], v[140:141], v[162:163]
	ds_load_2addr_b64 v[138:141], v2 offset0:81 offset1:82
	ds_load_2addr_b64 v[156:159], v2 offset0:83 offset1:84
	scratch_load_b128 v[160:163], off, off offset:224
	s_wait_dscnt 0x1
	v_fmac_f64_e32 v[168:169], v[142:143], v[138:139]
	s_wait_loadcnt 0x5
	s_delay_alu instid0(VALU_DEP_1) | instskip(SKIP_4) | instid1(VALU_DEP_1)
	v_fmac_f64_e32 v[168:169], v[144:145], v[140:141]
	scratch_load_b128 v[138:141], off, off offset:240
	s_wait_dscnt 0x0
	v_fmac_f64_e32 v[168:169], v[146:147], v[156:157]
	s_wait_loadcnt 0x5
	v_fmac_f64_e32 v[168:169], v[148:149], v[158:159]
	ds_load_2addr_b64 v[142:145], v2 offset0:85 offset1:86
	ds_load_2addr_b64 v[146:149], v2 offset0:87 offset1:88
	scratch_load_b128 v[156:159], off, off offset:256
	s_wait_dscnt 0x1
	v_fmac_f64_e32 v[168:169], v[150:151], v[142:143]
	s_wait_loadcnt 0x5
	s_delay_alu instid0(VALU_DEP_1) | instskip(SKIP_4) | instid1(VALU_DEP_1)
	v_fmac_f64_e32 v[168:169], v[152:153], v[144:145]
	scratch_load_b128 v[142:145], off, off offset:272
	s_wait_dscnt 0x0
	v_fmac_f64_e32 v[168:169], v[154:155], v[146:147]
	s_wait_loadcnt 0x5
	v_fmac_f64_e32 v[168:169], v[164:165], v[148:149]
	ds_load_2addr_b64 v[146:149], v2 offset0:89 offset1:90
	ds_load_2addr_b64 v[150:153], v2 offset0:91 offset1:92
	s_wait_dscnt 0x1
	v_fmac_f64_e32 v[168:169], v[166:167], v[146:147]
	scratch_load_b128 v[164:167], off, off offset:288
	s_wait_loadcnt 0x5
	v_fmac_f64_e32 v[168:169], v[134:135], v[148:149]
	s_wait_dscnt 0x0
	s_delay_alu instid0(VALU_DEP_1)
	v_fmac_f64_e32 v[168:169], v[136:137], v[150:151]
	scratch_load_b128 v[134:137], off, off offset:304
	s_wait_loadcnt 0x5
	v_fmac_f64_e32 v[168:169], v[160:161], v[152:153]
	ds_load_2addr_b64 v[146:149], v2 offset0:93 offset1:94
	ds_load_2addr_b64 v[150:153], v2 offset0:95 offset1:96
	s_wait_dscnt 0x1
	v_fmac_f64_e32 v[168:169], v[162:163], v[146:147]
	scratch_load_b128 v[160:163], off, off offset:320
	s_wait_loadcnt 0x5
	v_fmac_f64_e32 v[168:169], v[138:139], v[148:149]
	s_wait_dscnt 0x0
	s_delay_alu instid0(VALU_DEP_1)
	v_fmac_f64_e32 v[168:169], v[140:141], v[150:151]
	scratch_load_b128 v[138:141], off, off offset:336
	s_wait_loadcnt 0x5
	v_fmac_f64_e32 v[168:169], v[156:157], v[152:153]
	ds_load_2addr_b64 v[146:149], v2 offset0:97 offset1:98
	ds_load_2addr_b64 v[150:153], v2 offset0:99 offset1:100
	scratch_load_b128 v[154:157], off, off offset:352
	s_wait_dscnt 0x1
	v_fmac_f64_e32 v[168:169], v[158:159], v[146:147]
	s_wait_loadcnt 0x5
	s_delay_alu instid0(VALU_DEP_1) | instskip(SKIP_1) | instid1(VALU_DEP_1)
	v_fmac_f64_e32 v[168:169], v[142:143], v[148:149]
	s_wait_dscnt 0x0
	v_fmac_f64_e32 v[168:169], v[144:145], v[150:151]
	scratch_load_b128 v[142:145], off, off offset:368
	s_wait_loadcnt 0x5
	v_fmac_f64_e32 v[168:169], v[164:165], v[152:153]
	ds_load_2addr_b64 v[146:149], v2 offset0:101 offset1:102
	ds_load_2addr_b64 v[150:153], v2 offset0:103 offset1:104
	s_wait_dscnt 0x1
	v_fmac_f64_e32 v[168:169], v[166:167], v[146:147]
	scratch_load_b128 v[164:167], off, off offset:384
	s_wait_loadcnt 0x5
	v_fmac_f64_e32 v[168:169], v[134:135], v[148:149]
	s_wait_dscnt 0x0
	s_delay_alu instid0(VALU_DEP_1)
	v_fmac_f64_e32 v[168:169], v[136:137], v[150:151]
	scratch_load_b128 v[134:137], off, off offset:400
	s_wait_loadcnt 0x5
	v_fmac_f64_e32 v[168:169], v[160:161], v[152:153]
	ds_load_2addr_b64 v[146:149], v2 offset0:105 offset1:106
	ds_load_2addr_b64 v[150:153], v2 offset0:107 offset1:108
	scratch_load_b128 v[158:161], off, off offset:416
	s_wait_dscnt 0x1
	v_fmac_f64_e32 v[168:169], v[162:163], v[146:147]
	s_wait_loadcnt 0x5
	s_delay_alu instid0(VALU_DEP_1) | instskip(SKIP_1) | instid1(VALU_DEP_1)
	v_fmac_f64_e32 v[168:169], v[138:139], v[148:149]
	s_wait_dscnt 0x0
	v_fmac_f64_e32 v[168:169], v[140:141], v[150:151]
	scratch_load_b128 v[138:141], off, off offset:432
	s_wait_loadcnt 0x5
	v_fmac_f64_e32 v[168:169], v[154:155], v[152:153]
	ds_load_2addr_b64 v[146:149], v2 offset0:109 offset1:110
	ds_load_2addr_b64 v[150:153], v2 offset0:111 offset1:112
	s_wait_dscnt 0x1
	v_fmac_f64_e32 v[168:169], v[156:157], v[146:147]
	s_wait_loadcnt 0x4
	s_delay_alu instid0(VALU_DEP_1)
	v_fmac_f64_e32 v[168:169], v[142:143], v[148:149]
	scratch_load_b128 v[146:149], off, off offset:448
	s_wait_dscnt 0x0
	v_fmac_f64_e32 v[168:169], v[144:145], v[150:151]
	scratch_load_b128 v[142:145], off, off offset:464
	s_wait_loadcnt 0x5
	v_fmac_f64_e32 v[168:169], v[164:165], v[152:153]
	ds_load_2addr_b64 v[150:153], v2 offset0:113 offset1:114
	ds_load_2addr_b64 v[154:157], v2 offset0:115 offset1:116
	s_wait_dscnt 0x1
	v_fmac_f64_e32 v[168:169], v[166:167], v[150:151]
	s_wait_loadcnt 0x4
	s_delay_alu instid0(VALU_DEP_1)
	v_fmac_f64_e32 v[168:169], v[134:135], v[152:153]
	scratch_load_b128 v[150:153], off, off offset:480
	s_wait_dscnt 0x0
	v_fmac_f64_e32 v[168:169], v[136:137], v[154:155]
	scratch_load_b128 v[134:137], off, off offset:496
	s_wait_loadcnt 0x5
	v_fmac_f64_e32 v[168:169], v[158:159], v[156:157]
	ds_load_2addr_b64 v[154:157], v2 offset0:117 offset1:118
	ds_load_2addr_b64 v[162:165], v2 offset0:119 offset1:120
	s_wait_dscnt 0x1
	v_fmac_f64_e32 v[168:169], v[160:161], v[154:155]
	s_wait_loadcnt 0x4
	s_delay_alu instid0(VALU_DEP_1) | instskip(SKIP_1) | instid1(VALU_DEP_1)
	v_fmac_f64_e32 v[168:169], v[138:139], v[156:157]
	s_wait_dscnt 0x0
	v_fmac_f64_e32 v[168:169], v[140:141], v[162:163]
	ds_load_2addr_b64 v[138:141], v2 offset0:121 offset1:122
	ds_load_2addr_b64 v[154:157], v2 offset0:123 offset1:124
	s_wait_loadcnt 0x3
	v_fmac_f64_e32 v[168:169], v[146:147], v[164:165]
	s_wait_dscnt 0x1
	s_delay_alu instid0(VALU_DEP_1) | instskip(SKIP_1) | instid1(VALU_DEP_1)
	v_fmac_f64_e32 v[168:169], v[148:149], v[138:139]
	s_wait_loadcnt 0x2
	v_fmac_f64_e32 v[168:169], v[142:143], v[140:141]
	ds_load_2addr_b64 v[138:141], v2 offset0:125 offset1:126
	ds_load_b64 v[142:143], v2 offset:1016
	s_wait_dscnt 0x2
	v_fmac_f64_e32 v[168:169], v[144:145], v[154:155]
	s_wait_loadcnt 0x1
	s_delay_alu instid0(VALU_DEP_1) | instskip(SKIP_1) | instid1(VALU_DEP_1)
	v_fmac_f64_e32 v[168:169], v[150:151], v[156:157]
	s_wait_dscnt 0x1
	v_fmac_f64_e32 v[168:169], v[152:153], v[138:139]
	s_wait_loadcnt 0x0
	s_delay_alu instid0(VALU_DEP_1) | instskip(SKIP_1) | instid1(VALU_DEP_1)
	v_fmac_f64_e32 v[168:169], v[134:135], v[140:141]
	s_wait_dscnt 0x0
	v_fmac_f64_e32 v[168:169], v[136:137], v[142:143]
	s_delay_alu instid0(VALU_DEP_1)
	v_add_f64_e64 v[132:133], v[132:133], -v[168:169]
	scratch_store_b64 off, v[132:133], off offset:96
	s_wait_xcnt 0x0
	v_cmpx_lt_u32_e32 11, v0
	s_cbranch_execz .LBB127_371
; %bb.370:
	scratch_load_b64 v[132:133], off, off offset:88
	v_mov_b64_e32 v[134:135], 0
	scratch_store_b64 off, v[134:135], off offset:88
	s_wait_loadcnt 0x0
	ds_store_b64 v1, v[132:133]
.LBB127_371:
	s_wait_xcnt 0x0
	s_or_b32 exec_lo, exec_lo, s0
	s_wait_storecnt_dscnt 0x0
	s_barrier_signal -1
	s_barrier_wait -1
	s_clause 0x5
	scratch_load_b128 v[132:135], off, off offset:88
	scratch_load_b128 v[136:139], off, off offset:104
	;; [unrolled: 1-line block ×6, first 2 shown]
	ds_load_b128 v[156:159], v2 offset:608
	ds_load_b128 v[160:163], v2 offset:624
	scratch_load_b128 v[164:167], off, off offset:184
	s_mov_b32 s0, exec_lo
	s_wait_loadcnt_dscnt 0x601
	v_fma_f64 v[168:169], v[134:135], v[156:157], 0
	s_wait_loadcnt 0x5
	s_delay_alu instid0(VALU_DEP_1) | instskip(SKIP_4) | instid1(VALU_DEP_1)
	v_fmac_f64_e32 v[168:169], v[136:137], v[158:159]
	scratch_load_b128 v[134:137], off, off offset:200
	s_wait_dscnt 0x0
	v_fmac_f64_e32 v[168:169], v[138:139], v[160:161]
	s_wait_loadcnt 0x5
	v_fmac_f64_e32 v[168:169], v[140:141], v[162:163]
	ds_load_b128 v[138:141], v2 offset:640
	ds_load_b128 v[156:159], v2 offset:656
	scratch_load_b128 v[160:163], off, off offset:216
	s_wait_dscnt 0x1
	v_fmac_f64_e32 v[168:169], v[142:143], v[138:139]
	s_wait_loadcnt 0x5
	s_delay_alu instid0(VALU_DEP_1) | instskip(SKIP_4) | instid1(VALU_DEP_1)
	v_fmac_f64_e32 v[168:169], v[144:145], v[140:141]
	scratch_load_b128 v[138:141], off, off offset:232
	s_wait_dscnt 0x0
	v_fmac_f64_e32 v[168:169], v[146:147], v[156:157]
	s_wait_loadcnt 0x5
	v_fmac_f64_e32 v[168:169], v[148:149], v[158:159]
	ds_load_b128 v[142:145], v2 offset:672
	ds_load_b128 v[146:149], v2 offset:688
	scratch_load_b128 v[156:159], off, off offset:248
	s_wait_dscnt 0x1
	v_fmac_f64_e32 v[168:169], v[150:151], v[142:143]
	s_wait_loadcnt 0x5
	s_delay_alu instid0(VALU_DEP_1) | instskip(SKIP_4) | instid1(VALU_DEP_1)
	v_fmac_f64_e32 v[168:169], v[152:153], v[144:145]
	scratch_load_b128 v[142:145], off, off offset:264
	s_wait_dscnt 0x0
	v_fmac_f64_e32 v[168:169], v[154:155], v[146:147]
	s_wait_loadcnt 0x5
	v_fmac_f64_e32 v[168:169], v[164:165], v[148:149]
	ds_load_b128 v[146:149], v2 offset:704
	ds_load_b128 v[150:153], v2 offset:720
	s_wait_dscnt 0x1
	v_fmac_f64_e32 v[168:169], v[166:167], v[146:147]
	scratch_load_b128 v[164:167], off, off offset:280
	s_wait_loadcnt 0x5
	v_fmac_f64_e32 v[168:169], v[134:135], v[148:149]
	s_wait_dscnt 0x0
	s_delay_alu instid0(VALU_DEP_1)
	v_fmac_f64_e32 v[168:169], v[136:137], v[150:151]
	scratch_load_b128 v[134:137], off, off offset:296
	s_wait_loadcnt 0x5
	v_fmac_f64_e32 v[168:169], v[160:161], v[152:153]
	ds_load_b128 v[146:149], v2 offset:736
	ds_load_b128 v[150:153], v2 offset:752
	s_wait_dscnt 0x1
	v_fmac_f64_e32 v[168:169], v[162:163], v[146:147]
	scratch_load_b128 v[160:163], off, off offset:312
	s_wait_loadcnt 0x5
	v_fmac_f64_e32 v[168:169], v[138:139], v[148:149]
	s_wait_dscnt 0x0
	s_delay_alu instid0(VALU_DEP_1)
	v_fmac_f64_e32 v[168:169], v[140:141], v[150:151]
	scratch_load_b128 v[138:141], off, off offset:328
	s_wait_loadcnt 0x5
	v_fmac_f64_e32 v[168:169], v[156:157], v[152:153]
	ds_load_b128 v[146:149], v2 offset:768
	ds_load_b128 v[150:153], v2 offset:784
	scratch_load_b128 v[154:157], off, off offset:344
	s_wait_dscnt 0x1
	v_fmac_f64_e32 v[168:169], v[158:159], v[146:147]
	s_wait_loadcnt 0x5
	s_delay_alu instid0(VALU_DEP_1) | instskip(SKIP_1) | instid1(VALU_DEP_1)
	v_fmac_f64_e32 v[168:169], v[142:143], v[148:149]
	s_wait_dscnt 0x0
	v_fmac_f64_e32 v[168:169], v[144:145], v[150:151]
	scratch_load_b128 v[142:145], off, off offset:360
	s_wait_loadcnt 0x5
	v_fmac_f64_e32 v[168:169], v[164:165], v[152:153]
	ds_load_b128 v[146:149], v2 offset:800
	ds_load_b128 v[150:153], v2 offset:816
	s_wait_dscnt 0x1
	v_fmac_f64_e32 v[168:169], v[166:167], v[146:147]
	scratch_load_b128 v[164:167], off, off offset:376
	s_wait_loadcnt 0x5
	v_fmac_f64_e32 v[168:169], v[134:135], v[148:149]
	s_wait_dscnt 0x0
	s_delay_alu instid0(VALU_DEP_1)
	v_fmac_f64_e32 v[168:169], v[136:137], v[150:151]
	scratch_load_b128 v[134:137], off, off offset:392
	s_wait_loadcnt 0x5
	v_fmac_f64_e32 v[168:169], v[160:161], v[152:153]
	ds_load_b128 v[146:149], v2 offset:832
	ds_load_b128 v[150:153], v2 offset:848
	scratch_load_b128 v[158:161], off, off offset:408
	s_wait_dscnt 0x1
	v_fmac_f64_e32 v[168:169], v[162:163], v[146:147]
	s_wait_loadcnt 0x5
	s_delay_alu instid0(VALU_DEP_1) | instskip(SKIP_1) | instid1(VALU_DEP_1)
	v_fmac_f64_e32 v[168:169], v[138:139], v[148:149]
	s_wait_dscnt 0x0
	v_fmac_f64_e32 v[168:169], v[140:141], v[150:151]
	scratch_load_b128 v[138:141], off, off offset:424
	s_wait_loadcnt 0x5
	v_fmac_f64_e32 v[168:169], v[154:155], v[152:153]
	ds_load_b128 v[146:149], v2 offset:864
	ds_load_b128 v[150:153], v2 offset:880
	s_wait_dscnt 0x1
	v_fmac_f64_e32 v[168:169], v[156:157], v[146:147]
	s_wait_loadcnt 0x4
	s_delay_alu instid0(VALU_DEP_1)
	v_fmac_f64_e32 v[168:169], v[142:143], v[148:149]
	scratch_load_b128 v[146:149], off, off offset:440
	s_wait_dscnt 0x0
	v_fmac_f64_e32 v[168:169], v[144:145], v[150:151]
	scratch_load_b128 v[142:145], off, off offset:456
	s_wait_loadcnt 0x5
	v_fmac_f64_e32 v[168:169], v[164:165], v[152:153]
	ds_load_b128 v[150:153], v2 offset:896
	ds_load_b128 v[154:157], v2 offset:912
	s_wait_dscnt 0x1
	v_fmac_f64_e32 v[168:169], v[166:167], v[150:151]
	s_wait_loadcnt 0x4
	s_delay_alu instid0(VALU_DEP_1)
	v_fmac_f64_e32 v[168:169], v[134:135], v[152:153]
	scratch_load_b128 v[150:153], off, off offset:472
	s_wait_dscnt 0x0
	v_fmac_f64_e32 v[168:169], v[136:137], v[154:155]
	scratch_load_b128 v[134:137], off, off offset:488
	s_wait_loadcnt 0x5
	v_fmac_f64_e32 v[168:169], v[158:159], v[156:157]
	ds_load_b128 v[154:157], v2 offset:928
	ds_load_b128 v[162:165], v2 offset:944
	scratch_load_b64 v[158:159], off, off offset:504
	s_wait_dscnt 0x1
	v_fmac_f64_e32 v[168:169], v[160:161], v[154:155]
	s_wait_loadcnt 0x5
	s_delay_alu instid0(VALU_DEP_1) | instskip(SKIP_1) | instid1(VALU_DEP_1)
	v_fmac_f64_e32 v[168:169], v[138:139], v[156:157]
	s_wait_dscnt 0x0
	v_fmac_f64_e32 v[168:169], v[140:141], v[162:163]
	ds_load_b128 v[138:141], v2 offset:960
	ds_load_b128 v[154:157], v2 offset:976
	s_wait_loadcnt 0x4
	v_fmac_f64_e32 v[168:169], v[146:147], v[164:165]
	s_wait_dscnt 0x1
	s_delay_alu instid0(VALU_DEP_1) | instskip(SKIP_1) | instid1(VALU_DEP_1)
	v_fmac_f64_e32 v[168:169], v[148:149], v[138:139]
	s_wait_loadcnt 0x3
	v_fmac_f64_e32 v[168:169], v[142:143], v[140:141]
	s_wait_dscnt 0x0
	s_delay_alu instid0(VALU_DEP_1)
	v_fmac_f64_e32 v[168:169], v[144:145], v[154:155]
	ds_load_b128 v[138:141], v2 offset:992
	ds_load_b128 v[142:145], v2 offset:1008
	s_wait_loadcnt 0x2
	v_fmac_f64_e32 v[168:169], v[150:151], v[156:157]
	s_wait_dscnt 0x1
	s_delay_alu instid0(VALU_DEP_1) | instskip(SKIP_1) | instid1(VALU_DEP_1)
	v_fmac_f64_e32 v[168:169], v[152:153], v[138:139]
	s_wait_loadcnt 0x1
	v_fmac_f64_e32 v[168:169], v[134:135], v[140:141]
	s_wait_dscnt 0x0
	s_delay_alu instid0(VALU_DEP_1) | instskip(SKIP_1) | instid1(VALU_DEP_1)
	v_fmac_f64_e32 v[168:169], v[136:137], v[142:143]
	s_wait_loadcnt 0x0
	v_fmac_f64_e32 v[168:169], v[158:159], v[144:145]
	s_delay_alu instid0(VALU_DEP_1)
	v_add_f64_e64 v[2:3], v[132:133], -v[168:169]
	scratch_store_b64 off, v[2:3], off offset:88
	s_wait_xcnt 0x0
	v_cmpx_lt_u32_e32 10, v0
	s_cbranch_execz .LBB127_373
; %bb.372:
	scratch_load_b64 v[2:3], off, off offset:80
	v_mov_b64_e32 v[132:133], 0
	scratch_store_b64 off, v[132:133], off offset:80
	s_wait_loadcnt 0x0
	ds_store_b64 v1, v[2:3]
.LBB127_373:
	s_wait_xcnt 0x0
	s_or_b32 exec_lo, exec_lo, s0
	s_wait_storecnt_dscnt 0x0
	s_barrier_signal -1
	s_barrier_wait -1
	s_clause 0x5
	scratch_load_b128 v[132:135], off, off offset:80
	scratch_load_b128 v[136:139], off, off offset:96
	;; [unrolled: 1-line block ×6, first 2 shown]
	v_mov_b32_e32 v2, 0
	ds_load_2addr_b64 v[156:159], v2 offset0:75 offset1:76
	ds_load_2addr_b64 v[160:163], v2 offset0:77 offset1:78
	scratch_load_b128 v[164:167], off, off offset:176
	s_mov_b32 s0, exec_lo
	s_wait_loadcnt_dscnt 0x601
	v_fma_f64 v[168:169], v[134:135], v[156:157], 0
	s_wait_loadcnt 0x5
	s_delay_alu instid0(VALU_DEP_1) | instskip(SKIP_4) | instid1(VALU_DEP_1)
	v_fmac_f64_e32 v[168:169], v[136:137], v[158:159]
	scratch_load_b128 v[134:137], off, off offset:192
	s_wait_dscnt 0x0
	v_fmac_f64_e32 v[168:169], v[138:139], v[160:161]
	s_wait_loadcnt 0x5
	v_fmac_f64_e32 v[168:169], v[140:141], v[162:163]
	ds_load_2addr_b64 v[138:141], v2 offset0:79 offset1:80
	ds_load_2addr_b64 v[156:159], v2 offset0:81 offset1:82
	scratch_load_b128 v[160:163], off, off offset:208
	s_wait_dscnt 0x1
	v_fmac_f64_e32 v[168:169], v[142:143], v[138:139]
	s_wait_loadcnt 0x5
	s_delay_alu instid0(VALU_DEP_1) | instskip(SKIP_4) | instid1(VALU_DEP_1)
	v_fmac_f64_e32 v[168:169], v[144:145], v[140:141]
	scratch_load_b128 v[138:141], off, off offset:224
	s_wait_dscnt 0x0
	v_fmac_f64_e32 v[168:169], v[146:147], v[156:157]
	s_wait_loadcnt 0x5
	v_fmac_f64_e32 v[168:169], v[148:149], v[158:159]
	ds_load_2addr_b64 v[142:145], v2 offset0:83 offset1:84
	ds_load_2addr_b64 v[146:149], v2 offset0:85 offset1:86
	scratch_load_b128 v[156:159], off, off offset:240
	s_wait_dscnt 0x1
	v_fmac_f64_e32 v[168:169], v[150:151], v[142:143]
	s_wait_loadcnt 0x5
	s_delay_alu instid0(VALU_DEP_1) | instskip(SKIP_4) | instid1(VALU_DEP_1)
	v_fmac_f64_e32 v[168:169], v[152:153], v[144:145]
	scratch_load_b128 v[142:145], off, off offset:256
	s_wait_dscnt 0x0
	v_fmac_f64_e32 v[168:169], v[154:155], v[146:147]
	s_wait_loadcnt 0x5
	v_fmac_f64_e32 v[168:169], v[164:165], v[148:149]
	ds_load_2addr_b64 v[146:149], v2 offset0:87 offset1:88
	ds_load_2addr_b64 v[150:153], v2 offset0:89 offset1:90
	s_wait_dscnt 0x1
	v_fmac_f64_e32 v[168:169], v[166:167], v[146:147]
	scratch_load_b128 v[164:167], off, off offset:272
	s_wait_loadcnt 0x5
	v_fmac_f64_e32 v[168:169], v[134:135], v[148:149]
	s_wait_dscnt 0x0
	s_delay_alu instid0(VALU_DEP_1)
	v_fmac_f64_e32 v[168:169], v[136:137], v[150:151]
	scratch_load_b128 v[134:137], off, off offset:288
	s_wait_loadcnt 0x5
	v_fmac_f64_e32 v[168:169], v[160:161], v[152:153]
	ds_load_2addr_b64 v[146:149], v2 offset0:91 offset1:92
	ds_load_2addr_b64 v[150:153], v2 offset0:93 offset1:94
	s_wait_dscnt 0x1
	v_fmac_f64_e32 v[168:169], v[162:163], v[146:147]
	scratch_load_b128 v[160:163], off, off offset:304
	s_wait_loadcnt 0x5
	v_fmac_f64_e32 v[168:169], v[138:139], v[148:149]
	s_wait_dscnt 0x0
	s_delay_alu instid0(VALU_DEP_1)
	v_fmac_f64_e32 v[168:169], v[140:141], v[150:151]
	scratch_load_b128 v[138:141], off, off offset:320
	s_wait_loadcnt 0x5
	v_fmac_f64_e32 v[168:169], v[156:157], v[152:153]
	ds_load_2addr_b64 v[146:149], v2 offset0:95 offset1:96
	ds_load_2addr_b64 v[150:153], v2 offset0:97 offset1:98
	scratch_load_b128 v[154:157], off, off offset:336
	s_wait_dscnt 0x1
	v_fmac_f64_e32 v[168:169], v[158:159], v[146:147]
	s_wait_loadcnt 0x5
	s_delay_alu instid0(VALU_DEP_1) | instskip(SKIP_1) | instid1(VALU_DEP_1)
	v_fmac_f64_e32 v[168:169], v[142:143], v[148:149]
	s_wait_dscnt 0x0
	v_fmac_f64_e32 v[168:169], v[144:145], v[150:151]
	scratch_load_b128 v[142:145], off, off offset:352
	s_wait_loadcnt 0x5
	v_fmac_f64_e32 v[168:169], v[164:165], v[152:153]
	ds_load_2addr_b64 v[146:149], v2 offset0:99 offset1:100
	ds_load_2addr_b64 v[150:153], v2 offset0:101 offset1:102
	s_wait_dscnt 0x1
	v_fmac_f64_e32 v[168:169], v[166:167], v[146:147]
	scratch_load_b128 v[164:167], off, off offset:368
	s_wait_loadcnt 0x5
	v_fmac_f64_e32 v[168:169], v[134:135], v[148:149]
	s_wait_dscnt 0x0
	s_delay_alu instid0(VALU_DEP_1)
	v_fmac_f64_e32 v[168:169], v[136:137], v[150:151]
	scratch_load_b128 v[134:137], off, off offset:384
	s_wait_loadcnt 0x5
	v_fmac_f64_e32 v[168:169], v[160:161], v[152:153]
	ds_load_2addr_b64 v[146:149], v2 offset0:103 offset1:104
	ds_load_2addr_b64 v[150:153], v2 offset0:105 offset1:106
	scratch_load_b128 v[158:161], off, off offset:400
	s_wait_dscnt 0x1
	v_fmac_f64_e32 v[168:169], v[162:163], v[146:147]
	s_wait_loadcnt 0x5
	s_delay_alu instid0(VALU_DEP_1) | instskip(SKIP_1) | instid1(VALU_DEP_1)
	v_fmac_f64_e32 v[168:169], v[138:139], v[148:149]
	s_wait_dscnt 0x0
	v_fmac_f64_e32 v[168:169], v[140:141], v[150:151]
	scratch_load_b128 v[138:141], off, off offset:416
	s_wait_loadcnt 0x5
	v_fmac_f64_e32 v[168:169], v[154:155], v[152:153]
	ds_load_2addr_b64 v[146:149], v2 offset0:107 offset1:108
	ds_load_2addr_b64 v[150:153], v2 offset0:109 offset1:110
	s_wait_dscnt 0x1
	v_fmac_f64_e32 v[168:169], v[156:157], v[146:147]
	s_wait_loadcnt 0x4
	s_delay_alu instid0(VALU_DEP_1)
	v_fmac_f64_e32 v[168:169], v[142:143], v[148:149]
	scratch_load_b128 v[146:149], off, off offset:432
	s_wait_dscnt 0x0
	v_fmac_f64_e32 v[168:169], v[144:145], v[150:151]
	scratch_load_b128 v[142:145], off, off offset:448
	s_wait_loadcnt 0x5
	v_fmac_f64_e32 v[168:169], v[164:165], v[152:153]
	ds_load_2addr_b64 v[150:153], v2 offset0:111 offset1:112
	ds_load_2addr_b64 v[154:157], v2 offset0:113 offset1:114
	s_wait_dscnt 0x1
	v_fmac_f64_e32 v[168:169], v[166:167], v[150:151]
	s_wait_loadcnt 0x4
	s_delay_alu instid0(VALU_DEP_1)
	v_fmac_f64_e32 v[168:169], v[134:135], v[152:153]
	scratch_load_b128 v[150:153], off, off offset:464
	;; [unrolled: 13-line block ×3, first 2 shown]
	s_wait_dscnt 0x0
	v_fmac_f64_e32 v[168:169], v[140:141], v[162:163]
	ds_load_2addr_b64 v[138:141], v2 offset0:119 offset1:120
	ds_load_2addr_b64 v[158:161], v2 offset0:121 offset1:122
	s_wait_loadcnt 0x4
	v_fmac_f64_e32 v[168:169], v[146:147], v[164:165]
	s_wait_dscnt 0x1
	s_delay_alu instid0(VALU_DEP_1) | instskip(SKIP_1) | instid1(VALU_DEP_1)
	v_fmac_f64_e32 v[168:169], v[148:149], v[138:139]
	s_wait_loadcnt 0x3
	v_fmac_f64_e32 v[168:169], v[142:143], v[140:141]
	s_wait_dscnt 0x0
	s_delay_alu instid0(VALU_DEP_1)
	v_fmac_f64_e32 v[168:169], v[144:145], v[158:159]
	ds_load_2addr_b64 v[138:141], v2 offset0:123 offset1:124
	ds_load_2addr_b64 v[142:145], v2 offset0:125 offset1:126
	s_wait_loadcnt 0x2
	v_fmac_f64_e32 v[168:169], v[150:151], v[160:161]
	s_wait_dscnt 0x1
	s_delay_alu instid0(VALU_DEP_1) | instskip(SKIP_1) | instid1(VALU_DEP_1)
	v_fmac_f64_e32 v[168:169], v[152:153], v[138:139]
	s_wait_loadcnt 0x1
	v_fmac_f64_e32 v[168:169], v[134:135], v[140:141]
	ds_load_b64 v[134:135], v2 offset:1016
	s_wait_dscnt 0x1
	v_fmac_f64_e32 v[168:169], v[136:137], v[142:143]
	s_wait_loadcnt 0x0
	s_delay_alu instid0(VALU_DEP_1) | instskip(SKIP_1) | instid1(VALU_DEP_1)
	v_fmac_f64_e32 v[168:169], v[154:155], v[144:145]
	s_wait_dscnt 0x0
	v_fmac_f64_e32 v[168:169], v[156:157], v[134:135]
	s_delay_alu instid0(VALU_DEP_1)
	v_add_f64_e64 v[132:133], v[132:133], -v[168:169]
	scratch_store_b64 off, v[132:133], off offset:80
	s_wait_xcnt 0x0
	v_cmpx_lt_u32_e32 9, v0
	s_cbranch_execz .LBB127_375
; %bb.374:
	scratch_load_b64 v[132:133], off, off offset:72
	v_mov_b64_e32 v[134:135], 0
	scratch_store_b64 off, v[134:135], off offset:72
	s_wait_loadcnt 0x0
	ds_store_b64 v1, v[132:133]
.LBB127_375:
	s_wait_xcnt 0x0
	s_or_b32 exec_lo, exec_lo, s0
	s_wait_storecnt_dscnt 0x0
	s_barrier_signal -1
	s_barrier_wait -1
	s_clause 0x5
	scratch_load_b128 v[132:135], off, off offset:72
	scratch_load_b128 v[136:139], off, off offset:88
	;; [unrolled: 1-line block ×6, first 2 shown]
	ds_load_b128 v[156:159], v2 offset:592
	ds_load_b128 v[160:163], v2 offset:608
	scratch_load_b128 v[164:167], off, off offset:168
	s_mov_b32 s0, exec_lo
	s_wait_loadcnt_dscnt 0x601
	v_fma_f64 v[168:169], v[134:135], v[156:157], 0
	s_wait_loadcnt 0x5
	s_delay_alu instid0(VALU_DEP_1) | instskip(SKIP_4) | instid1(VALU_DEP_1)
	v_fmac_f64_e32 v[168:169], v[136:137], v[158:159]
	scratch_load_b128 v[134:137], off, off offset:184
	s_wait_dscnt 0x0
	v_fmac_f64_e32 v[168:169], v[138:139], v[160:161]
	s_wait_loadcnt 0x5
	v_fmac_f64_e32 v[168:169], v[140:141], v[162:163]
	ds_load_b128 v[138:141], v2 offset:624
	ds_load_b128 v[156:159], v2 offset:640
	scratch_load_b128 v[160:163], off, off offset:200
	s_wait_dscnt 0x1
	v_fmac_f64_e32 v[168:169], v[142:143], v[138:139]
	s_wait_loadcnt 0x5
	s_delay_alu instid0(VALU_DEP_1) | instskip(SKIP_4) | instid1(VALU_DEP_1)
	v_fmac_f64_e32 v[168:169], v[144:145], v[140:141]
	scratch_load_b128 v[138:141], off, off offset:216
	s_wait_dscnt 0x0
	v_fmac_f64_e32 v[168:169], v[146:147], v[156:157]
	s_wait_loadcnt 0x5
	v_fmac_f64_e32 v[168:169], v[148:149], v[158:159]
	ds_load_b128 v[142:145], v2 offset:656
	ds_load_b128 v[146:149], v2 offset:672
	scratch_load_b128 v[156:159], off, off offset:232
	s_wait_dscnt 0x1
	v_fmac_f64_e32 v[168:169], v[150:151], v[142:143]
	s_wait_loadcnt 0x5
	s_delay_alu instid0(VALU_DEP_1) | instskip(SKIP_4) | instid1(VALU_DEP_1)
	v_fmac_f64_e32 v[168:169], v[152:153], v[144:145]
	scratch_load_b128 v[142:145], off, off offset:248
	s_wait_dscnt 0x0
	v_fmac_f64_e32 v[168:169], v[154:155], v[146:147]
	s_wait_loadcnt 0x5
	v_fmac_f64_e32 v[168:169], v[164:165], v[148:149]
	ds_load_b128 v[146:149], v2 offset:688
	ds_load_b128 v[150:153], v2 offset:704
	s_wait_dscnt 0x1
	v_fmac_f64_e32 v[168:169], v[166:167], v[146:147]
	scratch_load_b128 v[164:167], off, off offset:264
	s_wait_loadcnt 0x5
	v_fmac_f64_e32 v[168:169], v[134:135], v[148:149]
	s_wait_dscnt 0x0
	s_delay_alu instid0(VALU_DEP_1)
	v_fmac_f64_e32 v[168:169], v[136:137], v[150:151]
	scratch_load_b128 v[134:137], off, off offset:280
	s_wait_loadcnt 0x5
	v_fmac_f64_e32 v[168:169], v[160:161], v[152:153]
	ds_load_b128 v[146:149], v2 offset:720
	ds_load_b128 v[150:153], v2 offset:736
	s_wait_dscnt 0x1
	v_fmac_f64_e32 v[168:169], v[162:163], v[146:147]
	scratch_load_b128 v[160:163], off, off offset:296
	s_wait_loadcnt 0x5
	v_fmac_f64_e32 v[168:169], v[138:139], v[148:149]
	s_wait_dscnt 0x0
	s_delay_alu instid0(VALU_DEP_1)
	v_fmac_f64_e32 v[168:169], v[140:141], v[150:151]
	scratch_load_b128 v[138:141], off, off offset:312
	s_wait_loadcnt 0x5
	v_fmac_f64_e32 v[168:169], v[156:157], v[152:153]
	ds_load_b128 v[146:149], v2 offset:752
	ds_load_b128 v[150:153], v2 offset:768
	scratch_load_b128 v[154:157], off, off offset:328
	s_wait_dscnt 0x1
	v_fmac_f64_e32 v[168:169], v[158:159], v[146:147]
	s_wait_loadcnt 0x5
	s_delay_alu instid0(VALU_DEP_1) | instskip(SKIP_1) | instid1(VALU_DEP_1)
	v_fmac_f64_e32 v[168:169], v[142:143], v[148:149]
	s_wait_dscnt 0x0
	v_fmac_f64_e32 v[168:169], v[144:145], v[150:151]
	scratch_load_b128 v[142:145], off, off offset:344
	s_wait_loadcnt 0x5
	v_fmac_f64_e32 v[168:169], v[164:165], v[152:153]
	ds_load_b128 v[146:149], v2 offset:784
	ds_load_b128 v[150:153], v2 offset:800
	s_wait_dscnt 0x1
	v_fmac_f64_e32 v[168:169], v[166:167], v[146:147]
	scratch_load_b128 v[164:167], off, off offset:360
	s_wait_loadcnt 0x5
	v_fmac_f64_e32 v[168:169], v[134:135], v[148:149]
	s_wait_dscnt 0x0
	s_delay_alu instid0(VALU_DEP_1)
	v_fmac_f64_e32 v[168:169], v[136:137], v[150:151]
	scratch_load_b128 v[134:137], off, off offset:376
	s_wait_loadcnt 0x5
	v_fmac_f64_e32 v[168:169], v[160:161], v[152:153]
	ds_load_b128 v[146:149], v2 offset:816
	ds_load_b128 v[150:153], v2 offset:832
	scratch_load_b128 v[158:161], off, off offset:392
	s_wait_dscnt 0x1
	v_fmac_f64_e32 v[168:169], v[162:163], v[146:147]
	s_wait_loadcnt 0x5
	s_delay_alu instid0(VALU_DEP_1) | instskip(SKIP_1) | instid1(VALU_DEP_1)
	v_fmac_f64_e32 v[168:169], v[138:139], v[148:149]
	s_wait_dscnt 0x0
	v_fmac_f64_e32 v[168:169], v[140:141], v[150:151]
	scratch_load_b128 v[138:141], off, off offset:408
	s_wait_loadcnt 0x5
	v_fmac_f64_e32 v[168:169], v[154:155], v[152:153]
	ds_load_b128 v[146:149], v2 offset:848
	ds_load_b128 v[150:153], v2 offset:864
	s_wait_dscnt 0x1
	v_fmac_f64_e32 v[168:169], v[156:157], v[146:147]
	scratch_load_b128 v[154:157], off, off offset:424
	s_wait_loadcnt 0x5
	v_fmac_f64_e32 v[168:169], v[142:143], v[148:149]
	s_wait_dscnt 0x0
	s_delay_alu instid0(VALU_DEP_1)
	v_fmac_f64_e32 v[168:169], v[144:145], v[150:151]
	scratch_load_b128 v[142:145], off, off offset:440
	s_wait_loadcnt 0x5
	v_fmac_f64_e32 v[168:169], v[164:165], v[152:153]
	ds_load_b128 v[146:149], v2 offset:880
	ds_load_b128 v[150:153], v2 offset:896
	s_wait_dscnt 0x1
	v_fmac_f64_e32 v[168:169], v[166:167], v[146:147]
	s_wait_loadcnt 0x4
	s_delay_alu instid0(VALU_DEP_1)
	v_fmac_f64_e32 v[168:169], v[134:135], v[148:149]
	scratch_load_b128 v[146:149], off, off offset:456
	s_wait_dscnt 0x0
	v_fmac_f64_e32 v[168:169], v[136:137], v[150:151]
	scratch_load_b128 v[134:137], off, off offset:472
	s_wait_loadcnt 0x5
	v_fmac_f64_e32 v[168:169], v[158:159], v[152:153]
	ds_load_b128 v[150:153], v2 offset:912
	ds_load_b128 v[162:165], v2 offset:928
	s_wait_dscnt 0x1
	v_fmac_f64_e32 v[168:169], v[160:161], v[150:151]
	s_wait_loadcnt 0x4
	s_delay_alu instid0(VALU_DEP_1) | instskip(SKIP_4) | instid1(VALU_DEP_1)
	v_fmac_f64_e32 v[168:169], v[138:139], v[152:153]
	scratch_load_b128 v[150:153], off, off offset:488
	s_wait_dscnt 0x0
	v_fmac_f64_e32 v[168:169], v[140:141], v[162:163]
	s_wait_loadcnt 0x4
	v_fmac_f64_e32 v[168:169], v[154:155], v[164:165]
	scratch_load_b64 v[154:155], off, off offset:504
	ds_load_b128 v[138:141], v2 offset:944
	ds_load_b128 v[158:161], v2 offset:960
	s_wait_dscnt 0x1
	v_fmac_f64_e32 v[168:169], v[156:157], v[138:139]
	s_wait_loadcnt 0x4
	s_delay_alu instid0(VALU_DEP_1) | instskip(SKIP_1) | instid1(VALU_DEP_1)
	v_fmac_f64_e32 v[168:169], v[142:143], v[140:141]
	s_wait_dscnt 0x0
	v_fmac_f64_e32 v[168:169], v[144:145], v[158:159]
	ds_load_b128 v[138:141], v2 offset:976
	ds_load_b128 v[142:145], v2 offset:992
	s_wait_loadcnt 0x3
	v_fmac_f64_e32 v[168:169], v[146:147], v[160:161]
	s_wait_dscnt 0x1
	s_delay_alu instid0(VALU_DEP_1) | instskip(SKIP_1) | instid1(VALU_DEP_1)
	v_fmac_f64_e32 v[168:169], v[148:149], v[138:139]
	s_wait_loadcnt 0x2
	v_fmac_f64_e32 v[168:169], v[134:135], v[140:141]
	s_wait_dscnt 0x0
	s_delay_alu instid0(VALU_DEP_1) | instskip(SKIP_4) | instid1(VALU_DEP_1)
	v_fmac_f64_e32 v[168:169], v[136:137], v[142:143]
	ds_load_b128 v[134:137], v2 offset:1008
	s_wait_loadcnt 0x1
	v_fmac_f64_e32 v[168:169], v[150:151], v[144:145]
	s_wait_dscnt 0x0
	v_fmac_f64_e32 v[168:169], v[152:153], v[134:135]
	s_wait_loadcnt 0x0
	s_delay_alu instid0(VALU_DEP_1) | instskip(NEXT) | instid1(VALU_DEP_1)
	v_fmac_f64_e32 v[168:169], v[154:155], v[136:137]
	v_add_f64_e64 v[2:3], v[132:133], -v[168:169]
	scratch_store_b64 off, v[2:3], off offset:72
	s_wait_xcnt 0x0
	v_cmpx_lt_u32_e32 8, v0
	s_cbranch_execz .LBB127_377
; %bb.376:
	scratch_load_b64 v[2:3], off, off offset:64
	v_mov_b64_e32 v[132:133], 0
	scratch_store_b64 off, v[132:133], off offset:64
	s_wait_loadcnt 0x0
	ds_store_b64 v1, v[2:3]
.LBB127_377:
	s_wait_xcnt 0x0
	s_or_b32 exec_lo, exec_lo, s0
	s_wait_storecnt_dscnt 0x0
	s_barrier_signal -1
	s_barrier_wait -1
	s_clause 0x5
	scratch_load_b128 v[132:135], off, off offset:64
	scratch_load_b128 v[136:139], off, off offset:80
	;; [unrolled: 1-line block ×6, first 2 shown]
	v_mov_b32_e32 v2, 0
	ds_load_2addr_b64 v[156:159], v2 offset0:73 offset1:74
	ds_load_2addr_b64 v[160:163], v2 offset0:75 offset1:76
	scratch_load_b128 v[164:167], off, off offset:160
	s_mov_b32 s0, exec_lo
	s_wait_loadcnt_dscnt 0x601
	v_fma_f64 v[168:169], v[134:135], v[156:157], 0
	s_wait_loadcnt 0x5
	s_delay_alu instid0(VALU_DEP_1) | instskip(SKIP_4) | instid1(VALU_DEP_1)
	v_fmac_f64_e32 v[168:169], v[136:137], v[158:159]
	scratch_load_b128 v[134:137], off, off offset:176
	s_wait_dscnt 0x0
	v_fmac_f64_e32 v[168:169], v[138:139], v[160:161]
	s_wait_loadcnt 0x5
	v_fmac_f64_e32 v[168:169], v[140:141], v[162:163]
	ds_load_2addr_b64 v[138:141], v2 offset0:77 offset1:78
	ds_load_2addr_b64 v[156:159], v2 offset0:79 offset1:80
	scratch_load_b128 v[160:163], off, off offset:192
	s_wait_dscnt 0x1
	v_fmac_f64_e32 v[168:169], v[142:143], v[138:139]
	s_wait_loadcnt 0x5
	s_delay_alu instid0(VALU_DEP_1) | instskip(SKIP_4) | instid1(VALU_DEP_1)
	v_fmac_f64_e32 v[168:169], v[144:145], v[140:141]
	scratch_load_b128 v[138:141], off, off offset:208
	s_wait_dscnt 0x0
	v_fmac_f64_e32 v[168:169], v[146:147], v[156:157]
	s_wait_loadcnt 0x5
	v_fmac_f64_e32 v[168:169], v[148:149], v[158:159]
	ds_load_2addr_b64 v[142:145], v2 offset0:81 offset1:82
	ds_load_2addr_b64 v[146:149], v2 offset0:83 offset1:84
	scratch_load_b128 v[156:159], off, off offset:224
	s_wait_dscnt 0x1
	v_fmac_f64_e32 v[168:169], v[150:151], v[142:143]
	s_wait_loadcnt 0x5
	s_delay_alu instid0(VALU_DEP_1) | instskip(SKIP_4) | instid1(VALU_DEP_1)
	v_fmac_f64_e32 v[168:169], v[152:153], v[144:145]
	scratch_load_b128 v[142:145], off, off offset:240
	s_wait_dscnt 0x0
	v_fmac_f64_e32 v[168:169], v[154:155], v[146:147]
	s_wait_loadcnt 0x5
	v_fmac_f64_e32 v[168:169], v[164:165], v[148:149]
	ds_load_2addr_b64 v[146:149], v2 offset0:85 offset1:86
	ds_load_2addr_b64 v[150:153], v2 offset0:87 offset1:88
	s_wait_dscnt 0x1
	v_fmac_f64_e32 v[168:169], v[166:167], v[146:147]
	scratch_load_b128 v[164:167], off, off offset:256
	s_wait_loadcnt 0x5
	v_fmac_f64_e32 v[168:169], v[134:135], v[148:149]
	s_wait_dscnt 0x0
	s_delay_alu instid0(VALU_DEP_1)
	v_fmac_f64_e32 v[168:169], v[136:137], v[150:151]
	scratch_load_b128 v[134:137], off, off offset:272
	s_wait_loadcnt 0x5
	v_fmac_f64_e32 v[168:169], v[160:161], v[152:153]
	ds_load_2addr_b64 v[146:149], v2 offset0:89 offset1:90
	ds_load_2addr_b64 v[150:153], v2 offset0:91 offset1:92
	s_wait_dscnt 0x1
	v_fmac_f64_e32 v[168:169], v[162:163], v[146:147]
	scratch_load_b128 v[160:163], off, off offset:288
	s_wait_loadcnt 0x5
	v_fmac_f64_e32 v[168:169], v[138:139], v[148:149]
	s_wait_dscnt 0x0
	s_delay_alu instid0(VALU_DEP_1)
	v_fmac_f64_e32 v[168:169], v[140:141], v[150:151]
	scratch_load_b128 v[138:141], off, off offset:304
	s_wait_loadcnt 0x5
	v_fmac_f64_e32 v[168:169], v[156:157], v[152:153]
	ds_load_2addr_b64 v[146:149], v2 offset0:93 offset1:94
	ds_load_2addr_b64 v[150:153], v2 offset0:95 offset1:96
	scratch_load_b128 v[154:157], off, off offset:320
	s_wait_dscnt 0x1
	v_fmac_f64_e32 v[168:169], v[158:159], v[146:147]
	s_wait_loadcnt 0x5
	s_delay_alu instid0(VALU_DEP_1) | instskip(SKIP_1) | instid1(VALU_DEP_1)
	v_fmac_f64_e32 v[168:169], v[142:143], v[148:149]
	s_wait_dscnt 0x0
	v_fmac_f64_e32 v[168:169], v[144:145], v[150:151]
	scratch_load_b128 v[142:145], off, off offset:336
	s_wait_loadcnt 0x5
	v_fmac_f64_e32 v[168:169], v[164:165], v[152:153]
	ds_load_2addr_b64 v[146:149], v2 offset0:97 offset1:98
	ds_load_2addr_b64 v[150:153], v2 offset0:99 offset1:100
	s_wait_dscnt 0x1
	v_fmac_f64_e32 v[168:169], v[166:167], v[146:147]
	scratch_load_b128 v[164:167], off, off offset:352
	s_wait_loadcnt 0x5
	v_fmac_f64_e32 v[168:169], v[134:135], v[148:149]
	s_wait_dscnt 0x0
	s_delay_alu instid0(VALU_DEP_1)
	v_fmac_f64_e32 v[168:169], v[136:137], v[150:151]
	scratch_load_b128 v[134:137], off, off offset:368
	s_wait_loadcnt 0x5
	v_fmac_f64_e32 v[168:169], v[160:161], v[152:153]
	ds_load_2addr_b64 v[146:149], v2 offset0:101 offset1:102
	ds_load_2addr_b64 v[150:153], v2 offset0:103 offset1:104
	scratch_load_b128 v[158:161], off, off offset:384
	s_wait_dscnt 0x1
	v_fmac_f64_e32 v[168:169], v[162:163], v[146:147]
	s_wait_loadcnt 0x5
	s_delay_alu instid0(VALU_DEP_1) | instskip(SKIP_1) | instid1(VALU_DEP_1)
	v_fmac_f64_e32 v[168:169], v[138:139], v[148:149]
	s_wait_dscnt 0x0
	v_fmac_f64_e32 v[168:169], v[140:141], v[150:151]
	scratch_load_b128 v[138:141], off, off offset:400
	s_wait_loadcnt 0x5
	v_fmac_f64_e32 v[168:169], v[154:155], v[152:153]
	ds_load_2addr_b64 v[146:149], v2 offset0:105 offset1:106
	ds_load_2addr_b64 v[150:153], v2 offset0:107 offset1:108
	s_wait_dscnt 0x1
	v_fmac_f64_e32 v[168:169], v[156:157], v[146:147]
	scratch_load_b128 v[154:157], off, off offset:416
	s_wait_loadcnt 0x5
	v_fmac_f64_e32 v[168:169], v[142:143], v[148:149]
	s_wait_dscnt 0x0
	s_delay_alu instid0(VALU_DEP_1)
	v_fmac_f64_e32 v[168:169], v[144:145], v[150:151]
	scratch_load_b128 v[142:145], off, off offset:432
	s_wait_loadcnt 0x5
	v_fmac_f64_e32 v[168:169], v[164:165], v[152:153]
	ds_load_2addr_b64 v[146:149], v2 offset0:109 offset1:110
	ds_load_2addr_b64 v[150:153], v2 offset0:111 offset1:112
	s_wait_dscnt 0x1
	v_fmac_f64_e32 v[168:169], v[166:167], v[146:147]
	s_wait_loadcnt 0x4
	s_delay_alu instid0(VALU_DEP_1)
	v_fmac_f64_e32 v[168:169], v[134:135], v[148:149]
	scratch_load_b128 v[146:149], off, off offset:448
	s_wait_dscnt 0x0
	v_fmac_f64_e32 v[168:169], v[136:137], v[150:151]
	scratch_load_b128 v[134:137], off, off offset:464
	s_wait_loadcnt 0x5
	v_fmac_f64_e32 v[168:169], v[158:159], v[152:153]
	ds_load_2addr_b64 v[150:153], v2 offset0:113 offset1:114
	ds_load_2addr_b64 v[162:165], v2 offset0:115 offset1:116
	s_wait_dscnt 0x1
	v_fmac_f64_e32 v[168:169], v[160:161], v[150:151]
	s_wait_loadcnt 0x4
	s_delay_alu instid0(VALU_DEP_1)
	v_fmac_f64_e32 v[168:169], v[138:139], v[152:153]
	scratch_load_b128 v[150:153], off, off offset:480
	s_wait_dscnt 0x0
	v_fmac_f64_e32 v[168:169], v[140:141], v[162:163]
	scratch_load_b128 v[138:141], off, off offset:496
	s_wait_loadcnt 0x5
	v_fmac_f64_e32 v[168:169], v[154:155], v[164:165]
	ds_load_2addr_b64 v[158:161], v2 offset0:117 offset1:118
	ds_load_2addr_b64 v[162:165], v2 offset0:119 offset1:120
	s_wait_dscnt 0x1
	v_fmac_f64_e32 v[168:169], v[156:157], v[158:159]
	s_wait_loadcnt 0x4
	s_delay_alu instid0(VALU_DEP_1) | instskip(SKIP_1) | instid1(VALU_DEP_1)
	v_fmac_f64_e32 v[168:169], v[142:143], v[160:161]
	s_wait_dscnt 0x0
	v_fmac_f64_e32 v[168:169], v[144:145], v[162:163]
	ds_load_2addr_b64 v[142:145], v2 offset0:121 offset1:122
	ds_load_2addr_b64 v[154:157], v2 offset0:123 offset1:124
	s_wait_loadcnt 0x3
	v_fmac_f64_e32 v[168:169], v[146:147], v[164:165]
	s_wait_dscnt 0x1
	s_delay_alu instid0(VALU_DEP_1) | instskip(SKIP_1) | instid1(VALU_DEP_1)
	v_fmac_f64_e32 v[168:169], v[148:149], v[142:143]
	s_wait_loadcnt 0x2
	v_fmac_f64_e32 v[168:169], v[134:135], v[144:145]
	s_wait_dscnt 0x0
	s_delay_alu instid0(VALU_DEP_1)
	v_fmac_f64_e32 v[168:169], v[136:137], v[154:155]
	ds_load_2addr_b64 v[134:137], v2 offset0:125 offset1:126
	ds_load_b64 v[142:143], v2 offset:1016
	s_wait_loadcnt 0x1
	v_fmac_f64_e32 v[168:169], v[150:151], v[156:157]
	s_wait_dscnt 0x1
	s_delay_alu instid0(VALU_DEP_1) | instskip(SKIP_1) | instid1(VALU_DEP_1)
	v_fmac_f64_e32 v[168:169], v[152:153], v[134:135]
	s_wait_loadcnt 0x0
	v_fmac_f64_e32 v[168:169], v[138:139], v[136:137]
	s_wait_dscnt 0x0
	s_delay_alu instid0(VALU_DEP_1) | instskip(NEXT) | instid1(VALU_DEP_1)
	v_fmac_f64_e32 v[168:169], v[140:141], v[142:143]
	v_add_f64_e64 v[132:133], v[132:133], -v[168:169]
	scratch_store_b64 off, v[132:133], off offset:64
	s_wait_xcnt 0x0
	v_cmpx_lt_u32_e32 7, v0
	s_cbranch_execz .LBB127_379
; %bb.378:
	scratch_load_b64 v[132:133], off, off offset:56
	v_mov_b64_e32 v[134:135], 0
	scratch_store_b64 off, v[134:135], off offset:56
	s_wait_loadcnt 0x0
	ds_store_b64 v1, v[132:133]
.LBB127_379:
	s_wait_xcnt 0x0
	s_or_b32 exec_lo, exec_lo, s0
	s_wait_storecnt_dscnt 0x0
	s_barrier_signal -1
	s_barrier_wait -1
	s_clause 0x5
	scratch_load_b128 v[132:135], off, off offset:56
	scratch_load_b128 v[136:139], off, off offset:72
	;; [unrolled: 1-line block ×6, first 2 shown]
	ds_load_b128 v[156:159], v2 offset:576
	ds_load_b128 v[160:163], v2 offset:592
	scratch_load_b128 v[164:167], off, off offset:152
	s_mov_b32 s0, exec_lo
	s_wait_loadcnt_dscnt 0x601
	v_fma_f64 v[168:169], v[134:135], v[156:157], 0
	s_wait_loadcnt 0x5
	s_delay_alu instid0(VALU_DEP_1) | instskip(SKIP_4) | instid1(VALU_DEP_1)
	v_fmac_f64_e32 v[168:169], v[136:137], v[158:159]
	scratch_load_b128 v[134:137], off, off offset:168
	s_wait_dscnt 0x0
	v_fmac_f64_e32 v[168:169], v[138:139], v[160:161]
	s_wait_loadcnt 0x5
	v_fmac_f64_e32 v[168:169], v[140:141], v[162:163]
	ds_load_b128 v[138:141], v2 offset:608
	ds_load_b128 v[156:159], v2 offset:624
	scratch_load_b128 v[160:163], off, off offset:184
	s_wait_dscnt 0x1
	v_fmac_f64_e32 v[168:169], v[142:143], v[138:139]
	s_wait_loadcnt 0x5
	s_delay_alu instid0(VALU_DEP_1) | instskip(SKIP_4) | instid1(VALU_DEP_1)
	v_fmac_f64_e32 v[168:169], v[144:145], v[140:141]
	scratch_load_b128 v[138:141], off, off offset:200
	s_wait_dscnt 0x0
	v_fmac_f64_e32 v[168:169], v[146:147], v[156:157]
	s_wait_loadcnt 0x5
	v_fmac_f64_e32 v[168:169], v[148:149], v[158:159]
	ds_load_b128 v[142:145], v2 offset:640
	ds_load_b128 v[146:149], v2 offset:656
	scratch_load_b128 v[156:159], off, off offset:216
	s_wait_dscnt 0x1
	v_fmac_f64_e32 v[168:169], v[150:151], v[142:143]
	s_wait_loadcnt 0x5
	s_delay_alu instid0(VALU_DEP_1) | instskip(SKIP_4) | instid1(VALU_DEP_1)
	v_fmac_f64_e32 v[168:169], v[152:153], v[144:145]
	scratch_load_b128 v[142:145], off, off offset:232
	s_wait_dscnt 0x0
	v_fmac_f64_e32 v[168:169], v[154:155], v[146:147]
	s_wait_loadcnt 0x5
	v_fmac_f64_e32 v[168:169], v[164:165], v[148:149]
	ds_load_b128 v[146:149], v2 offset:672
	ds_load_b128 v[150:153], v2 offset:688
	s_wait_dscnt 0x1
	v_fmac_f64_e32 v[168:169], v[166:167], v[146:147]
	scratch_load_b128 v[164:167], off, off offset:248
	s_wait_loadcnt 0x5
	v_fmac_f64_e32 v[168:169], v[134:135], v[148:149]
	s_wait_dscnt 0x0
	s_delay_alu instid0(VALU_DEP_1)
	v_fmac_f64_e32 v[168:169], v[136:137], v[150:151]
	scratch_load_b128 v[134:137], off, off offset:264
	s_wait_loadcnt 0x5
	v_fmac_f64_e32 v[168:169], v[160:161], v[152:153]
	ds_load_b128 v[146:149], v2 offset:704
	ds_load_b128 v[150:153], v2 offset:720
	s_wait_dscnt 0x1
	v_fmac_f64_e32 v[168:169], v[162:163], v[146:147]
	scratch_load_b128 v[160:163], off, off offset:280
	s_wait_loadcnt 0x5
	v_fmac_f64_e32 v[168:169], v[138:139], v[148:149]
	s_wait_dscnt 0x0
	s_delay_alu instid0(VALU_DEP_1)
	v_fmac_f64_e32 v[168:169], v[140:141], v[150:151]
	scratch_load_b128 v[138:141], off, off offset:296
	s_wait_loadcnt 0x5
	v_fmac_f64_e32 v[168:169], v[156:157], v[152:153]
	ds_load_b128 v[146:149], v2 offset:736
	ds_load_b128 v[150:153], v2 offset:752
	scratch_load_b128 v[154:157], off, off offset:312
	s_wait_dscnt 0x1
	v_fmac_f64_e32 v[168:169], v[158:159], v[146:147]
	s_wait_loadcnt 0x5
	s_delay_alu instid0(VALU_DEP_1) | instskip(SKIP_1) | instid1(VALU_DEP_1)
	v_fmac_f64_e32 v[168:169], v[142:143], v[148:149]
	s_wait_dscnt 0x0
	v_fmac_f64_e32 v[168:169], v[144:145], v[150:151]
	scratch_load_b128 v[142:145], off, off offset:328
	s_wait_loadcnt 0x5
	v_fmac_f64_e32 v[168:169], v[164:165], v[152:153]
	ds_load_b128 v[146:149], v2 offset:768
	ds_load_b128 v[150:153], v2 offset:784
	s_wait_dscnt 0x1
	v_fmac_f64_e32 v[168:169], v[166:167], v[146:147]
	scratch_load_b128 v[164:167], off, off offset:344
	s_wait_loadcnt 0x5
	v_fmac_f64_e32 v[168:169], v[134:135], v[148:149]
	s_wait_dscnt 0x0
	s_delay_alu instid0(VALU_DEP_1)
	v_fmac_f64_e32 v[168:169], v[136:137], v[150:151]
	scratch_load_b128 v[134:137], off, off offset:360
	s_wait_loadcnt 0x5
	v_fmac_f64_e32 v[168:169], v[160:161], v[152:153]
	ds_load_b128 v[146:149], v2 offset:800
	ds_load_b128 v[150:153], v2 offset:816
	scratch_load_b128 v[158:161], off, off offset:376
	s_wait_dscnt 0x1
	v_fmac_f64_e32 v[168:169], v[162:163], v[146:147]
	s_wait_loadcnt 0x5
	s_delay_alu instid0(VALU_DEP_1) | instskip(SKIP_1) | instid1(VALU_DEP_1)
	v_fmac_f64_e32 v[168:169], v[138:139], v[148:149]
	s_wait_dscnt 0x0
	v_fmac_f64_e32 v[168:169], v[140:141], v[150:151]
	scratch_load_b128 v[138:141], off, off offset:392
	s_wait_loadcnt 0x5
	v_fmac_f64_e32 v[168:169], v[154:155], v[152:153]
	ds_load_b128 v[146:149], v2 offset:832
	ds_load_b128 v[150:153], v2 offset:848
	s_wait_dscnt 0x1
	v_fmac_f64_e32 v[168:169], v[156:157], v[146:147]
	scratch_load_b128 v[154:157], off, off offset:408
	s_wait_loadcnt 0x5
	v_fmac_f64_e32 v[168:169], v[142:143], v[148:149]
	s_wait_dscnt 0x0
	s_delay_alu instid0(VALU_DEP_1)
	v_fmac_f64_e32 v[168:169], v[144:145], v[150:151]
	scratch_load_b128 v[142:145], off, off offset:424
	s_wait_loadcnt 0x5
	v_fmac_f64_e32 v[168:169], v[164:165], v[152:153]
	ds_load_b128 v[146:149], v2 offset:864
	ds_load_b128 v[150:153], v2 offset:880
	s_wait_dscnt 0x1
	v_fmac_f64_e32 v[168:169], v[166:167], v[146:147]
	s_wait_loadcnt 0x4
	s_delay_alu instid0(VALU_DEP_1)
	v_fmac_f64_e32 v[168:169], v[134:135], v[148:149]
	scratch_load_b128 v[146:149], off, off offset:440
	s_wait_dscnt 0x0
	v_fmac_f64_e32 v[168:169], v[136:137], v[150:151]
	scratch_load_b128 v[134:137], off, off offset:456
	s_wait_loadcnt 0x5
	v_fmac_f64_e32 v[168:169], v[158:159], v[152:153]
	ds_load_b128 v[150:153], v2 offset:896
	ds_load_b128 v[162:165], v2 offset:912
	s_wait_dscnt 0x1
	v_fmac_f64_e32 v[168:169], v[160:161], v[150:151]
	s_wait_loadcnt 0x4
	s_delay_alu instid0(VALU_DEP_1)
	v_fmac_f64_e32 v[168:169], v[138:139], v[152:153]
	scratch_load_b128 v[150:153], off, off offset:472
	s_wait_dscnt 0x0
	v_fmac_f64_e32 v[168:169], v[140:141], v[162:163]
	scratch_load_b128 v[138:141], off, off offset:488
	s_wait_loadcnt 0x5
	v_fmac_f64_e32 v[168:169], v[154:155], v[164:165]
	ds_load_b128 v[158:161], v2 offset:928
	ds_load_b128 v[162:165], v2 offset:944
	s_wait_dscnt 0x1
	v_fmac_f64_e32 v[168:169], v[156:157], v[158:159]
	scratch_load_b64 v[158:159], off, off offset:504
	s_wait_loadcnt 0x5
	v_fmac_f64_e32 v[168:169], v[142:143], v[160:161]
	s_wait_dscnt 0x0
	s_delay_alu instid0(VALU_DEP_1)
	v_fmac_f64_e32 v[168:169], v[144:145], v[162:163]
	ds_load_b128 v[142:145], v2 offset:960
	ds_load_b128 v[154:157], v2 offset:976
	s_wait_loadcnt 0x4
	v_fmac_f64_e32 v[168:169], v[146:147], v[164:165]
	s_wait_dscnt 0x1
	s_delay_alu instid0(VALU_DEP_1) | instskip(SKIP_1) | instid1(VALU_DEP_1)
	v_fmac_f64_e32 v[168:169], v[148:149], v[142:143]
	s_wait_loadcnt 0x3
	v_fmac_f64_e32 v[168:169], v[134:135], v[144:145]
	s_wait_dscnt 0x0
	s_delay_alu instid0(VALU_DEP_1)
	v_fmac_f64_e32 v[168:169], v[136:137], v[154:155]
	ds_load_b128 v[134:137], v2 offset:992
	ds_load_b128 v[142:145], v2 offset:1008
	s_wait_loadcnt 0x2
	v_fmac_f64_e32 v[168:169], v[150:151], v[156:157]
	s_wait_dscnt 0x1
	s_delay_alu instid0(VALU_DEP_1) | instskip(SKIP_1) | instid1(VALU_DEP_1)
	v_fmac_f64_e32 v[168:169], v[152:153], v[134:135]
	s_wait_loadcnt 0x1
	v_fmac_f64_e32 v[168:169], v[138:139], v[136:137]
	s_wait_dscnt 0x0
	s_delay_alu instid0(VALU_DEP_1) | instskip(SKIP_1) | instid1(VALU_DEP_1)
	v_fmac_f64_e32 v[168:169], v[140:141], v[142:143]
	s_wait_loadcnt 0x0
	v_fmac_f64_e32 v[168:169], v[158:159], v[144:145]
	s_delay_alu instid0(VALU_DEP_1)
	v_add_f64_e64 v[2:3], v[132:133], -v[168:169]
	scratch_store_b64 off, v[2:3], off offset:56
	s_wait_xcnt 0x0
	v_cmpx_lt_u32_e32 6, v0
	s_cbranch_execz .LBB127_381
; %bb.380:
	scratch_load_b64 v[2:3], off, off offset:48
	v_mov_b64_e32 v[132:133], 0
	scratch_store_b64 off, v[132:133], off offset:48
	s_wait_loadcnt 0x0
	ds_store_b64 v1, v[2:3]
.LBB127_381:
	s_wait_xcnt 0x0
	s_or_b32 exec_lo, exec_lo, s0
	s_wait_storecnt_dscnt 0x0
	s_barrier_signal -1
	s_barrier_wait -1
	s_clause 0x5
	scratch_load_b128 v[132:135], off, off offset:48
	scratch_load_b128 v[136:139], off, off offset:64
	;; [unrolled: 1-line block ×6, first 2 shown]
	v_mov_b32_e32 v2, 0
	ds_load_2addr_b64 v[156:159], v2 offset0:71 offset1:72
	ds_load_2addr_b64 v[160:163], v2 offset0:73 offset1:74
	scratch_load_b128 v[164:167], off, off offset:144
	s_mov_b32 s0, exec_lo
	s_wait_loadcnt_dscnt 0x601
	v_fma_f64 v[168:169], v[134:135], v[156:157], 0
	s_wait_loadcnt 0x5
	s_delay_alu instid0(VALU_DEP_1) | instskip(SKIP_4) | instid1(VALU_DEP_1)
	v_fmac_f64_e32 v[168:169], v[136:137], v[158:159]
	scratch_load_b128 v[134:137], off, off offset:160
	s_wait_dscnt 0x0
	v_fmac_f64_e32 v[168:169], v[138:139], v[160:161]
	s_wait_loadcnt 0x5
	v_fmac_f64_e32 v[168:169], v[140:141], v[162:163]
	ds_load_2addr_b64 v[138:141], v2 offset0:75 offset1:76
	ds_load_2addr_b64 v[156:159], v2 offset0:77 offset1:78
	scratch_load_b128 v[160:163], off, off offset:176
	s_wait_dscnt 0x1
	v_fmac_f64_e32 v[168:169], v[142:143], v[138:139]
	s_wait_loadcnt 0x5
	s_delay_alu instid0(VALU_DEP_1) | instskip(SKIP_4) | instid1(VALU_DEP_1)
	v_fmac_f64_e32 v[168:169], v[144:145], v[140:141]
	scratch_load_b128 v[138:141], off, off offset:192
	s_wait_dscnt 0x0
	v_fmac_f64_e32 v[168:169], v[146:147], v[156:157]
	s_wait_loadcnt 0x5
	v_fmac_f64_e32 v[168:169], v[148:149], v[158:159]
	ds_load_2addr_b64 v[142:145], v2 offset0:79 offset1:80
	ds_load_2addr_b64 v[146:149], v2 offset0:81 offset1:82
	scratch_load_b128 v[156:159], off, off offset:208
	s_wait_dscnt 0x1
	v_fmac_f64_e32 v[168:169], v[150:151], v[142:143]
	s_wait_loadcnt 0x5
	s_delay_alu instid0(VALU_DEP_1) | instskip(SKIP_4) | instid1(VALU_DEP_1)
	v_fmac_f64_e32 v[168:169], v[152:153], v[144:145]
	scratch_load_b128 v[142:145], off, off offset:224
	s_wait_dscnt 0x0
	v_fmac_f64_e32 v[168:169], v[154:155], v[146:147]
	s_wait_loadcnt 0x5
	v_fmac_f64_e32 v[168:169], v[164:165], v[148:149]
	ds_load_2addr_b64 v[146:149], v2 offset0:83 offset1:84
	ds_load_2addr_b64 v[150:153], v2 offset0:85 offset1:86
	s_wait_dscnt 0x1
	v_fmac_f64_e32 v[168:169], v[166:167], v[146:147]
	scratch_load_b128 v[164:167], off, off offset:240
	s_wait_loadcnt 0x5
	v_fmac_f64_e32 v[168:169], v[134:135], v[148:149]
	s_wait_dscnt 0x0
	s_delay_alu instid0(VALU_DEP_1)
	v_fmac_f64_e32 v[168:169], v[136:137], v[150:151]
	scratch_load_b128 v[134:137], off, off offset:256
	s_wait_loadcnt 0x5
	v_fmac_f64_e32 v[168:169], v[160:161], v[152:153]
	ds_load_2addr_b64 v[146:149], v2 offset0:87 offset1:88
	ds_load_2addr_b64 v[150:153], v2 offset0:89 offset1:90
	s_wait_dscnt 0x1
	v_fmac_f64_e32 v[168:169], v[162:163], v[146:147]
	scratch_load_b128 v[160:163], off, off offset:272
	s_wait_loadcnt 0x5
	v_fmac_f64_e32 v[168:169], v[138:139], v[148:149]
	s_wait_dscnt 0x0
	s_delay_alu instid0(VALU_DEP_1)
	v_fmac_f64_e32 v[168:169], v[140:141], v[150:151]
	scratch_load_b128 v[138:141], off, off offset:288
	s_wait_loadcnt 0x5
	v_fmac_f64_e32 v[168:169], v[156:157], v[152:153]
	ds_load_2addr_b64 v[146:149], v2 offset0:91 offset1:92
	ds_load_2addr_b64 v[150:153], v2 offset0:93 offset1:94
	scratch_load_b128 v[154:157], off, off offset:304
	s_wait_dscnt 0x1
	v_fmac_f64_e32 v[168:169], v[158:159], v[146:147]
	s_wait_loadcnt 0x5
	s_delay_alu instid0(VALU_DEP_1) | instskip(SKIP_1) | instid1(VALU_DEP_1)
	v_fmac_f64_e32 v[168:169], v[142:143], v[148:149]
	s_wait_dscnt 0x0
	v_fmac_f64_e32 v[168:169], v[144:145], v[150:151]
	scratch_load_b128 v[142:145], off, off offset:320
	s_wait_loadcnt 0x5
	v_fmac_f64_e32 v[168:169], v[164:165], v[152:153]
	ds_load_2addr_b64 v[146:149], v2 offset0:95 offset1:96
	ds_load_2addr_b64 v[150:153], v2 offset0:97 offset1:98
	s_wait_dscnt 0x1
	v_fmac_f64_e32 v[168:169], v[166:167], v[146:147]
	scratch_load_b128 v[164:167], off, off offset:336
	s_wait_loadcnt 0x5
	v_fmac_f64_e32 v[168:169], v[134:135], v[148:149]
	s_wait_dscnt 0x0
	s_delay_alu instid0(VALU_DEP_1)
	v_fmac_f64_e32 v[168:169], v[136:137], v[150:151]
	scratch_load_b128 v[134:137], off, off offset:352
	s_wait_loadcnt 0x5
	v_fmac_f64_e32 v[168:169], v[160:161], v[152:153]
	ds_load_2addr_b64 v[146:149], v2 offset0:99 offset1:100
	ds_load_2addr_b64 v[150:153], v2 offset0:101 offset1:102
	scratch_load_b128 v[158:161], off, off offset:368
	s_wait_dscnt 0x1
	v_fmac_f64_e32 v[168:169], v[162:163], v[146:147]
	s_wait_loadcnt 0x5
	s_delay_alu instid0(VALU_DEP_1) | instskip(SKIP_1) | instid1(VALU_DEP_1)
	v_fmac_f64_e32 v[168:169], v[138:139], v[148:149]
	s_wait_dscnt 0x0
	v_fmac_f64_e32 v[168:169], v[140:141], v[150:151]
	scratch_load_b128 v[138:141], off, off offset:384
	s_wait_loadcnt 0x5
	v_fmac_f64_e32 v[168:169], v[154:155], v[152:153]
	ds_load_2addr_b64 v[146:149], v2 offset0:103 offset1:104
	ds_load_2addr_b64 v[150:153], v2 offset0:105 offset1:106
	s_wait_dscnt 0x1
	v_fmac_f64_e32 v[168:169], v[156:157], v[146:147]
	scratch_load_b128 v[154:157], off, off offset:400
	s_wait_loadcnt 0x5
	v_fmac_f64_e32 v[168:169], v[142:143], v[148:149]
	s_wait_dscnt 0x0
	s_delay_alu instid0(VALU_DEP_1)
	v_fmac_f64_e32 v[168:169], v[144:145], v[150:151]
	scratch_load_b128 v[142:145], off, off offset:416
	s_wait_loadcnt 0x5
	v_fmac_f64_e32 v[168:169], v[164:165], v[152:153]
	ds_load_2addr_b64 v[146:149], v2 offset0:107 offset1:108
	ds_load_2addr_b64 v[150:153], v2 offset0:109 offset1:110
	s_wait_dscnt 0x1
	v_fmac_f64_e32 v[168:169], v[166:167], v[146:147]
	s_wait_loadcnt 0x4
	s_delay_alu instid0(VALU_DEP_1)
	v_fmac_f64_e32 v[168:169], v[134:135], v[148:149]
	scratch_load_b128 v[146:149], off, off offset:432
	s_wait_dscnt 0x0
	v_fmac_f64_e32 v[168:169], v[136:137], v[150:151]
	scratch_load_b128 v[134:137], off, off offset:448
	s_wait_loadcnt 0x5
	v_fmac_f64_e32 v[168:169], v[158:159], v[152:153]
	ds_load_2addr_b64 v[150:153], v2 offset0:111 offset1:112
	ds_load_2addr_b64 v[162:165], v2 offset0:113 offset1:114
	s_wait_dscnt 0x1
	v_fmac_f64_e32 v[168:169], v[160:161], v[150:151]
	s_wait_loadcnt 0x4
	s_delay_alu instid0(VALU_DEP_1)
	v_fmac_f64_e32 v[168:169], v[138:139], v[152:153]
	scratch_load_b128 v[150:153], off, off offset:464
	s_wait_dscnt 0x0
	v_fmac_f64_e32 v[168:169], v[140:141], v[162:163]
	scratch_load_b128 v[138:141], off, off offset:480
	s_wait_loadcnt 0x5
	v_fmac_f64_e32 v[168:169], v[154:155], v[164:165]
	ds_load_2addr_b64 v[158:161], v2 offset0:115 offset1:116
	ds_load_2addr_b64 v[162:165], v2 offset0:117 offset1:118
	s_wait_dscnt 0x1
	v_fmac_f64_e32 v[168:169], v[156:157], v[158:159]
	scratch_load_b128 v[154:157], off, off offset:496
	s_wait_loadcnt 0x5
	v_fmac_f64_e32 v[168:169], v[142:143], v[160:161]
	s_wait_dscnt 0x0
	s_delay_alu instid0(VALU_DEP_1)
	v_fmac_f64_e32 v[168:169], v[144:145], v[162:163]
	ds_load_2addr_b64 v[142:145], v2 offset0:119 offset1:120
	ds_load_2addr_b64 v[158:161], v2 offset0:121 offset1:122
	s_wait_loadcnt 0x4
	v_fmac_f64_e32 v[168:169], v[146:147], v[164:165]
	s_wait_dscnt 0x1
	s_delay_alu instid0(VALU_DEP_1) | instskip(SKIP_1) | instid1(VALU_DEP_1)
	v_fmac_f64_e32 v[168:169], v[148:149], v[142:143]
	s_wait_loadcnt 0x3
	v_fmac_f64_e32 v[168:169], v[134:135], v[144:145]
	s_wait_dscnt 0x0
	s_delay_alu instid0(VALU_DEP_1)
	v_fmac_f64_e32 v[168:169], v[136:137], v[158:159]
	ds_load_2addr_b64 v[134:137], v2 offset0:123 offset1:124
	ds_load_2addr_b64 v[142:145], v2 offset0:125 offset1:126
	s_wait_loadcnt 0x2
	v_fmac_f64_e32 v[168:169], v[150:151], v[160:161]
	s_wait_dscnt 0x1
	s_delay_alu instid0(VALU_DEP_1) | instskip(SKIP_4) | instid1(VALU_DEP_1)
	v_fmac_f64_e32 v[168:169], v[152:153], v[134:135]
	ds_load_b64 v[134:135], v2 offset:1016
	s_wait_loadcnt 0x1
	v_fmac_f64_e32 v[168:169], v[138:139], v[136:137]
	s_wait_dscnt 0x1
	v_fmac_f64_e32 v[168:169], v[140:141], v[142:143]
	s_wait_loadcnt 0x0
	s_delay_alu instid0(VALU_DEP_1) | instskip(SKIP_1) | instid1(VALU_DEP_1)
	v_fmac_f64_e32 v[168:169], v[154:155], v[144:145]
	s_wait_dscnt 0x0
	v_fmac_f64_e32 v[168:169], v[156:157], v[134:135]
	s_delay_alu instid0(VALU_DEP_1)
	v_add_f64_e64 v[132:133], v[132:133], -v[168:169]
	scratch_store_b64 off, v[132:133], off offset:48
	s_wait_xcnt 0x0
	v_cmpx_lt_u32_e32 5, v0
	s_cbranch_execz .LBB127_383
; %bb.382:
	scratch_load_b64 v[132:133], off, off offset:40
	v_mov_b64_e32 v[134:135], 0
	scratch_store_b64 off, v[134:135], off offset:40
	s_wait_loadcnt 0x0
	ds_store_b64 v1, v[132:133]
.LBB127_383:
	s_wait_xcnt 0x0
	s_or_b32 exec_lo, exec_lo, s0
	s_wait_storecnt_dscnt 0x0
	s_barrier_signal -1
	s_barrier_wait -1
	s_clause 0x5
	scratch_load_b128 v[132:135], off, off offset:40
	scratch_load_b128 v[136:139], off, off offset:56
	;; [unrolled: 1-line block ×6, first 2 shown]
	ds_load_b128 v[156:159], v2 offset:560
	ds_load_b128 v[160:163], v2 offset:576
	scratch_load_b128 v[164:167], off, off offset:136
	s_mov_b32 s0, exec_lo
	s_wait_loadcnt_dscnt 0x601
	v_fma_f64 v[168:169], v[134:135], v[156:157], 0
	s_wait_loadcnt 0x5
	s_delay_alu instid0(VALU_DEP_1) | instskip(SKIP_4) | instid1(VALU_DEP_1)
	v_fmac_f64_e32 v[168:169], v[136:137], v[158:159]
	scratch_load_b128 v[134:137], off, off offset:152
	s_wait_dscnt 0x0
	v_fmac_f64_e32 v[168:169], v[138:139], v[160:161]
	s_wait_loadcnt 0x5
	v_fmac_f64_e32 v[168:169], v[140:141], v[162:163]
	ds_load_b128 v[138:141], v2 offset:592
	ds_load_b128 v[156:159], v2 offset:608
	scratch_load_b128 v[160:163], off, off offset:168
	s_wait_dscnt 0x1
	v_fmac_f64_e32 v[168:169], v[142:143], v[138:139]
	s_wait_loadcnt 0x5
	s_delay_alu instid0(VALU_DEP_1) | instskip(SKIP_4) | instid1(VALU_DEP_1)
	v_fmac_f64_e32 v[168:169], v[144:145], v[140:141]
	scratch_load_b128 v[138:141], off, off offset:184
	s_wait_dscnt 0x0
	v_fmac_f64_e32 v[168:169], v[146:147], v[156:157]
	s_wait_loadcnt 0x5
	v_fmac_f64_e32 v[168:169], v[148:149], v[158:159]
	ds_load_b128 v[142:145], v2 offset:624
	ds_load_b128 v[146:149], v2 offset:640
	scratch_load_b128 v[156:159], off, off offset:200
	s_wait_dscnt 0x1
	v_fmac_f64_e32 v[168:169], v[150:151], v[142:143]
	s_wait_loadcnt 0x5
	s_delay_alu instid0(VALU_DEP_1) | instskip(SKIP_4) | instid1(VALU_DEP_1)
	v_fmac_f64_e32 v[168:169], v[152:153], v[144:145]
	scratch_load_b128 v[142:145], off, off offset:216
	s_wait_dscnt 0x0
	v_fmac_f64_e32 v[168:169], v[154:155], v[146:147]
	s_wait_loadcnt 0x5
	v_fmac_f64_e32 v[168:169], v[164:165], v[148:149]
	ds_load_b128 v[146:149], v2 offset:656
	ds_load_b128 v[150:153], v2 offset:672
	s_wait_dscnt 0x1
	v_fmac_f64_e32 v[168:169], v[166:167], v[146:147]
	scratch_load_b128 v[164:167], off, off offset:232
	s_wait_loadcnt 0x5
	v_fmac_f64_e32 v[168:169], v[134:135], v[148:149]
	s_wait_dscnt 0x0
	s_delay_alu instid0(VALU_DEP_1)
	v_fmac_f64_e32 v[168:169], v[136:137], v[150:151]
	scratch_load_b128 v[134:137], off, off offset:248
	s_wait_loadcnt 0x5
	v_fmac_f64_e32 v[168:169], v[160:161], v[152:153]
	ds_load_b128 v[146:149], v2 offset:688
	ds_load_b128 v[150:153], v2 offset:704
	s_wait_dscnt 0x1
	v_fmac_f64_e32 v[168:169], v[162:163], v[146:147]
	scratch_load_b128 v[160:163], off, off offset:264
	s_wait_loadcnt 0x5
	v_fmac_f64_e32 v[168:169], v[138:139], v[148:149]
	s_wait_dscnt 0x0
	s_delay_alu instid0(VALU_DEP_1)
	v_fmac_f64_e32 v[168:169], v[140:141], v[150:151]
	scratch_load_b128 v[138:141], off, off offset:280
	s_wait_loadcnt 0x5
	v_fmac_f64_e32 v[168:169], v[156:157], v[152:153]
	ds_load_b128 v[146:149], v2 offset:720
	ds_load_b128 v[150:153], v2 offset:736
	scratch_load_b128 v[154:157], off, off offset:296
	s_wait_dscnt 0x1
	v_fmac_f64_e32 v[168:169], v[158:159], v[146:147]
	s_wait_loadcnt 0x5
	s_delay_alu instid0(VALU_DEP_1) | instskip(SKIP_1) | instid1(VALU_DEP_1)
	v_fmac_f64_e32 v[168:169], v[142:143], v[148:149]
	s_wait_dscnt 0x0
	v_fmac_f64_e32 v[168:169], v[144:145], v[150:151]
	scratch_load_b128 v[142:145], off, off offset:312
	s_wait_loadcnt 0x5
	v_fmac_f64_e32 v[168:169], v[164:165], v[152:153]
	ds_load_b128 v[146:149], v2 offset:752
	ds_load_b128 v[150:153], v2 offset:768
	s_wait_dscnt 0x1
	v_fmac_f64_e32 v[168:169], v[166:167], v[146:147]
	scratch_load_b128 v[164:167], off, off offset:328
	s_wait_loadcnt 0x5
	v_fmac_f64_e32 v[168:169], v[134:135], v[148:149]
	s_wait_dscnt 0x0
	s_delay_alu instid0(VALU_DEP_1)
	v_fmac_f64_e32 v[168:169], v[136:137], v[150:151]
	scratch_load_b128 v[134:137], off, off offset:344
	s_wait_loadcnt 0x5
	v_fmac_f64_e32 v[168:169], v[160:161], v[152:153]
	ds_load_b128 v[146:149], v2 offset:784
	ds_load_b128 v[150:153], v2 offset:800
	scratch_load_b128 v[158:161], off, off offset:360
	s_wait_dscnt 0x1
	v_fmac_f64_e32 v[168:169], v[162:163], v[146:147]
	s_wait_loadcnt 0x5
	s_delay_alu instid0(VALU_DEP_1) | instskip(SKIP_1) | instid1(VALU_DEP_1)
	v_fmac_f64_e32 v[168:169], v[138:139], v[148:149]
	s_wait_dscnt 0x0
	;; [unrolled: 26-line block ×3, first 2 shown]
	v_fmac_f64_e32 v[168:169], v[136:137], v[150:151]
	scratch_load_b128 v[134:137], off, off offset:440
	s_wait_loadcnt 0x5
	v_fmac_f64_e32 v[168:169], v[158:159], v[152:153]
	ds_load_b128 v[146:149], v2 offset:880
	ds_load_b128 v[150:153], v2 offset:896
	s_wait_dscnt 0x1
	v_fmac_f64_e32 v[168:169], v[160:161], v[146:147]
	s_wait_loadcnt 0x4
	s_delay_alu instid0(VALU_DEP_1)
	v_fmac_f64_e32 v[168:169], v[138:139], v[148:149]
	scratch_load_b128 v[146:149], off, off offset:456
	s_wait_dscnt 0x0
	v_fmac_f64_e32 v[168:169], v[140:141], v[150:151]
	scratch_load_b128 v[138:141], off, off offset:472
	s_wait_loadcnt 0x5
	v_fmac_f64_e32 v[168:169], v[154:155], v[152:153]
	ds_load_b128 v[150:153], v2 offset:912
	ds_load_b128 v[158:161], v2 offset:928
	s_wait_dscnt 0x1
	v_fmac_f64_e32 v[168:169], v[156:157], v[150:151]
	s_wait_loadcnt 0x4
	s_delay_alu instid0(VALU_DEP_1)
	v_fmac_f64_e32 v[168:169], v[142:143], v[152:153]
	scratch_load_b128 v[150:153], off, off offset:488
	s_wait_dscnt 0x0
	v_fmac_f64_e32 v[168:169], v[144:145], v[158:159]
	scratch_load_b64 v[158:159], off, off offset:504
	ds_load_b128 v[142:145], v2 offset:944
	ds_load_b128 v[154:157], v2 offset:960
	s_wait_loadcnt 0x5
	v_fmac_f64_e32 v[168:169], v[162:163], v[160:161]
	s_wait_dscnt 0x1
	s_delay_alu instid0(VALU_DEP_1) | instskip(SKIP_1) | instid1(VALU_DEP_1)
	v_fmac_f64_e32 v[168:169], v[164:165], v[142:143]
	s_wait_loadcnt 0x4
	v_fmac_f64_e32 v[168:169], v[134:135], v[144:145]
	s_wait_dscnt 0x0
	s_delay_alu instid0(VALU_DEP_1)
	v_fmac_f64_e32 v[168:169], v[136:137], v[154:155]
	ds_load_b128 v[134:137], v2 offset:976
	ds_load_b128 v[142:145], v2 offset:992
	s_wait_loadcnt 0x3
	v_fmac_f64_e32 v[168:169], v[146:147], v[156:157]
	s_wait_dscnt 0x1
	s_delay_alu instid0(VALU_DEP_1) | instskip(SKIP_1) | instid1(VALU_DEP_1)
	v_fmac_f64_e32 v[168:169], v[148:149], v[134:135]
	s_wait_loadcnt 0x2
	v_fmac_f64_e32 v[168:169], v[138:139], v[136:137]
	ds_load_b128 v[134:137], v2 offset:1008
	s_wait_dscnt 0x1
	v_fmac_f64_e32 v[168:169], v[140:141], v[142:143]
	s_wait_loadcnt 0x1
	s_delay_alu instid0(VALU_DEP_1) | instskip(SKIP_1) | instid1(VALU_DEP_1)
	v_fmac_f64_e32 v[168:169], v[150:151], v[144:145]
	s_wait_dscnt 0x0
	v_fmac_f64_e32 v[168:169], v[152:153], v[134:135]
	s_wait_loadcnt 0x0
	s_delay_alu instid0(VALU_DEP_1) | instskip(NEXT) | instid1(VALU_DEP_1)
	v_fmac_f64_e32 v[168:169], v[158:159], v[136:137]
	v_add_f64_e64 v[2:3], v[132:133], -v[168:169]
	scratch_store_b64 off, v[2:3], off offset:40
	s_wait_xcnt 0x0
	v_cmpx_lt_u32_e32 4, v0
	s_cbranch_execz .LBB127_385
; %bb.384:
	scratch_load_b64 v[2:3], off, off offset:32
	v_mov_b64_e32 v[132:133], 0
	scratch_store_b64 off, v[132:133], off offset:32
	s_wait_loadcnt 0x0
	ds_store_b64 v1, v[2:3]
.LBB127_385:
	s_wait_xcnt 0x0
	s_or_b32 exec_lo, exec_lo, s0
	s_wait_storecnt_dscnt 0x0
	s_barrier_signal -1
	s_barrier_wait -1
	s_clause 0x5
	scratch_load_b128 v[132:135], off, off offset:32
	scratch_load_b128 v[136:139], off, off offset:48
	;; [unrolled: 1-line block ×6, first 2 shown]
	v_mov_b32_e32 v2, 0
	ds_load_2addr_b64 v[156:159], v2 offset0:69 offset1:70
	ds_load_2addr_b64 v[160:163], v2 offset0:71 offset1:72
	scratch_load_b128 v[164:167], off, off offset:128
	s_mov_b32 s0, exec_lo
	s_wait_loadcnt_dscnt 0x601
	v_fma_f64 v[168:169], v[134:135], v[156:157], 0
	s_wait_loadcnt 0x5
	s_delay_alu instid0(VALU_DEP_1) | instskip(SKIP_4) | instid1(VALU_DEP_1)
	v_fmac_f64_e32 v[168:169], v[136:137], v[158:159]
	scratch_load_b128 v[134:137], off, off offset:144
	s_wait_dscnt 0x0
	v_fmac_f64_e32 v[168:169], v[138:139], v[160:161]
	s_wait_loadcnt 0x5
	v_fmac_f64_e32 v[168:169], v[140:141], v[162:163]
	ds_load_2addr_b64 v[138:141], v2 offset0:73 offset1:74
	ds_load_2addr_b64 v[156:159], v2 offset0:75 offset1:76
	scratch_load_b128 v[160:163], off, off offset:160
	s_wait_dscnt 0x1
	v_fmac_f64_e32 v[168:169], v[142:143], v[138:139]
	s_wait_loadcnt 0x5
	s_delay_alu instid0(VALU_DEP_1) | instskip(SKIP_4) | instid1(VALU_DEP_1)
	v_fmac_f64_e32 v[168:169], v[144:145], v[140:141]
	scratch_load_b128 v[138:141], off, off offset:176
	s_wait_dscnt 0x0
	v_fmac_f64_e32 v[168:169], v[146:147], v[156:157]
	s_wait_loadcnt 0x5
	v_fmac_f64_e32 v[168:169], v[148:149], v[158:159]
	ds_load_2addr_b64 v[142:145], v2 offset0:77 offset1:78
	ds_load_2addr_b64 v[146:149], v2 offset0:79 offset1:80
	scratch_load_b128 v[156:159], off, off offset:192
	s_wait_dscnt 0x1
	v_fmac_f64_e32 v[168:169], v[150:151], v[142:143]
	s_wait_loadcnt 0x5
	s_delay_alu instid0(VALU_DEP_1) | instskip(SKIP_4) | instid1(VALU_DEP_1)
	v_fmac_f64_e32 v[168:169], v[152:153], v[144:145]
	scratch_load_b128 v[142:145], off, off offset:208
	s_wait_dscnt 0x0
	v_fmac_f64_e32 v[168:169], v[154:155], v[146:147]
	s_wait_loadcnt 0x5
	v_fmac_f64_e32 v[168:169], v[164:165], v[148:149]
	ds_load_2addr_b64 v[146:149], v2 offset0:81 offset1:82
	ds_load_2addr_b64 v[150:153], v2 offset0:83 offset1:84
	s_wait_dscnt 0x1
	v_fmac_f64_e32 v[168:169], v[166:167], v[146:147]
	scratch_load_b128 v[164:167], off, off offset:224
	s_wait_loadcnt 0x5
	v_fmac_f64_e32 v[168:169], v[134:135], v[148:149]
	s_wait_dscnt 0x0
	s_delay_alu instid0(VALU_DEP_1)
	v_fmac_f64_e32 v[168:169], v[136:137], v[150:151]
	scratch_load_b128 v[134:137], off, off offset:240
	s_wait_loadcnt 0x5
	v_fmac_f64_e32 v[168:169], v[160:161], v[152:153]
	ds_load_2addr_b64 v[146:149], v2 offset0:85 offset1:86
	ds_load_2addr_b64 v[150:153], v2 offset0:87 offset1:88
	s_wait_dscnt 0x1
	v_fmac_f64_e32 v[168:169], v[162:163], v[146:147]
	scratch_load_b128 v[160:163], off, off offset:256
	s_wait_loadcnt 0x5
	v_fmac_f64_e32 v[168:169], v[138:139], v[148:149]
	s_wait_dscnt 0x0
	s_delay_alu instid0(VALU_DEP_1)
	v_fmac_f64_e32 v[168:169], v[140:141], v[150:151]
	scratch_load_b128 v[138:141], off, off offset:272
	s_wait_loadcnt 0x5
	v_fmac_f64_e32 v[168:169], v[156:157], v[152:153]
	ds_load_2addr_b64 v[146:149], v2 offset0:89 offset1:90
	ds_load_2addr_b64 v[150:153], v2 offset0:91 offset1:92
	scratch_load_b128 v[154:157], off, off offset:288
	s_wait_dscnt 0x1
	v_fmac_f64_e32 v[168:169], v[158:159], v[146:147]
	s_wait_loadcnt 0x5
	s_delay_alu instid0(VALU_DEP_1) | instskip(SKIP_1) | instid1(VALU_DEP_1)
	v_fmac_f64_e32 v[168:169], v[142:143], v[148:149]
	s_wait_dscnt 0x0
	v_fmac_f64_e32 v[168:169], v[144:145], v[150:151]
	scratch_load_b128 v[142:145], off, off offset:304
	s_wait_loadcnt 0x5
	v_fmac_f64_e32 v[168:169], v[164:165], v[152:153]
	ds_load_2addr_b64 v[146:149], v2 offset0:93 offset1:94
	ds_load_2addr_b64 v[150:153], v2 offset0:95 offset1:96
	s_wait_dscnt 0x1
	v_fmac_f64_e32 v[168:169], v[166:167], v[146:147]
	scratch_load_b128 v[164:167], off, off offset:320
	s_wait_loadcnt 0x5
	v_fmac_f64_e32 v[168:169], v[134:135], v[148:149]
	s_wait_dscnt 0x0
	s_delay_alu instid0(VALU_DEP_1)
	v_fmac_f64_e32 v[168:169], v[136:137], v[150:151]
	scratch_load_b128 v[134:137], off, off offset:336
	s_wait_loadcnt 0x5
	v_fmac_f64_e32 v[168:169], v[160:161], v[152:153]
	ds_load_2addr_b64 v[146:149], v2 offset0:97 offset1:98
	ds_load_2addr_b64 v[150:153], v2 offset0:99 offset1:100
	scratch_load_b128 v[158:161], off, off offset:352
	s_wait_dscnt 0x1
	v_fmac_f64_e32 v[168:169], v[162:163], v[146:147]
	s_wait_loadcnt 0x5
	s_delay_alu instid0(VALU_DEP_1) | instskip(SKIP_1) | instid1(VALU_DEP_1)
	v_fmac_f64_e32 v[168:169], v[138:139], v[148:149]
	s_wait_dscnt 0x0
	;; [unrolled: 26-line block ×3, first 2 shown]
	v_fmac_f64_e32 v[168:169], v[136:137], v[150:151]
	scratch_load_b128 v[134:137], off, off offset:432
	s_wait_loadcnt 0x5
	v_fmac_f64_e32 v[168:169], v[158:159], v[152:153]
	ds_load_2addr_b64 v[146:149], v2 offset0:109 offset1:110
	ds_load_2addr_b64 v[150:153], v2 offset0:111 offset1:112
	s_wait_dscnt 0x1
	v_fmac_f64_e32 v[168:169], v[160:161], v[146:147]
	s_wait_loadcnt 0x4
	s_delay_alu instid0(VALU_DEP_1)
	v_fmac_f64_e32 v[168:169], v[138:139], v[148:149]
	scratch_load_b128 v[146:149], off, off offset:448
	s_wait_dscnt 0x0
	v_fmac_f64_e32 v[168:169], v[140:141], v[150:151]
	scratch_load_b128 v[138:141], off, off offset:464
	s_wait_loadcnt 0x5
	v_fmac_f64_e32 v[168:169], v[154:155], v[152:153]
	ds_load_2addr_b64 v[150:153], v2 offset0:113 offset1:114
	ds_load_2addr_b64 v[158:161], v2 offset0:115 offset1:116
	s_wait_dscnt 0x1
	v_fmac_f64_e32 v[168:169], v[156:157], v[150:151]
	s_wait_loadcnt 0x4
	s_delay_alu instid0(VALU_DEP_1)
	v_fmac_f64_e32 v[168:169], v[142:143], v[152:153]
	scratch_load_b128 v[150:153], off, off offset:480
	s_wait_dscnt 0x0
	v_fmac_f64_e32 v[168:169], v[144:145], v[158:159]
	scratch_load_b128 v[142:145], off, off offset:496
	s_wait_loadcnt 0x5
	v_fmac_f64_e32 v[168:169], v[162:163], v[160:161]
	ds_load_2addr_b64 v[154:157], v2 offset0:117 offset1:118
	ds_load_2addr_b64 v[158:161], v2 offset0:119 offset1:120
	s_wait_dscnt 0x1
	v_fmac_f64_e32 v[168:169], v[164:165], v[154:155]
	s_wait_loadcnt 0x4
	s_delay_alu instid0(VALU_DEP_1) | instskip(SKIP_1) | instid1(VALU_DEP_1)
	v_fmac_f64_e32 v[168:169], v[134:135], v[156:157]
	s_wait_dscnt 0x0
	v_fmac_f64_e32 v[168:169], v[136:137], v[158:159]
	ds_load_2addr_b64 v[134:137], v2 offset0:121 offset1:122
	ds_load_2addr_b64 v[154:157], v2 offset0:123 offset1:124
	s_wait_loadcnt 0x3
	v_fmac_f64_e32 v[168:169], v[146:147], v[160:161]
	s_wait_dscnt 0x1
	s_delay_alu instid0(VALU_DEP_1) | instskip(SKIP_1) | instid1(VALU_DEP_1)
	v_fmac_f64_e32 v[168:169], v[148:149], v[134:135]
	s_wait_loadcnt 0x2
	v_fmac_f64_e32 v[168:169], v[138:139], v[136:137]
	ds_load_2addr_b64 v[134:137], v2 offset0:125 offset1:126
	ds_load_b64 v[138:139], v2 offset:1016
	s_wait_dscnt 0x2
	v_fmac_f64_e32 v[168:169], v[140:141], v[154:155]
	s_wait_loadcnt 0x1
	s_delay_alu instid0(VALU_DEP_1) | instskip(SKIP_1) | instid1(VALU_DEP_1)
	v_fmac_f64_e32 v[168:169], v[150:151], v[156:157]
	s_wait_dscnt 0x1
	v_fmac_f64_e32 v[168:169], v[152:153], v[134:135]
	s_wait_loadcnt 0x0
	s_delay_alu instid0(VALU_DEP_1) | instskip(SKIP_1) | instid1(VALU_DEP_1)
	v_fmac_f64_e32 v[168:169], v[142:143], v[136:137]
	s_wait_dscnt 0x0
	v_fmac_f64_e32 v[168:169], v[144:145], v[138:139]
	s_delay_alu instid0(VALU_DEP_1)
	v_add_f64_e64 v[132:133], v[132:133], -v[168:169]
	scratch_store_b64 off, v[132:133], off offset:32
	s_wait_xcnt 0x0
	v_cmpx_lt_u32_e32 3, v0
	s_cbranch_execz .LBB127_387
; %bb.386:
	scratch_load_b64 v[132:133], off, off offset:24
	v_mov_b64_e32 v[134:135], 0
	scratch_store_b64 off, v[134:135], off offset:24
	s_wait_loadcnt 0x0
	ds_store_b64 v1, v[132:133]
.LBB127_387:
	s_wait_xcnt 0x0
	s_or_b32 exec_lo, exec_lo, s0
	s_wait_storecnt_dscnt 0x0
	s_barrier_signal -1
	s_barrier_wait -1
	s_clause 0x5
	scratch_load_b128 v[132:135], off, off offset:24
	scratch_load_b128 v[136:139], off, off offset:40
	;; [unrolled: 1-line block ×6, first 2 shown]
	ds_load_b128 v[156:159], v2 offset:544
	ds_load_b128 v[160:163], v2 offset:560
	scratch_load_b128 v[164:167], off, off offset:120
	s_mov_b32 s0, exec_lo
	s_wait_loadcnt_dscnt 0x601
	v_fma_f64 v[168:169], v[134:135], v[156:157], 0
	s_wait_loadcnt 0x5
	s_delay_alu instid0(VALU_DEP_1) | instskip(SKIP_4) | instid1(VALU_DEP_1)
	v_fmac_f64_e32 v[168:169], v[136:137], v[158:159]
	scratch_load_b128 v[134:137], off, off offset:136
	s_wait_dscnt 0x0
	v_fmac_f64_e32 v[168:169], v[138:139], v[160:161]
	s_wait_loadcnt 0x5
	v_fmac_f64_e32 v[168:169], v[140:141], v[162:163]
	ds_load_b128 v[138:141], v2 offset:576
	ds_load_b128 v[156:159], v2 offset:592
	scratch_load_b128 v[160:163], off, off offset:152
	s_wait_dscnt 0x1
	v_fmac_f64_e32 v[168:169], v[142:143], v[138:139]
	s_wait_loadcnt 0x5
	s_delay_alu instid0(VALU_DEP_1) | instskip(SKIP_4) | instid1(VALU_DEP_1)
	v_fmac_f64_e32 v[168:169], v[144:145], v[140:141]
	scratch_load_b128 v[138:141], off, off offset:168
	s_wait_dscnt 0x0
	v_fmac_f64_e32 v[168:169], v[146:147], v[156:157]
	s_wait_loadcnt 0x5
	v_fmac_f64_e32 v[168:169], v[148:149], v[158:159]
	ds_load_b128 v[142:145], v2 offset:608
	ds_load_b128 v[146:149], v2 offset:624
	scratch_load_b128 v[156:159], off, off offset:184
	s_wait_dscnt 0x1
	v_fmac_f64_e32 v[168:169], v[150:151], v[142:143]
	s_wait_loadcnt 0x5
	s_delay_alu instid0(VALU_DEP_1) | instskip(SKIP_4) | instid1(VALU_DEP_1)
	v_fmac_f64_e32 v[168:169], v[152:153], v[144:145]
	scratch_load_b128 v[142:145], off, off offset:200
	s_wait_dscnt 0x0
	v_fmac_f64_e32 v[168:169], v[154:155], v[146:147]
	s_wait_loadcnt 0x5
	v_fmac_f64_e32 v[168:169], v[164:165], v[148:149]
	ds_load_b128 v[146:149], v2 offset:640
	ds_load_b128 v[150:153], v2 offset:656
	s_wait_dscnt 0x1
	v_fmac_f64_e32 v[168:169], v[166:167], v[146:147]
	scratch_load_b128 v[164:167], off, off offset:216
	s_wait_loadcnt 0x5
	v_fmac_f64_e32 v[168:169], v[134:135], v[148:149]
	s_wait_dscnt 0x0
	s_delay_alu instid0(VALU_DEP_1)
	v_fmac_f64_e32 v[168:169], v[136:137], v[150:151]
	scratch_load_b128 v[134:137], off, off offset:232
	s_wait_loadcnt 0x5
	v_fmac_f64_e32 v[168:169], v[160:161], v[152:153]
	ds_load_b128 v[146:149], v2 offset:672
	ds_load_b128 v[150:153], v2 offset:688
	s_wait_dscnt 0x1
	v_fmac_f64_e32 v[168:169], v[162:163], v[146:147]
	scratch_load_b128 v[160:163], off, off offset:248
	s_wait_loadcnt 0x5
	v_fmac_f64_e32 v[168:169], v[138:139], v[148:149]
	s_wait_dscnt 0x0
	s_delay_alu instid0(VALU_DEP_1)
	v_fmac_f64_e32 v[168:169], v[140:141], v[150:151]
	scratch_load_b128 v[138:141], off, off offset:264
	s_wait_loadcnt 0x5
	v_fmac_f64_e32 v[168:169], v[156:157], v[152:153]
	ds_load_b128 v[146:149], v2 offset:704
	ds_load_b128 v[150:153], v2 offset:720
	scratch_load_b128 v[154:157], off, off offset:280
	s_wait_dscnt 0x1
	v_fmac_f64_e32 v[168:169], v[158:159], v[146:147]
	s_wait_loadcnt 0x5
	s_delay_alu instid0(VALU_DEP_1) | instskip(SKIP_1) | instid1(VALU_DEP_1)
	v_fmac_f64_e32 v[168:169], v[142:143], v[148:149]
	s_wait_dscnt 0x0
	v_fmac_f64_e32 v[168:169], v[144:145], v[150:151]
	scratch_load_b128 v[142:145], off, off offset:296
	s_wait_loadcnt 0x5
	v_fmac_f64_e32 v[168:169], v[164:165], v[152:153]
	ds_load_b128 v[146:149], v2 offset:736
	ds_load_b128 v[150:153], v2 offset:752
	s_wait_dscnt 0x1
	v_fmac_f64_e32 v[168:169], v[166:167], v[146:147]
	scratch_load_b128 v[164:167], off, off offset:312
	s_wait_loadcnt 0x5
	v_fmac_f64_e32 v[168:169], v[134:135], v[148:149]
	s_wait_dscnt 0x0
	s_delay_alu instid0(VALU_DEP_1)
	v_fmac_f64_e32 v[168:169], v[136:137], v[150:151]
	scratch_load_b128 v[134:137], off, off offset:328
	s_wait_loadcnt 0x5
	v_fmac_f64_e32 v[168:169], v[160:161], v[152:153]
	ds_load_b128 v[146:149], v2 offset:768
	ds_load_b128 v[150:153], v2 offset:784
	scratch_load_b128 v[158:161], off, off offset:344
	s_wait_dscnt 0x1
	v_fmac_f64_e32 v[168:169], v[162:163], v[146:147]
	s_wait_loadcnt 0x5
	s_delay_alu instid0(VALU_DEP_1) | instskip(SKIP_1) | instid1(VALU_DEP_1)
	v_fmac_f64_e32 v[168:169], v[138:139], v[148:149]
	s_wait_dscnt 0x0
	;; [unrolled: 26-line block ×3, first 2 shown]
	v_fmac_f64_e32 v[168:169], v[136:137], v[150:151]
	scratch_load_b128 v[134:137], off, off offset:424
	s_wait_loadcnt 0x5
	v_fmac_f64_e32 v[168:169], v[158:159], v[152:153]
	ds_load_b128 v[146:149], v2 offset:864
	ds_load_b128 v[150:153], v2 offset:880
	s_wait_dscnt 0x1
	v_fmac_f64_e32 v[168:169], v[160:161], v[146:147]
	s_wait_loadcnt 0x4
	s_delay_alu instid0(VALU_DEP_1)
	v_fmac_f64_e32 v[168:169], v[138:139], v[148:149]
	scratch_load_b128 v[146:149], off, off offset:440
	s_wait_dscnt 0x0
	v_fmac_f64_e32 v[168:169], v[140:141], v[150:151]
	scratch_load_b128 v[138:141], off, off offset:456
	s_wait_loadcnt 0x5
	v_fmac_f64_e32 v[168:169], v[154:155], v[152:153]
	ds_load_b128 v[150:153], v2 offset:896
	ds_load_b128 v[158:161], v2 offset:912
	s_wait_dscnt 0x1
	v_fmac_f64_e32 v[168:169], v[156:157], v[150:151]
	s_wait_loadcnt 0x4
	s_delay_alu instid0(VALU_DEP_1)
	v_fmac_f64_e32 v[168:169], v[142:143], v[152:153]
	scratch_load_b128 v[150:153], off, off offset:472
	s_wait_dscnt 0x0
	v_fmac_f64_e32 v[168:169], v[144:145], v[158:159]
	scratch_load_b128 v[142:145], off, off offset:488
	s_wait_loadcnt 0x5
	v_fmac_f64_e32 v[168:169], v[162:163], v[160:161]
	ds_load_b128 v[154:157], v2 offset:928
	ds_load_b128 v[158:161], v2 offset:944
	scratch_load_b64 v[162:163], off, off offset:504
	s_wait_dscnt 0x1
	v_fmac_f64_e32 v[168:169], v[164:165], v[154:155]
	s_wait_loadcnt 0x5
	s_delay_alu instid0(VALU_DEP_1) | instskip(SKIP_1) | instid1(VALU_DEP_1)
	v_fmac_f64_e32 v[168:169], v[134:135], v[156:157]
	s_wait_dscnt 0x0
	v_fmac_f64_e32 v[168:169], v[136:137], v[158:159]
	ds_load_b128 v[134:137], v2 offset:960
	ds_load_b128 v[154:157], v2 offset:976
	s_wait_loadcnt 0x4
	v_fmac_f64_e32 v[168:169], v[146:147], v[160:161]
	s_wait_dscnt 0x1
	s_delay_alu instid0(VALU_DEP_1) | instskip(SKIP_1) | instid1(VALU_DEP_1)
	v_fmac_f64_e32 v[168:169], v[148:149], v[134:135]
	s_wait_loadcnt 0x3
	v_fmac_f64_e32 v[168:169], v[138:139], v[136:137]
	s_wait_dscnt 0x0
	s_delay_alu instid0(VALU_DEP_1)
	v_fmac_f64_e32 v[168:169], v[140:141], v[154:155]
	ds_load_b128 v[134:137], v2 offset:992
	ds_load_b128 v[138:141], v2 offset:1008
	s_wait_loadcnt 0x2
	v_fmac_f64_e32 v[168:169], v[150:151], v[156:157]
	s_wait_dscnt 0x1
	s_delay_alu instid0(VALU_DEP_1) | instskip(SKIP_1) | instid1(VALU_DEP_1)
	v_fmac_f64_e32 v[168:169], v[152:153], v[134:135]
	s_wait_loadcnt 0x1
	v_fmac_f64_e32 v[168:169], v[142:143], v[136:137]
	s_wait_dscnt 0x0
	s_delay_alu instid0(VALU_DEP_1) | instskip(SKIP_1) | instid1(VALU_DEP_1)
	v_fmac_f64_e32 v[168:169], v[144:145], v[138:139]
	s_wait_loadcnt 0x0
	v_fmac_f64_e32 v[168:169], v[162:163], v[140:141]
	s_delay_alu instid0(VALU_DEP_1)
	v_add_f64_e64 v[2:3], v[132:133], -v[168:169]
	scratch_store_b64 off, v[2:3], off offset:24
	s_wait_xcnt 0x0
	v_cmpx_lt_u32_e32 2, v0
	s_cbranch_execz .LBB127_389
; %bb.388:
	scratch_load_b64 v[2:3], off, off offset:16
	v_mov_b64_e32 v[132:133], 0
	scratch_store_b64 off, v[132:133], off offset:16
	s_wait_loadcnt 0x0
	ds_store_b64 v1, v[2:3]
.LBB127_389:
	s_wait_xcnt 0x0
	s_or_b32 exec_lo, exec_lo, s0
	s_wait_storecnt_dscnt 0x0
	s_barrier_signal -1
	s_barrier_wait -1
	s_clause 0x5
	scratch_load_b128 v[132:135], off, off offset:16
	scratch_load_b128 v[136:139], off, off offset:32
	;; [unrolled: 1-line block ×6, first 2 shown]
	v_mov_b32_e32 v2, 0
	ds_load_2addr_b64 v[156:159], v2 offset0:67 offset1:68
	ds_load_2addr_b64 v[160:163], v2 offset0:69 offset1:70
	scratch_load_b128 v[164:167], off, off offset:112
	s_mov_b32 s0, exec_lo
	s_wait_loadcnt_dscnt 0x601
	v_fma_f64 v[168:169], v[134:135], v[156:157], 0
	s_wait_loadcnt 0x5
	s_delay_alu instid0(VALU_DEP_1) | instskip(SKIP_4) | instid1(VALU_DEP_1)
	v_fmac_f64_e32 v[168:169], v[136:137], v[158:159]
	scratch_load_b128 v[134:137], off, off offset:128
	s_wait_dscnt 0x0
	v_fmac_f64_e32 v[168:169], v[138:139], v[160:161]
	s_wait_loadcnt 0x5
	v_fmac_f64_e32 v[168:169], v[140:141], v[162:163]
	ds_load_2addr_b64 v[138:141], v2 offset0:71 offset1:72
	ds_load_2addr_b64 v[156:159], v2 offset0:73 offset1:74
	scratch_load_b128 v[160:163], off, off offset:144
	s_wait_dscnt 0x1
	v_fmac_f64_e32 v[168:169], v[142:143], v[138:139]
	s_wait_loadcnt 0x5
	s_delay_alu instid0(VALU_DEP_1) | instskip(SKIP_4) | instid1(VALU_DEP_1)
	v_fmac_f64_e32 v[168:169], v[144:145], v[140:141]
	scratch_load_b128 v[138:141], off, off offset:160
	s_wait_dscnt 0x0
	v_fmac_f64_e32 v[168:169], v[146:147], v[156:157]
	s_wait_loadcnt 0x5
	v_fmac_f64_e32 v[168:169], v[148:149], v[158:159]
	ds_load_2addr_b64 v[142:145], v2 offset0:75 offset1:76
	ds_load_2addr_b64 v[146:149], v2 offset0:77 offset1:78
	scratch_load_b128 v[156:159], off, off offset:176
	s_wait_dscnt 0x1
	v_fmac_f64_e32 v[168:169], v[150:151], v[142:143]
	s_wait_loadcnt 0x5
	s_delay_alu instid0(VALU_DEP_1) | instskip(SKIP_4) | instid1(VALU_DEP_1)
	v_fmac_f64_e32 v[168:169], v[152:153], v[144:145]
	scratch_load_b128 v[142:145], off, off offset:192
	s_wait_dscnt 0x0
	v_fmac_f64_e32 v[168:169], v[154:155], v[146:147]
	s_wait_loadcnt 0x5
	v_fmac_f64_e32 v[168:169], v[164:165], v[148:149]
	ds_load_2addr_b64 v[146:149], v2 offset0:79 offset1:80
	ds_load_2addr_b64 v[150:153], v2 offset0:81 offset1:82
	s_wait_dscnt 0x1
	v_fmac_f64_e32 v[168:169], v[166:167], v[146:147]
	scratch_load_b128 v[164:167], off, off offset:208
	s_wait_loadcnt 0x5
	v_fmac_f64_e32 v[168:169], v[134:135], v[148:149]
	s_wait_dscnt 0x0
	s_delay_alu instid0(VALU_DEP_1)
	v_fmac_f64_e32 v[168:169], v[136:137], v[150:151]
	scratch_load_b128 v[134:137], off, off offset:224
	s_wait_loadcnt 0x5
	v_fmac_f64_e32 v[168:169], v[160:161], v[152:153]
	ds_load_2addr_b64 v[146:149], v2 offset0:83 offset1:84
	ds_load_2addr_b64 v[150:153], v2 offset0:85 offset1:86
	s_wait_dscnt 0x1
	v_fmac_f64_e32 v[168:169], v[162:163], v[146:147]
	scratch_load_b128 v[160:163], off, off offset:240
	s_wait_loadcnt 0x5
	v_fmac_f64_e32 v[168:169], v[138:139], v[148:149]
	s_wait_dscnt 0x0
	s_delay_alu instid0(VALU_DEP_1)
	v_fmac_f64_e32 v[168:169], v[140:141], v[150:151]
	scratch_load_b128 v[138:141], off, off offset:256
	s_wait_loadcnt 0x5
	v_fmac_f64_e32 v[168:169], v[156:157], v[152:153]
	ds_load_2addr_b64 v[146:149], v2 offset0:87 offset1:88
	ds_load_2addr_b64 v[150:153], v2 offset0:89 offset1:90
	scratch_load_b128 v[154:157], off, off offset:272
	s_wait_dscnt 0x1
	v_fmac_f64_e32 v[168:169], v[158:159], v[146:147]
	s_wait_loadcnt 0x5
	s_delay_alu instid0(VALU_DEP_1) | instskip(SKIP_1) | instid1(VALU_DEP_1)
	v_fmac_f64_e32 v[168:169], v[142:143], v[148:149]
	s_wait_dscnt 0x0
	v_fmac_f64_e32 v[168:169], v[144:145], v[150:151]
	scratch_load_b128 v[142:145], off, off offset:288
	s_wait_loadcnt 0x5
	v_fmac_f64_e32 v[168:169], v[164:165], v[152:153]
	ds_load_2addr_b64 v[146:149], v2 offset0:91 offset1:92
	ds_load_2addr_b64 v[150:153], v2 offset0:93 offset1:94
	s_wait_dscnt 0x1
	v_fmac_f64_e32 v[168:169], v[166:167], v[146:147]
	scratch_load_b128 v[164:167], off, off offset:304
	s_wait_loadcnt 0x5
	v_fmac_f64_e32 v[168:169], v[134:135], v[148:149]
	s_wait_dscnt 0x0
	s_delay_alu instid0(VALU_DEP_1)
	v_fmac_f64_e32 v[168:169], v[136:137], v[150:151]
	scratch_load_b128 v[134:137], off, off offset:320
	s_wait_loadcnt 0x5
	v_fmac_f64_e32 v[168:169], v[160:161], v[152:153]
	ds_load_2addr_b64 v[146:149], v2 offset0:95 offset1:96
	ds_load_2addr_b64 v[150:153], v2 offset0:97 offset1:98
	scratch_load_b128 v[158:161], off, off offset:336
	s_wait_dscnt 0x1
	v_fmac_f64_e32 v[168:169], v[162:163], v[146:147]
	s_wait_loadcnt 0x5
	s_delay_alu instid0(VALU_DEP_1) | instskip(SKIP_1) | instid1(VALU_DEP_1)
	v_fmac_f64_e32 v[168:169], v[138:139], v[148:149]
	s_wait_dscnt 0x0
	v_fmac_f64_e32 v[168:169], v[140:141], v[150:151]
	scratch_load_b128 v[138:141], off, off offset:352
	s_wait_loadcnt 0x5
	v_fmac_f64_e32 v[168:169], v[154:155], v[152:153]
	ds_load_2addr_b64 v[146:149], v2 offset0:99 offset1:100
	ds_load_2addr_b64 v[150:153], v2 offset0:101 offset1:102
	s_wait_dscnt 0x1
	v_fmac_f64_e32 v[168:169], v[156:157], v[146:147]
	scratch_load_b128 v[154:157], off, off offset:368
	s_wait_loadcnt 0x5
	v_fmac_f64_e32 v[168:169], v[142:143], v[148:149]
	s_wait_dscnt 0x0
	s_delay_alu instid0(VALU_DEP_1)
	v_fmac_f64_e32 v[168:169], v[144:145], v[150:151]
	scratch_load_b128 v[142:145], off, off offset:384
	s_wait_loadcnt 0x5
	v_fmac_f64_e32 v[168:169], v[164:165], v[152:153]
	ds_load_2addr_b64 v[146:149], v2 offset0:103 offset1:104
	ds_load_2addr_b64 v[150:153], v2 offset0:105 offset1:106
	scratch_load_b128 v[162:165], off, off offset:400
	s_wait_dscnt 0x1
	v_fmac_f64_e32 v[168:169], v[166:167], v[146:147]
	s_wait_loadcnt 0x5
	s_delay_alu instid0(VALU_DEP_1) | instskip(SKIP_1) | instid1(VALU_DEP_1)
	v_fmac_f64_e32 v[168:169], v[134:135], v[148:149]
	s_wait_dscnt 0x0
	v_fmac_f64_e32 v[168:169], v[136:137], v[150:151]
	scratch_load_b128 v[134:137], off, off offset:416
	s_wait_loadcnt 0x5
	v_fmac_f64_e32 v[168:169], v[158:159], v[152:153]
	ds_load_2addr_b64 v[146:149], v2 offset0:107 offset1:108
	ds_load_2addr_b64 v[150:153], v2 offset0:109 offset1:110
	s_wait_dscnt 0x1
	v_fmac_f64_e32 v[168:169], v[160:161], v[146:147]
	s_wait_loadcnt 0x4
	s_delay_alu instid0(VALU_DEP_1)
	v_fmac_f64_e32 v[168:169], v[138:139], v[148:149]
	scratch_load_b128 v[146:149], off, off offset:432
	s_wait_dscnt 0x0
	v_fmac_f64_e32 v[168:169], v[140:141], v[150:151]
	scratch_load_b128 v[138:141], off, off offset:448
	s_wait_loadcnt 0x5
	v_fmac_f64_e32 v[168:169], v[154:155], v[152:153]
	ds_load_2addr_b64 v[150:153], v2 offset0:111 offset1:112
	ds_load_2addr_b64 v[158:161], v2 offset0:113 offset1:114
	s_wait_dscnt 0x1
	v_fmac_f64_e32 v[168:169], v[156:157], v[150:151]
	s_wait_loadcnt 0x4
	s_delay_alu instid0(VALU_DEP_1)
	v_fmac_f64_e32 v[168:169], v[142:143], v[152:153]
	scratch_load_b128 v[150:153], off, off offset:464
	s_wait_dscnt 0x0
	v_fmac_f64_e32 v[168:169], v[144:145], v[158:159]
	scratch_load_b128 v[142:145], off, off offset:480
	s_wait_loadcnt 0x5
	v_fmac_f64_e32 v[168:169], v[162:163], v[160:161]
	ds_load_2addr_b64 v[154:157], v2 offset0:115 offset1:116
	ds_load_2addr_b64 v[158:161], v2 offset0:117 offset1:118
	s_wait_dscnt 0x1
	v_fmac_f64_e32 v[168:169], v[164:165], v[154:155]
	s_wait_loadcnt 0x4
	s_delay_alu instid0(VALU_DEP_1) | instskip(SKIP_4) | instid1(VALU_DEP_1)
	v_fmac_f64_e32 v[168:169], v[134:135], v[156:157]
	scratch_load_b128 v[154:157], off, off offset:496
	s_wait_dscnt 0x0
	v_fmac_f64_e32 v[168:169], v[136:137], v[158:159]
	s_wait_loadcnt 0x4
	v_fmac_f64_e32 v[168:169], v[146:147], v[160:161]
	ds_load_2addr_b64 v[134:137], v2 offset0:119 offset1:120
	ds_load_2addr_b64 v[158:161], v2 offset0:121 offset1:122
	s_wait_dscnt 0x1
	v_fmac_f64_e32 v[168:169], v[148:149], v[134:135]
	s_wait_loadcnt 0x3
	s_delay_alu instid0(VALU_DEP_1) | instskip(SKIP_1) | instid1(VALU_DEP_1)
	v_fmac_f64_e32 v[168:169], v[138:139], v[136:137]
	s_wait_dscnt 0x0
	v_fmac_f64_e32 v[168:169], v[140:141], v[158:159]
	ds_load_2addr_b64 v[134:137], v2 offset0:123 offset1:124
	ds_load_2addr_b64 v[138:141], v2 offset0:125 offset1:126
	s_wait_loadcnt 0x2
	v_fmac_f64_e32 v[168:169], v[150:151], v[160:161]
	s_wait_dscnt 0x1
	s_delay_alu instid0(VALU_DEP_1) | instskip(SKIP_4) | instid1(VALU_DEP_1)
	v_fmac_f64_e32 v[168:169], v[152:153], v[134:135]
	ds_load_b64 v[134:135], v2 offset:1016
	s_wait_loadcnt 0x1
	v_fmac_f64_e32 v[168:169], v[142:143], v[136:137]
	s_wait_dscnt 0x1
	v_fmac_f64_e32 v[168:169], v[144:145], v[138:139]
	s_wait_loadcnt 0x0
	s_delay_alu instid0(VALU_DEP_1) | instskip(SKIP_1) | instid1(VALU_DEP_1)
	v_fmac_f64_e32 v[168:169], v[154:155], v[140:141]
	s_wait_dscnt 0x0
	v_fmac_f64_e32 v[168:169], v[156:157], v[134:135]
	s_delay_alu instid0(VALU_DEP_1)
	v_add_f64_e64 v[132:133], v[132:133], -v[168:169]
	scratch_store_b64 off, v[132:133], off offset:16
	s_wait_xcnt 0x0
	v_cmpx_lt_u32_e32 1, v0
	s_cbranch_execz .LBB127_391
; %bb.390:
	scratch_load_b64 v[132:133], off, off offset:8
	v_mov_b64_e32 v[134:135], 0
	scratch_store_b64 off, v[134:135], off offset:8
	s_wait_loadcnt 0x0
	ds_store_b64 v1, v[132:133]
.LBB127_391:
	s_wait_xcnt 0x0
	s_or_b32 exec_lo, exec_lo, s0
	s_wait_storecnt_dscnt 0x0
	s_barrier_signal -1
	s_barrier_wait -1
	s_clause 0x3
	scratch_load_b128 v[132:135], off, off offset:8
	scratch_load_b128 v[136:139], off, off offset:24
	;; [unrolled: 1-line block ×4, first 2 shown]
	ds_load_b128 v[148:151], v2 offset:528
	ds_load_b128 v[152:155], v2 offset:544
	scratch_load_b128 v[156:159], off, off offset:72
	v_dual_ashrrev_i32 v9, 31, v8 :: v_dual_ashrrev_i32 v11, 31, v10
	v_dual_ashrrev_i32 v13, 31, v12 :: v_dual_ashrrev_i32 v15, 31, v14
	;; [unrolled: 1-line block ×30, first 2 shown]
	v_ashrrev_i32_e32 v129, 31, v128
	s_mov_b32 s0, exec_lo
	v_ashrrev_i32_e32 v83, 31, v82
	s_wait_loadcnt_dscnt 0x401
	v_fma_f64 v[160:161], v[134:135], v[148:149], 0
	s_wait_loadcnt 0x3
	s_delay_alu instid0(VALU_DEP_1) | instskip(SKIP_4) | instid1(VALU_DEP_1)
	v_fmac_f64_e32 v[160:161], v[136:137], v[150:151]
	scratch_load_b128 v[134:137], off, off offset:88
	s_wait_dscnt 0x0
	v_fmac_f64_e32 v[160:161], v[138:139], v[152:153]
	s_wait_loadcnt 0x3
	v_fmac_f64_e32 v[160:161], v[140:141], v[154:155]
	ds_load_b128 v[138:141], v2 offset:560
	ds_load_b128 v[148:151], v2 offset:576
	scratch_load_b128 v[152:155], off, off offset:104
	s_wait_dscnt 0x1
	v_fmac_f64_e32 v[160:161], v[142:143], v[138:139]
	s_wait_loadcnt 0x3
	s_delay_alu instid0(VALU_DEP_1)
	v_fmac_f64_e32 v[160:161], v[144:145], v[140:141]
	scratch_load_b128 v[138:141], off, off offset:120
	s_wait_dscnt 0x0
	v_fmac_f64_e32 v[160:161], v[146:147], v[148:149]
	ds_load_b128 v[142:145], v2 offset:592
	ds_load_b128 v[146:149], v2 offset:608
	s_wait_loadcnt 0x3
	v_fmac_f64_e32 v[160:161], v[156:157], v[150:151]
	s_wait_dscnt 0x1
	s_delay_alu instid0(VALU_DEP_1) | instskip(SKIP_4) | instid1(VALU_DEP_1)
	v_fmac_f64_e32 v[160:161], v[158:159], v[142:143]
	scratch_load_b128 v[156:159], off, off offset:136
	s_wait_loadcnt 0x3
	v_fmac_f64_e32 v[160:161], v[134:135], v[144:145]
	s_wait_dscnt 0x0
	v_fmac_f64_e32 v[160:161], v[136:137], v[146:147]
	scratch_load_b128 v[134:137], off, off offset:152
	s_wait_loadcnt 0x3
	v_fmac_f64_e32 v[160:161], v[152:153], v[148:149]
	ds_load_b128 v[142:145], v2 offset:624
	ds_load_b128 v[146:149], v2 offset:640
	scratch_load_b128 v[150:153], off, off offset:168
	s_wait_dscnt 0x1
	v_fmac_f64_e32 v[160:161], v[154:155], v[142:143]
	s_wait_loadcnt 0x3
	s_delay_alu instid0(VALU_DEP_1) | instskip(SKIP_1) | instid1(VALU_DEP_1)
	v_fmac_f64_e32 v[160:161], v[138:139], v[144:145]
	s_wait_dscnt 0x0
	v_fmac_f64_e32 v[160:161], v[140:141], v[146:147]
	scratch_load_b128 v[138:141], off, off offset:184
	s_wait_loadcnt 0x3
	v_fmac_f64_e32 v[160:161], v[156:157], v[148:149]
	ds_load_b128 v[142:145], v2 offset:656
	ds_load_b128 v[146:149], v2 offset:672
	scratch_load_b128 v[154:157], off, off offset:200
	s_wait_dscnt 0x1
	v_fmac_f64_e32 v[160:161], v[158:159], v[142:143]
	s_wait_loadcnt 0x3
	s_delay_alu instid0(VALU_DEP_1) | instskip(SKIP_1) | instid1(VALU_DEP_1)
	v_fmac_f64_e32 v[160:161], v[134:135], v[144:145]
	s_wait_dscnt 0x0
	v_fmac_f64_e32 v[160:161], v[136:137], v[146:147]
	scratch_load_b128 v[134:137], off, off offset:216
	s_wait_loadcnt 0x3
	v_fmac_f64_e32 v[160:161], v[150:151], v[148:149]
	ds_load_b128 v[142:145], v2 offset:688
	ds_load_b128 v[146:149], v2 offset:704
	s_wait_dscnt 0x1
	v_fmac_f64_e32 v[160:161], v[152:153], v[142:143]
	scratch_load_b128 v[150:153], off, off offset:232
	s_wait_loadcnt 0x3
	v_fmac_f64_e32 v[160:161], v[138:139], v[144:145]
	s_wait_dscnt 0x0
	s_delay_alu instid0(VALU_DEP_1)
	v_fmac_f64_e32 v[160:161], v[140:141], v[146:147]
	scratch_load_b128 v[138:141], off, off offset:248
	s_wait_loadcnt 0x3
	v_fmac_f64_e32 v[160:161], v[154:155], v[148:149]
	ds_load_b128 v[142:145], v2 offset:720
	ds_load_b128 v[146:149], v2 offset:736
	s_wait_dscnt 0x1
	v_fmac_f64_e32 v[160:161], v[156:157], v[142:143]
	scratch_load_b128 v[154:157], off, off offset:264
	s_wait_loadcnt 0x3
	v_fmac_f64_e32 v[160:161], v[134:135], v[144:145]
	s_wait_dscnt 0x0
	s_delay_alu instid0(VALU_DEP_1)
	v_fmac_f64_e32 v[160:161], v[136:137], v[146:147]
	scratch_load_b128 v[134:137], off, off offset:280
	s_wait_loadcnt 0x3
	v_fmac_f64_e32 v[160:161], v[150:151], v[148:149]
	ds_load_b128 v[142:145], v2 offset:752
	ds_load_b128 v[146:149], v2 offset:768
	s_wait_dscnt 0x1
	v_fmac_f64_e32 v[160:161], v[152:153], v[142:143]
	scratch_load_b128 v[150:153], off, off offset:296
	s_wait_loadcnt 0x3
	v_fmac_f64_e32 v[160:161], v[138:139], v[144:145]
	scratch_load_b128 v[142:145], off, off offset:312
	s_wait_dscnt 0x0
	v_fmac_f64_e32 v[160:161], v[140:141], v[146:147]
	s_wait_loadcnt 0x3
	s_delay_alu instid0(VALU_DEP_1)
	v_fmac_f64_e32 v[160:161], v[154:155], v[148:149]
	ds_load_b128 v[138:141], v2 offset:784
	ds_load_b128 v[146:149], v2 offset:800
	s_wait_dscnt 0x1
	v_fmac_f64_e32 v[160:161], v[156:157], v[138:139]
	scratch_load_b128 v[154:157], off, off offset:328
	s_wait_loadcnt 0x3
	v_fmac_f64_e32 v[160:161], v[134:135], v[140:141]
	s_wait_dscnt 0x0
	s_delay_alu instid0(VALU_DEP_1)
	v_fmac_f64_e32 v[160:161], v[136:137], v[146:147]
	scratch_load_b128 v[134:137], off, off offset:344
	s_wait_loadcnt 0x3
	v_fmac_f64_e32 v[160:161], v[150:151], v[148:149]
	ds_load_b128 v[138:141], v2 offset:816
	ds_load_b128 v[146:149], v2 offset:832
	s_wait_dscnt 0x1
	v_fmac_f64_e32 v[160:161], v[152:153], v[138:139]
	scratch_load_b128 v[150:153], off, off offset:360
	s_wait_loadcnt 0x3
	v_fmac_f64_e32 v[160:161], v[142:143], v[140:141]
	scratch_load_b128 v[138:141], off, off offset:376
	s_wait_dscnt 0x0
	v_fmac_f64_e32 v[160:161], v[144:145], v[146:147]
	s_wait_loadcnt 0x3
	s_delay_alu instid0(VALU_DEP_1)
	;; [unrolled: 26-line block ×3, first 2 shown]
	v_fmac_f64_e32 v[160:161], v[154:155], v[148:149]
	ds_load_b128 v[138:141], v2 offset:912
	ds_load_b128 v[146:149], v2 offset:928
	s_wait_dscnt 0x1
	v_fmac_f64_e32 v[160:161], v[156:157], v[138:139]
	scratch_load_b128 v[154:157], off, off offset:456
	s_wait_loadcnt 0x3
	v_fmac_f64_e32 v[160:161], v[134:135], v[140:141]
	s_wait_dscnt 0x0
	s_delay_alu instid0(VALU_DEP_1)
	v_fmac_f64_e32 v[160:161], v[136:137], v[146:147]
	scratch_load_b128 v[134:137], off, off offset:472
	s_wait_loadcnt 0x3
	v_fmac_f64_e32 v[160:161], v[150:151], v[148:149]
	ds_load_b128 v[138:141], v2 offset:944
	ds_load_b128 v[146:149], v2 offset:960
	scratch_load_b64 v[158:159], off, off offset:504
	s_wait_dscnt 0x1
	v_fmac_f64_e32 v[160:161], v[152:153], v[138:139]
	scratch_load_b128 v[150:153], off, off offset:488
	s_wait_loadcnt 0x4
	v_fmac_f64_e32 v[160:161], v[142:143], v[140:141]
	s_wait_dscnt 0x0
	s_delay_alu instid0(VALU_DEP_1)
	v_fmac_f64_e32 v[160:161], v[144:145], v[146:147]
	ds_load_b128 v[138:141], v2 offset:976
	ds_load_b128 v[142:145], v2 offset:992
	s_wait_loadcnt 0x3
	v_fmac_f64_e32 v[160:161], v[154:155], v[148:149]
	s_wait_dscnt 0x1
	s_delay_alu instid0(VALU_DEP_1) | instskip(SKIP_1) | instid1(VALU_DEP_1)
	v_fmac_f64_e32 v[160:161], v[156:157], v[138:139]
	s_wait_loadcnt 0x2
	v_fmac_f64_e32 v[160:161], v[134:135], v[140:141]
	s_wait_dscnt 0x0
	s_delay_alu instid0(VALU_DEP_1) | instskip(SKIP_4) | instid1(VALU_DEP_1)
	v_fmac_f64_e32 v[160:161], v[136:137], v[142:143]
	ds_load_b128 v[134:137], v2 offset:1008
	s_wait_loadcnt 0x0
	v_fmac_f64_e32 v[160:161], v[150:151], v[144:145]
	s_wait_dscnt 0x0
	v_fmac_f64_e32 v[160:161], v[152:153], v[134:135]
	s_delay_alu instid0(VALU_DEP_1) | instskip(NEXT) | instid1(VALU_DEP_1)
	v_fmac_f64_e32 v[160:161], v[158:159], v[136:137]
	v_add_f64_e64 v[2:3], v[132:133], -v[160:161]
	scratch_store_b64 off, v[2:3], off offset:8
	s_wait_xcnt 0x0
	v_cmpx_ne_u32_e32 0, v0
	s_cbranch_execz .LBB127_393
; %bb.392:
	scratch_load_b64 v[2:3], off, off
	v_mov_b64_e32 v[132:133], 0
	scratch_store_b64 off, v[132:133], off
	s_wait_loadcnt 0x0
	ds_store_b64 v1, v[2:3]
.LBB127_393:
	s_wait_xcnt 0x0
	s_or_b32 exec_lo, exec_lo, s0
	s_wait_storecnt_dscnt 0x0
	s_barrier_signal -1
	s_barrier_wait -1
	s_clause 0x5
	scratch_load_b128 v[134:137], off, off
	scratch_load_b128 v[0:3], off, off offset:16
	scratch_load_b128 v[138:141], off, off offset:32
	;; [unrolled: 1-line block ×5, first 2 shown]
	v_mov_b32_e32 v132, 0
	scratch_load_b128 v[158:161], off, off offset:96
	s_and_b32 vcc_lo, exec_lo, s12
	ds_load_2addr_b64 v[154:157], v132 offset0:65 offset1:66
	s_wait_loadcnt_dscnt 0x600
	v_fma_f64 v[162:163], v[136:137], v[154:155], 0
	s_wait_loadcnt 0x5
	s_delay_alu instid0(VALU_DEP_1)
	v_fmac_f64_e32 v[162:163], v[0:1], v[156:157]
	ds_load_2addr_b64 v[154:157], v132 offset0:67 offset1:68
	s_wait_dscnt 0x0
	v_fmac_f64_e32 v[162:163], v[2:3], v[154:155]
	scratch_load_b128 v[0:3], off, off offset:112
	s_wait_loadcnt 0x5
	v_fmac_f64_e32 v[162:163], v[138:139], v[156:157]
	ds_load_2addr_b64 v[136:139], v132 offset0:69 offset1:70
	scratch_load_b128 v[154:157], off, off offset:128
	s_wait_dscnt 0x0
	v_fmac_f64_e32 v[162:163], v[140:141], v[136:137]
	s_wait_loadcnt 0x5
	s_delay_alu instid0(VALU_DEP_1)
	v_fmac_f64_e32 v[162:163], v[142:143], v[138:139]
	ds_load_2addr_b64 v[136:139], v132 offset0:71 offset1:72
	scratch_load_b128 v[140:143], off, off offset:144
	s_wait_dscnt 0x0
	v_fmac_f64_e32 v[162:163], v[144:145], v[136:137]
	s_wait_loadcnt 0x5
	s_delay_alu instid0(VALU_DEP_1)
	;; [unrolled: 7-line block ×4, first 2 shown]
	v_fmac_f64_e32 v[162:163], v[158:159], v[138:139]
	ds_load_2addr_b64 v[136:139], v132 offset0:77 offset1:78
	s_wait_dscnt 0x0
	v_fmac_f64_e32 v[162:163], v[160:161], v[136:137]
	scratch_load_b128 v[158:161], off, off offset:192
	s_wait_loadcnt 0x5
	v_fmac_f64_e32 v[162:163], v[0:1], v[138:139]
	ds_load_2addr_b64 v[136:139], v132 offset0:79 offset1:80
	s_wait_dscnt 0x0
	v_fmac_f64_e32 v[162:163], v[2:3], v[136:137]
	scratch_load_b128 v[0:3], off, off offset:208
	s_wait_loadcnt 0x5
	v_fmac_f64_e32 v[162:163], v[154:155], v[138:139]
	ds_load_2addr_b64 v[136:139], v132 offset0:81 offset1:82
	scratch_load_b128 v[152:155], off, off offset:224
	s_wait_dscnt 0x0
	v_fmac_f64_e32 v[162:163], v[156:157], v[136:137]
	s_wait_loadcnt 0x5
	s_delay_alu instid0(VALU_DEP_1)
	v_fmac_f64_e32 v[162:163], v[140:141], v[138:139]
	ds_load_2addr_b64 v[136:139], v132 offset0:83 offset1:84
	s_wait_dscnt 0x0
	v_fmac_f64_e32 v[162:163], v[142:143], v[136:137]
	scratch_load_b128 v[140:143], off, off offset:240
	s_wait_loadcnt 0x5
	v_fmac_f64_e32 v[162:163], v[144:145], v[138:139]
	ds_load_2addr_b64 v[136:139], v132 offset0:85 offset1:86
	s_wait_dscnt 0x0
	v_fmac_f64_e32 v[162:163], v[146:147], v[136:137]
	scratch_load_b128 v[144:147], off, off offset:256
	s_wait_loadcnt 0x5
	;; [unrolled: 6-line block ×3, first 2 shown]
	v_fmac_f64_e32 v[162:163], v[158:159], v[138:139]
	ds_load_2addr_b64 v[136:139], v132 offset0:89 offset1:90
	scratch_load_b128 v[156:159], off, off offset:288
	s_wait_dscnt 0x0
	v_fmac_f64_e32 v[162:163], v[160:161], v[136:137]
	s_wait_loadcnt 0x5
	s_delay_alu instid0(VALU_DEP_1)
	v_fmac_f64_e32 v[162:163], v[0:1], v[138:139]
	ds_load_2addr_b64 v[136:139], v132 offset0:91 offset1:92
	s_wait_dscnt 0x0
	v_fmac_f64_e32 v[162:163], v[2:3], v[136:137]
	scratch_load_b128 v[0:3], off, off offset:304
	s_wait_loadcnt 0x5
	v_fmac_f64_e32 v[162:163], v[152:153], v[138:139]
	ds_load_2addr_b64 v[136:139], v132 offset0:93 offset1:94
	s_wait_dscnt 0x0
	v_fmac_f64_e32 v[162:163], v[154:155], v[136:137]
	scratch_load_b128 v[152:155], off, off offset:320
	s_wait_loadcnt 0x5
	;; [unrolled: 6-line block ×13, first 2 shown]
	v_fmac_f64_e32 v[162:163], v[152:153], v[138:139]
	ds_load_2addr_b64 v[136:139], v132 offset0:117 offset1:118
	s_wait_dscnt 0x0
	v_fmac_f64_e32 v[162:163], v[154:155], v[136:137]
	s_wait_loadcnt 0x4
	s_delay_alu instid0(VALU_DEP_1) | instskip(SKIP_4) | instid1(VALU_DEP_1)
	v_fmac_f64_e32 v[162:163], v[140:141], v[138:139]
	ds_load_2addr_b64 v[136:139], v132 offset0:119 offset1:120
	s_wait_dscnt 0x0
	v_fmac_f64_e32 v[162:163], v[142:143], v[136:137]
	s_wait_loadcnt 0x3
	v_fmac_f64_e32 v[162:163], v[144:145], v[138:139]
	ds_load_2addr_b64 v[136:139], v132 offset0:121 offset1:122
	s_wait_dscnt 0x0
	v_fmac_f64_e32 v[162:163], v[146:147], v[136:137]
	s_wait_loadcnt 0x2
	s_delay_alu instid0(VALU_DEP_1) | instskip(SKIP_4) | instid1(VALU_DEP_1)
	v_fmac_f64_e32 v[162:163], v[148:149], v[138:139]
	ds_load_2addr_b64 v[136:139], v132 offset0:123 offset1:124
	s_wait_dscnt 0x0
	v_fmac_f64_e32 v[162:163], v[150:151], v[136:137]
	s_wait_loadcnt 0x1
	v_fmac_f64_e32 v[162:163], v[156:157], v[138:139]
	ds_load_2addr_b64 v[136:139], v132 offset0:125 offset1:126
	s_wait_dscnt 0x0
	v_fmac_f64_e32 v[162:163], v[158:159], v[136:137]
	ds_load_b64 v[136:137], v132 offset:1016
	s_wait_loadcnt 0x0
	v_fmac_f64_e32 v[162:163], v[0:1], v[138:139]
	s_wait_dscnt 0x0
	s_delay_alu instid0(VALU_DEP_1) | instskip(NEXT) | instid1(VALU_DEP_1)
	v_fmac_f64_e32 v[162:163], v[2:3], v[136:137]
	v_add_f64_e64 v[144:145], v[134:135], -v[162:163]
	scratch_store_b64 off, v[144:145], off
	s_cbranch_vccz .LBB127_520
; %bb.394:
	global_load_b32 v2, v132, s[8:9] offset:248
	s_wait_loadcnt 0x0
	v_cmp_ne_u32_e32 vcc_lo, 63, v2
	s_cbranch_vccz .LBB127_396
; %bb.395:
	v_lshlrev_b32_e32 v2, 3, v2
	s_wait_xcnt 0x0
	s_delay_alu instid0(VALU_DEP_1)
	v_mov_b32_e32 v132, v2
	scratch_load_b64 v[2:3], v132, off offset:-8
	s_wait_loadcnt 0x0
	scratch_store_b64 off, v[2:3], off offset:496
	scratch_store_b64 v132, v[0:1], off offset:-8
.LBB127_396:
	s_wait_xcnt 0x0
	v_mov_b32_e32 v0, 0
	global_load_b32 v1, v0, s[8:9] offset:244
	s_wait_loadcnt 0x0
	v_cmp_eq_u32_e32 vcc_lo, 62, v1
	s_cbranch_vccnz .LBB127_398
; %bb.397:
	v_lshlrev_b32_e32 v1, 3, v1
	scratch_load_b64 v[2:3], v1, off offset:-8
	scratch_load_b64 v[132:133], off, off offset:488
	s_wait_loadcnt 0x1
	scratch_store_b64 off, v[2:3], off offset:488
	s_wait_loadcnt 0x0
	scratch_store_b64 v1, v[132:133], off offset:-8
.LBB127_398:
	global_load_b32 v0, v0, s[8:9] offset:240
	s_wait_loadcnt 0x0
	v_cmp_eq_u32_e32 vcc_lo, 61, v0
	s_cbranch_vccnz .LBB127_400
; %bb.399:
	s_wait_xcnt 0x0
	v_lshlrev_b32_e32 v0, 3, v0
	s_delay_alu instid0(VALU_DEP_1)
	v_mov_b32_e32 v132, v0
	scratch_load_b64 v[0:1], v132, off offset:-8
	scratch_load_b64 v[2:3], off, off offset:480
	s_wait_loadcnt 0x1
	scratch_store_b64 off, v[0:1], off offset:480
	s_wait_loadcnt 0x0
	scratch_store_b64 v132, v[2:3], off offset:-8
.LBB127_400:
	s_wait_xcnt 0x0
	v_mov_b32_e32 v0, 0
	global_load_b32 v1, v0, s[8:9] offset:236
	s_wait_loadcnt 0x0
	v_cmp_eq_u32_e32 vcc_lo, 60, v1
	s_cbranch_vccnz .LBB127_402
; %bb.401:
	v_lshlrev_b32_e32 v1, 3, v1
	scratch_load_b64 v[2:3], v1, off offset:-8
	scratch_load_b64 v[132:133], off, off offset:472
	s_wait_loadcnt 0x1
	scratch_store_b64 off, v[2:3], off offset:472
	s_wait_loadcnt 0x0
	scratch_store_b64 v1, v[132:133], off offset:-8
.LBB127_402:
	global_load_b32 v0, v0, s[8:9] offset:232
	s_wait_loadcnt 0x0
	v_cmp_eq_u32_e32 vcc_lo, 59, v0
	s_cbranch_vccnz .LBB127_404
; %bb.403:
	s_wait_xcnt 0x0
	v_lshlrev_b32_e32 v0, 3, v0
	s_delay_alu instid0(VALU_DEP_1)
	v_mov_b32_e32 v132, v0
	scratch_load_b64 v[0:1], v132, off offset:-8
	scratch_load_b64 v[2:3], off, off offset:464
	s_wait_loadcnt 0x1
	scratch_store_b64 off, v[0:1], off offset:464
	s_wait_loadcnt 0x0
	scratch_store_b64 v132, v[2:3], off offset:-8
.LBB127_404:
	;; [unrolled: 31-line block ×30, first 2 shown]
	s_wait_xcnt 0x0
	v_mov_b32_e32 v0, 0
	global_load_b32 v1, v0, s[8:9] offset:4
	s_wait_loadcnt 0x0
	v_cmp_eq_u32_e32 vcc_lo, 2, v1
	s_cbranch_vccnz .LBB127_518
; %bb.517:
	v_lshlrev_b32_e32 v1, 3, v1
	scratch_load_b64 v[2:3], v1, off offset:-8
	scratch_load_b64 v[132:133], off, off offset:8
	s_wait_loadcnt 0x1
	scratch_store_b64 off, v[2:3], off offset:8
	s_wait_loadcnt 0x0
	scratch_store_b64 v1, v[132:133], off offset:-8
.LBB127_518:
	global_load_b32 v0, v0, s[8:9]
	scratch_load_b64 v[144:145], off, off
	s_wait_loadcnt 0x1
	v_cmp_eq_u32_e32 vcc_lo, 1, v0
	s_cbranch_vccnz .LBB127_520
; %bb.519:
	s_wait_xcnt 0x1
	v_lshlrev_b32_e32 v0, 3, v0
	s_delay_alu instid0(VALU_DEP_1)
	v_mov_b32_e32 v2, v0
	scratch_load_b64 v[0:1], v2, off offset:-8
	s_wait_loadcnt 0x0
	scratch_store_b64 off, v[0:1], off
	scratch_store_b64 v2, v[144:145], off offset:-8
	scratch_load_b64 v[144:145], off, off
.LBB127_520:
	s_wait_loadcnt 0x0
	flat_store_b64 v[4:5], v[144:145]
	scratch_load_b64 v[4:5], off, off offset:8
	v_lshl_add_u64 v[192:193], v[8:9], 3, s[2:3]
	v_lshl_add_u64 v[190:191], v[10:11], 3, s[2:3]
	;; [unrolled: 1-line block ×62, first 2 shown]
	s_wait_loadcnt 0x0
	flat_store_b64 v[6:7], v[4:5]
	scratch_load_b64 v[4:5], off, off offset:16
	s_wait_loadcnt 0x0
	flat_store_b64 v[192:193], v[4:5]
	scratch_load_b64 v[4:5], off, off offset:24
	;; [unrolled: 3-line block ×62, first 2 shown]
	s_wait_loadcnt 0x0
	flat_store_b64 v[0:1], v[2:3]
	s_sendmsg sendmsg(MSG_DEALLOC_VGPRS)
	s_endpgm
	.section	.rodata,"a",@progbits
	.p2align	6, 0x0
	.amdhsa_kernel _ZN9rocsolver6v33100L18getri_kernel_smallILi64EdPKPdEEvT1_iilPiilS6_bb
		.amdhsa_group_segment_fixed_size 1032
		.amdhsa_private_segment_fixed_size 528
		.amdhsa_kernarg_size 60
		.amdhsa_user_sgpr_count 2
		.amdhsa_user_sgpr_dispatch_ptr 0
		.amdhsa_user_sgpr_queue_ptr 0
		.amdhsa_user_sgpr_kernarg_segment_ptr 1
		.amdhsa_user_sgpr_dispatch_id 0
		.amdhsa_user_sgpr_kernarg_preload_length 0
		.amdhsa_user_sgpr_kernarg_preload_offset 0
		.amdhsa_user_sgpr_private_segment_size 0
		.amdhsa_wavefront_size32 1
		.amdhsa_uses_dynamic_stack 0
		.amdhsa_enable_private_segment 1
		.amdhsa_system_sgpr_workgroup_id_x 1
		.amdhsa_system_sgpr_workgroup_id_y 0
		.amdhsa_system_sgpr_workgroup_id_z 0
		.amdhsa_system_sgpr_workgroup_info 0
		.amdhsa_system_vgpr_workitem_id 0
		.amdhsa_next_free_vgpr 194
		.amdhsa_next_free_sgpr 19
		.amdhsa_named_barrier_count 0
		.amdhsa_reserve_vcc 1
		.amdhsa_float_round_mode_32 0
		.amdhsa_float_round_mode_16_64 0
		.amdhsa_float_denorm_mode_32 3
		.amdhsa_float_denorm_mode_16_64 3
		.amdhsa_fp16_overflow 0
		.amdhsa_memory_ordered 1
		.amdhsa_forward_progress 1
		.amdhsa_inst_pref_size 255
		.amdhsa_round_robin_scheduling 0
		.amdhsa_exception_fp_ieee_invalid_op 0
		.amdhsa_exception_fp_denorm_src 0
		.amdhsa_exception_fp_ieee_div_zero 0
		.amdhsa_exception_fp_ieee_overflow 0
		.amdhsa_exception_fp_ieee_underflow 0
		.amdhsa_exception_fp_ieee_inexact 0
		.amdhsa_exception_int_div_zero 0
	.end_amdhsa_kernel
	.section	.text._ZN9rocsolver6v33100L18getri_kernel_smallILi64EdPKPdEEvT1_iilPiilS6_bb,"axG",@progbits,_ZN9rocsolver6v33100L18getri_kernel_smallILi64EdPKPdEEvT1_iilPiilS6_bb,comdat
.Lfunc_end127:
	.size	_ZN9rocsolver6v33100L18getri_kernel_smallILi64EdPKPdEEvT1_iilPiilS6_bb, .Lfunc_end127-_ZN9rocsolver6v33100L18getri_kernel_smallILi64EdPKPdEEvT1_iilPiilS6_bb
                                        ; -- End function
	.set _ZN9rocsolver6v33100L18getri_kernel_smallILi64EdPKPdEEvT1_iilPiilS6_bb.num_vgpr, 194
	.set _ZN9rocsolver6v33100L18getri_kernel_smallILi64EdPKPdEEvT1_iilPiilS6_bb.num_agpr, 0
	.set _ZN9rocsolver6v33100L18getri_kernel_smallILi64EdPKPdEEvT1_iilPiilS6_bb.numbered_sgpr, 19
	.set _ZN9rocsolver6v33100L18getri_kernel_smallILi64EdPKPdEEvT1_iilPiilS6_bb.num_named_barrier, 0
	.set _ZN9rocsolver6v33100L18getri_kernel_smallILi64EdPKPdEEvT1_iilPiilS6_bb.private_seg_size, 528
	.set _ZN9rocsolver6v33100L18getri_kernel_smallILi64EdPKPdEEvT1_iilPiilS6_bb.uses_vcc, 1
	.set _ZN9rocsolver6v33100L18getri_kernel_smallILi64EdPKPdEEvT1_iilPiilS6_bb.uses_flat_scratch, 1
	.set _ZN9rocsolver6v33100L18getri_kernel_smallILi64EdPKPdEEvT1_iilPiilS6_bb.has_dyn_sized_stack, 0
	.set _ZN9rocsolver6v33100L18getri_kernel_smallILi64EdPKPdEEvT1_iilPiilS6_bb.has_recursion, 0
	.set _ZN9rocsolver6v33100L18getri_kernel_smallILi64EdPKPdEEvT1_iilPiilS6_bb.has_indirect_call, 0
	.section	.AMDGPU.csdata,"",@progbits
; Kernel info:
; codeLenInByte = 70328
; TotalNumSgprs: 21
; NumVgprs: 194
; ScratchSize: 528
; MemoryBound: 0
; FloatMode: 240
; IeeeMode: 1
; LDSByteSize: 1032 bytes/workgroup (compile time only)
; SGPRBlocks: 0
; VGPRBlocks: 12
; NumSGPRsForWavesPerEU: 21
; NumVGPRsForWavesPerEU: 194
; NamedBarCnt: 0
; Occupancy: 4
; WaveLimiterHint : 1
; COMPUTE_PGM_RSRC2:SCRATCH_EN: 1
; COMPUTE_PGM_RSRC2:USER_SGPR: 2
; COMPUTE_PGM_RSRC2:TRAP_HANDLER: 0
; COMPUTE_PGM_RSRC2:TGID_X_EN: 1
; COMPUTE_PGM_RSRC2:TGID_Y_EN: 0
; COMPUTE_PGM_RSRC2:TGID_Z_EN: 0
; COMPUTE_PGM_RSRC2:TIDIG_COMP_CNT: 0
	.section	.AMDGPU.gpr_maximums,"",@progbits
	.set amdgpu.max_num_vgpr, 0
	.set amdgpu.max_num_agpr, 0
	.set amdgpu.max_num_sgpr, 0
	.section	.AMDGPU.csdata,"",@progbits
	.type	__hip_cuid_229eed8d56a92c6a,@object ; @__hip_cuid_229eed8d56a92c6a
	.section	.bss,"aw",@nobits
	.globl	__hip_cuid_229eed8d56a92c6a
__hip_cuid_229eed8d56a92c6a:
	.byte	0                               ; 0x0
	.size	__hip_cuid_229eed8d56a92c6a, 1

	.ident	"AMD clang version 22.0.0git (https://github.com/RadeonOpenCompute/llvm-project roc-7.2.4 26084 f58b06dce1f9c15707c5f808fd002e18c2accf7e)"
	.section	".note.GNU-stack","",@progbits
	.addrsig
	.addrsig_sym __hip_cuid_229eed8d56a92c6a
	.amdgpu_metadata
---
amdhsa.kernels:
  - .args:
      - .address_space:  global
        .offset:         0
        .size:           8
        .value_kind:     global_buffer
      - .offset:         8
        .size:           4
        .value_kind:     by_value
      - .offset:         12
        .size:           4
        .value_kind:     by_value
      - .offset:         16
        .size:           8
        .value_kind:     by_value
      - .address_space:  global
        .offset:         24
        .size:           8
        .value_kind:     global_buffer
      - .offset:         32
        .size:           4
        .value_kind:     by_value
      - .offset:         40
        .size:           8
        .value_kind:     by_value
      - .address_space:  global
        .offset:         48
        .size:           8
        .value_kind:     global_buffer
      - .offset:         56
        .size:           1
        .value_kind:     by_value
      - .offset:         57
        .size:           1
        .value_kind:     by_value
    .group_segment_fixed_size: 4
    .kernarg_segment_align: 8
    .kernarg_segment_size: 60
    .language:       OpenCL C
    .language_version:
      - 2
      - 0
    .max_flat_workgroup_size: 64
    .name:           _ZN9rocsolver6v33100L18getri_kernel_smallILi1EdPdEEvT1_iilPiilS4_bb
    .private_segment_fixed_size: 0
    .sgpr_count:     17
    .sgpr_spill_count: 0
    .symbol:         _ZN9rocsolver6v33100L18getri_kernel_smallILi1EdPdEEvT1_iilPiilS4_bb.kd
    .uniform_work_group_size: 1
    .uses_dynamic_stack: false
    .vgpr_count:     8
    .vgpr_spill_count: 0
    .wavefront_size: 32
  - .args:
      - .address_space:  global
        .offset:         0
        .size:           8
        .value_kind:     global_buffer
      - .offset:         8
        .size:           4
        .value_kind:     by_value
      - .offset:         12
        .size:           4
        .value_kind:     by_value
      - .offset:         16
        .size:           8
        .value_kind:     by_value
      - .address_space:  global
        .offset:         24
        .size:           8
        .value_kind:     global_buffer
      - .offset:         32
        .size:           4
        .value_kind:     by_value
      - .offset:         40
        .size:           8
        .value_kind:     by_value
      - .address_space:  global
        .offset:         48
        .size:           8
        .value_kind:     global_buffer
      - .offset:         56
        .size:           1
        .value_kind:     by_value
      - .offset:         57
        .size:           1
        .value_kind:     by_value
    .group_segment_fixed_size: 40
    .kernarg_segment_align: 8
    .kernarg_segment_size: 60
    .language:       OpenCL C
    .language_version:
      - 2
      - 0
    .max_flat_workgroup_size: 64
    .name:           _ZN9rocsolver6v33100L18getri_kernel_smallILi2EdPdEEvT1_iilPiilS4_bb
    .private_segment_fixed_size: 0
    .sgpr_count:     22
    .sgpr_spill_count: 0
    .symbol:         _ZN9rocsolver6v33100L18getri_kernel_smallILi2EdPdEEvT1_iilPiilS4_bb.kd
    .uniform_work_group_size: 1
    .uses_dynamic_stack: false
    .vgpr_count:     22
    .vgpr_spill_count: 0
    .wavefront_size: 32
  - .args:
      - .address_space:  global
        .offset:         0
        .size:           8
        .value_kind:     global_buffer
      - .offset:         8
        .size:           4
        .value_kind:     by_value
      - .offset:         12
        .size:           4
        .value_kind:     by_value
      - .offset:         16
        .size:           8
        .value_kind:     by_value
      - .address_space:  global
        .offset:         24
        .size:           8
        .value_kind:     global_buffer
      - .offset:         32
        .size:           4
        .value_kind:     by_value
      - .offset:         40
        .size:           8
        .value_kind:     by_value
      - .address_space:  global
        .offset:         48
        .size:           8
        .value_kind:     global_buffer
      - .offset:         56
        .size:           1
        .value_kind:     by_value
      - .offset:         57
        .size:           1
        .value_kind:     by_value
    .group_segment_fixed_size: 56
    .kernarg_segment_align: 8
    .kernarg_segment_size: 60
    .language:       OpenCL C
    .language_version:
      - 2
      - 0
    .max_flat_workgroup_size: 64
    .name:           _ZN9rocsolver6v33100L18getri_kernel_smallILi3EdPdEEvT1_iilPiilS4_bb
    .private_segment_fixed_size: 0
    .sgpr_count:     22
    .sgpr_spill_count: 0
    .symbol:         _ZN9rocsolver6v33100L18getri_kernel_smallILi3EdPdEEvT1_iilPiilS4_bb.kd
    .uniform_work_group_size: 1
    .uses_dynamic_stack: false
    .vgpr_count:     26
    .vgpr_spill_count: 0
    .wavefront_size: 32
  - .args:
      - .address_space:  global
        .offset:         0
        .size:           8
        .value_kind:     global_buffer
      - .offset:         8
        .size:           4
        .value_kind:     by_value
      - .offset:         12
        .size:           4
        .value_kind:     by_value
      - .offset:         16
        .size:           8
        .value_kind:     by_value
      - .address_space:  global
        .offset:         24
        .size:           8
        .value_kind:     global_buffer
      - .offset:         32
        .size:           4
        .value_kind:     by_value
      - .offset:         40
        .size:           8
        .value_kind:     by_value
      - .address_space:  global
        .offset:         48
        .size:           8
        .value_kind:     global_buffer
      - .offset:         56
        .size:           1
        .value_kind:     by_value
      - .offset:         57
        .size:           1
        .value_kind:     by_value
    .group_segment_fixed_size: 72
    .kernarg_segment_align: 8
    .kernarg_segment_size: 60
    .language:       OpenCL C
    .language_version:
      - 2
      - 0
    .max_flat_workgroup_size: 64
    .name:           _ZN9rocsolver6v33100L18getri_kernel_smallILi4EdPdEEvT1_iilPiilS4_bb
    .private_segment_fixed_size: 0
    .sgpr_count:     26
    .sgpr_spill_count: 0
    .symbol:         _ZN9rocsolver6v33100L18getri_kernel_smallILi4EdPdEEvT1_iilPiilS4_bb.kd
    .uniform_work_group_size: 1
    .uses_dynamic_stack: false
    .vgpr_count:     30
    .vgpr_spill_count: 0
    .wavefront_size: 32
  - .args:
      - .address_space:  global
        .offset:         0
        .size:           8
        .value_kind:     global_buffer
      - .offset:         8
        .size:           4
        .value_kind:     by_value
      - .offset:         12
        .size:           4
        .value_kind:     by_value
      - .offset:         16
        .size:           8
        .value_kind:     by_value
      - .address_space:  global
        .offset:         24
        .size:           8
        .value_kind:     global_buffer
      - .offset:         32
        .size:           4
        .value_kind:     by_value
      - .offset:         40
        .size:           8
        .value_kind:     by_value
      - .address_space:  global
        .offset:         48
        .size:           8
        .value_kind:     global_buffer
      - .offset:         56
        .size:           1
        .value_kind:     by_value
      - .offset:         57
        .size:           1
        .value_kind:     by_value
    .group_segment_fixed_size: 88
    .kernarg_segment_align: 8
    .kernarg_segment_size: 60
    .language:       OpenCL C
    .language_version:
      - 2
      - 0
    .max_flat_workgroup_size: 64
    .name:           _ZN9rocsolver6v33100L18getri_kernel_smallILi5EdPdEEvT1_iilPiilS4_bb
    .private_segment_fixed_size: 0
    .sgpr_count:     26
    .sgpr_spill_count: 0
    .symbol:         _ZN9rocsolver6v33100L18getri_kernel_smallILi5EdPdEEvT1_iilPiilS4_bb.kd
    .uniform_work_group_size: 1
    .uses_dynamic_stack: false
    .vgpr_count:     38
    .vgpr_spill_count: 0
    .wavefront_size: 32
  - .args:
      - .address_space:  global
        .offset:         0
        .size:           8
        .value_kind:     global_buffer
      - .offset:         8
        .size:           4
        .value_kind:     by_value
      - .offset:         12
        .size:           4
        .value_kind:     by_value
      - .offset:         16
        .size:           8
        .value_kind:     by_value
      - .address_space:  global
        .offset:         24
        .size:           8
        .value_kind:     global_buffer
      - .offset:         32
        .size:           4
        .value_kind:     by_value
      - .offset:         40
        .size:           8
        .value_kind:     by_value
      - .address_space:  global
        .offset:         48
        .size:           8
        .value_kind:     global_buffer
      - .offset:         56
        .size:           1
        .value_kind:     by_value
      - .offset:         57
        .size:           1
        .value_kind:     by_value
    .group_segment_fixed_size: 104
    .kernarg_segment_align: 8
    .kernarg_segment_size: 60
    .language:       OpenCL C
    .language_version:
      - 2
      - 0
    .max_flat_workgroup_size: 64
    .name:           _ZN9rocsolver6v33100L18getri_kernel_smallILi6EdPdEEvT1_iilPiilS4_bb
    .private_segment_fixed_size: 0
    .sgpr_count:     26
    .sgpr_spill_count: 0
    .symbol:         _ZN9rocsolver6v33100L18getri_kernel_smallILi6EdPdEEvT1_iilPiilS4_bb.kd
    .uniform_work_group_size: 1
    .uses_dynamic_stack: false
    .vgpr_count:     40
    .vgpr_spill_count: 0
    .wavefront_size: 32
  - .args:
      - .address_space:  global
        .offset:         0
        .size:           8
        .value_kind:     global_buffer
      - .offset:         8
        .size:           4
        .value_kind:     by_value
      - .offset:         12
        .size:           4
        .value_kind:     by_value
      - .offset:         16
        .size:           8
        .value_kind:     by_value
      - .address_space:  global
        .offset:         24
        .size:           8
        .value_kind:     global_buffer
      - .offset:         32
        .size:           4
        .value_kind:     by_value
      - .offset:         40
        .size:           8
        .value_kind:     by_value
      - .address_space:  global
        .offset:         48
        .size:           8
        .value_kind:     global_buffer
      - .offset:         56
        .size:           1
        .value_kind:     by_value
      - .offset:         57
        .size:           1
        .value_kind:     by_value
    .group_segment_fixed_size: 120
    .kernarg_segment_align: 8
    .kernarg_segment_size: 60
    .language:       OpenCL C
    .language_version:
      - 2
      - 0
    .max_flat_workgroup_size: 64
    .name:           _ZN9rocsolver6v33100L18getri_kernel_smallILi7EdPdEEvT1_iilPiilS4_bb
    .private_segment_fixed_size: 0
    .sgpr_count:     26
    .sgpr_spill_count: 0
    .symbol:         _ZN9rocsolver6v33100L18getri_kernel_smallILi7EdPdEEvT1_iilPiilS4_bb.kd
    .uniform_work_group_size: 1
    .uses_dynamic_stack: false
    .vgpr_count:     46
    .vgpr_spill_count: 0
    .wavefront_size: 32
  - .args:
      - .address_space:  global
        .offset:         0
        .size:           8
        .value_kind:     global_buffer
      - .offset:         8
        .size:           4
        .value_kind:     by_value
      - .offset:         12
        .size:           4
        .value_kind:     by_value
      - .offset:         16
        .size:           8
        .value_kind:     by_value
      - .address_space:  global
        .offset:         24
        .size:           8
        .value_kind:     global_buffer
      - .offset:         32
        .size:           4
        .value_kind:     by_value
      - .offset:         40
        .size:           8
        .value_kind:     by_value
      - .address_space:  global
        .offset:         48
        .size:           8
        .value_kind:     global_buffer
      - .offset:         56
        .size:           1
        .value_kind:     by_value
      - .offset:         57
        .size:           1
        .value_kind:     by_value
    .group_segment_fixed_size: 136
    .kernarg_segment_align: 8
    .kernarg_segment_size: 60
    .language:       OpenCL C
    .language_version:
      - 2
      - 0
    .max_flat_workgroup_size: 64
    .name:           _ZN9rocsolver6v33100L18getri_kernel_smallILi8EdPdEEvT1_iilPiilS4_bb
    .private_segment_fixed_size: 0
    .sgpr_count:     23
    .sgpr_spill_count: 0
    .symbol:         _ZN9rocsolver6v33100L18getri_kernel_smallILi8EdPdEEvT1_iilPiilS4_bb.kd
    .uniform_work_group_size: 1
    .uses_dynamic_stack: false
    .vgpr_count:     48
    .vgpr_spill_count: 0
    .wavefront_size: 32
  - .args:
      - .address_space:  global
        .offset:         0
        .size:           8
        .value_kind:     global_buffer
      - .offset:         8
        .size:           4
        .value_kind:     by_value
      - .offset:         12
        .size:           4
        .value_kind:     by_value
      - .offset:         16
        .size:           8
        .value_kind:     by_value
      - .address_space:  global
        .offset:         24
        .size:           8
        .value_kind:     global_buffer
      - .offset:         32
        .size:           4
        .value_kind:     by_value
      - .offset:         40
        .size:           8
        .value_kind:     by_value
      - .address_space:  global
        .offset:         48
        .size:           8
        .value_kind:     global_buffer
      - .offset:         56
        .size:           1
        .value_kind:     by_value
      - .offset:         57
        .size:           1
        .value_kind:     by_value
    .group_segment_fixed_size: 152
    .kernarg_segment_align: 8
    .kernarg_segment_size: 60
    .language:       OpenCL C
    .language_version:
      - 2
      - 0
    .max_flat_workgroup_size: 64
    .name:           _ZN9rocsolver6v33100L18getri_kernel_smallILi9EdPdEEvT1_iilPiilS4_bb
    .private_segment_fixed_size: 0
    .sgpr_count:     23
    .sgpr_spill_count: 0
    .symbol:         _ZN9rocsolver6v33100L18getri_kernel_smallILi9EdPdEEvT1_iilPiilS4_bb.kd
    .uniform_work_group_size: 1
    .uses_dynamic_stack: false
    .vgpr_count:     70
    .vgpr_spill_count: 0
    .wavefront_size: 32
  - .args:
      - .address_space:  global
        .offset:         0
        .size:           8
        .value_kind:     global_buffer
      - .offset:         8
        .size:           4
        .value_kind:     by_value
      - .offset:         12
        .size:           4
        .value_kind:     by_value
      - .offset:         16
        .size:           8
        .value_kind:     by_value
      - .address_space:  global
        .offset:         24
        .size:           8
        .value_kind:     global_buffer
      - .offset:         32
        .size:           4
        .value_kind:     by_value
      - .offset:         40
        .size:           8
        .value_kind:     by_value
      - .address_space:  global
        .offset:         48
        .size:           8
        .value_kind:     global_buffer
      - .offset:         56
        .size:           1
        .value_kind:     by_value
      - .offset:         57
        .size:           1
        .value_kind:     by_value
    .group_segment_fixed_size: 168
    .kernarg_segment_align: 8
    .kernarg_segment_size: 60
    .language:       OpenCL C
    .language_version:
      - 2
      - 0
    .max_flat_workgroup_size: 64
    .name:           _ZN9rocsolver6v33100L18getri_kernel_smallILi10EdPdEEvT1_iilPiilS4_bb
    .private_segment_fixed_size: 0
    .sgpr_count:     23
    .sgpr_spill_count: 0
    .symbol:         _ZN9rocsolver6v33100L18getri_kernel_smallILi10EdPdEEvT1_iilPiilS4_bb.kd
    .uniform_work_group_size: 1
    .uses_dynamic_stack: false
    .vgpr_count:     72
    .vgpr_spill_count: 0
    .wavefront_size: 32
  - .args:
      - .address_space:  global
        .offset:         0
        .size:           8
        .value_kind:     global_buffer
      - .offset:         8
        .size:           4
        .value_kind:     by_value
      - .offset:         12
        .size:           4
        .value_kind:     by_value
      - .offset:         16
        .size:           8
        .value_kind:     by_value
      - .address_space:  global
        .offset:         24
        .size:           8
        .value_kind:     global_buffer
      - .offset:         32
        .size:           4
        .value_kind:     by_value
      - .offset:         40
        .size:           8
        .value_kind:     by_value
      - .address_space:  global
        .offset:         48
        .size:           8
        .value_kind:     global_buffer
      - .offset:         56
        .size:           1
        .value_kind:     by_value
      - .offset:         57
        .size:           1
        .value_kind:     by_value
    .group_segment_fixed_size: 184
    .kernarg_segment_align: 8
    .kernarg_segment_size: 60
    .language:       OpenCL C
    .language_version:
      - 2
      - 0
    .max_flat_workgroup_size: 64
    .name:           _ZN9rocsolver6v33100L18getri_kernel_smallILi11EdPdEEvT1_iilPiilS4_bb
    .private_segment_fixed_size: 0
    .sgpr_count:     23
    .sgpr_spill_count: 0
    .symbol:         _ZN9rocsolver6v33100L18getri_kernel_smallILi11EdPdEEvT1_iilPiilS4_bb.kd
    .uniform_work_group_size: 1
    .uses_dynamic_stack: false
    .vgpr_count:     78
    .vgpr_spill_count: 0
    .wavefront_size: 32
  - .args:
      - .address_space:  global
        .offset:         0
        .size:           8
        .value_kind:     global_buffer
      - .offset:         8
        .size:           4
        .value_kind:     by_value
      - .offset:         12
        .size:           4
        .value_kind:     by_value
      - .offset:         16
        .size:           8
        .value_kind:     by_value
      - .address_space:  global
        .offset:         24
        .size:           8
        .value_kind:     global_buffer
      - .offset:         32
        .size:           4
        .value_kind:     by_value
      - .offset:         40
        .size:           8
        .value_kind:     by_value
      - .address_space:  global
        .offset:         48
        .size:           8
        .value_kind:     global_buffer
      - .offset:         56
        .size:           1
        .value_kind:     by_value
      - .offset:         57
        .size:           1
        .value_kind:     by_value
    .group_segment_fixed_size: 200
    .kernarg_segment_align: 8
    .kernarg_segment_size: 60
    .language:       OpenCL C
    .language_version:
      - 2
      - 0
    .max_flat_workgroup_size: 64
    .name:           _ZN9rocsolver6v33100L18getri_kernel_smallILi12EdPdEEvT1_iilPiilS4_bb
    .private_segment_fixed_size: 0
    .sgpr_count:     23
    .sgpr_spill_count: 0
    .symbol:         _ZN9rocsolver6v33100L18getri_kernel_smallILi12EdPdEEvT1_iilPiilS4_bb.kd
    .uniform_work_group_size: 1
    .uses_dynamic_stack: false
    .vgpr_count:     80
    .vgpr_spill_count: 0
    .wavefront_size: 32
  - .args:
      - .address_space:  global
        .offset:         0
        .size:           8
        .value_kind:     global_buffer
      - .offset:         8
        .size:           4
        .value_kind:     by_value
      - .offset:         12
        .size:           4
        .value_kind:     by_value
      - .offset:         16
        .size:           8
        .value_kind:     by_value
      - .address_space:  global
        .offset:         24
        .size:           8
        .value_kind:     global_buffer
      - .offset:         32
        .size:           4
        .value_kind:     by_value
      - .offset:         40
        .size:           8
        .value_kind:     by_value
      - .address_space:  global
        .offset:         48
        .size:           8
        .value_kind:     global_buffer
      - .offset:         56
        .size:           1
        .value_kind:     by_value
      - .offset:         57
        .size:           1
        .value_kind:     by_value
    .group_segment_fixed_size: 216
    .kernarg_segment_align: 8
    .kernarg_segment_size: 60
    .language:       OpenCL C
    .language_version:
      - 2
      - 0
    .max_flat_workgroup_size: 64
    .name:           _ZN9rocsolver6v33100L18getri_kernel_smallILi13EdPdEEvT1_iilPiilS4_bb
    .private_segment_fixed_size: 0
    .sgpr_count:     25
    .sgpr_spill_count: 0
    .symbol:         _ZN9rocsolver6v33100L18getri_kernel_smallILi13EdPdEEvT1_iilPiilS4_bb.kd
    .uniform_work_group_size: 1
    .uses_dynamic_stack: false
    .vgpr_count:     88
    .vgpr_spill_count: 0
    .wavefront_size: 32
  - .args:
      - .address_space:  global
        .offset:         0
        .size:           8
        .value_kind:     global_buffer
      - .offset:         8
        .size:           4
        .value_kind:     by_value
      - .offset:         12
        .size:           4
        .value_kind:     by_value
      - .offset:         16
        .size:           8
        .value_kind:     by_value
      - .address_space:  global
        .offset:         24
        .size:           8
        .value_kind:     global_buffer
      - .offset:         32
        .size:           4
        .value_kind:     by_value
      - .offset:         40
        .size:           8
        .value_kind:     by_value
      - .address_space:  global
        .offset:         48
        .size:           8
        .value_kind:     global_buffer
      - .offset:         56
        .size:           1
        .value_kind:     by_value
      - .offset:         57
        .size:           1
        .value_kind:     by_value
    .group_segment_fixed_size: 232
    .kernarg_segment_align: 8
    .kernarg_segment_size: 60
    .language:       OpenCL C
    .language_version:
      - 2
      - 0
    .max_flat_workgroup_size: 64
    .name:           _ZN9rocsolver6v33100L18getri_kernel_smallILi14EdPdEEvT1_iilPiilS4_bb
    .private_segment_fixed_size: 0
    .sgpr_count:     25
    .sgpr_spill_count: 0
    .symbol:         _ZN9rocsolver6v33100L18getri_kernel_smallILi14EdPdEEvT1_iilPiilS4_bb.kd
    .uniform_work_group_size: 1
    .uses_dynamic_stack: false
    .vgpr_count:     90
    .vgpr_spill_count: 0
    .wavefront_size: 32
  - .args:
      - .address_space:  global
        .offset:         0
        .size:           8
        .value_kind:     global_buffer
      - .offset:         8
        .size:           4
        .value_kind:     by_value
      - .offset:         12
        .size:           4
        .value_kind:     by_value
      - .offset:         16
        .size:           8
        .value_kind:     by_value
      - .address_space:  global
        .offset:         24
        .size:           8
        .value_kind:     global_buffer
      - .offset:         32
        .size:           4
        .value_kind:     by_value
      - .offset:         40
        .size:           8
        .value_kind:     by_value
      - .address_space:  global
        .offset:         48
        .size:           8
        .value_kind:     global_buffer
      - .offset:         56
        .size:           1
        .value_kind:     by_value
      - .offset:         57
        .size:           1
        .value_kind:     by_value
    .group_segment_fixed_size: 248
    .kernarg_segment_align: 8
    .kernarg_segment_size: 60
    .language:       OpenCL C
    .language_version:
      - 2
      - 0
    .max_flat_workgroup_size: 64
    .name:           _ZN9rocsolver6v33100L18getri_kernel_smallILi15EdPdEEvT1_iilPiilS4_bb
    .private_segment_fixed_size: 0
    .sgpr_count:     26
    .sgpr_spill_count: 0
    .symbol:         _ZN9rocsolver6v33100L18getri_kernel_smallILi15EdPdEEvT1_iilPiilS4_bb.kd
    .uniform_work_group_size: 1
    .uses_dynamic_stack: false
    .vgpr_count:     96
    .vgpr_spill_count: 0
    .wavefront_size: 32
  - .args:
      - .address_space:  global
        .offset:         0
        .size:           8
        .value_kind:     global_buffer
      - .offset:         8
        .size:           4
        .value_kind:     by_value
      - .offset:         12
        .size:           4
        .value_kind:     by_value
      - .offset:         16
        .size:           8
        .value_kind:     by_value
      - .address_space:  global
        .offset:         24
        .size:           8
        .value_kind:     global_buffer
      - .offset:         32
        .size:           4
        .value_kind:     by_value
      - .offset:         40
        .size:           8
        .value_kind:     by_value
      - .address_space:  global
        .offset:         48
        .size:           8
        .value_kind:     global_buffer
      - .offset:         56
        .size:           1
        .value_kind:     by_value
      - .offset:         57
        .size:           1
        .value_kind:     by_value
    .group_segment_fixed_size: 264
    .kernarg_segment_align: 8
    .kernarg_segment_size: 60
    .language:       OpenCL C
    .language_version:
      - 2
      - 0
    .max_flat_workgroup_size: 64
    .name:           _ZN9rocsolver6v33100L18getri_kernel_smallILi16EdPdEEvT1_iilPiilS4_bb
    .private_segment_fixed_size: 0
    .sgpr_count:     27
    .sgpr_spill_count: 0
    .symbol:         _ZN9rocsolver6v33100L18getri_kernel_smallILi16EdPdEEvT1_iilPiilS4_bb.kd
    .uniform_work_group_size: 1
    .uses_dynamic_stack: false
    .vgpr_count:     96
    .vgpr_spill_count: 0
    .wavefront_size: 32
  - .args:
      - .address_space:  global
        .offset:         0
        .size:           8
        .value_kind:     global_buffer
      - .offset:         8
        .size:           4
        .value_kind:     by_value
      - .offset:         12
        .size:           4
        .value_kind:     by_value
      - .offset:         16
        .size:           8
        .value_kind:     by_value
      - .address_space:  global
        .offset:         24
        .size:           8
        .value_kind:     global_buffer
      - .offset:         32
        .size:           4
        .value_kind:     by_value
      - .offset:         40
        .size:           8
        .value_kind:     by_value
      - .address_space:  global
        .offset:         48
        .size:           8
        .value_kind:     global_buffer
      - .offset:         56
        .size:           1
        .value_kind:     by_value
      - .offset:         57
        .size:           1
        .value_kind:     by_value
    .group_segment_fixed_size: 8992
    .kernarg_segment_align: 8
    .kernarg_segment_size: 60
    .language:       OpenCL C
    .language_version:
      - 2
      - 0
    .max_flat_workgroup_size: 64
    .name:           _ZN9rocsolver6v33100L18getri_kernel_smallILi17EdPdEEvT1_iilPiilS4_bb
    .private_segment_fixed_size: 0
    .sgpr_count:     23
    .sgpr_spill_count: 0
    .symbol:         _ZN9rocsolver6v33100L18getri_kernel_smallILi17EdPdEEvT1_iilPiilS4_bb.kd
    .uniform_work_group_size: 1
    .uses_dynamic_stack: false
    .vgpr_count:     76
    .vgpr_spill_count: 0
    .wavefront_size: 32
  - .args:
      - .address_space:  global
        .offset:         0
        .size:           8
        .value_kind:     global_buffer
      - .offset:         8
        .size:           4
        .value_kind:     by_value
      - .offset:         12
        .size:           4
        .value_kind:     by_value
      - .offset:         16
        .size:           8
        .value_kind:     by_value
      - .address_space:  global
        .offset:         24
        .size:           8
        .value_kind:     global_buffer
      - .offset:         32
        .size:           4
        .value_kind:     by_value
      - .offset:         40
        .size:           8
        .value_kind:     by_value
      - .address_space:  global
        .offset:         48
        .size:           8
        .value_kind:     global_buffer
      - .offset:         56
        .size:           1
        .value_kind:     by_value
      - .offset:         57
        .size:           1
        .value_kind:     by_value
    .group_segment_fixed_size: 9520
    .kernarg_segment_align: 8
    .kernarg_segment_size: 60
    .language:       OpenCL C
    .language_version:
      - 2
      - 0
    .max_flat_workgroup_size: 64
    .name:           _ZN9rocsolver6v33100L18getri_kernel_smallILi18EdPdEEvT1_iilPiilS4_bb
    .private_segment_fixed_size: 0
    .sgpr_count:     23
    .sgpr_spill_count: 0
    .symbol:         _ZN9rocsolver6v33100L18getri_kernel_smallILi18EdPdEEvT1_iilPiilS4_bb.kd
    .uniform_work_group_size: 1
    .uses_dynamic_stack: false
    .vgpr_count:     78
    .vgpr_spill_count: 0
    .wavefront_size: 32
  - .args:
      - .address_space:  global
        .offset:         0
        .size:           8
        .value_kind:     global_buffer
      - .offset:         8
        .size:           4
        .value_kind:     by_value
      - .offset:         12
        .size:           4
        .value_kind:     by_value
      - .offset:         16
        .size:           8
        .value_kind:     by_value
      - .address_space:  global
        .offset:         24
        .size:           8
        .value_kind:     global_buffer
      - .offset:         32
        .size:           4
        .value_kind:     by_value
      - .offset:         40
        .size:           8
        .value_kind:     by_value
      - .address_space:  global
        .offset:         48
        .size:           8
        .value_kind:     global_buffer
      - .offset:         56
        .size:           1
        .value_kind:     by_value
      - .offset:         57
        .size:           1
        .value_kind:     by_value
    .group_segment_fixed_size: 10048
    .kernarg_segment_align: 8
    .kernarg_segment_size: 60
    .language:       OpenCL C
    .language_version:
      - 2
      - 0
    .max_flat_workgroup_size: 64
    .name:           _ZN9rocsolver6v33100L18getri_kernel_smallILi19EdPdEEvT1_iilPiilS4_bb
    .private_segment_fixed_size: 0
    .sgpr_count:     23
    .sgpr_spill_count: 0
    .symbol:         _ZN9rocsolver6v33100L18getri_kernel_smallILi19EdPdEEvT1_iilPiilS4_bb.kd
    .uniform_work_group_size: 1
    .uses_dynamic_stack: false
    .vgpr_count:     84
    .vgpr_spill_count: 0
    .wavefront_size: 32
  - .args:
      - .address_space:  global
        .offset:         0
        .size:           8
        .value_kind:     global_buffer
      - .offset:         8
        .size:           4
        .value_kind:     by_value
      - .offset:         12
        .size:           4
        .value_kind:     by_value
      - .offset:         16
        .size:           8
        .value_kind:     by_value
      - .address_space:  global
        .offset:         24
        .size:           8
        .value_kind:     global_buffer
      - .offset:         32
        .size:           4
        .value_kind:     by_value
      - .offset:         40
        .size:           8
        .value_kind:     by_value
      - .address_space:  global
        .offset:         48
        .size:           8
        .value_kind:     global_buffer
      - .offset:         56
        .size:           1
        .value_kind:     by_value
      - .offset:         57
        .size:           1
        .value_kind:     by_value
    .group_segment_fixed_size: 328
    .kernarg_segment_align: 8
    .kernarg_segment_size: 60
    .language:       OpenCL C
    .language_version:
      - 2
      - 0
    .max_flat_workgroup_size: 64
    .name:           _ZN9rocsolver6v33100L18getri_kernel_smallILi20EdPdEEvT1_iilPiilS4_bb
    .private_segment_fixed_size: 176
    .sgpr_count:     21
    .sgpr_spill_count: 0
    .symbol:         _ZN9rocsolver6v33100L18getri_kernel_smallILi20EdPdEEvT1_iilPiilS4_bb.kd
    .uniform_work_group_size: 1
    .uses_dynamic_stack: false
    .vgpr_count:     80
    .vgpr_spill_count: 0
    .wavefront_size: 32
  - .args:
      - .address_space:  global
        .offset:         0
        .size:           8
        .value_kind:     global_buffer
      - .offset:         8
        .size:           4
        .value_kind:     by_value
      - .offset:         12
        .size:           4
        .value_kind:     by_value
      - .offset:         16
        .size:           8
        .value_kind:     by_value
      - .address_space:  global
        .offset:         24
        .size:           8
        .value_kind:     global_buffer
      - .offset:         32
        .size:           4
        .value_kind:     by_value
      - .offset:         40
        .size:           8
        .value_kind:     by_value
      - .address_space:  global
        .offset:         48
        .size:           8
        .value_kind:     global_buffer
      - .offset:         56
        .size:           1
        .value_kind:     by_value
      - .offset:         57
        .size:           1
        .value_kind:     by_value
    .group_segment_fixed_size: 344
    .kernarg_segment_align: 8
    .kernarg_segment_size: 60
    .language:       OpenCL C
    .language_version:
      - 2
      - 0
    .max_flat_workgroup_size: 64
    .name:           _ZN9rocsolver6v33100L18getri_kernel_smallILi21EdPdEEvT1_iilPiilS4_bb
    .private_segment_fixed_size: 176
    .sgpr_count:     21
    .sgpr_spill_count: 0
    .symbol:         _ZN9rocsolver6v33100L18getri_kernel_smallILi21EdPdEEvT1_iilPiilS4_bb.kd
    .uniform_work_group_size: 1
    .uses_dynamic_stack: false
    .vgpr_count:     82
    .vgpr_spill_count: 0
    .wavefront_size: 32
  - .args:
      - .address_space:  global
        .offset:         0
        .size:           8
        .value_kind:     global_buffer
      - .offset:         8
        .size:           4
        .value_kind:     by_value
      - .offset:         12
        .size:           4
        .value_kind:     by_value
      - .offset:         16
        .size:           8
        .value_kind:     by_value
      - .address_space:  global
        .offset:         24
        .size:           8
        .value_kind:     global_buffer
      - .offset:         32
        .size:           4
        .value_kind:     by_value
      - .offset:         40
        .size:           8
        .value_kind:     by_value
      - .address_space:  global
        .offset:         48
        .size:           8
        .value_kind:     global_buffer
      - .offset:         56
        .size:           1
        .value_kind:     by_value
      - .offset:         57
        .size:           1
        .value_kind:     by_value
    .group_segment_fixed_size: 360
    .kernarg_segment_align: 8
    .kernarg_segment_size: 60
    .language:       OpenCL C
    .language_version:
      - 2
      - 0
    .max_flat_workgroup_size: 64
    .name:           _ZN9rocsolver6v33100L18getri_kernel_smallILi22EdPdEEvT1_iilPiilS4_bb
    .private_segment_fixed_size: 192
    .sgpr_count:     21
    .sgpr_spill_count: 0
    .symbol:         _ZN9rocsolver6v33100L18getri_kernel_smallILi22EdPdEEvT1_iilPiilS4_bb.kd
    .uniform_work_group_size: 1
    .uses_dynamic_stack: false
    .vgpr_count:     84
    .vgpr_spill_count: 0
    .wavefront_size: 32
  - .args:
      - .address_space:  global
        .offset:         0
        .size:           8
        .value_kind:     global_buffer
      - .offset:         8
        .size:           4
        .value_kind:     by_value
      - .offset:         12
        .size:           4
        .value_kind:     by_value
      - .offset:         16
        .size:           8
        .value_kind:     by_value
      - .address_space:  global
        .offset:         24
        .size:           8
        .value_kind:     global_buffer
      - .offset:         32
        .size:           4
        .value_kind:     by_value
      - .offset:         40
        .size:           8
        .value_kind:     by_value
      - .address_space:  global
        .offset:         48
        .size:           8
        .value_kind:     global_buffer
      - .offset:         56
        .size:           1
        .value_kind:     by_value
      - .offset:         57
        .size:           1
        .value_kind:     by_value
    .group_segment_fixed_size: 376
    .kernarg_segment_align: 8
    .kernarg_segment_size: 60
    .language:       OpenCL C
    .language_version:
      - 2
      - 0
    .max_flat_workgroup_size: 64
    .name:           _ZN9rocsolver6v33100L18getri_kernel_smallILi23EdPdEEvT1_iilPiilS4_bb
    .private_segment_fixed_size: 192
    .sgpr_count:     21
    .sgpr_spill_count: 0
    .symbol:         _ZN9rocsolver6v33100L18getri_kernel_smallILi23EdPdEEvT1_iilPiilS4_bb.kd
    .uniform_work_group_size: 1
    .uses_dynamic_stack: false
    .vgpr_count:     86
    .vgpr_spill_count: 0
    .wavefront_size: 32
  - .args:
      - .address_space:  global
        .offset:         0
        .size:           8
        .value_kind:     global_buffer
      - .offset:         8
        .size:           4
        .value_kind:     by_value
      - .offset:         12
        .size:           4
        .value_kind:     by_value
      - .offset:         16
        .size:           8
        .value_kind:     by_value
      - .address_space:  global
        .offset:         24
        .size:           8
        .value_kind:     global_buffer
      - .offset:         32
        .size:           4
        .value_kind:     by_value
      - .offset:         40
        .size:           8
        .value_kind:     by_value
      - .address_space:  global
        .offset:         48
        .size:           8
        .value_kind:     global_buffer
      - .offset:         56
        .size:           1
        .value_kind:     by_value
      - .offset:         57
        .size:           1
        .value_kind:     by_value
    .group_segment_fixed_size: 392
    .kernarg_segment_align: 8
    .kernarg_segment_size: 60
    .language:       OpenCL C
    .language_version:
      - 2
      - 0
    .max_flat_workgroup_size: 64
    .name:           _ZN9rocsolver6v33100L18getri_kernel_smallILi24EdPdEEvT1_iilPiilS4_bb
    .private_segment_fixed_size: 208
    .sgpr_count:     21
    .sgpr_spill_count: 0
    .symbol:         _ZN9rocsolver6v33100L18getri_kernel_smallILi24EdPdEEvT1_iilPiilS4_bb.kd
    .uniform_work_group_size: 1
    .uses_dynamic_stack: false
    .vgpr_count:     88
    .vgpr_spill_count: 0
    .wavefront_size: 32
  - .args:
      - .address_space:  global
        .offset:         0
        .size:           8
        .value_kind:     global_buffer
      - .offset:         8
        .size:           4
        .value_kind:     by_value
      - .offset:         12
        .size:           4
        .value_kind:     by_value
      - .offset:         16
        .size:           8
        .value_kind:     by_value
      - .address_space:  global
        .offset:         24
        .size:           8
        .value_kind:     global_buffer
      - .offset:         32
        .size:           4
        .value_kind:     by_value
      - .offset:         40
        .size:           8
        .value_kind:     by_value
      - .address_space:  global
        .offset:         48
        .size:           8
        .value_kind:     global_buffer
      - .offset:         56
        .size:           1
        .value_kind:     by_value
      - .offset:         57
        .size:           1
        .value_kind:     by_value
    .group_segment_fixed_size: 408
    .kernarg_segment_align: 8
    .kernarg_segment_size: 60
    .language:       OpenCL C
    .language_version:
      - 2
      - 0
    .max_flat_workgroup_size: 64
    .name:           _ZN9rocsolver6v33100L18getri_kernel_smallILi25EdPdEEvT1_iilPiilS4_bb
    .private_segment_fixed_size: 208
    .sgpr_count:     21
    .sgpr_spill_count: 0
    .symbol:         _ZN9rocsolver6v33100L18getri_kernel_smallILi25EdPdEEvT1_iilPiilS4_bb.kd
    .uniform_work_group_size: 1
    .uses_dynamic_stack: false
    .vgpr_count:     96
    .vgpr_spill_count: 0
    .wavefront_size: 32
  - .args:
      - .address_space:  global
        .offset:         0
        .size:           8
        .value_kind:     global_buffer
      - .offset:         8
        .size:           4
        .value_kind:     by_value
      - .offset:         12
        .size:           4
        .value_kind:     by_value
      - .offset:         16
        .size:           8
        .value_kind:     by_value
      - .address_space:  global
        .offset:         24
        .size:           8
        .value_kind:     global_buffer
      - .offset:         32
        .size:           4
        .value_kind:     by_value
      - .offset:         40
        .size:           8
        .value_kind:     by_value
      - .address_space:  global
        .offset:         48
        .size:           8
        .value_kind:     global_buffer
      - .offset:         56
        .size:           1
        .value_kind:     by_value
      - .offset:         57
        .size:           1
        .value_kind:     by_value
    .group_segment_fixed_size: 424
    .kernarg_segment_align: 8
    .kernarg_segment_size: 60
    .language:       OpenCL C
    .language_version:
      - 2
      - 0
    .max_flat_workgroup_size: 64
    .name:           _ZN9rocsolver6v33100L18getri_kernel_smallILi26EdPdEEvT1_iilPiilS4_bb
    .private_segment_fixed_size: 224
    .sgpr_count:     21
    .sgpr_spill_count: 0
    .symbol:         _ZN9rocsolver6v33100L18getri_kernel_smallILi26EdPdEEvT1_iilPiilS4_bb.kd
    .uniform_work_group_size: 1
    .uses_dynamic_stack: false
    .vgpr_count:     94
    .vgpr_spill_count: 0
    .wavefront_size: 32
  - .args:
      - .address_space:  global
        .offset:         0
        .size:           8
        .value_kind:     global_buffer
      - .offset:         8
        .size:           4
        .value_kind:     by_value
      - .offset:         12
        .size:           4
        .value_kind:     by_value
      - .offset:         16
        .size:           8
        .value_kind:     by_value
      - .address_space:  global
        .offset:         24
        .size:           8
        .value_kind:     global_buffer
      - .offset:         32
        .size:           4
        .value_kind:     by_value
      - .offset:         40
        .size:           8
        .value_kind:     by_value
      - .address_space:  global
        .offset:         48
        .size:           8
        .value_kind:     global_buffer
      - .offset:         56
        .size:           1
        .value_kind:     by_value
      - .offset:         57
        .size:           1
        .value_kind:     by_value
    .group_segment_fixed_size: 440
    .kernarg_segment_align: 8
    .kernarg_segment_size: 60
    .language:       OpenCL C
    .language_version:
      - 2
      - 0
    .max_flat_workgroup_size: 64
    .name:           _ZN9rocsolver6v33100L18getri_kernel_smallILi27EdPdEEvT1_iilPiilS4_bb
    .private_segment_fixed_size: 224
    .sgpr_count:     21
    .sgpr_spill_count: 0
    .symbol:         _ZN9rocsolver6v33100L18getri_kernel_smallILi27EdPdEEvT1_iilPiilS4_bb.kd
    .uniform_work_group_size: 1
    .uses_dynamic_stack: false
    .vgpr_count:     98
    .vgpr_spill_count: 0
    .wavefront_size: 32
  - .args:
      - .address_space:  global
        .offset:         0
        .size:           8
        .value_kind:     global_buffer
      - .offset:         8
        .size:           4
        .value_kind:     by_value
      - .offset:         12
        .size:           4
        .value_kind:     by_value
      - .offset:         16
        .size:           8
        .value_kind:     by_value
      - .address_space:  global
        .offset:         24
        .size:           8
        .value_kind:     global_buffer
      - .offset:         32
        .size:           4
        .value_kind:     by_value
      - .offset:         40
        .size:           8
        .value_kind:     by_value
      - .address_space:  global
        .offset:         48
        .size:           8
        .value_kind:     global_buffer
      - .offset:         56
        .size:           1
        .value_kind:     by_value
      - .offset:         57
        .size:           1
        .value_kind:     by_value
    .group_segment_fixed_size: 456
    .kernarg_segment_align: 8
    .kernarg_segment_size: 60
    .language:       OpenCL C
    .language_version:
      - 2
      - 0
    .max_flat_workgroup_size: 64
    .name:           _ZN9rocsolver6v33100L18getri_kernel_smallILi28EdPdEEvT1_iilPiilS4_bb
    .private_segment_fixed_size: 240
    .sgpr_count:     21
    .sgpr_spill_count: 0
    .symbol:         _ZN9rocsolver6v33100L18getri_kernel_smallILi28EdPdEEvT1_iilPiilS4_bb.kd
    .uniform_work_group_size: 1
    .uses_dynamic_stack: false
    .vgpr_count:     98
    .vgpr_spill_count: 0
    .wavefront_size: 32
  - .args:
      - .address_space:  global
        .offset:         0
        .size:           8
        .value_kind:     global_buffer
      - .offset:         8
        .size:           4
        .value_kind:     by_value
      - .offset:         12
        .size:           4
        .value_kind:     by_value
      - .offset:         16
        .size:           8
        .value_kind:     by_value
      - .address_space:  global
        .offset:         24
        .size:           8
        .value_kind:     global_buffer
      - .offset:         32
        .size:           4
        .value_kind:     by_value
      - .offset:         40
        .size:           8
        .value_kind:     by_value
      - .address_space:  global
        .offset:         48
        .size:           8
        .value_kind:     global_buffer
      - .offset:         56
        .size:           1
        .value_kind:     by_value
      - .offset:         57
        .size:           1
        .value_kind:     by_value
    .group_segment_fixed_size: 472
    .kernarg_segment_align: 8
    .kernarg_segment_size: 60
    .language:       OpenCL C
    .language_version:
      - 2
      - 0
    .max_flat_workgroup_size: 64
    .name:           _ZN9rocsolver6v33100L18getri_kernel_smallILi29EdPdEEvT1_iilPiilS4_bb
    .private_segment_fixed_size: 240
    .sgpr_count:     21
    .sgpr_spill_count: 0
    .symbol:         _ZN9rocsolver6v33100L18getri_kernel_smallILi29EdPdEEvT1_iilPiilS4_bb.kd
    .uniform_work_group_size: 1
    .uses_dynamic_stack: false
    .vgpr_count:     100
    .vgpr_spill_count: 0
    .wavefront_size: 32
  - .args:
      - .address_space:  global
        .offset:         0
        .size:           8
        .value_kind:     global_buffer
      - .offset:         8
        .size:           4
        .value_kind:     by_value
      - .offset:         12
        .size:           4
        .value_kind:     by_value
      - .offset:         16
        .size:           8
        .value_kind:     by_value
      - .address_space:  global
        .offset:         24
        .size:           8
        .value_kind:     global_buffer
      - .offset:         32
        .size:           4
        .value_kind:     by_value
      - .offset:         40
        .size:           8
        .value_kind:     by_value
      - .address_space:  global
        .offset:         48
        .size:           8
        .value_kind:     global_buffer
      - .offset:         56
        .size:           1
        .value_kind:     by_value
      - .offset:         57
        .size:           1
        .value_kind:     by_value
    .group_segment_fixed_size: 488
    .kernarg_segment_align: 8
    .kernarg_segment_size: 60
    .language:       OpenCL C
    .language_version:
      - 2
      - 0
    .max_flat_workgroup_size: 64
    .name:           _ZN9rocsolver6v33100L18getri_kernel_smallILi30EdPdEEvT1_iilPiilS4_bb
    .private_segment_fixed_size: 256
    .sgpr_count:     21
    .sgpr_spill_count: 0
    .symbol:         _ZN9rocsolver6v33100L18getri_kernel_smallILi30EdPdEEvT1_iilPiilS4_bb.kd
    .uniform_work_group_size: 1
    .uses_dynamic_stack: false
    .vgpr_count:     102
    .vgpr_spill_count: 0
    .wavefront_size: 32
  - .args:
      - .address_space:  global
        .offset:         0
        .size:           8
        .value_kind:     global_buffer
      - .offset:         8
        .size:           4
        .value_kind:     by_value
      - .offset:         12
        .size:           4
        .value_kind:     by_value
      - .offset:         16
        .size:           8
        .value_kind:     by_value
      - .address_space:  global
        .offset:         24
        .size:           8
        .value_kind:     global_buffer
      - .offset:         32
        .size:           4
        .value_kind:     by_value
      - .offset:         40
        .size:           8
        .value_kind:     by_value
      - .address_space:  global
        .offset:         48
        .size:           8
        .value_kind:     global_buffer
      - .offset:         56
        .size:           1
        .value_kind:     by_value
      - .offset:         57
        .size:           1
        .value_kind:     by_value
    .group_segment_fixed_size: 504
    .kernarg_segment_align: 8
    .kernarg_segment_size: 60
    .language:       OpenCL C
    .language_version:
      - 2
      - 0
    .max_flat_workgroup_size: 64
    .name:           _ZN9rocsolver6v33100L18getri_kernel_smallILi31EdPdEEvT1_iilPiilS4_bb
    .private_segment_fixed_size: 256
    .sgpr_count:     21
    .sgpr_spill_count: 0
    .symbol:         _ZN9rocsolver6v33100L18getri_kernel_smallILi31EdPdEEvT1_iilPiilS4_bb.kd
    .uniform_work_group_size: 1
    .uses_dynamic_stack: false
    .vgpr_count:     104
    .vgpr_spill_count: 0
    .wavefront_size: 32
  - .args:
      - .address_space:  global
        .offset:         0
        .size:           8
        .value_kind:     global_buffer
      - .offset:         8
        .size:           4
        .value_kind:     by_value
      - .offset:         12
        .size:           4
        .value_kind:     by_value
      - .offset:         16
        .size:           8
        .value_kind:     by_value
      - .address_space:  global
        .offset:         24
        .size:           8
        .value_kind:     global_buffer
      - .offset:         32
        .size:           4
        .value_kind:     by_value
      - .offset:         40
        .size:           8
        .value_kind:     by_value
      - .address_space:  global
        .offset:         48
        .size:           8
        .value_kind:     global_buffer
      - .offset:         56
        .size:           1
        .value_kind:     by_value
      - .offset:         57
        .size:           1
        .value_kind:     by_value
    .group_segment_fixed_size: 520
    .kernarg_segment_align: 8
    .kernarg_segment_size: 60
    .language:       OpenCL C
    .language_version:
      - 2
      - 0
    .max_flat_workgroup_size: 64
    .name:           _ZN9rocsolver6v33100L18getri_kernel_smallILi32EdPdEEvT1_iilPiilS4_bb
    .private_segment_fixed_size: 272
    .sgpr_count:     21
    .sgpr_spill_count: 0
    .symbol:         _ZN9rocsolver6v33100L18getri_kernel_smallILi32EdPdEEvT1_iilPiilS4_bb.kd
    .uniform_work_group_size: 1
    .uses_dynamic_stack: false
    .vgpr_count:     106
    .vgpr_spill_count: 0
    .wavefront_size: 32
  - .args:
      - .address_space:  global
        .offset:         0
        .size:           8
        .value_kind:     global_buffer
      - .offset:         8
        .size:           4
        .value_kind:     by_value
      - .offset:         12
        .size:           4
        .value_kind:     by_value
      - .offset:         16
        .size:           8
        .value_kind:     by_value
      - .address_space:  global
        .offset:         24
        .size:           8
        .value_kind:     global_buffer
      - .offset:         32
        .size:           4
        .value_kind:     by_value
      - .offset:         40
        .size:           8
        .value_kind:     by_value
      - .address_space:  global
        .offset:         48
        .size:           8
        .value_kind:     global_buffer
      - .offset:         56
        .size:           1
        .value_kind:     by_value
      - .offset:         57
        .size:           1
        .value_kind:     by_value
    .group_segment_fixed_size: 536
    .kernarg_segment_align: 8
    .kernarg_segment_size: 60
    .language:       OpenCL C
    .language_version:
      - 2
      - 0
    .max_flat_workgroup_size: 64
    .name:           _ZN9rocsolver6v33100L18getri_kernel_smallILi33EdPdEEvT1_iilPiilS4_bb
    .private_segment_fixed_size: 272
    .sgpr_count:     21
    .sgpr_spill_count: 0
    .symbol:         _ZN9rocsolver6v33100L18getri_kernel_smallILi33EdPdEEvT1_iilPiilS4_bb.kd
    .uniform_work_group_size: 1
    .uses_dynamic_stack: false
    .vgpr_count:     114
    .vgpr_spill_count: 0
    .wavefront_size: 32
  - .args:
      - .address_space:  global
        .offset:         0
        .size:           8
        .value_kind:     global_buffer
      - .offset:         8
        .size:           4
        .value_kind:     by_value
      - .offset:         12
        .size:           4
        .value_kind:     by_value
      - .offset:         16
        .size:           8
        .value_kind:     by_value
      - .address_space:  global
        .offset:         24
        .size:           8
        .value_kind:     global_buffer
      - .offset:         32
        .size:           4
        .value_kind:     by_value
      - .offset:         40
        .size:           8
        .value_kind:     by_value
      - .address_space:  global
        .offset:         48
        .size:           8
        .value_kind:     global_buffer
      - .offset:         56
        .size:           1
        .value_kind:     by_value
      - .offset:         57
        .size:           1
        .value_kind:     by_value
    .group_segment_fixed_size: 552
    .kernarg_segment_align: 8
    .kernarg_segment_size: 60
    .language:       OpenCL C
    .language_version:
      - 2
      - 0
    .max_flat_workgroup_size: 64
    .name:           _ZN9rocsolver6v33100L18getri_kernel_smallILi34EdPdEEvT1_iilPiilS4_bb
    .private_segment_fixed_size: 288
    .sgpr_count:     21
    .sgpr_spill_count: 0
    .symbol:         _ZN9rocsolver6v33100L18getri_kernel_smallILi34EdPdEEvT1_iilPiilS4_bb.kd
    .uniform_work_group_size: 1
    .uses_dynamic_stack: false
    .vgpr_count:     114
    .vgpr_spill_count: 0
    .wavefront_size: 32
  - .args:
      - .address_space:  global
        .offset:         0
        .size:           8
        .value_kind:     global_buffer
      - .offset:         8
        .size:           4
        .value_kind:     by_value
      - .offset:         12
        .size:           4
        .value_kind:     by_value
      - .offset:         16
        .size:           8
        .value_kind:     by_value
      - .address_space:  global
        .offset:         24
        .size:           8
        .value_kind:     global_buffer
      - .offset:         32
        .size:           4
        .value_kind:     by_value
      - .offset:         40
        .size:           8
        .value_kind:     by_value
      - .address_space:  global
        .offset:         48
        .size:           8
        .value_kind:     global_buffer
      - .offset:         56
        .size:           1
        .value_kind:     by_value
      - .offset:         57
        .size:           1
        .value_kind:     by_value
    .group_segment_fixed_size: 568
    .kernarg_segment_align: 8
    .kernarg_segment_size: 60
    .language:       OpenCL C
    .language_version:
      - 2
      - 0
    .max_flat_workgroup_size: 64
    .name:           _ZN9rocsolver6v33100L18getri_kernel_smallILi35EdPdEEvT1_iilPiilS4_bb
    .private_segment_fixed_size: 288
    .sgpr_count:     21
    .sgpr_spill_count: 0
    .symbol:         _ZN9rocsolver6v33100L18getri_kernel_smallILi35EdPdEEvT1_iilPiilS4_bb.kd
    .uniform_work_group_size: 1
    .uses_dynamic_stack: false
    .vgpr_count:     114
    .vgpr_spill_count: 0
    .wavefront_size: 32
  - .args:
      - .address_space:  global
        .offset:         0
        .size:           8
        .value_kind:     global_buffer
      - .offset:         8
        .size:           4
        .value_kind:     by_value
      - .offset:         12
        .size:           4
        .value_kind:     by_value
      - .offset:         16
        .size:           8
        .value_kind:     by_value
      - .address_space:  global
        .offset:         24
        .size:           8
        .value_kind:     global_buffer
      - .offset:         32
        .size:           4
        .value_kind:     by_value
      - .offset:         40
        .size:           8
        .value_kind:     by_value
      - .address_space:  global
        .offset:         48
        .size:           8
        .value_kind:     global_buffer
      - .offset:         56
        .size:           1
        .value_kind:     by_value
      - .offset:         57
        .size:           1
        .value_kind:     by_value
    .group_segment_fixed_size: 584
    .kernarg_segment_align: 8
    .kernarg_segment_size: 60
    .language:       OpenCL C
    .language_version:
      - 2
      - 0
    .max_flat_workgroup_size: 64
    .name:           _ZN9rocsolver6v33100L18getri_kernel_smallILi36EdPdEEvT1_iilPiilS4_bb
    .private_segment_fixed_size: 304
    .sgpr_count:     21
    .sgpr_spill_count: 0
    .symbol:         _ZN9rocsolver6v33100L18getri_kernel_smallILi36EdPdEEvT1_iilPiilS4_bb.kd
    .uniform_work_group_size: 1
    .uses_dynamic_stack: false
    .vgpr_count:     114
    .vgpr_spill_count: 0
    .wavefront_size: 32
  - .args:
      - .address_space:  global
        .offset:         0
        .size:           8
        .value_kind:     global_buffer
      - .offset:         8
        .size:           4
        .value_kind:     by_value
      - .offset:         12
        .size:           4
        .value_kind:     by_value
      - .offset:         16
        .size:           8
        .value_kind:     by_value
      - .address_space:  global
        .offset:         24
        .size:           8
        .value_kind:     global_buffer
      - .offset:         32
        .size:           4
        .value_kind:     by_value
      - .offset:         40
        .size:           8
        .value_kind:     by_value
      - .address_space:  global
        .offset:         48
        .size:           8
        .value_kind:     global_buffer
      - .offset:         56
        .size:           1
        .value_kind:     by_value
      - .offset:         57
        .size:           1
        .value_kind:     by_value
    .group_segment_fixed_size: 600
    .kernarg_segment_align: 8
    .kernarg_segment_size: 60
    .language:       OpenCL C
    .language_version:
      - 2
      - 0
    .max_flat_workgroup_size: 64
    .name:           _ZN9rocsolver6v33100L18getri_kernel_smallILi37EdPdEEvT1_iilPiilS4_bb
    .private_segment_fixed_size: 304
    .sgpr_count:     21
    .sgpr_spill_count: 0
    .symbol:         _ZN9rocsolver6v33100L18getri_kernel_smallILi37EdPdEEvT1_iilPiilS4_bb.kd
    .uniform_work_group_size: 1
    .uses_dynamic_stack: false
    .vgpr_count:     116
    .vgpr_spill_count: 0
    .wavefront_size: 32
  - .args:
      - .address_space:  global
        .offset:         0
        .size:           8
        .value_kind:     global_buffer
      - .offset:         8
        .size:           4
        .value_kind:     by_value
      - .offset:         12
        .size:           4
        .value_kind:     by_value
      - .offset:         16
        .size:           8
        .value_kind:     by_value
      - .address_space:  global
        .offset:         24
        .size:           8
        .value_kind:     global_buffer
      - .offset:         32
        .size:           4
        .value_kind:     by_value
      - .offset:         40
        .size:           8
        .value_kind:     by_value
      - .address_space:  global
        .offset:         48
        .size:           8
        .value_kind:     global_buffer
      - .offset:         56
        .size:           1
        .value_kind:     by_value
      - .offset:         57
        .size:           1
        .value_kind:     by_value
    .group_segment_fixed_size: 616
    .kernarg_segment_align: 8
    .kernarg_segment_size: 60
    .language:       OpenCL C
    .language_version:
      - 2
      - 0
    .max_flat_workgroup_size: 64
    .name:           _ZN9rocsolver6v33100L18getri_kernel_smallILi38EdPdEEvT1_iilPiilS4_bb
    .private_segment_fixed_size: 320
    .sgpr_count:     21
    .sgpr_spill_count: 0
    .symbol:         _ZN9rocsolver6v33100L18getri_kernel_smallILi38EdPdEEvT1_iilPiilS4_bb.kd
    .uniform_work_group_size: 1
    .uses_dynamic_stack: false
    .vgpr_count:     118
    .vgpr_spill_count: 0
    .wavefront_size: 32
  - .args:
      - .address_space:  global
        .offset:         0
        .size:           8
        .value_kind:     global_buffer
      - .offset:         8
        .size:           4
        .value_kind:     by_value
      - .offset:         12
        .size:           4
        .value_kind:     by_value
      - .offset:         16
        .size:           8
        .value_kind:     by_value
      - .address_space:  global
        .offset:         24
        .size:           8
        .value_kind:     global_buffer
      - .offset:         32
        .size:           4
        .value_kind:     by_value
      - .offset:         40
        .size:           8
        .value_kind:     by_value
      - .address_space:  global
        .offset:         48
        .size:           8
        .value_kind:     global_buffer
      - .offset:         56
        .size:           1
        .value_kind:     by_value
      - .offset:         57
        .size:           1
        .value_kind:     by_value
    .group_segment_fixed_size: 632
    .kernarg_segment_align: 8
    .kernarg_segment_size: 60
    .language:       OpenCL C
    .language_version:
      - 2
      - 0
    .max_flat_workgroup_size: 64
    .name:           _ZN9rocsolver6v33100L18getri_kernel_smallILi39EdPdEEvT1_iilPiilS4_bb
    .private_segment_fixed_size: 320
    .sgpr_count:     21
    .sgpr_spill_count: 0
    .symbol:         _ZN9rocsolver6v33100L18getri_kernel_smallILi39EdPdEEvT1_iilPiilS4_bb.kd
    .uniform_work_group_size: 1
    .uses_dynamic_stack: false
    .vgpr_count:     120
    .vgpr_spill_count: 0
    .wavefront_size: 32
  - .args:
      - .address_space:  global
        .offset:         0
        .size:           8
        .value_kind:     global_buffer
      - .offset:         8
        .size:           4
        .value_kind:     by_value
      - .offset:         12
        .size:           4
        .value_kind:     by_value
      - .offset:         16
        .size:           8
        .value_kind:     by_value
      - .address_space:  global
        .offset:         24
        .size:           8
        .value_kind:     global_buffer
      - .offset:         32
        .size:           4
        .value_kind:     by_value
      - .offset:         40
        .size:           8
        .value_kind:     by_value
      - .address_space:  global
        .offset:         48
        .size:           8
        .value_kind:     global_buffer
      - .offset:         56
        .size:           1
        .value_kind:     by_value
      - .offset:         57
        .size:           1
        .value_kind:     by_value
    .group_segment_fixed_size: 648
    .kernarg_segment_align: 8
    .kernarg_segment_size: 60
    .language:       OpenCL C
    .language_version:
      - 2
      - 0
    .max_flat_workgroup_size: 64
    .name:           _ZN9rocsolver6v33100L18getri_kernel_smallILi40EdPdEEvT1_iilPiilS4_bb
    .private_segment_fixed_size: 336
    .sgpr_count:     23
    .sgpr_spill_count: 0
    .symbol:         _ZN9rocsolver6v33100L18getri_kernel_smallILi40EdPdEEvT1_iilPiilS4_bb.kd
    .uniform_work_group_size: 1
    .uses_dynamic_stack: false
    .vgpr_count:     122
    .vgpr_spill_count: 0
    .wavefront_size: 32
  - .args:
      - .address_space:  global
        .offset:         0
        .size:           8
        .value_kind:     global_buffer
      - .offset:         8
        .size:           4
        .value_kind:     by_value
      - .offset:         12
        .size:           4
        .value_kind:     by_value
      - .offset:         16
        .size:           8
        .value_kind:     by_value
      - .address_space:  global
        .offset:         24
        .size:           8
        .value_kind:     global_buffer
      - .offset:         32
        .size:           4
        .value_kind:     by_value
      - .offset:         40
        .size:           8
        .value_kind:     by_value
      - .address_space:  global
        .offset:         48
        .size:           8
        .value_kind:     global_buffer
      - .offset:         56
        .size:           1
        .value_kind:     by_value
      - .offset:         57
        .size:           1
        .value_kind:     by_value
    .group_segment_fixed_size: 664
    .kernarg_segment_align: 8
    .kernarg_segment_size: 60
    .language:       OpenCL C
    .language_version:
      - 2
      - 0
    .max_flat_workgroup_size: 64
    .name:           _ZN9rocsolver6v33100L18getri_kernel_smallILi41EdPdEEvT1_iilPiilS4_bb
    .private_segment_fixed_size: 336
    .sgpr_count:     21
    .sgpr_spill_count: 0
    .symbol:         _ZN9rocsolver6v33100L18getri_kernel_smallILi41EdPdEEvT1_iilPiilS4_bb.kd
    .uniform_work_group_size: 1
    .uses_dynamic_stack: false
    .vgpr_count:     130
    .vgpr_spill_count: 0
    .wavefront_size: 32
  - .args:
      - .address_space:  global
        .offset:         0
        .size:           8
        .value_kind:     global_buffer
      - .offset:         8
        .size:           4
        .value_kind:     by_value
      - .offset:         12
        .size:           4
        .value_kind:     by_value
      - .offset:         16
        .size:           8
        .value_kind:     by_value
      - .address_space:  global
        .offset:         24
        .size:           8
        .value_kind:     global_buffer
      - .offset:         32
        .size:           4
        .value_kind:     by_value
      - .offset:         40
        .size:           8
        .value_kind:     by_value
      - .address_space:  global
        .offset:         48
        .size:           8
        .value_kind:     global_buffer
      - .offset:         56
        .size:           1
        .value_kind:     by_value
      - .offset:         57
        .size:           1
        .value_kind:     by_value
    .group_segment_fixed_size: 680
    .kernarg_segment_align: 8
    .kernarg_segment_size: 60
    .language:       OpenCL C
    .language_version:
      - 2
      - 0
    .max_flat_workgroup_size: 64
    .name:           _ZN9rocsolver6v33100L18getri_kernel_smallILi42EdPdEEvT1_iilPiilS4_bb
    .private_segment_fixed_size: 352
    .sgpr_count:     21
    .sgpr_spill_count: 0
    .symbol:         _ZN9rocsolver6v33100L18getri_kernel_smallILi42EdPdEEvT1_iilPiilS4_bb.kd
    .uniform_work_group_size: 1
    .uses_dynamic_stack: false
    .vgpr_count:     128
    .vgpr_spill_count: 0
    .wavefront_size: 32
  - .args:
      - .address_space:  global
        .offset:         0
        .size:           8
        .value_kind:     global_buffer
      - .offset:         8
        .size:           4
        .value_kind:     by_value
      - .offset:         12
        .size:           4
        .value_kind:     by_value
      - .offset:         16
        .size:           8
        .value_kind:     by_value
      - .address_space:  global
        .offset:         24
        .size:           8
        .value_kind:     global_buffer
      - .offset:         32
        .size:           4
        .value_kind:     by_value
      - .offset:         40
        .size:           8
        .value_kind:     by_value
      - .address_space:  global
        .offset:         48
        .size:           8
        .value_kind:     global_buffer
      - .offset:         56
        .size:           1
        .value_kind:     by_value
      - .offset:         57
        .size:           1
        .value_kind:     by_value
    .group_segment_fixed_size: 696
    .kernarg_segment_align: 8
    .kernarg_segment_size: 60
    .language:       OpenCL C
    .language_version:
      - 2
      - 0
    .max_flat_workgroup_size: 64
    .name:           _ZN9rocsolver6v33100L18getri_kernel_smallILi43EdPdEEvT1_iilPiilS4_bb
    .private_segment_fixed_size: 352
    .sgpr_count:     21
    .sgpr_spill_count: 0
    .symbol:         _ZN9rocsolver6v33100L18getri_kernel_smallILi43EdPdEEvT1_iilPiilS4_bb.kd
    .uniform_work_group_size: 1
    .uses_dynamic_stack: false
    .vgpr_count:     132
    .vgpr_spill_count: 0
    .wavefront_size: 32
  - .args:
      - .address_space:  global
        .offset:         0
        .size:           8
        .value_kind:     global_buffer
      - .offset:         8
        .size:           4
        .value_kind:     by_value
      - .offset:         12
        .size:           4
        .value_kind:     by_value
      - .offset:         16
        .size:           8
        .value_kind:     by_value
      - .address_space:  global
        .offset:         24
        .size:           8
        .value_kind:     global_buffer
      - .offset:         32
        .size:           4
        .value_kind:     by_value
      - .offset:         40
        .size:           8
        .value_kind:     by_value
      - .address_space:  global
        .offset:         48
        .size:           8
        .value_kind:     global_buffer
      - .offset:         56
        .size:           1
        .value_kind:     by_value
      - .offset:         57
        .size:           1
        .value_kind:     by_value
    .group_segment_fixed_size: 712
    .kernarg_segment_align: 8
    .kernarg_segment_size: 60
    .language:       OpenCL C
    .language_version:
      - 2
      - 0
    .max_flat_workgroup_size: 64
    .name:           _ZN9rocsolver6v33100L18getri_kernel_smallILi44EdPdEEvT1_iilPiilS4_bb
    .private_segment_fixed_size: 368
    .sgpr_count:     21
    .sgpr_spill_count: 0
    .symbol:         _ZN9rocsolver6v33100L18getri_kernel_smallILi44EdPdEEvT1_iilPiilS4_bb.kd
    .uniform_work_group_size: 1
    .uses_dynamic_stack: false
    .vgpr_count:     130
    .vgpr_spill_count: 0
    .wavefront_size: 32
  - .args:
      - .address_space:  global
        .offset:         0
        .size:           8
        .value_kind:     global_buffer
      - .offset:         8
        .size:           4
        .value_kind:     by_value
      - .offset:         12
        .size:           4
        .value_kind:     by_value
      - .offset:         16
        .size:           8
        .value_kind:     by_value
      - .address_space:  global
        .offset:         24
        .size:           8
        .value_kind:     global_buffer
      - .offset:         32
        .size:           4
        .value_kind:     by_value
      - .offset:         40
        .size:           8
        .value_kind:     by_value
      - .address_space:  global
        .offset:         48
        .size:           8
        .value_kind:     global_buffer
      - .offset:         56
        .size:           1
        .value_kind:     by_value
      - .offset:         57
        .size:           1
        .value_kind:     by_value
    .group_segment_fixed_size: 728
    .kernarg_segment_align: 8
    .kernarg_segment_size: 60
    .language:       OpenCL C
    .language_version:
      - 2
      - 0
    .max_flat_workgroup_size: 64
    .name:           _ZN9rocsolver6v33100L18getri_kernel_smallILi45EdPdEEvT1_iilPiilS4_bb
    .private_segment_fixed_size: 368
    .sgpr_count:     21
    .sgpr_spill_count: 0
    .symbol:         _ZN9rocsolver6v33100L18getri_kernel_smallILi45EdPdEEvT1_iilPiilS4_bb.kd
    .uniform_work_group_size: 1
    .uses_dynamic_stack: false
    .vgpr_count:     132
    .vgpr_spill_count: 0
    .wavefront_size: 32
  - .args:
      - .address_space:  global
        .offset:         0
        .size:           8
        .value_kind:     global_buffer
      - .offset:         8
        .size:           4
        .value_kind:     by_value
      - .offset:         12
        .size:           4
        .value_kind:     by_value
      - .offset:         16
        .size:           8
        .value_kind:     by_value
      - .address_space:  global
        .offset:         24
        .size:           8
        .value_kind:     global_buffer
      - .offset:         32
        .size:           4
        .value_kind:     by_value
      - .offset:         40
        .size:           8
        .value_kind:     by_value
      - .address_space:  global
        .offset:         48
        .size:           8
        .value_kind:     global_buffer
      - .offset:         56
        .size:           1
        .value_kind:     by_value
      - .offset:         57
        .size:           1
        .value_kind:     by_value
    .group_segment_fixed_size: 744
    .kernarg_segment_align: 8
    .kernarg_segment_size: 60
    .language:       OpenCL C
    .language_version:
      - 2
      - 0
    .max_flat_workgroup_size: 64
    .name:           _ZN9rocsolver6v33100L18getri_kernel_smallILi46EdPdEEvT1_iilPiilS4_bb
    .private_segment_fixed_size: 384
    .sgpr_count:     23
    .sgpr_spill_count: 0
    .symbol:         _ZN9rocsolver6v33100L18getri_kernel_smallILi46EdPdEEvT1_iilPiilS4_bb.kd
    .uniform_work_group_size: 1
    .uses_dynamic_stack: false
    .vgpr_count:     134
    .vgpr_spill_count: 0
    .wavefront_size: 32
  - .args:
      - .address_space:  global
        .offset:         0
        .size:           8
        .value_kind:     global_buffer
      - .offset:         8
        .size:           4
        .value_kind:     by_value
      - .offset:         12
        .size:           4
        .value_kind:     by_value
      - .offset:         16
        .size:           8
        .value_kind:     by_value
      - .address_space:  global
        .offset:         24
        .size:           8
        .value_kind:     global_buffer
      - .offset:         32
        .size:           4
        .value_kind:     by_value
      - .offset:         40
        .size:           8
        .value_kind:     by_value
      - .address_space:  global
        .offset:         48
        .size:           8
        .value_kind:     global_buffer
      - .offset:         56
        .size:           1
        .value_kind:     by_value
      - .offset:         57
        .size:           1
        .value_kind:     by_value
    .group_segment_fixed_size: 760
    .kernarg_segment_align: 8
    .kernarg_segment_size: 60
    .language:       OpenCL C
    .language_version:
      - 2
      - 0
    .max_flat_workgroup_size: 64
    .name:           _ZN9rocsolver6v33100L18getri_kernel_smallILi47EdPdEEvT1_iilPiilS4_bb
    .private_segment_fixed_size: 384
    .sgpr_count:     23
    .sgpr_spill_count: 0
    .symbol:         _ZN9rocsolver6v33100L18getri_kernel_smallILi47EdPdEEvT1_iilPiilS4_bb.kd
    .uniform_work_group_size: 1
    .uses_dynamic_stack: false
    .vgpr_count:     138
    .vgpr_spill_count: 0
    .wavefront_size: 32
  - .args:
      - .address_space:  global
        .offset:         0
        .size:           8
        .value_kind:     global_buffer
      - .offset:         8
        .size:           4
        .value_kind:     by_value
      - .offset:         12
        .size:           4
        .value_kind:     by_value
      - .offset:         16
        .size:           8
        .value_kind:     by_value
      - .address_space:  global
        .offset:         24
        .size:           8
        .value_kind:     global_buffer
      - .offset:         32
        .size:           4
        .value_kind:     by_value
      - .offset:         40
        .size:           8
        .value_kind:     by_value
      - .address_space:  global
        .offset:         48
        .size:           8
        .value_kind:     global_buffer
      - .offset:         56
        .size:           1
        .value_kind:     by_value
      - .offset:         57
        .size:           1
        .value_kind:     by_value
    .group_segment_fixed_size: 776
    .kernarg_segment_align: 8
    .kernarg_segment_size: 60
    .language:       OpenCL C
    .language_version:
      - 2
      - 0
    .max_flat_workgroup_size: 64
    .name:           _ZN9rocsolver6v33100L18getri_kernel_smallILi48EdPdEEvT1_iilPiilS4_bb
    .private_segment_fixed_size: 400
    .sgpr_count:     21
    .sgpr_spill_count: 0
    .symbol:         _ZN9rocsolver6v33100L18getri_kernel_smallILi48EdPdEEvT1_iilPiilS4_bb.kd
    .uniform_work_group_size: 1
    .uses_dynamic_stack: false
    .vgpr_count:     144
    .vgpr_spill_count: 0
    .wavefront_size: 32
  - .args:
      - .address_space:  global
        .offset:         0
        .size:           8
        .value_kind:     global_buffer
      - .offset:         8
        .size:           4
        .value_kind:     by_value
      - .offset:         12
        .size:           4
        .value_kind:     by_value
      - .offset:         16
        .size:           8
        .value_kind:     by_value
      - .address_space:  global
        .offset:         24
        .size:           8
        .value_kind:     global_buffer
      - .offset:         32
        .size:           4
        .value_kind:     by_value
      - .offset:         40
        .size:           8
        .value_kind:     by_value
      - .address_space:  global
        .offset:         48
        .size:           8
        .value_kind:     global_buffer
      - .offset:         56
        .size:           1
        .value_kind:     by_value
      - .offset:         57
        .size:           1
        .value_kind:     by_value
    .group_segment_fixed_size: 792
    .kernarg_segment_align: 8
    .kernarg_segment_size: 60
    .language:       OpenCL C
    .language_version:
      - 2
      - 0
    .max_flat_workgroup_size: 64
    .name:           _ZN9rocsolver6v33100L18getri_kernel_smallILi49EdPdEEvT1_iilPiilS4_bb
    .private_segment_fixed_size: 400
    .sgpr_count:     21
    .sgpr_spill_count: 0
    .symbol:         _ZN9rocsolver6v33100L18getri_kernel_smallILi49EdPdEEvT1_iilPiilS4_bb.kd
    .uniform_work_group_size: 1
    .uses_dynamic_stack: false
    .vgpr_count:     148
    .vgpr_spill_count: 0
    .wavefront_size: 32
  - .args:
      - .address_space:  global
        .offset:         0
        .size:           8
        .value_kind:     global_buffer
      - .offset:         8
        .size:           4
        .value_kind:     by_value
      - .offset:         12
        .size:           4
        .value_kind:     by_value
      - .offset:         16
        .size:           8
        .value_kind:     by_value
      - .address_space:  global
        .offset:         24
        .size:           8
        .value_kind:     global_buffer
      - .offset:         32
        .size:           4
        .value_kind:     by_value
      - .offset:         40
        .size:           8
        .value_kind:     by_value
      - .address_space:  global
        .offset:         48
        .size:           8
        .value_kind:     global_buffer
      - .offset:         56
        .size:           1
        .value_kind:     by_value
      - .offset:         57
        .size:           1
        .value_kind:     by_value
    .group_segment_fixed_size: 808
    .kernarg_segment_align: 8
    .kernarg_segment_size: 60
    .language:       OpenCL C
    .language_version:
      - 2
      - 0
    .max_flat_workgroup_size: 64
    .name:           _ZN9rocsolver6v33100L18getri_kernel_smallILi50EdPdEEvT1_iilPiilS4_bb
    .private_segment_fixed_size: 416
    .sgpr_count:     21
    .sgpr_spill_count: 0
    .symbol:         _ZN9rocsolver6v33100L18getri_kernel_smallILi50EdPdEEvT1_iilPiilS4_bb.kd
    .uniform_work_group_size: 1
    .uses_dynamic_stack: false
    .vgpr_count:     144
    .vgpr_spill_count: 0
    .wavefront_size: 32
  - .args:
      - .address_space:  global
        .offset:         0
        .size:           8
        .value_kind:     global_buffer
      - .offset:         8
        .size:           4
        .value_kind:     by_value
      - .offset:         12
        .size:           4
        .value_kind:     by_value
      - .offset:         16
        .size:           8
        .value_kind:     by_value
      - .address_space:  global
        .offset:         24
        .size:           8
        .value_kind:     global_buffer
      - .offset:         32
        .size:           4
        .value_kind:     by_value
      - .offset:         40
        .size:           8
        .value_kind:     by_value
      - .address_space:  global
        .offset:         48
        .size:           8
        .value_kind:     global_buffer
      - .offset:         56
        .size:           1
        .value_kind:     by_value
      - .offset:         57
        .size:           1
        .value_kind:     by_value
    .group_segment_fixed_size: 824
    .kernarg_segment_align: 8
    .kernarg_segment_size: 60
    .language:       OpenCL C
    .language_version:
      - 2
      - 0
    .max_flat_workgroup_size: 64
    .name:           _ZN9rocsolver6v33100L18getri_kernel_smallILi51EdPdEEvT1_iilPiilS4_bb
    .private_segment_fixed_size: 416
    .sgpr_count:     21
    .sgpr_spill_count: 0
    .symbol:         _ZN9rocsolver6v33100L18getri_kernel_smallILi51EdPdEEvT1_iilPiilS4_bb.kd
    .uniform_work_group_size: 1
    .uses_dynamic_stack: false
    .vgpr_count:     148
    .vgpr_spill_count: 0
    .wavefront_size: 32
  - .args:
      - .address_space:  global
        .offset:         0
        .size:           8
        .value_kind:     global_buffer
      - .offset:         8
        .size:           4
        .value_kind:     by_value
      - .offset:         12
        .size:           4
        .value_kind:     by_value
      - .offset:         16
        .size:           8
        .value_kind:     by_value
      - .address_space:  global
        .offset:         24
        .size:           8
        .value_kind:     global_buffer
      - .offset:         32
        .size:           4
        .value_kind:     by_value
      - .offset:         40
        .size:           8
        .value_kind:     by_value
      - .address_space:  global
        .offset:         48
        .size:           8
        .value_kind:     global_buffer
      - .offset:         56
        .size:           1
        .value_kind:     by_value
      - .offset:         57
        .size:           1
        .value_kind:     by_value
    .group_segment_fixed_size: 840
    .kernarg_segment_align: 8
    .kernarg_segment_size: 60
    .language:       OpenCL C
    .language_version:
      - 2
      - 0
    .max_flat_workgroup_size: 64
    .name:           _ZN9rocsolver6v33100L18getri_kernel_smallILi52EdPdEEvT1_iilPiilS4_bb
    .private_segment_fixed_size: 432
    .sgpr_count:     23
    .sgpr_spill_count: 0
    .symbol:         _ZN9rocsolver6v33100L18getri_kernel_smallILi52EdPdEEvT1_iilPiilS4_bb.kd
    .uniform_work_group_size: 1
    .uses_dynamic_stack: false
    .vgpr_count:     146
    .vgpr_spill_count: 0
    .wavefront_size: 32
  - .args:
      - .address_space:  global
        .offset:         0
        .size:           8
        .value_kind:     global_buffer
      - .offset:         8
        .size:           4
        .value_kind:     by_value
      - .offset:         12
        .size:           4
        .value_kind:     by_value
      - .offset:         16
        .size:           8
        .value_kind:     by_value
      - .address_space:  global
        .offset:         24
        .size:           8
        .value_kind:     global_buffer
      - .offset:         32
        .size:           4
        .value_kind:     by_value
      - .offset:         40
        .size:           8
        .value_kind:     by_value
      - .address_space:  global
        .offset:         48
        .size:           8
        .value_kind:     global_buffer
      - .offset:         56
        .size:           1
        .value_kind:     by_value
      - .offset:         57
        .size:           1
        .value_kind:     by_value
    .group_segment_fixed_size: 856
    .kernarg_segment_align: 8
    .kernarg_segment_size: 60
    .language:       OpenCL C
    .language_version:
      - 2
      - 0
    .max_flat_workgroup_size: 64
    .name:           _ZN9rocsolver6v33100L18getri_kernel_smallILi53EdPdEEvT1_iilPiilS4_bb
    .private_segment_fixed_size: 432
    .sgpr_count:     23
    .sgpr_spill_count: 0
    .symbol:         _ZN9rocsolver6v33100L18getri_kernel_smallILi53EdPdEEvT1_iilPiilS4_bb.kd
    .uniform_work_group_size: 1
    .uses_dynamic_stack: false
    .vgpr_count:     154
    .vgpr_spill_count: 0
    .wavefront_size: 32
  - .args:
      - .address_space:  global
        .offset:         0
        .size:           8
        .value_kind:     global_buffer
      - .offset:         8
        .size:           4
        .value_kind:     by_value
      - .offset:         12
        .size:           4
        .value_kind:     by_value
      - .offset:         16
        .size:           8
        .value_kind:     by_value
      - .address_space:  global
        .offset:         24
        .size:           8
        .value_kind:     global_buffer
      - .offset:         32
        .size:           4
        .value_kind:     by_value
      - .offset:         40
        .size:           8
        .value_kind:     by_value
      - .address_space:  global
        .offset:         48
        .size:           8
        .value_kind:     global_buffer
      - .offset:         56
        .size:           1
        .value_kind:     by_value
      - .offset:         57
        .size:           1
        .value_kind:     by_value
    .group_segment_fixed_size: 872
    .kernarg_segment_align: 8
    .kernarg_segment_size: 60
    .language:       OpenCL C
    .language_version:
      - 2
      - 0
    .max_flat_workgroup_size: 64
    .name:           _ZN9rocsolver6v33100L18getri_kernel_smallILi54EdPdEEvT1_iilPiilS4_bb
    .private_segment_fixed_size: 448
    .sgpr_count:     23
    .sgpr_spill_count: 0
    .symbol:         _ZN9rocsolver6v33100L18getri_kernel_smallILi54EdPdEEvT1_iilPiilS4_bb.kd
    .uniform_work_group_size: 1
    .uses_dynamic_stack: false
    .vgpr_count:     160
    .vgpr_spill_count: 0
    .wavefront_size: 32
  - .args:
      - .address_space:  global
        .offset:         0
        .size:           8
        .value_kind:     global_buffer
      - .offset:         8
        .size:           4
        .value_kind:     by_value
      - .offset:         12
        .size:           4
        .value_kind:     by_value
      - .offset:         16
        .size:           8
        .value_kind:     by_value
      - .address_space:  global
        .offset:         24
        .size:           8
        .value_kind:     global_buffer
      - .offset:         32
        .size:           4
        .value_kind:     by_value
      - .offset:         40
        .size:           8
        .value_kind:     by_value
      - .address_space:  global
        .offset:         48
        .size:           8
        .value_kind:     global_buffer
      - .offset:         56
        .size:           1
        .value_kind:     by_value
      - .offset:         57
        .size:           1
        .value_kind:     by_value
    .group_segment_fixed_size: 888
    .kernarg_segment_align: 8
    .kernarg_segment_size: 60
    .language:       OpenCL C
    .language_version:
      - 2
      - 0
    .max_flat_workgroup_size: 64
    .name:           _ZN9rocsolver6v33100L18getri_kernel_smallILi55EdPdEEvT1_iilPiilS4_bb
    .private_segment_fixed_size: 448
    .sgpr_count:     21
    .sgpr_spill_count: 0
    .symbol:         _ZN9rocsolver6v33100L18getri_kernel_smallILi55EdPdEEvT1_iilPiilS4_bb.kd
    .uniform_work_group_size: 1
    .uses_dynamic_stack: false
    .vgpr_count:     166
    .vgpr_spill_count: 0
    .wavefront_size: 32
  - .args:
      - .address_space:  global
        .offset:         0
        .size:           8
        .value_kind:     global_buffer
      - .offset:         8
        .size:           4
        .value_kind:     by_value
      - .offset:         12
        .size:           4
        .value_kind:     by_value
      - .offset:         16
        .size:           8
        .value_kind:     by_value
      - .address_space:  global
        .offset:         24
        .size:           8
        .value_kind:     global_buffer
      - .offset:         32
        .size:           4
        .value_kind:     by_value
      - .offset:         40
        .size:           8
        .value_kind:     by_value
      - .address_space:  global
        .offset:         48
        .size:           8
        .value_kind:     global_buffer
      - .offset:         56
        .size:           1
        .value_kind:     by_value
      - .offset:         57
        .size:           1
        .value_kind:     by_value
    .group_segment_fixed_size: 904
    .kernarg_segment_align: 8
    .kernarg_segment_size: 60
    .language:       OpenCL C
    .language_version:
      - 2
      - 0
    .max_flat_workgroup_size: 64
    .name:           _ZN9rocsolver6v33100L18getri_kernel_smallILi56EdPdEEvT1_iilPiilS4_bb
    .private_segment_fixed_size: 464
    .sgpr_count:     21
    .sgpr_spill_count: 0
    .symbol:         _ZN9rocsolver6v33100L18getri_kernel_smallILi56EdPdEEvT1_iilPiilS4_bb.kd
    .uniform_work_group_size: 1
    .uses_dynamic_stack: false
    .vgpr_count:     164
    .vgpr_spill_count: 0
    .wavefront_size: 32
  - .args:
      - .address_space:  global
        .offset:         0
        .size:           8
        .value_kind:     global_buffer
      - .offset:         8
        .size:           4
        .value_kind:     by_value
      - .offset:         12
        .size:           4
        .value_kind:     by_value
      - .offset:         16
        .size:           8
        .value_kind:     by_value
      - .address_space:  global
        .offset:         24
        .size:           8
        .value_kind:     global_buffer
      - .offset:         32
        .size:           4
        .value_kind:     by_value
      - .offset:         40
        .size:           8
        .value_kind:     by_value
      - .address_space:  global
        .offset:         48
        .size:           8
        .value_kind:     global_buffer
      - .offset:         56
        .size:           1
        .value_kind:     by_value
      - .offset:         57
        .size:           1
        .value_kind:     by_value
    .group_segment_fixed_size: 920
    .kernarg_segment_align: 8
    .kernarg_segment_size: 60
    .language:       OpenCL C
    .language_version:
      - 2
      - 0
    .max_flat_workgroup_size: 64
    .name:           _ZN9rocsolver6v33100L18getri_kernel_smallILi57EdPdEEvT1_iilPiilS4_bb
    .private_segment_fixed_size: 464
    .sgpr_count:     21
    .sgpr_spill_count: 0
    .symbol:         _ZN9rocsolver6v33100L18getri_kernel_smallILi57EdPdEEvT1_iilPiilS4_bb.kd
    .uniform_work_group_size: 1
    .uses_dynamic_stack: false
    .vgpr_count:     164
    .vgpr_spill_count: 0
    .wavefront_size: 32
  - .args:
      - .address_space:  global
        .offset:         0
        .size:           8
        .value_kind:     global_buffer
      - .offset:         8
        .size:           4
        .value_kind:     by_value
      - .offset:         12
        .size:           4
        .value_kind:     by_value
      - .offset:         16
        .size:           8
        .value_kind:     by_value
      - .address_space:  global
        .offset:         24
        .size:           8
        .value_kind:     global_buffer
      - .offset:         32
        .size:           4
        .value_kind:     by_value
      - .offset:         40
        .size:           8
        .value_kind:     by_value
      - .address_space:  global
        .offset:         48
        .size:           8
        .value_kind:     global_buffer
      - .offset:         56
        .size:           1
        .value_kind:     by_value
      - .offset:         57
        .size:           1
        .value_kind:     by_value
    .group_segment_fixed_size: 936
    .kernarg_segment_align: 8
    .kernarg_segment_size: 60
    .language:       OpenCL C
    .language_version:
      - 2
      - 0
    .max_flat_workgroup_size: 64
    .name:           _ZN9rocsolver6v33100L18getri_kernel_smallILi58EdPdEEvT1_iilPiilS4_bb
    .private_segment_fixed_size: 480
    .sgpr_count:     23
    .sgpr_spill_count: 0
    .symbol:         _ZN9rocsolver6v33100L18getri_kernel_smallILi58EdPdEEvT1_iilPiilS4_bb.kd
    .uniform_work_group_size: 1
    .uses_dynamic_stack: false
    .vgpr_count:     164
    .vgpr_spill_count: 0
    .wavefront_size: 32
  - .args:
      - .address_space:  global
        .offset:         0
        .size:           8
        .value_kind:     global_buffer
      - .offset:         8
        .size:           4
        .value_kind:     by_value
      - .offset:         12
        .size:           4
        .value_kind:     by_value
      - .offset:         16
        .size:           8
        .value_kind:     by_value
      - .address_space:  global
        .offset:         24
        .size:           8
        .value_kind:     global_buffer
      - .offset:         32
        .size:           4
        .value_kind:     by_value
      - .offset:         40
        .size:           8
        .value_kind:     by_value
      - .address_space:  global
        .offset:         48
        .size:           8
        .value_kind:     global_buffer
      - .offset:         56
        .size:           1
        .value_kind:     by_value
      - .offset:         57
        .size:           1
        .value_kind:     by_value
    .group_segment_fixed_size: 952
    .kernarg_segment_align: 8
    .kernarg_segment_size: 60
    .language:       OpenCL C
    .language_version:
      - 2
      - 0
    .max_flat_workgroup_size: 64
    .name:           _ZN9rocsolver6v33100L18getri_kernel_smallILi59EdPdEEvT1_iilPiilS4_bb
    .private_segment_fixed_size: 480
    .sgpr_count:     23
    .sgpr_spill_count: 0
    .symbol:         _ZN9rocsolver6v33100L18getri_kernel_smallILi59EdPdEEvT1_iilPiilS4_bb.kd
    .uniform_work_group_size: 1
    .uses_dynamic_stack: false
    .vgpr_count:     170
    .vgpr_spill_count: 0
    .wavefront_size: 32
  - .args:
      - .address_space:  global
        .offset:         0
        .size:           8
        .value_kind:     global_buffer
      - .offset:         8
        .size:           4
        .value_kind:     by_value
      - .offset:         12
        .size:           4
        .value_kind:     by_value
      - .offset:         16
        .size:           8
        .value_kind:     by_value
      - .address_space:  global
        .offset:         24
        .size:           8
        .value_kind:     global_buffer
      - .offset:         32
        .size:           4
        .value_kind:     by_value
      - .offset:         40
        .size:           8
        .value_kind:     by_value
      - .address_space:  global
        .offset:         48
        .size:           8
        .value_kind:     global_buffer
      - .offset:         56
        .size:           1
        .value_kind:     by_value
      - .offset:         57
        .size:           1
        .value_kind:     by_value
    .group_segment_fixed_size: 968
    .kernarg_segment_align: 8
    .kernarg_segment_size: 60
    .language:       OpenCL C
    .language_version:
      - 2
      - 0
    .max_flat_workgroup_size: 64
    .name:           _ZN9rocsolver6v33100L18getri_kernel_smallILi60EdPdEEvT1_iilPiilS4_bb
    .private_segment_fixed_size: 496
    .sgpr_count:     23
    .sgpr_spill_count: 0
    .symbol:         _ZN9rocsolver6v33100L18getri_kernel_smallILi60EdPdEEvT1_iilPiilS4_bb.kd
    .uniform_work_group_size: 1
    .uses_dynamic_stack: false
    .vgpr_count:     176
    .vgpr_spill_count: 0
    .wavefront_size: 32
  - .args:
      - .address_space:  global
        .offset:         0
        .size:           8
        .value_kind:     global_buffer
      - .offset:         8
        .size:           4
        .value_kind:     by_value
      - .offset:         12
        .size:           4
        .value_kind:     by_value
      - .offset:         16
        .size:           8
        .value_kind:     by_value
      - .address_space:  global
        .offset:         24
        .size:           8
        .value_kind:     global_buffer
      - .offset:         32
        .size:           4
        .value_kind:     by_value
      - .offset:         40
        .size:           8
        .value_kind:     by_value
      - .address_space:  global
        .offset:         48
        .size:           8
        .value_kind:     global_buffer
      - .offset:         56
        .size:           1
        .value_kind:     by_value
      - .offset:         57
        .size:           1
        .value_kind:     by_value
    .group_segment_fixed_size: 984
    .kernarg_segment_align: 8
    .kernarg_segment_size: 60
    .language:       OpenCL C
    .language_version:
      - 2
      - 0
    .max_flat_workgroup_size: 64
    .name:           _ZN9rocsolver6v33100L18getri_kernel_smallILi61EdPdEEvT1_iilPiilS4_bb
    .private_segment_fixed_size: 496
    .sgpr_count:     21
    .sgpr_spill_count: 0
    .symbol:         _ZN9rocsolver6v33100L18getri_kernel_smallILi61EdPdEEvT1_iilPiilS4_bb.kd
    .uniform_work_group_size: 1
    .uses_dynamic_stack: false
    .vgpr_count:     182
    .vgpr_spill_count: 0
    .wavefront_size: 32
  - .args:
      - .address_space:  global
        .offset:         0
        .size:           8
        .value_kind:     global_buffer
      - .offset:         8
        .size:           4
        .value_kind:     by_value
      - .offset:         12
        .size:           4
        .value_kind:     by_value
      - .offset:         16
        .size:           8
        .value_kind:     by_value
      - .address_space:  global
        .offset:         24
        .size:           8
        .value_kind:     global_buffer
      - .offset:         32
        .size:           4
        .value_kind:     by_value
      - .offset:         40
        .size:           8
        .value_kind:     by_value
      - .address_space:  global
        .offset:         48
        .size:           8
        .value_kind:     global_buffer
      - .offset:         56
        .size:           1
        .value_kind:     by_value
      - .offset:         57
        .size:           1
        .value_kind:     by_value
    .group_segment_fixed_size: 1000
    .kernarg_segment_align: 8
    .kernarg_segment_size: 60
    .language:       OpenCL C
    .language_version:
      - 2
      - 0
    .max_flat_workgroup_size: 64
    .name:           _ZN9rocsolver6v33100L18getri_kernel_smallILi62EdPdEEvT1_iilPiilS4_bb
    .private_segment_fixed_size: 512
    .sgpr_count:     21
    .sgpr_spill_count: 0
    .symbol:         _ZN9rocsolver6v33100L18getri_kernel_smallILi62EdPdEEvT1_iilPiilS4_bb.kd
    .uniform_work_group_size: 1
    .uses_dynamic_stack: false
    .vgpr_count:     184
    .vgpr_spill_count: 0
    .wavefront_size: 32
  - .args:
      - .address_space:  global
        .offset:         0
        .size:           8
        .value_kind:     global_buffer
      - .offset:         8
        .size:           4
        .value_kind:     by_value
      - .offset:         12
        .size:           4
        .value_kind:     by_value
      - .offset:         16
        .size:           8
        .value_kind:     by_value
      - .address_space:  global
        .offset:         24
        .size:           8
        .value_kind:     global_buffer
      - .offset:         32
        .size:           4
        .value_kind:     by_value
      - .offset:         40
        .size:           8
        .value_kind:     by_value
      - .address_space:  global
        .offset:         48
        .size:           8
        .value_kind:     global_buffer
      - .offset:         56
        .size:           1
        .value_kind:     by_value
      - .offset:         57
        .size:           1
        .value_kind:     by_value
    .group_segment_fixed_size: 1016
    .kernarg_segment_align: 8
    .kernarg_segment_size: 60
    .language:       OpenCL C
    .language_version:
      - 2
      - 0
    .max_flat_workgroup_size: 64
    .name:           _ZN9rocsolver6v33100L18getri_kernel_smallILi63EdPdEEvT1_iilPiilS4_bb
    .private_segment_fixed_size: 512
    .sgpr_count:     21
    .sgpr_spill_count: 0
    .symbol:         _ZN9rocsolver6v33100L18getri_kernel_smallILi63EdPdEEvT1_iilPiilS4_bb.kd
    .uniform_work_group_size: 1
    .uses_dynamic_stack: false
    .vgpr_count:     180
    .vgpr_spill_count: 0
    .wavefront_size: 32
  - .args:
      - .address_space:  global
        .offset:         0
        .size:           8
        .value_kind:     global_buffer
      - .offset:         8
        .size:           4
        .value_kind:     by_value
      - .offset:         12
        .size:           4
        .value_kind:     by_value
      - .offset:         16
        .size:           8
        .value_kind:     by_value
      - .address_space:  global
        .offset:         24
        .size:           8
        .value_kind:     global_buffer
      - .offset:         32
        .size:           4
        .value_kind:     by_value
      - .offset:         40
        .size:           8
        .value_kind:     by_value
      - .address_space:  global
        .offset:         48
        .size:           8
        .value_kind:     global_buffer
      - .offset:         56
        .size:           1
        .value_kind:     by_value
      - .offset:         57
        .size:           1
        .value_kind:     by_value
    .group_segment_fixed_size: 1032
    .kernarg_segment_align: 8
    .kernarg_segment_size: 60
    .language:       OpenCL C
    .language_version:
      - 2
      - 0
    .max_flat_workgroup_size: 64
    .name:           _ZN9rocsolver6v33100L18getri_kernel_smallILi64EdPdEEvT1_iilPiilS4_bb
    .private_segment_fixed_size: 528
    .sgpr_count:     21
    .sgpr_spill_count: 0
    .symbol:         _ZN9rocsolver6v33100L18getri_kernel_smallILi64EdPdEEvT1_iilPiilS4_bb.kd
    .uniform_work_group_size: 1
    .uses_dynamic_stack: false
    .vgpr_count:     184
    .vgpr_spill_count: 0
    .wavefront_size: 32
  - .args:
      - .address_space:  global
        .offset:         0
        .size:           8
        .value_kind:     global_buffer
      - .offset:         8
        .size:           4
        .value_kind:     by_value
      - .offset:         12
        .size:           4
        .value_kind:     by_value
      - .offset:         16
        .size:           8
        .value_kind:     by_value
      - .address_space:  global
        .offset:         24
        .size:           8
        .value_kind:     global_buffer
      - .offset:         32
        .size:           4
        .value_kind:     by_value
      - .offset:         40
        .size:           8
        .value_kind:     by_value
      - .address_space:  global
        .offset:         48
        .size:           8
        .value_kind:     global_buffer
      - .offset:         56
        .size:           1
        .value_kind:     by_value
      - .offset:         57
        .size:           1
        .value_kind:     by_value
    .group_segment_fixed_size: 4
    .kernarg_segment_align: 8
    .kernarg_segment_size: 60
    .language:       OpenCL C
    .language_version:
      - 2
      - 0
    .max_flat_workgroup_size: 64
    .name:           _ZN9rocsolver6v33100L18getri_kernel_smallILi1EdPKPdEEvT1_iilPiilS6_bb
    .private_segment_fixed_size: 0
    .sgpr_count:     15
    .sgpr_spill_count: 0
    .symbol:         _ZN9rocsolver6v33100L18getri_kernel_smallILi1EdPKPdEEvT1_iilPiilS6_bb.kd
    .uniform_work_group_size: 1
    .uses_dynamic_stack: false
    .vgpr_count:     10
    .vgpr_spill_count: 0
    .wavefront_size: 32
  - .args:
      - .address_space:  global
        .offset:         0
        .size:           8
        .value_kind:     global_buffer
      - .offset:         8
        .size:           4
        .value_kind:     by_value
      - .offset:         12
        .size:           4
        .value_kind:     by_value
      - .offset:         16
        .size:           8
        .value_kind:     by_value
      - .address_space:  global
        .offset:         24
        .size:           8
        .value_kind:     global_buffer
      - .offset:         32
        .size:           4
        .value_kind:     by_value
      - .offset:         40
        .size:           8
        .value_kind:     by_value
      - .address_space:  global
        .offset:         48
        .size:           8
        .value_kind:     global_buffer
      - .offset:         56
        .size:           1
        .value_kind:     by_value
      - .offset:         57
        .size:           1
        .value_kind:     by_value
    .group_segment_fixed_size: 40
    .kernarg_segment_align: 8
    .kernarg_segment_size: 60
    .language:       OpenCL C
    .language_version:
      - 2
      - 0
    .max_flat_workgroup_size: 64
    .name:           _ZN9rocsolver6v33100L18getri_kernel_smallILi2EdPKPdEEvT1_iilPiilS6_bb
    .private_segment_fixed_size: 0
    .sgpr_count:     21
    .sgpr_spill_count: 0
    .symbol:         _ZN9rocsolver6v33100L18getri_kernel_smallILi2EdPKPdEEvT1_iilPiilS6_bb.kd
    .uniform_work_group_size: 1
    .uses_dynamic_stack: false
    .vgpr_count:     22
    .vgpr_spill_count: 0
    .wavefront_size: 32
  - .args:
      - .address_space:  global
        .offset:         0
        .size:           8
        .value_kind:     global_buffer
      - .offset:         8
        .size:           4
        .value_kind:     by_value
      - .offset:         12
        .size:           4
        .value_kind:     by_value
      - .offset:         16
        .size:           8
        .value_kind:     by_value
      - .address_space:  global
        .offset:         24
        .size:           8
        .value_kind:     global_buffer
      - .offset:         32
        .size:           4
        .value_kind:     by_value
      - .offset:         40
        .size:           8
        .value_kind:     by_value
      - .address_space:  global
        .offset:         48
        .size:           8
        .value_kind:     global_buffer
      - .offset:         56
        .size:           1
        .value_kind:     by_value
      - .offset:         57
        .size:           1
        .value_kind:     by_value
    .group_segment_fixed_size: 56
    .kernarg_segment_align: 8
    .kernarg_segment_size: 60
    .language:       OpenCL C
    .language_version:
      - 2
      - 0
    .max_flat_workgroup_size: 64
    .name:           _ZN9rocsolver6v33100L18getri_kernel_smallILi3EdPKPdEEvT1_iilPiilS6_bb
    .private_segment_fixed_size: 0
    .sgpr_count:     21
    .sgpr_spill_count: 0
    .symbol:         _ZN9rocsolver6v33100L18getri_kernel_smallILi3EdPKPdEEvT1_iilPiilS6_bb.kd
    .uniform_work_group_size: 1
    .uses_dynamic_stack: false
    .vgpr_count:     26
    .vgpr_spill_count: 0
    .wavefront_size: 32
  - .args:
      - .address_space:  global
        .offset:         0
        .size:           8
        .value_kind:     global_buffer
      - .offset:         8
        .size:           4
        .value_kind:     by_value
      - .offset:         12
        .size:           4
        .value_kind:     by_value
      - .offset:         16
        .size:           8
        .value_kind:     by_value
      - .address_space:  global
        .offset:         24
        .size:           8
        .value_kind:     global_buffer
      - .offset:         32
        .size:           4
        .value_kind:     by_value
      - .offset:         40
        .size:           8
        .value_kind:     by_value
      - .address_space:  global
        .offset:         48
        .size:           8
        .value_kind:     global_buffer
      - .offset:         56
        .size:           1
        .value_kind:     by_value
      - .offset:         57
        .size:           1
        .value_kind:     by_value
    .group_segment_fixed_size: 72
    .kernarg_segment_align: 8
    .kernarg_segment_size: 60
    .language:       OpenCL C
    .language_version:
      - 2
      - 0
    .max_flat_workgroup_size: 64
    .name:           _ZN9rocsolver6v33100L18getri_kernel_smallILi4EdPKPdEEvT1_iilPiilS6_bb
    .private_segment_fixed_size: 0
    .sgpr_count:     21
    .sgpr_spill_count: 0
    .symbol:         _ZN9rocsolver6v33100L18getri_kernel_smallILi4EdPKPdEEvT1_iilPiilS6_bb.kd
    .uniform_work_group_size: 1
    .uses_dynamic_stack: false
    .vgpr_count:     30
    .vgpr_spill_count: 0
    .wavefront_size: 32
  - .args:
      - .address_space:  global
        .offset:         0
        .size:           8
        .value_kind:     global_buffer
      - .offset:         8
        .size:           4
        .value_kind:     by_value
      - .offset:         12
        .size:           4
        .value_kind:     by_value
      - .offset:         16
        .size:           8
        .value_kind:     by_value
      - .address_space:  global
        .offset:         24
        .size:           8
        .value_kind:     global_buffer
      - .offset:         32
        .size:           4
        .value_kind:     by_value
      - .offset:         40
        .size:           8
        .value_kind:     by_value
      - .address_space:  global
        .offset:         48
        .size:           8
        .value_kind:     global_buffer
      - .offset:         56
        .size:           1
        .value_kind:     by_value
      - .offset:         57
        .size:           1
        .value_kind:     by_value
    .group_segment_fixed_size: 88
    .kernarg_segment_align: 8
    .kernarg_segment_size: 60
    .language:       OpenCL C
    .language_version:
      - 2
      - 0
    .max_flat_workgroup_size: 64
    .name:           _ZN9rocsolver6v33100L18getri_kernel_smallILi5EdPKPdEEvT1_iilPiilS6_bb
    .private_segment_fixed_size: 0
    .sgpr_count:     18
    .sgpr_spill_count: 0
    .symbol:         _ZN9rocsolver6v33100L18getri_kernel_smallILi5EdPKPdEEvT1_iilPiilS6_bb.kd
    .uniform_work_group_size: 1
    .uses_dynamic_stack: false
    .vgpr_count:     38
    .vgpr_spill_count: 0
    .wavefront_size: 32
  - .args:
      - .address_space:  global
        .offset:         0
        .size:           8
        .value_kind:     global_buffer
      - .offset:         8
        .size:           4
        .value_kind:     by_value
      - .offset:         12
        .size:           4
        .value_kind:     by_value
      - .offset:         16
        .size:           8
        .value_kind:     by_value
      - .address_space:  global
        .offset:         24
        .size:           8
        .value_kind:     global_buffer
      - .offset:         32
        .size:           4
        .value_kind:     by_value
      - .offset:         40
        .size:           8
        .value_kind:     by_value
      - .address_space:  global
        .offset:         48
        .size:           8
        .value_kind:     global_buffer
      - .offset:         56
        .size:           1
        .value_kind:     by_value
      - .offset:         57
        .size:           1
        .value_kind:     by_value
    .group_segment_fixed_size: 104
    .kernarg_segment_align: 8
    .kernarg_segment_size: 60
    .language:       OpenCL C
    .language_version:
      - 2
      - 0
    .max_flat_workgroup_size: 64
    .name:           _ZN9rocsolver6v33100L18getri_kernel_smallILi6EdPKPdEEvT1_iilPiilS6_bb
    .private_segment_fixed_size: 0
    .sgpr_count:     18
    .sgpr_spill_count: 0
    .symbol:         _ZN9rocsolver6v33100L18getri_kernel_smallILi6EdPKPdEEvT1_iilPiilS6_bb.kd
    .uniform_work_group_size: 1
    .uses_dynamic_stack: false
    .vgpr_count:     40
    .vgpr_spill_count: 0
    .wavefront_size: 32
  - .args:
      - .address_space:  global
        .offset:         0
        .size:           8
        .value_kind:     global_buffer
      - .offset:         8
        .size:           4
        .value_kind:     by_value
      - .offset:         12
        .size:           4
        .value_kind:     by_value
      - .offset:         16
        .size:           8
        .value_kind:     by_value
      - .address_space:  global
        .offset:         24
        .size:           8
        .value_kind:     global_buffer
      - .offset:         32
        .size:           4
        .value_kind:     by_value
      - .offset:         40
        .size:           8
        .value_kind:     by_value
      - .address_space:  global
        .offset:         48
        .size:           8
        .value_kind:     global_buffer
      - .offset:         56
        .size:           1
        .value_kind:     by_value
      - .offset:         57
        .size:           1
        .value_kind:     by_value
    .group_segment_fixed_size: 120
    .kernarg_segment_align: 8
    .kernarg_segment_size: 60
    .language:       OpenCL C
    .language_version:
      - 2
      - 0
    .max_flat_workgroup_size: 64
    .name:           _ZN9rocsolver6v33100L18getri_kernel_smallILi7EdPKPdEEvT1_iilPiilS6_bb
    .private_segment_fixed_size: 0
    .sgpr_count:     18
    .sgpr_spill_count: 0
    .symbol:         _ZN9rocsolver6v33100L18getri_kernel_smallILi7EdPKPdEEvT1_iilPiilS6_bb.kd
    .uniform_work_group_size: 1
    .uses_dynamic_stack: false
    .vgpr_count:     46
    .vgpr_spill_count: 0
    .wavefront_size: 32
  - .args:
      - .address_space:  global
        .offset:         0
        .size:           8
        .value_kind:     global_buffer
      - .offset:         8
        .size:           4
        .value_kind:     by_value
      - .offset:         12
        .size:           4
        .value_kind:     by_value
      - .offset:         16
        .size:           8
        .value_kind:     by_value
      - .address_space:  global
        .offset:         24
        .size:           8
        .value_kind:     global_buffer
      - .offset:         32
        .size:           4
        .value_kind:     by_value
      - .offset:         40
        .size:           8
        .value_kind:     by_value
      - .address_space:  global
        .offset:         48
        .size:           8
        .value_kind:     global_buffer
      - .offset:         56
        .size:           1
        .value_kind:     by_value
      - .offset:         57
        .size:           1
        .value_kind:     by_value
    .group_segment_fixed_size: 136
    .kernarg_segment_align: 8
    .kernarg_segment_size: 60
    .language:       OpenCL C
    .language_version:
      - 2
      - 0
    .max_flat_workgroup_size: 64
    .name:           _ZN9rocsolver6v33100L18getri_kernel_smallILi8EdPKPdEEvT1_iilPiilS6_bb
    .private_segment_fixed_size: 0
    .sgpr_count:     19
    .sgpr_spill_count: 0
    .symbol:         _ZN9rocsolver6v33100L18getri_kernel_smallILi8EdPKPdEEvT1_iilPiilS6_bb.kd
    .uniform_work_group_size: 1
    .uses_dynamic_stack: false
    .vgpr_count:     48
    .vgpr_spill_count: 0
    .wavefront_size: 32
  - .args:
      - .address_space:  global
        .offset:         0
        .size:           8
        .value_kind:     global_buffer
      - .offset:         8
        .size:           4
        .value_kind:     by_value
      - .offset:         12
        .size:           4
        .value_kind:     by_value
      - .offset:         16
        .size:           8
        .value_kind:     by_value
      - .address_space:  global
        .offset:         24
        .size:           8
        .value_kind:     global_buffer
      - .offset:         32
        .size:           4
        .value_kind:     by_value
      - .offset:         40
        .size:           8
        .value_kind:     by_value
      - .address_space:  global
        .offset:         48
        .size:           8
        .value_kind:     global_buffer
      - .offset:         56
        .size:           1
        .value_kind:     by_value
      - .offset:         57
        .size:           1
        .value_kind:     by_value
    .group_segment_fixed_size: 152
    .kernarg_segment_align: 8
    .kernarg_segment_size: 60
    .language:       OpenCL C
    .language_version:
      - 2
      - 0
    .max_flat_workgroup_size: 64
    .name:           _ZN9rocsolver6v33100L18getri_kernel_smallILi9EdPKPdEEvT1_iilPiilS6_bb
    .private_segment_fixed_size: 0
    .sgpr_count:     21
    .sgpr_spill_count: 0
    .symbol:         _ZN9rocsolver6v33100L18getri_kernel_smallILi9EdPKPdEEvT1_iilPiilS6_bb.kd
    .uniform_work_group_size: 1
    .uses_dynamic_stack: false
    .vgpr_count:     70
    .vgpr_spill_count: 0
    .wavefront_size: 32
  - .args:
      - .address_space:  global
        .offset:         0
        .size:           8
        .value_kind:     global_buffer
      - .offset:         8
        .size:           4
        .value_kind:     by_value
      - .offset:         12
        .size:           4
        .value_kind:     by_value
      - .offset:         16
        .size:           8
        .value_kind:     by_value
      - .address_space:  global
        .offset:         24
        .size:           8
        .value_kind:     global_buffer
      - .offset:         32
        .size:           4
        .value_kind:     by_value
      - .offset:         40
        .size:           8
        .value_kind:     by_value
      - .address_space:  global
        .offset:         48
        .size:           8
        .value_kind:     global_buffer
      - .offset:         56
        .size:           1
        .value_kind:     by_value
      - .offset:         57
        .size:           1
        .value_kind:     by_value
    .group_segment_fixed_size: 168
    .kernarg_segment_align: 8
    .kernarg_segment_size: 60
    .language:       OpenCL C
    .language_version:
      - 2
      - 0
    .max_flat_workgroup_size: 64
    .name:           _ZN9rocsolver6v33100L18getri_kernel_smallILi10EdPKPdEEvT1_iilPiilS6_bb
    .private_segment_fixed_size: 0
    .sgpr_count:     21
    .sgpr_spill_count: 0
    .symbol:         _ZN9rocsolver6v33100L18getri_kernel_smallILi10EdPKPdEEvT1_iilPiilS6_bb.kd
    .uniform_work_group_size: 1
    .uses_dynamic_stack: false
    .vgpr_count:     72
    .vgpr_spill_count: 0
    .wavefront_size: 32
  - .args:
      - .address_space:  global
        .offset:         0
        .size:           8
        .value_kind:     global_buffer
      - .offset:         8
        .size:           4
        .value_kind:     by_value
      - .offset:         12
        .size:           4
        .value_kind:     by_value
      - .offset:         16
        .size:           8
        .value_kind:     by_value
      - .address_space:  global
        .offset:         24
        .size:           8
        .value_kind:     global_buffer
      - .offset:         32
        .size:           4
        .value_kind:     by_value
      - .offset:         40
        .size:           8
        .value_kind:     by_value
      - .address_space:  global
        .offset:         48
        .size:           8
        .value_kind:     global_buffer
      - .offset:         56
        .size:           1
        .value_kind:     by_value
      - .offset:         57
        .size:           1
        .value_kind:     by_value
    .group_segment_fixed_size: 184
    .kernarg_segment_align: 8
    .kernarg_segment_size: 60
    .language:       OpenCL C
    .language_version:
      - 2
      - 0
    .max_flat_workgroup_size: 64
    .name:           _ZN9rocsolver6v33100L18getri_kernel_smallILi11EdPKPdEEvT1_iilPiilS6_bb
    .private_segment_fixed_size: 0
    .sgpr_count:     22
    .sgpr_spill_count: 0
    .symbol:         _ZN9rocsolver6v33100L18getri_kernel_smallILi11EdPKPdEEvT1_iilPiilS6_bb.kd
    .uniform_work_group_size: 1
    .uses_dynamic_stack: false
    .vgpr_count:     78
    .vgpr_spill_count: 0
    .wavefront_size: 32
  - .args:
      - .address_space:  global
        .offset:         0
        .size:           8
        .value_kind:     global_buffer
      - .offset:         8
        .size:           4
        .value_kind:     by_value
      - .offset:         12
        .size:           4
        .value_kind:     by_value
      - .offset:         16
        .size:           8
        .value_kind:     by_value
      - .address_space:  global
        .offset:         24
        .size:           8
        .value_kind:     global_buffer
      - .offset:         32
        .size:           4
        .value_kind:     by_value
      - .offset:         40
        .size:           8
        .value_kind:     by_value
      - .address_space:  global
        .offset:         48
        .size:           8
        .value_kind:     global_buffer
      - .offset:         56
        .size:           1
        .value_kind:     by_value
      - .offset:         57
        .size:           1
        .value_kind:     by_value
    .group_segment_fixed_size: 200
    .kernarg_segment_align: 8
    .kernarg_segment_size: 60
    .language:       OpenCL C
    .language_version:
      - 2
      - 0
    .max_flat_workgroup_size: 64
    .name:           _ZN9rocsolver6v33100L18getri_kernel_smallILi12EdPKPdEEvT1_iilPiilS6_bb
    .private_segment_fixed_size: 0
    .sgpr_count:     23
    .sgpr_spill_count: 0
    .symbol:         _ZN9rocsolver6v33100L18getri_kernel_smallILi12EdPKPdEEvT1_iilPiilS6_bb.kd
    .uniform_work_group_size: 1
    .uses_dynamic_stack: false
    .vgpr_count:     80
    .vgpr_spill_count: 0
    .wavefront_size: 32
  - .args:
      - .address_space:  global
        .offset:         0
        .size:           8
        .value_kind:     global_buffer
      - .offset:         8
        .size:           4
        .value_kind:     by_value
      - .offset:         12
        .size:           4
        .value_kind:     by_value
      - .offset:         16
        .size:           8
        .value_kind:     by_value
      - .address_space:  global
        .offset:         24
        .size:           8
        .value_kind:     global_buffer
      - .offset:         32
        .size:           4
        .value_kind:     by_value
      - .offset:         40
        .size:           8
        .value_kind:     by_value
      - .address_space:  global
        .offset:         48
        .size:           8
        .value_kind:     global_buffer
      - .offset:         56
        .size:           1
        .value_kind:     by_value
      - .offset:         57
        .size:           1
        .value_kind:     by_value
    .group_segment_fixed_size: 216
    .kernarg_segment_align: 8
    .kernarg_segment_size: 60
    .language:       OpenCL C
    .language_version:
      - 2
      - 0
    .max_flat_workgroup_size: 64
    .name:           _ZN9rocsolver6v33100L18getri_kernel_smallILi13EdPKPdEEvT1_iilPiilS6_bb
    .private_segment_fixed_size: 0
    .sgpr_count:     25
    .sgpr_spill_count: 0
    .symbol:         _ZN9rocsolver6v33100L18getri_kernel_smallILi13EdPKPdEEvT1_iilPiilS6_bb.kd
    .uniform_work_group_size: 1
    .uses_dynamic_stack: false
    .vgpr_count:     88
    .vgpr_spill_count: 0
    .wavefront_size: 32
  - .args:
      - .address_space:  global
        .offset:         0
        .size:           8
        .value_kind:     global_buffer
      - .offset:         8
        .size:           4
        .value_kind:     by_value
      - .offset:         12
        .size:           4
        .value_kind:     by_value
      - .offset:         16
        .size:           8
        .value_kind:     by_value
      - .address_space:  global
        .offset:         24
        .size:           8
        .value_kind:     global_buffer
      - .offset:         32
        .size:           4
        .value_kind:     by_value
      - .offset:         40
        .size:           8
        .value_kind:     by_value
      - .address_space:  global
        .offset:         48
        .size:           8
        .value_kind:     global_buffer
      - .offset:         56
        .size:           1
        .value_kind:     by_value
      - .offset:         57
        .size:           1
        .value_kind:     by_value
    .group_segment_fixed_size: 232
    .kernarg_segment_align: 8
    .kernarg_segment_size: 60
    .language:       OpenCL C
    .language_version:
      - 2
      - 0
    .max_flat_workgroup_size: 64
    .name:           _ZN9rocsolver6v33100L18getri_kernel_smallILi14EdPKPdEEvT1_iilPiilS6_bb
    .private_segment_fixed_size: 0
    .sgpr_count:     25
    .sgpr_spill_count: 0
    .symbol:         _ZN9rocsolver6v33100L18getri_kernel_smallILi14EdPKPdEEvT1_iilPiilS6_bb.kd
    .uniform_work_group_size: 1
    .uses_dynamic_stack: false
    .vgpr_count:     90
    .vgpr_spill_count: 0
    .wavefront_size: 32
  - .args:
      - .address_space:  global
        .offset:         0
        .size:           8
        .value_kind:     global_buffer
      - .offset:         8
        .size:           4
        .value_kind:     by_value
      - .offset:         12
        .size:           4
        .value_kind:     by_value
      - .offset:         16
        .size:           8
        .value_kind:     by_value
      - .address_space:  global
        .offset:         24
        .size:           8
        .value_kind:     global_buffer
      - .offset:         32
        .size:           4
        .value_kind:     by_value
      - .offset:         40
        .size:           8
        .value_kind:     by_value
      - .address_space:  global
        .offset:         48
        .size:           8
        .value_kind:     global_buffer
      - .offset:         56
        .size:           1
        .value_kind:     by_value
      - .offset:         57
        .size:           1
        .value_kind:     by_value
    .group_segment_fixed_size: 248
    .kernarg_segment_align: 8
    .kernarg_segment_size: 60
    .language:       OpenCL C
    .language_version:
      - 2
      - 0
    .max_flat_workgroup_size: 64
    .name:           _ZN9rocsolver6v33100L18getri_kernel_smallILi15EdPKPdEEvT1_iilPiilS6_bb
    .private_segment_fixed_size: 0
    .sgpr_count:     26
    .sgpr_spill_count: 0
    .symbol:         _ZN9rocsolver6v33100L18getri_kernel_smallILi15EdPKPdEEvT1_iilPiilS6_bb.kd
    .uniform_work_group_size: 1
    .uses_dynamic_stack: false
    .vgpr_count:     96
    .vgpr_spill_count: 0
    .wavefront_size: 32
  - .args:
      - .address_space:  global
        .offset:         0
        .size:           8
        .value_kind:     global_buffer
      - .offset:         8
        .size:           4
        .value_kind:     by_value
      - .offset:         12
        .size:           4
        .value_kind:     by_value
      - .offset:         16
        .size:           8
        .value_kind:     by_value
      - .address_space:  global
        .offset:         24
        .size:           8
        .value_kind:     global_buffer
      - .offset:         32
        .size:           4
        .value_kind:     by_value
      - .offset:         40
        .size:           8
        .value_kind:     by_value
      - .address_space:  global
        .offset:         48
        .size:           8
        .value_kind:     global_buffer
      - .offset:         56
        .size:           1
        .value_kind:     by_value
      - .offset:         57
        .size:           1
        .value_kind:     by_value
    .group_segment_fixed_size: 264
    .kernarg_segment_align: 8
    .kernarg_segment_size: 60
    .language:       OpenCL C
    .language_version:
      - 2
      - 0
    .max_flat_workgroup_size: 64
    .name:           _ZN9rocsolver6v33100L18getri_kernel_smallILi16EdPKPdEEvT1_iilPiilS6_bb
    .private_segment_fixed_size: 0
    .sgpr_count:     27
    .sgpr_spill_count: 0
    .symbol:         _ZN9rocsolver6v33100L18getri_kernel_smallILi16EdPKPdEEvT1_iilPiilS6_bb.kd
    .uniform_work_group_size: 1
    .uses_dynamic_stack: false
    .vgpr_count:     96
    .vgpr_spill_count: 0
    .wavefront_size: 32
  - .args:
      - .address_space:  global
        .offset:         0
        .size:           8
        .value_kind:     global_buffer
      - .offset:         8
        .size:           4
        .value_kind:     by_value
      - .offset:         12
        .size:           4
        .value_kind:     by_value
      - .offset:         16
        .size:           8
        .value_kind:     by_value
      - .address_space:  global
        .offset:         24
        .size:           8
        .value_kind:     global_buffer
      - .offset:         32
        .size:           4
        .value_kind:     by_value
      - .offset:         40
        .size:           8
        .value_kind:     by_value
      - .address_space:  global
        .offset:         48
        .size:           8
        .value_kind:     global_buffer
      - .offset:         56
        .size:           1
        .value_kind:     by_value
      - .offset:         57
        .size:           1
        .value_kind:     by_value
    .group_segment_fixed_size: 8992
    .kernarg_segment_align: 8
    .kernarg_segment_size: 60
    .language:       OpenCL C
    .language_version:
      - 2
      - 0
    .max_flat_workgroup_size: 64
    .name:           _ZN9rocsolver6v33100L18getri_kernel_smallILi17EdPKPdEEvT1_iilPiilS6_bb
    .private_segment_fixed_size: 0
    .sgpr_count:     21
    .sgpr_spill_count: 0
    .symbol:         _ZN9rocsolver6v33100L18getri_kernel_smallILi17EdPKPdEEvT1_iilPiilS6_bb.kd
    .uniform_work_group_size: 1
    .uses_dynamic_stack: false
    .vgpr_count:     62
    .vgpr_spill_count: 0
    .wavefront_size: 32
  - .args:
      - .address_space:  global
        .offset:         0
        .size:           8
        .value_kind:     global_buffer
      - .offset:         8
        .size:           4
        .value_kind:     by_value
      - .offset:         12
        .size:           4
        .value_kind:     by_value
      - .offset:         16
        .size:           8
        .value_kind:     by_value
      - .address_space:  global
        .offset:         24
        .size:           8
        .value_kind:     global_buffer
      - .offset:         32
        .size:           4
        .value_kind:     by_value
      - .offset:         40
        .size:           8
        .value_kind:     by_value
      - .address_space:  global
        .offset:         48
        .size:           8
        .value_kind:     global_buffer
      - .offset:         56
        .size:           1
        .value_kind:     by_value
      - .offset:         57
        .size:           1
        .value_kind:     by_value
    .group_segment_fixed_size: 9520
    .kernarg_segment_align: 8
    .kernarg_segment_size: 60
    .language:       OpenCL C
    .language_version:
      - 2
      - 0
    .max_flat_workgroup_size: 64
    .name:           _ZN9rocsolver6v33100L18getri_kernel_smallILi18EdPKPdEEvT1_iilPiilS6_bb
    .private_segment_fixed_size: 0
    .sgpr_count:     21
    .sgpr_spill_count: 0
    .symbol:         _ZN9rocsolver6v33100L18getri_kernel_smallILi18EdPKPdEEvT1_iilPiilS6_bb.kd
    .uniform_work_group_size: 1
    .uses_dynamic_stack: false
    .vgpr_count:     64
    .vgpr_spill_count: 0
    .wavefront_size: 32
  - .args:
      - .address_space:  global
        .offset:         0
        .size:           8
        .value_kind:     global_buffer
      - .offset:         8
        .size:           4
        .value_kind:     by_value
      - .offset:         12
        .size:           4
        .value_kind:     by_value
      - .offset:         16
        .size:           8
        .value_kind:     by_value
      - .address_space:  global
        .offset:         24
        .size:           8
        .value_kind:     global_buffer
      - .offset:         32
        .size:           4
        .value_kind:     by_value
      - .offset:         40
        .size:           8
        .value_kind:     by_value
      - .address_space:  global
        .offset:         48
        .size:           8
        .value_kind:     global_buffer
      - .offset:         56
        .size:           1
        .value_kind:     by_value
      - .offset:         57
        .size:           1
        .value_kind:     by_value
    .group_segment_fixed_size: 10048
    .kernarg_segment_align: 8
    .kernarg_segment_size: 60
    .language:       OpenCL C
    .language_version:
      - 2
      - 0
    .max_flat_workgroup_size: 64
    .name:           _ZN9rocsolver6v33100L18getri_kernel_smallILi19EdPKPdEEvT1_iilPiilS6_bb
    .private_segment_fixed_size: 0
    .sgpr_count:     21
    .sgpr_spill_count: 0
    .symbol:         _ZN9rocsolver6v33100L18getri_kernel_smallILi19EdPKPdEEvT1_iilPiilS6_bb.kd
    .uniform_work_group_size: 1
    .uses_dynamic_stack: false
    .vgpr_count:     64
    .vgpr_spill_count: 0
    .wavefront_size: 32
  - .args:
      - .address_space:  global
        .offset:         0
        .size:           8
        .value_kind:     global_buffer
      - .offset:         8
        .size:           4
        .value_kind:     by_value
      - .offset:         12
        .size:           4
        .value_kind:     by_value
      - .offset:         16
        .size:           8
        .value_kind:     by_value
      - .address_space:  global
        .offset:         24
        .size:           8
        .value_kind:     global_buffer
      - .offset:         32
        .size:           4
        .value_kind:     by_value
      - .offset:         40
        .size:           8
        .value_kind:     by_value
      - .address_space:  global
        .offset:         48
        .size:           8
        .value_kind:     global_buffer
      - .offset:         56
        .size:           1
        .value_kind:     by_value
      - .offset:         57
        .size:           1
        .value_kind:     by_value
    .group_segment_fixed_size: 328
    .kernarg_segment_align: 8
    .kernarg_segment_size: 60
    .language:       OpenCL C
    .language_version:
      - 2
      - 0
    .max_flat_workgroup_size: 64
    .name:           _ZN9rocsolver6v33100L18getri_kernel_smallILi20EdPKPdEEvT1_iilPiilS6_bb
    .private_segment_fixed_size: 176
    .sgpr_count:     21
    .sgpr_spill_count: 0
    .symbol:         _ZN9rocsolver6v33100L18getri_kernel_smallILi20EdPKPdEEvT1_iilPiilS6_bb.kd
    .uniform_work_group_size: 1
    .uses_dynamic_stack: false
    .vgpr_count:     80
    .vgpr_spill_count: 0
    .wavefront_size: 32
  - .args:
      - .address_space:  global
        .offset:         0
        .size:           8
        .value_kind:     global_buffer
      - .offset:         8
        .size:           4
        .value_kind:     by_value
      - .offset:         12
        .size:           4
        .value_kind:     by_value
      - .offset:         16
        .size:           8
        .value_kind:     by_value
      - .address_space:  global
        .offset:         24
        .size:           8
        .value_kind:     global_buffer
      - .offset:         32
        .size:           4
        .value_kind:     by_value
      - .offset:         40
        .size:           8
        .value_kind:     by_value
      - .address_space:  global
        .offset:         48
        .size:           8
        .value_kind:     global_buffer
      - .offset:         56
        .size:           1
        .value_kind:     by_value
      - .offset:         57
        .size:           1
        .value_kind:     by_value
    .group_segment_fixed_size: 344
    .kernarg_segment_align: 8
    .kernarg_segment_size: 60
    .language:       OpenCL C
    .language_version:
      - 2
      - 0
    .max_flat_workgroup_size: 64
    .name:           _ZN9rocsolver6v33100L18getri_kernel_smallILi21EdPKPdEEvT1_iilPiilS6_bb
    .private_segment_fixed_size: 176
    .sgpr_count:     21
    .sgpr_spill_count: 0
    .symbol:         _ZN9rocsolver6v33100L18getri_kernel_smallILi21EdPKPdEEvT1_iilPiilS6_bb.kd
    .uniform_work_group_size: 1
    .uses_dynamic_stack: false
    .vgpr_count:     82
    .vgpr_spill_count: 0
    .wavefront_size: 32
  - .args:
      - .address_space:  global
        .offset:         0
        .size:           8
        .value_kind:     global_buffer
      - .offset:         8
        .size:           4
        .value_kind:     by_value
      - .offset:         12
        .size:           4
        .value_kind:     by_value
      - .offset:         16
        .size:           8
        .value_kind:     by_value
      - .address_space:  global
        .offset:         24
        .size:           8
        .value_kind:     global_buffer
      - .offset:         32
        .size:           4
        .value_kind:     by_value
      - .offset:         40
        .size:           8
        .value_kind:     by_value
      - .address_space:  global
        .offset:         48
        .size:           8
        .value_kind:     global_buffer
      - .offset:         56
        .size:           1
        .value_kind:     by_value
      - .offset:         57
        .size:           1
        .value_kind:     by_value
    .group_segment_fixed_size: 360
    .kernarg_segment_align: 8
    .kernarg_segment_size: 60
    .language:       OpenCL C
    .language_version:
      - 2
      - 0
    .max_flat_workgroup_size: 64
    .name:           _ZN9rocsolver6v33100L18getri_kernel_smallILi22EdPKPdEEvT1_iilPiilS6_bb
    .private_segment_fixed_size: 192
    .sgpr_count:     21
    .sgpr_spill_count: 0
    .symbol:         _ZN9rocsolver6v33100L18getri_kernel_smallILi22EdPKPdEEvT1_iilPiilS6_bb.kd
    .uniform_work_group_size: 1
    .uses_dynamic_stack: false
    .vgpr_count:     84
    .vgpr_spill_count: 0
    .wavefront_size: 32
  - .args:
      - .address_space:  global
        .offset:         0
        .size:           8
        .value_kind:     global_buffer
      - .offset:         8
        .size:           4
        .value_kind:     by_value
      - .offset:         12
        .size:           4
        .value_kind:     by_value
      - .offset:         16
        .size:           8
        .value_kind:     by_value
      - .address_space:  global
        .offset:         24
        .size:           8
        .value_kind:     global_buffer
      - .offset:         32
        .size:           4
        .value_kind:     by_value
      - .offset:         40
        .size:           8
        .value_kind:     by_value
      - .address_space:  global
        .offset:         48
        .size:           8
        .value_kind:     global_buffer
      - .offset:         56
        .size:           1
        .value_kind:     by_value
      - .offset:         57
        .size:           1
        .value_kind:     by_value
    .group_segment_fixed_size: 376
    .kernarg_segment_align: 8
    .kernarg_segment_size: 60
    .language:       OpenCL C
    .language_version:
      - 2
      - 0
    .max_flat_workgroup_size: 64
    .name:           _ZN9rocsolver6v33100L18getri_kernel_smallILi23EdPKPdEEvT1_iilPiilS6_bb
    .private_segment_fixed_size: 192
    .sgpr_count:     21
    .sgpr_spill_count: 0
    .symbol:         _ZN9rocsolver6v33100L18getri_kernel_smallILi23EdPKPdEEvT1_iilPiilS6_bb.kd
    .uniform_work_group_size: 1
    .uses_dynamic_stack: false
    .vgpr_count:     86
    .vgpr_spill_count: 0
    .wavefront_size: 32
  - .args:
      - .address_space:  global
        .offset:         0
        .size:           8
        .value_kind:     global_buffer
      - .offset:         8
        .size:           4
        .value_kind:     by_value
      - .offset:         12
        .size:           4
        .value_kind:     by_value
      - .offset:         16
        .size:           8
        .value_kind:     by_value
      - .address_space:  global
        .offset:         24
        .size:           8
        .value_kind:     global_buffer
      - .offset:         32
        .size:           4
        .value_kind:     by_value
      - .offset:         40
        .size:           8
        .value_kind:     by_value
      - .address_space:  global
        .offset:         48
        .size:           8
        .value_kind:     global_buffer
      - .offset:         56
        .size:           1
        .value_kind:     by_value
      - .offset:         57
        .size:           1
        .value_kind:     by_value
    .group_segment_fixed_size: 392
    .kernarg_segment_align: 8
    .kernarg_segment_size: 60
    .language:       OpenCL C
    .language_version:
      - 2
      - 0
    .max_flat_workgroup_size: 64
    .name:           _ZN9rocsolver6v33100L18getri_kernel_smallILi24EdPKPdEEvT1_iilPiilS6_bb
    .private_segment_fixed_size: 208
    .sgpr_count:     21
    .sgpr_spill_count: 0
    .symbol:         _ZN9rocsolver6v33100L18getri_kernel_smallILi24EdPKPdEEvT1_iilPiilS6_bb.kd
    .uniform_work_group_size: 1
    .uses_dynamic_stack: false
    .vgpr_count:     88
    .vgpr_spill_count: 0
    .wavefront_size: 32
  - .args:
      - .address_space:  global
        .offset:         0
        .size:           8
        .value_kind:     global_buffer
      - .offset:         8
        .size:           4
        .value_kind:     by_value
      - .offset:         12
        .size:           4
        .value_kind:     by_value
      - .offset:         16
        .size:           8
        .value_kind:     by_value
      - .address_space:  global
        .offset:         24
        .size:           8
        .value_kind:     global_buffer
      - .offset:         32
        .size:           4
        .value_kind:     by_value
      - .offset:         40
        .size:           8
        .value_kind:     by_value
      - .address_space:  global
        .offset:         48
        .size:           8
        .value_kind:     global_buffer
      - .offset:         56
        .size:           1
        .value_kind:     by_value
      - .offset:         57
        .size:           1
        .value_kind:     by_value
    .group_segment_fixed_size: 408
    .kernarg_segment_align: 8
    .kernarg_segment_size: 60
    .language:       OpenCL C
    .language_version:
      - 2
      - 0
    .max_flat_workgroup_size: 64
    .name:           _ZN9rocsolver6v33100L18getri_kernel_smallILi25EdPKPdEEvT1_iilPiilS6_bb
    .private_segment_fixed_size: 208
    .sgpr_count:     21
    .sgpr_spill_count: 0
    .symbol:         _ZN9rocsolver6v33100L18getri_kernel_smallILi25EdPKPdEEvT1_iilPiilS6_bb.kd
    .uniform_work_group_size: 1
    .uses_dynamic_stack: false
    .vgpr_count:     92
    .vgpr_spill_count: 0
    .wavefront_size: 32
  - .args:
      - .address_space:  global
        .offset:         0
        .size:           8
        .value_kind:     global_buffer
      - .offset:         8
        .size:           4
        .value_kind:     by_value
      - .offset:         12
        .size:           4
        .value_kind:     by_value
      - .offset:         16
        .size:           8
        .value_kind:     by_value
      - .address_space:  global
        .offset:         24
        .size:           8
        .value_kind:     global_buffer
      - .offset:         32
        .size:           4
        .value_kind:     by_value
      - .offset:         40
        .size:           8
        .value_kind:     by_value
      - .address_space:  global
        .offset:         48
        .size:           8
        .value_kind:     global_buffer
      - .offset:         56
        .size:           1
        .value_kind:     by_value
      - .offset:         57
        .size:           1
        .value_kind:     by_value
    .group_segment_fixed_size: 424
    .kernarg_segment_align: 8
    .kernarg_segment_size: 60
    .language:       OpenCL C
    .language_version:
      - 2
      - 0
    .max_flat_workgroup_size: 64
    .name:           _ZN9rocsolver6v33100L18getri_kernel_smallILi26EdPKPdEEvT1_iilPiilS6_bb
    .private_segment_fixed_size: 224
    .sgpr_count:     21
    .sgpr_spill_count: 0
    .symbol:         _ZN9rocsolver6v33100L18getri_kernel_smallILi26EdPKPdEEvT1_iilPiilS6_bb.kd
    .uniform_work_group_size: 1
    .uses_dynamic_stack: false
    .vgpr_count:     94
    .vgpr_spill_count: 0
    .wavefront_size: 32
  - .args:
      - .address_space:  global
        .offset:         0
        .size:           8
        .value_kind:     global_buffer
      - .offset:         8
        .size:           4
        .value_kind:     by_value
      - .offset:         12
        .size:           4
        .value_kind:     by_value
      - .offset:         16
        .size:           8
        .value_kind:     by_value
      - .address_space:  global
        .offset:         24
        .size:           8
        .value_kind:     global_buffer
      - .offset:         32
        .size:           4
        .value_kind:     by_value
      - .offset:         40
        .size:           8
        .value_kind:     by_value
      - .address_space:  global
        .offset:         48
        .size:           8
        .value_kind:     global_buffer
      - .offset:         56
        .size:           1
        .value_kind:     by_value
      - .offset:         57
        .size:           1
        .value_kind:     by_value
    .group_segment_fixed_size: 440
    .kernarg_segment_align: 8
    .kernarg_segment_size: 60
    .language:       OpenCL C
    .language_version:
      - 2
      - 0
    .max_flat_workgroup_size: 64
    .name:           _ZN9rocsolver6v33100L18getri_kernel_smallILi27EdPKPdEEvT1_iilPiilS6_bb
    .private_segment_fixed_size: 224
    .sgpr_count:     21
    .sgpr_spill_count: 0
    .symbol:         _ZN9rocsolver6v33100L18getri_kernel_smallILi27EdPKPdEEvT1_iilPiilS6_bb.kd
    .uniform_work_group_size: 1
    .uses_dynamic_stack: false
    .vgpr_count:     96
    .vgpr_spill_count: 0
    .wavefront_size: 32
  - .args:
      - .address_space:  global
        .offset:         0
        .size:           8
        .value_kind:     global_buffer
      - .offset:         8
        .size:           4
        .value_kind:     by_value
      - .offset:         12
        .size:           4
        .value_kind:     by_value
      - .offset:         16
        .size:           8
        .value_kind:     by_value
      - .address_space:  global
        .offset:         24
        .size:           8
        .value_kind:     global_buffer
      - .offset:         32
        .size:           4
        .value_kind:     by_value
      - .offset:         40
        .size:           8
        .value_kind:     by_value
      - .address_space:  global
        .offset:         48
        .size:           8
        .value_kind:     global_buffer
      - .offset:         56
        .size:           1
        .value_kind:     by_value
      - .offset:         57
        .size:           1
        .value_kind:     by_value
    .group_segment_fixed_size: 456
    .kernarg_segment_align: 8
    .kernarg_segment_size: 60
    .language:       OpenCL C
    .language_version:
      - 2
      - 0
    .max_flat_workgroup_size: 64
    .name:           _ZN9rocsolver6v33100L18getri_kernel_smallILi28EdPKPdEEvT1_iilPiilS6_bb
    .private_segment_fixed_size: 240
    .sgpr_count:     21
    .sgpr_spill_count: 0
    .symbol:         _ZN9rocsolver6v33100L18getri_kernel_smallILi28EdPKPdEEvT1_iilPiilS6_bb.kd
    .uniform_work_group_size: 1
    .uses_dynamic_stack: false
    .vgpr_count:     98
    .vgpr_spill_count: 0
    .wavefront_size: 32
  - .args:
      - .address_space:  global
        .offset:         0
        .size:           8
        .value_kind:     global_buffer
      - .offset:         8
        .size:           4
        .value_kind:     by_value
      - .offset:         12
        .size:           4
        .value_kind:     by_value
      - .offset:         16
        .size:           8
        .value_kind:     by_value
      - .address_space:  global
        .offset:         24
        .size:           8
        .value_kind:     global_buffer
      - .offset:         32
        .size:           4
        .value_kind:     by_value
      - .offset:         40
        .size:           8
        .value_kind:     by_value
      - .address_space:  global
        .offset:         48
        .size:           8
        .value_kind:     global_buffer
      - .offset:         56
        .size:           1
        .value_kind:     by_value
      - .offset:         57
        .size:           1
        .value_kind:     by_value
    .group_segment_fixed_size: 472
    .kernarg_segment_align: 8
    .kernarg_segment_size: 60
    .language:       OpenCL C
    .language_version:
      - 2
      - 0
    .max_flat_workgroup_size: 64
    .name:           _ZN9rocsolver6v33100L18getri_kernel_smallILi29EdPKPdEEvT1_iilPiilS6_bb
    .private_segment_fixed_size: 240
    .sgpr_count:     21
    .sgpr_spill_count: 0
    .symbol:         _ZN9rocsolver6v33100L18getri_kernel_smallILi29EdPKPdEEvT1_iilPiilS6_bb.kd
    .uniform_work_group_size: 1
    .uses_dynamic_stack: false
    .vgpr_count:     100
    .vgpr_spill_count: 0
    .wavefront_size: 32
  - .args:
      - .address_space:  global
        .offset:         0
        .size:           8
        .value_kind:     global_buffer
      - .offset:         8
        .size:           4
        .value_kind:     by_value
      - .offset:         12
        .size:           4
        .value_kind:     by_value
      - .offset:         16
        .size:           8
        .value_kind:     by_value
      - .address_space:  global
        .offset:         24
        .size:           8
        .value_kind:     global_buffer
      - .offset:         32
        .size:           4
        .value_kind:     by_value
      - .offset:         40
        .size:           8
        .value_kind:     by_value
      - .address_space:  global
        .offset:         48
        .size:           8
        .value_kind:     global_buffer
      - .offset:         56
        .size:           1
        .value_kind:     by_value
      - .offset:         57
        .size:           1
        .value_kind:     by_value
    .group_segment_fixed_size: 488
    .kernarg_segment_align: 8
    .kernarg_segment_size: 60
    .language:       OpenCL C
    .language_version:
      - 2
      - 0
    .max_flat_workgroup_size: 64
    .name:           _ZN9rocsolver6v33100L18getri_kernel_smallILi30EdPKPdEEvT1_iilPiilS6_bb
    .private_segment_fixed_size: 256
    .sgpr_count:     21
    .sgpr_spill_count: 0
    .symbol:         _ZN9rocsolver6v33100L18getri_kernel_smallILi30EdPKPdEEvT1_iilPiilS6_bb.kd
    .uniform_work_group_size: 1
    .uses_dynamic_stack: false
    .vgpr_count:     102
    .vgpr_spill_count: 0
    .wavefront_size: 32
  - .args:
      - .address_space:  global
        .offset:         0
        .size:           8
        .value_kind:     global_buffer
      - .offset:         8
        .size:           4
        .value_kind:     by_value
      - .offset:         12
        .size:           4
        .value_kind:     by_value
      - .offset:         16
        .size:           8
        .value_kind:     by_value
      - .address_space:  global
        .offset:         24
        .size:           8
        .value_kind:     global_buffer
      - .offset:         32
        .size:           4
        .value_kind:     by_value
      - .offset:         40
        .size:           8
        .value_kind:     by_value
      - .address_space:  global
        .offset:         48
        .size:           8
        .value_kind:     global_buffer
      - .offset:         56
        .size:           1
        .value_kind:     by_value
      - .offset:         57
        .size:           1
        .value_kind:     by_value
    .group_segment_fixed_size: 504
    .kernarg_segment_align: 8
    .kernarg_segment_size: 60
    .language:       OpenCL C
    .language_version:
      - 2
      - 0
    .max_flat_workgroup_size: 64
    .name:           _ZN9rocsolver6v33100L18getri_kernel_smallILi31EdPKPdEEvT1_iilPiilS6_bb
    .private_segment_fixed_size: 256
    .sgpr_count:     21
    .sgpr_spill_count: 0
    .symbol:         _ZN9rocsolver6v33100L18getri_kernel_smallILi31EdPKPdEEvT1_iilPiilS6_bb.kd
    .uniform_work_group_size: 1
    .uses_dynamic_stack: false
    .vgpr_count:     104
    .vgpr_spill_count: 0
    .wavefront_size: 32
  - .args:
      - .address_space:  global
        .offset:         0
        .size:           8
        .value_kind:     global_buffer
      - .offset:         8
        .size:           4
        .value_kind:     by_value
      - .offset:         12
        .size:           4
        .value_kind:     by_value
      - .offset:         16
        .size:           8
        .value_kind:     by_value
      - .address_space:  global
        .offset:         24
        .size:           8
        .value_kind:     global_buffer
      - .offset:         32
        .size:           4
        .value_kind:     by_value
      - .offset:         40
        .size:           8
        .value_kind:     by_value
      - .address_space:  global
        .offset:         48
        .size:           8
        .value_kind:     global_buffer
      - .offset:         56
        .size:           1
        .value_kind:     by_value
      - .offset:         57
        .size:           1
        .value_kind:     by_value
    .group_segment_fixed_size: 520
    .kernarg_segment_align: 8
    .kernarg_segment_size: 60
    .language:       OpenCL C
    .language_version:
      - 2
      - 0
    .max_flat_workgroup_size: 64
    .name:           _ZN9rocsolver6v33100L18getri_kernel_smallILi32EdPKPdEEvT1_iilPiilS6_bb
    .private_segment_fixed_size: 272
    .sgpr_count:     21
    .sgpr_spill_count: 0
    .symbol:         _ZN9rocsolver6v33100L18getri_kernel_smallILi32EdPKPdEEvT1_iilPiilS6_bb.kd
    .uniform_work_group_size: 1
    .uses_dynamic_stack: false
    .vgpr_count:     106
    .vgpr_spill_count: 0
    .wavefront_size: 32
  - .args:
      - .address_space:  global
        .offset:         0
        .size:           8
        .value_kind:     global_buffer
      - .offset:         8
        .size:           4
        .value_kind:     by_value
      - .offset:         12
        .size:           4
        .value_kind:     by_value
      - .offset:         16
        .size:           8
        .value_kind:     by_value
      - .address_space:  global
        .offset:         24
        .size:           8
        .value_kind:     global_buffer
      - .offset:         32
        .size:           4
        .value_kind:     by_value
      - .offset:         40
        .size:           8
        .value_kind:     by_value
      - .address_space:  global
        .offset:         48
        .size:           8
        .value_kind:     global_buffer
      - .offset:         56
        .size:           1
        .value_kind:     by_value
      - .offset:         57
        .size:           1
        .value_kind:     by_value
    .group_segment_fixed_size: 536
    .kernarg_segment_align: 8
    .kernarg_segment_size: 60
    .language:       OpenCL C
    .language_version:
      - 2
      - 0
    .max_flat_workgroup_size: 64
    .name:           _ZN9rocsolver6v33100L18getri_kernel_smallILi33EdPKPdEEvT1_iilPiilS6_bb
    .private_segment_fixed_size: 272
    .sgpr_count:     21
    .sgpr_spill_count: 0
    .symbol:         _ZN9rocsolver6v33100L18getri_kernel_smallILi33EdPKPdEEvT1_iilPiilS6_bb.kd
    .uniform_work_group_size: 1
    .uses_dynamic_stack: false
    .vgpr_count:     108
    .vgpr_spill_count: 0
    .wavefront_size: 32
  - .args:
      - .address_space:  global
        .offset:         0
        .size:           8
        .value_kind:     global_buffer
      - .offset:         8
        .size:           4
        .value_kind:     by_value
      - .offset:         12
        .size:           4
        .value_kind:     by_value
      - .offset:         16
        .size:           8
        .value_kind:     by_value
      - .address_space:  global
        .offset:         24
        .size:           8
        .value_kind:     global_buffer
      - .offset:         32
        .size:           4
        .value_kind:     by_value
      - .offset:         40
        .size:           8
        .value_kind:     by_value
      - .address_space:  global
        .offset:         48
        .size:           8
        .value_kind:     global_buffer
      - .offset:         56
        .size:           1
        .value_kind:     by_value
      - .offset:         57
        .size:           1
        .value_kind:     by_value
    .group_segment_fixed_size: 552
    .kernarg_segment_align: 8
    .kernarg_segment_size: 60
    .language:       OpenCL C
    .language_version:
      - 2
      - 0
    .max_flat_workgroup_size: 64
    .name:           _ZN9rocsolver6v33100L18getri_kernel_smallILi34EdPKPdEEvT1_iilPiilS6_bb
    .private_segment_fixed_size: 288
    .sgpr_count:     21
    .sgpr_spill_count: 0
    .symbol:         _ZN9rocsolver6v33100L18getri_kernel_smallILi34EdPKPdEEvT1_iilPiilS6_bb.kd
    .uniform_work_group_size: 1
    .uses_dynamic_stack: false
    .vgpr_count:     110
    .vgpr_spill_count: 0
    .wavefront_size: 32
  - .args:
      - .address_space:  global
        .offset:         0
        .size:           8
        .value_kind:     global_buffer
      - .offset:         8
        .size:           4
        .value_kind:     by_value
      - .offset:         12
        .size:           4
        .value_kind:     by_value
      - .offset:         16
        .size:           8
        .value_kind:     by_value
      - .address_space:  global
        .offset:         24
        .size:           8
        .value_kind:     global_buffer
      - .offset:         32
        .size:           4
        .value_kind:     by_value
      - .offset:         40
        .size:           8
        .value_kind:     by_value
      - .address_space:  global
        .offset:         48
        .size:           8
        .value_kind:     global_buffer
      - .offset:         56
        .size:           1
        .value_kind:     by_value
      - .offset:         57
        .size:           1
        .value_kind:     by_value
    .group_segment_fixed_size: 568
    .kernarg_segment_align: 8
    .kernarg_segment_size: 60
    .language:       OpenCL C
    .language_version:
      - 2
      - 0
    .max_flat_workgroup_size: 64
    .name:           _ZN9rocsolver6v33100L18getri_kernel_smallILi35EdPKPdEEvT1_iilPiilS6_bb
    .private_segment_fixed_size: 288
    .sgpr_count:     21
    .sgpr_spill_count: 0
    .symbol:         _ZN9rocsolver6v33100L18getri_kernel_smallILi35EdPKPdEEvT1_iilPiilS6_bb.kd
    .uniform_work_group_size: 1
    .uses_dynamic_stack: false
    .vgpr_count:     112
    .vgpr_spill_count: 0
    .wavefront_size: 32
  - .args:
      - .address_space:  global
        .offset:         0
        .size:           8
        .value_kind:     global_buffer
      - .offset:         8
        .size:           4
        .value_kind:     by_value
      - .offset:         12
        .size:           4
        .value_kind:     by_value
      - .offset:         16
        .size:           8
        .value_kind:     by_value
      - .address_space:  global
        .offset:         24
        .size:           8
        .value_kind:     global_buffer
      - .offset:         32
        .size:           4
        .value_kind:     by_value
      - .offset:         40
        .size:           8
        .value_kind:     by_value
      - .address_space:  global
        .offset:         48
        .size:           8
        .value_kind:     global_buffer
      - .offset:         56
        .size:           1
        .value_kind:     by_value
      - .offset:         57
        .size:           1
        .value_kind:     by_value
    .group_segment_fixed_size: 584
    .kernarg_segment_align: 8
    .kernarg_segment_size: 60
    .language:       OpenCL C
    .language_version:
      - 2
      - 0
    .max_flat_workgroup_size: 64
    .name:           _ZN9rocsolver6v33100L18getri_kernel_smallILi36EdPKPdEEvT1_iilPiilS6_bb
    .private_segment_fixed_size: 304
    .sgpr_count:     21
    .sgpr_spill_count: 0
    .symbol:         _ZN9rocsolver6v33100L18getri_kernel_smallILi36EdPKPdEEvT1_iilPiilS6_bb.kd
    .uniform_work_group_size: 1
    .uses_dynamic_stack: false
    .vgpr_count:     114
    .vgpr_spill_count: 0
    .wavefront_size: 32
  - .args:
      - .address_space:  global
        .offset:         0
        .size:           8
        .value_kind:     global_buffer
      - .offset:         8
        .size:           4
        .value_kind:     by_value
      - .offset:         12
        .size:           4
        .value_kind:     by_value
      - .offset:         16
        .size:           8
        .value_kind:     by_value
      - .address_space:  global
        .offset:         24
        .size:           8
        .value_kind:     global_buffer
      - .offset:         32
        .size:           4
        .value_kind:     by_value
      - .offset:         40
        .size:           8
        .value_kind:     by_value
      - .address_space:  global
        .offset:         48
        .size:           8
        .value_kind:     global_buffer
      - .offset:         56
        .size:           1
        .value_kind:     by_value
      - .offset:         57
        .size:           1
        .value_kind:     by_value
    .group_segment_fixed_size: 600
    .kernarg_segment_align: 8
    .kernarg_segment_size: 60
    .language:       OpenCL C
    .language_version:
      - 2
      - 0
    .max_flat_workgroup_size: 64
    .name:           _ZN9rocsolver6v33100L18getri_kernel_smallILi37EdPKPdEEvT1_iilPiilS6_bb
    .private_segment_fixed_size: 304
    .sgpr_count:     21
    .sgpr_spill_count: 0
    .symbol:         _ZN9rocsolver6v33100L18getri_kernel_smallILi37EdPKPdEEvT1_iilPiilS6_bb.kd
    .uniform_work_group_size: 1
    .uses_dynamic_stack: false
    .vgpr_count:     116
    .vgpr_spill_count: 0
    .wavefront_size: 32
  - .args:
      - .address_space:  global
        .offset:         0
        .size:           8
        .value_kind:     global_buffer
      - .offset:         8
        .size:           4
        .value_kind:     by_value
      - .offset:         12
        .size:           4
        .value_kind:     by_value
      - .offset:         16
        .size:           8
        .value_kind:     by_value
      - .address_space:  global
        .offset:         24
        .size:           8
        .value_kind:     global_buffer
      - .offset:         32
        .size:           4
        .value_kind:     by_value
      - .offset:         40
        .size:           8
        .value_kind:     by_value
      - .address_space:  global
        .offset:         48
        .size:           8
        .value_kind:     global_buffer
      - .offset:         56
        .size:           1
        .value_kind:     by_value
      - .offset:         57
        .size:           1
        .value_kind:     by_value
    .group_segment_fixed_size: 616
    .kernarg_segment_align: 8
    .kernarg_segment_size: 60
    .language:       OpenCL C
    .language_version:
      - 2
      - 0
    .max_flat_workgroup_size: 64
    .name:           _ZN9rocsolver6v33100L18getri_kernel_smallILi38EdPKPdEEvT1_iilPiilS6_bb
    .private_segment_fixed_size: 320
    .sgpr_count:     21
    .sgpr_spill_count: 0
    .symbol:         _ZN9rocsolver6v33100L18getri_kernel_smallILi38EdPKPdEEvT1_iilPiilS6_bb.kd
    .uniform_work_group_size: 1
    .uses_dynamic_stack: false
    .vgpr_count:     118
    .vgpr_spill_count: 0
    .wavefront_size: 32
  - .args:
      - .address_space:  global
        .offset:         0
        .size:           8
        .value_kind:     global_buffer
      - .offset:         8
        .size:           4
        .value_kind:     by_value
      - .offset:         12
        .size:           4
        .value_kind:     by_value
      - .offset:         16
        .size:           8
        .value_kind:     by_value
      - .address_space:  global
        .offset:         24
        .size:           8
        .value_kind:     global_buffer
      - .offset:         32
        .size:           4
        .value_kind:     by_value
      - .offset:         40
        .size:           8
        .value_kind:     by_value
      - .address_space:  global
        .offset:         48
        .size:           8
        .value_kind:     global_buffer
      - .offset:         56
        .size:           1
        .value_kind:     by_value
      - .offset:         57
        .size:           1
        .value_kind:     by_value
    .group_segment_fixed_size: 632
    .kernarg_segment_align: 8
    .kernarg_segment_size: 60
    .language:       OpenCL C
    .language_version:
      - 2
      - 0
    .max_flat_workgroup_size: 64
    .name:           _ZN9rocsolver6v33100L18getri_kernel_smallILi39EdPKPdEEvT1_iilPiilS6_bb
    .private_segment_fixed_size: 320
    .sgpr_count:     21
    .sgpr_spill_count: 0
    .symbol:         _ZN9rocsolver6v33100L18getri_kernel_smallILi39EdPKPdEEvT1_iilPiilS6_bb.kd
    .uniform_work_group_size: 1
    .uses_dynamic_stack: false
    .vgpr_count:     120
    .vgpr_spill_count: 0
    .wavefront_size: 32
  - .args:
      - .address_space:  global
        .offset:         0
        .size:           8
        .value_kind:     global_buffer
      - .offset:         8
        .size:           4
        .value_kind:     by_value
      - .offset:         12
        .size:           4
        .value_kind:     by_value
      - .offset:         16
        .size:           8
        .value_kind:     by_value
      - .address_space:  global
        .offset:         24
        .size:           8
        .value_kind:     global_buffer
      - .offset:         32
        .size:           4
        .value_kind:     by_value
      - .offset:         40
        .size:           8
        .value_kind:     by_value
      - .address_space:  global
        .offset:         48
        .size:           8
        .value_kind:     global_buffer
      - .offset:         56
        .size:           1
        .value_kind:     by_value
      - .offset:         57
        .size:           1
        .value_kind:     by_value
    .group_segment_fixed_size: 648
    .kernarg_segment_align: 8
    .kernarg_segment_size: 60
    .language:       OpenCL C
    .language_version:
      - 2
      - 0
    .max_flat_workgroup_size: 64
    .name:           _ZN9rocsolver6v33100L18getri_kernel_smallILi40EdPKPdEEvT1_iilPiilS6_bb
    .private_segment_fixed_size: 336
    .sgpr_count:     21
    .sgpr_spill_count: 0
    .symbol:         _ZN9rocsolver6v33100L18getri_kernel_smallILi40EdPKPdEEvT1_iilPiilS6_bb.kd
    .uniform_work_group_size: 1
    .uses_dynamic_stack: false
    .vgpr_count:     122
    .vgpr_spill_count: 0
    .wavefront_size: 32
  - .args:
      - .address_space:  global
        .offset:         0
        .size:           8
        .value_kind:     global_buffer
      - .offset:         8
        .size:           4
        .value_kind:     by_value
      - .offset:         12
        .size:           4
        .value_kind:     by_value
      - .offset:         16
        .size:           8
        .value_kind:     by_value
      - .address_space:  global
        .offset:         24
        .size:           8
        .value_kind:     global_buffer
      - .offset:         32
        .size:           4
        .value_kind:     by_value
      - .offset:         40
        .size:           8
        .value_kind:     by_value
      - .address_space:  global
        .offset:         48
        .size:           8
        .value_kind:     global_buffer
      - .offset:         56
        .size:           1
        .value_kind:     by_value
      - .offset:         57
        .size:           1
        .value_kind:     by_value
    .group_segment_fixed_size: 664
    .kernarg_segment_align: 8
    .kernarg_segment_size: 60
    .language:       OpenCL C
    .language_version:
      - 2
      - 0
    .max_flat_workgroup_size: 64
    .name:           _ZN9rocsolver6v33100L18getri_kernel_smallILi41EdPKPdEEvT1_iilPiilS6_bb
    .private_segment_fixed_size: 336
    .sgpr_count:     21
    .sgpr_spill_count: 0
    .symbol:         _ZN9rocsolver6v33100L18getri_kernel_smallILi41EdPKPdEEvT1_iilPiilS6_bb.kd
    .uniform_work_group_size: 1
    .uses_dynamic_stack: false
    .vgpr_count:     124
    .vgpr_spill_count: 0
    .wavefront_size: 32
  - .args:
      - .address_space:  global
        .offset:         0
        .size:           8
        .value_kind:     global_buffer
      - .offset:         8
        .size:           4
        .value_kind:     by_value
      - .offset:         12
        .size:           4
        .value_kind:     by_value
      - .offset:         16
        .size:           8
        .value_kind:     by_value
      - .address_space:  global
        .offset:         24
        .size:           8
        .value_kind:     global_buffer
      - .offset:         32
        .size:           4
        .value_kind:     by_value
      - .offset:         40
        .size:           8
        .value_kind:     by_value
      - .address_space:  global
        .offset:         48
        .size:           8
        .value_kind:     global_buffer
      - .offset:         56
        .size:           1
        .value_kind:     by_value
      - .offset:         57
        .size:           1
        .value_kind:     by_value
    .group_segment_fixed_size: 680
    .kernarg_segment_align: 8
    .kernarg_segment_size: 60
    .language:       OpenCL C
    .language_version:
      - 2
      - 0
    .max_flat_workgroup_size: 64
    .name:           _ZN9rocsolver6v33100L18getri_kernel_smallILi42EdPKPdEEvT1_iilPiilS6_bb
    .private_segment_fixed_size: 352
    .sgpr_count:     21
    .sgpr_spill_count: 0
    .symbol:         _ZN9rocsolver6v33100L18getri_kernel_smallILi42EdPKPdEEvT1_iilPiilS6_bb.kd
    .uniform_work_group_size: 1
    .uses_dynamic_stack: false
    .vgpr_count:     128
    .vgpr_spill_count: 0
    .wavefront_size: 32
  - .args:
      - .address_space:  global
        .offset:         0
        .size:           8
        .value_kind:     global_buffer
      - .offset:         8
        .size:           4
        .value_kind:     by_value
      - .offset:         12
        .size:           4
        .value_kind:     by_value
      - .offset:         16
        .size:           8
        .value_kind:     by_value
      - .address_space:  global
        .offset:         24
        .size:           8
        .value_kind:     global_buffer
      - .offset:         32
        .size:           4
        .value_kind:     by_value
      - .offset:         40
        .size:           8
        .value_kind:     by_value
      - .address_space:  global
        .offset:         48
        .size:           8
        .value_kind:     global_buffer
      - .offset:         56
        .size:           1
        .value_kind:     by_value
      - .offset:         57
        .size:           1
        .value_kind:     by_value
    .group_segment_fixed_size: 696
    .kernarg_segment_align: 8
    .kernarg_segment_size: 60
    .language:       OpenCL C
    .language_version:
      - 2
      - 0
    .max_flat_workgroup_size: 64
    .name:           _ZN9rocsolver6v33100L18getri_kernel_smallILi43EdPKPdEEvT1_iilPiilS6_bb
    .private_segment_fixed_size: 352
    .sgpr_count:     21
    .sgpr_spill_count: 0
    .symbol:         _ZN9rocsolver6v33100L18getri_kernel_smallILi43EdPKPdEEvT1_iilPiilS6_bb.kd
    .uniform_work_group_size: 1
    .uses_dynamic_stack: false
    .vgpr_count:     130
    .vgpr_spill_count: 0
    .wavefront_size: 32
  - .args:
      - .address_space:  global
        .offset:         0
        .size:           8
        .value_kind:     global_buffer
      - .offset:         8
        .size:           4
        .value_kind:     by_value
      - .offset:         12
        .size:           4
        .value_kind:     by_value
      - .offset:         16
        .size:           8
        .value_kind:     by_value
      - .address_space:  global
        .offset:         24
        .size:           8
        .value_kind:     global_buffer
      - .offset:         32
        .size:           4
        .value_kind:     by_value
      - .offset:         40
        .size:           8
        .value_kind:     by_value
      - .address_space:  global
        .offset:         48
        .size:           8
        .value_kind:     global_buffer
      - .offset:         56
        .size:           1
        .value_kind:     by_value
      - .offset:         57
        .size:           1
        .value_kind:     by_value
    .group_segment_fixed_size: 712
    .kernarg_segment_align: 8
    .kernarg_segment_size: 60
    .language:       OpenCL C
    .language_version:
      - 2
      - 0
    .max_flat_workgroup_size: 64
    .name:           _ZN9rocsolver6v33100L18getri_kernel_smallILi44EdPKPdEEvT1_iilPiilS6_bb
    .private_segment_fixed_size: 368
    .sgpr_count:     21
    .sgpr_spill_count: 0
    .symbol:         _ZN9rocsolver6v33100L18getri_kernel_smallILi44EdPKPdEEvT1_iilPiilS6_bb.kd
    .uniform_work_group_size: 1
    .uses_dynamic_stack: false
    .vgpr_count:     134
    .vgpr_spill_count: 0
    .wavefront_size: 32
  - .args:
      - .address_space:  global
        .offset:         0
        .size:           8
        .value_kind:     global_buffer
      - .offset:         8
        .size:           4
        .value_kind:     by_value
      - .offset:         12
        .size:           4
        .value_kind:     by_value
      - .offset:         16
        .size:           8
        .value_kind:     by_value
      - .address_space:  global
        .offset:         24
        .size:           8
        .value_kind:     global_buffer
      - .offset:         32
        .size:           4
        .value_kind:     by_value
      - .offset:         40
        .size:           8
        .value_kind:     by_value
      - .address_space:  global
        .offset:         48
        .size:           8
        .value_kind:     global_buffer
      - .offset:         56
        .size:           1
        .value_kind:     by_value
      - .offset:         57
        .size:           1
        .value_kind:     by_value
    .group_segment_fixed_size: 728
    .kernarg_segment_align: 8
    .kernarg_segment_size: 60
    .language:       OpenCL C
    .language_version:
      - 2
      - 0
    .max_flat_workgroup_size: 64
    .name:           _ZN9rocsolver6v33100L18getri_kernel_smallILi45EdPKPdEEvT1_iilPiilS6_bb
    .private_segment_fixed_size: 368
    .sgpr_count:     21
    .sgpr_spill_count: 0
    .symbol:         _ZN9rocsolver6v33100L18getri_kernel_smallILi45EdPKPdEEvT1_iilPiilS6_bb.kd
    .uniform_work_group_size: 1
    .uses_dynamic_stack: false
    .vgpr_count:     136
    .vgpr_spill_count: 0
    .wavefront_size: 32
  - .args:
      - .address_space:  global
        .offset:         0
        .size:           8
        .value_kind:     global_buffer
      - .offset:         8
        .size:           4
        .value_kind:     by_value
      - .offset:         12
        .size:           4
        .value_kind:     by_value
      - .offset:         16
        .size:           8
        .value_kind:     by_value
      - .address_space:  global
        .offset:         24
        .size:           8
        .value_kind:     global_buffer
      - .offset:         32
        .size:           4
        .value_kind:     by_value
      - .offset:         40
        .size:           8
        .value_kind:     by_value
      - .address_space:  global
        .offset:         48
        .size:           8
        .value_kind:     global_buffer
      - .offset:         56
        .size:           1
        .value_kind:     by_value
      - .offset:         57
        .size:           1
        .value_kind:     by_value
    .group_segment_fixed_size: 744
    .kernarg_segment_align: 8
    .kernarg_segment_size: 60
    .language:       OpenCL C
    .language_version:
      - 2
      - 0
    .max_flat_workgroup_size: 64
    .name:           _ZN9rocsolver6v33100L18getri_kernel_smallILi46EdPKPdEEvT1_iilPiilS6_bb
    .private_segment_fixed_size: 384
    .sgpr_count:     21
    .sgpr_spill_count: 0
    .symbol:         _ZN9rocsolver6v33100L18getri_kernel_smallILi46EdPKPdEEvT1_iilPiilS6_bb.kd
    .uniform_work_group_size: 1
    .uses_dynamic_stack: false
    .vgpr_count:     140
    .vgpr_spill_count: 0
    .wavefront_size: 32
  - .args:
      - .address_space:  global
        .offset:         0
        .size:           8
        .value_kind:     global_buffer
      - .offset:         8
        .size:           4
        .value_kind:     by_value
      - .offset:         12
        .size:           4
        .value_kind:     by_value
      - .offset:         16
        .size:           8
        .value_kind:     by_value
      - .address_space:  global
        .offset:         24
        .size:           8
        .value_kind:     global_buffer
      - .offset:         32
        .size:           4
        .value_kind:     by_value
      - .offset:         40
        .size:           8
        .value_kind:     by_value
      - .address_space:  global
        .offset:         48
        .size:           8
        .value_kind:     global_buffer
      - .offset:         56
        .size:           1
        .value_kind:     by_value
      - .offset:         57
        .size:           1
        .value_kind:     by_value
    .group_segment_fixed_size: 760
    .kernarg_segment_align: 8
    .kernarg_segment_size: 60
    .language:       OpenCL C
    .language_version:
      - 2
      - 0
    .max_flat_workgroup_size: 64
    .name:           _ZN9rocsolver6v33100L18getri_kernel_smallILi47EdPKPdEEvT1_iilPiilS6_bb
    .private_segment_fixed_size: 384
    .sgpr_count:     21
    .sgpr_spill_count: 0
    .symbol:         _ZN9rocsolver6v33100L18getri_kernel_smallILi47EdPKPdEEvT1_iilPiilS6_bb.kd
    .uniform_work_group_size: 1
    .uses_dynamic_stack: false
    .vgpr_count:     142
    .vgpr_spill_count: 0
    .wavefront_size: 32
  - .args:
      - .address_space:  global
        .offset:         0
        .size:           8
        .value_kind:     global_buffer
      - .offset:         8
        .size:           4
        .value_kind:     by_value
      - .offset:         12
        .size:           4
        .value_kind:     by_value
      - .offset:         16
        .size:           8
        .value_kind:     by_value
      - .address_space:  global
        .offset:         24
        .size:           8
        .value_kind:     global_buffer
      - .offset:         32
        .size:           4
        .value_kind:     by_value
      - .offset:         40
        .size:           8
        .value_kind:     by_value
      - .address_space:  global
        .offset:         48
        .size:           8
        .value_kind:     global_buffer
      - .offset:         56
        .size:           1
        .value_kind:     by_value
      - .offset:         57
        .size:           1
        .value_kind:     by_value
    .group_segment_fixed_size: 776
    .kernarg_segment_align: 8
    .kernarg_segment_size: 60
    .language:       OpenCL C
    .language_version:
      - 2
      - 0
    .max_flat_workgroup_size: 64
    .name:           _ZN9rocsolver6v33100L18getri_kernel_smallILi48EdPKPdEEvT1_iilPiilS6_bb
    .private_segment_fixed_size: 400
    .sgpr_count:     21
    .sgpr_spill_count: 0
    .symbol:         _ZN9rocsolver6v33100L18getri_kernel_smallILi48EdPKPdEEvT1_iilPiilS6_bb.kd
    .uniform_work_group_size: 1
    .uses_dynamic_stack: false
    .vgpr_count:     146
    .vgpr_spill_count: 0
    .wavefront_size: 32
  - .args:
      - .address_space:  global
        .offset:         0
        .size:           8
        .value_kind:     global_buffer
      - .offset:         8
        .size:           4
        .value_kind:     by_value
      - .offset:         12
        .size:           4
        .value_kind:     by_value
      - .offset:         16
        .size:           8
        .value_kind:     by_value
      - .address_space:  global
        .offset:         24
        .size:           8
        .value_kind:     global_buffer
      - .offset:         32
        .size:           4
        .value_kind:     by_value
      - .offset:         40
        .size:           8
        .value_kind:     by_value
      - .address_space:  global
        .offset:         48
        .size:           8
        .value_kind:     global_buffer
      - .offset:         56
        .size:           1
        .value_kind:     by_value
      - .offset:         57
        .size:           1
        .value_kind:     by_value
    .group_segment_fixed_size: 792
    .kernarg_segment_align: 8
    .kernarg_segment_size: 60
    .language:       OpenCL C
    .language_version:
      - 2
      - 0
    .max_flat_workgroup_size: 64
    .name:           _ZN9rocsolver6v33100L18getri_kernel_smallILi49EdPKPdEEvT1_iilPiilS6_bb
    .private_segment_fixed_size: 400
    .sgpr_count:     21
    .sgpr_spill_count: 0
    .symbol:         _ZN9rocsolver6v33100L18getri_kernel_smallILi49EdPKPdEEvT1_iilPiilS6_bb.kd
    .uniform_work_group_size: 1
    .uses_dynamic_stack: false
    .vgpr_count:     148
    .vgpr_spill_count: 0
    .wavefront_size: 32
  - .args:
      - .address_space:  global
        .offset:         0
        .size:           8
        .value_kind:     global_buffer
      - .offset:         8
        .size:           4
        .value_kind:     by_value
      - .offset:         12
        .size:           4
        .value_kind:     by_value
      - .offset:         16
        .size:           8
        .value_kind:     by_value
      - .address_space:  global
        .offset:         24
        .size:           8
        .value_kind:     global_buffer
      - .offset:         32
        .size:           4
        .value_kind:     by_value
      - .offset:         40
        .size:           8
        .value_kind:     by_value
      - .address_space:  global
        .offset:         48
        .size:           8
        .value_kind:     global_buffer
      - .offset:         56
        .size:           1
        .value_kind:     by_value
      - .offset:         57
        .size:           1
        .value_kind:     by_value
    .group_segment_fixed_size: 808
    .kernarg_segment_align: 8
    .kernarg_segment_size: 60
    .language:       OpenCL C
    .language_version:
      - 2
      - 0
    .max_flat_workgroup_size: 64
    .name:           _ZN9rocsolver6v33100L18getri_kernel_smallILi50EdPKPdEEvT1_iilPiilS6_bb
    .private_segment_fixed_size: 416
    .sgpr_count:     21
    .sgpr_spill_count: 0
    .symbol:         _ZN9rocsolver6v33100L18getri_kernel_smallILi50EdPKPdEEvT1_iilPiilS6_bb.kd
    .uniform_work_group_size: 1
    .uses_dynamic_stack: false
    .vgpr_count:     152
    .vgpr_spill_count: 0
    .wavefront_size: 32
  - .args:
      - .address_space:  global
        .offset:         0
        .size:           8
        .value_kind:     global_buffer
      - .offset:         8
        .size:           4
        .value_kind:     by_value
      - .offset:         12
        .size:           4
        .value_kind:     by_value
      - .offset:         16
        .size:           8
        .value_kind:     by_value
      - .address_space:  global
        .offset:         24
        .size:           8
        .value_kind:     global_buffer
      - .offset:         32
        .size:           4
        .value_kind:     by_value
      - .offset:         40
        .size:           8
        .value_kind:     by_value
      - .address_space:  global
        .offset:         48
        .size:           8
        .value_kind:     global_buffer
      - .offset:         56
        .size:           1
        .value_kind:     by_value
      - .offset:         57
        .size:           1
        .value_kind:     by_value
    .group_segment_fixed_size: 824
    .kernarg_segment_align: 8
    .kernarg_segment_size: 60
    .language:       OpenCL C
    .language_version:
      - 2
      - 0
    .max_flat_workgroup_size: 64
    .name:           _ZN9rocsolver6v33100L18getri_kernel_smallILi51EdPKPdEEvT1_iilPiilS6_bb
    .private_segment_fixed_size: 416
    .sgpr_count:     21
    .sgpr_spill_count: 0
    .symbol:         _ZN9rocsolver6v33100L18getri_kernel_smallILi51EdPKPdEEvT1_iilPiilS6_bb.kd
    .uniform_work_group_size: 1
    .uses_dynamic_stack: false
    .vgpr_count:     154
    .vgpr_spill_count: 0
    .wavefront_size: 32
  - .args:
      - .address_space:  global
        .offset:         0
        .size:           8
        .value_kind:     global_buffer
      - .offset:         8
        .size:           4
        .value_kind:     by_value
      - .offset:         12
        .size:           4
        .value_kind:     by_value
      - .offset:         16
        .size:           8
        .value_kind:     by_value
      - .address_space:  global
        .offset:         24
        .size:           8
        .value_kind:     global_buffer
      - .offset:         32
        .size:           4
        .value_kind:     by_value
      - .offset:         40
        .size:           8
        .value_kind:     by_value
      - .address_space:  global
        .offset:         48
        .size:           8
        .value_kind:     global_buffer
      - .offset:         56
        .size:           1
        .value_kind:     by_value
      - .offset:         57
        .size:           1
        .value_kind:     by_value
    .group_segment_fixed_size: 840
    .kernarg_segment_align: 8
    .kernarg_segment_size: 60
    .language:       OpenCL C
    .language_version:
      - 2
      - 0
    .max_flat_workgroup_size: 64
    .name:           _ZN9rocsolver6v33100L18getri_kernel_smallILi52EdPKPdEEvT1_iilPiilS6_bb
    .private_segment_fixed_size: 432
    .sgpr_count:     21
    .sgpr_spill_count: 0
    .symbol:         _ZN9rocsolver6v33100L18getri_kernel_smallILi52EdPKPdEEvT1_iilPiilS6_bb.kd
    .uniform_work_group_size: 1
    .uses_dynamic_stack: false
    .vgpr_count:     158
    .vgpr_spill_count: 0
    .wavefront_size: 32
  - .args:
      - .address_space:  global
        .offset:         0
        .size:           8
        .value_kind:     global_buffer
      - .offset:         8
        .size:           4
        .value_kind:     by_value
      - .offset:         12
        .size:           4
        .value_kind:     by_value
      - .offset:         16
        .size:           8
        .value_kind:     by_value
      - .address_space:  global
        .offset:         24
        .size:           8
        .value_kind:     global_buffer
      - .offset:         32
        .size:           4
        .value_kind:     by_value
      - .offset:         40
        .size:           8
        .value_kind:     by_value
      - .address_space:  global
        .offset:         48
        .size:           8
        .value_kind:     global_buffer
      - .offset:         56
        .size:           1
        .value_kind:     by_value
      - .offset:         57
        .size:           1
        .value_kind:     by_value
    .group_segment_fixed_size: 856
    .kernarg_segment_align: 8
    .kernarg_segment_size: 60
    .language:       OpenCL C
    .language_version:
      - 2
      - 0
    .max_flat_workgroup_size: 64
    .name:           _ZN9rocsolver6v33100L18getri_kernel_smallILi53EdPKPdEEvT1_iilPiilS6_bb
    .private_segment_fixed_size: 432
    .sgpr_count:     21
    .sgpr_spill_count: 0
    .symbol:         _ZN9rocsolver6v33100L18getri_kernel_smallILi53EdPKPdEEvT1_iilPiilS6_bb.kd
    .uniform_work_group_size: 1
    .uses_dynamic_stack: false
    .vgpr_count:     160
    .vgpr_spill_count: 0
    .wavefront_size: 32
  - .args:
      - .address_space:  global
        .offset:         0
        .size:           8
        .value_kind:     global_buffer
      - .offset:         8
        .size:           4
        .value_kind:     by_value
      - .offset:         12
        .size:           4
        .value_kind:     by_value
      - .offset:         16
        .size:           8
        .value_kind:     by_value
      - .address_space:  global
        .offset:         24
        .size:           8
        .value_kind:     global_buffer
      - .offset:         32
        .size:           4
        .value_kind:     by_value
      - .offset:         40
        .size:           8
        .value_kind:     by_value
      - .address_space:  global
        .offset:         48
        .size:           8
        .value_kind:     global_buffer
      - .offset:         56
        .size:           1
        .value_kind:     by_value
      - .offset:         57
        .size:           1
        .value_kind:     by_value
    .group_segment_fixed_size: 872
    .kernarg_segment_align: 8
    .kernarg_segment_size: 60
    .language:       OpenCL C
    .language_version:
      - 2
      - 0
    .max_flat_workgroup_size: 64
    .name:           _ZN9rocsolver6v33100L18getri_kernel_smallILi54EdPKPdEEvT1_iilPiilS6_bb
    .private_segment_fixed_size: 448
    .sgpr_count:     21
    .sgpr_spill_count: 0
    .symbol:         _ZN9rocsolver6v33100L18getri_kernel_smallILi54EdPKPdEEvT1_iilPiilS6_bb.kd
    .uniform_work_group_size: 1
    .uses_dynamic_stack: false
    .vgpr_count:     164
    .vgpr_spill_count: 0
    .wavefront_size: 32
  - .args:
      - .address_space:  global
        .offset:         0
        .size:           8
        .value_kind:     global_buffer
      - .offset:         8
        .size:           4
        .value_kind:     by_value
      - .offset:         12
        .size:           4
        .value_kind:     by_value
      - .offset:         16
        .size:           8
        .value_kind:     by_value
      - .address_space:  global
        .offset:         24
        .size:           8
        .value_kind:     global_buffer
      - .offset:         32
        .size:           4
        .value_kind:     by_value
      - .offset:         40
        .size:           8
        .value_kind:     by_value
      - .address_space:  global
        .offset:         48
        .size:           8
        .value_kind:     global_buffer
      - .offset:         56
        .size:           1
        .value_kind:     by_value
      - .offset:         57
        .size:           1
        .value_kind:     by_value
    .group_segment_fixed_size: 888
    .kernarg_segment_align: 8
    .kernarg_segment_size: 60
    .language:       OpenCL C
    .language_version:
      - 2
      - 0
    .max_flat_workgroup_size: 64
    .name:           _ZN9rocsolver6v33100L18getri_kernel_smallILi55EdPKPdEEvT1_iilPiilS6_bb
    .private_segment_fixed_size: 448
    .sgpr_count:     21
    .sgpr_spill_count: 0
    .symbol:         _ZN9rocsolver6v33100L18getri_kernel_smallILi55EdPKPdEEvT1_iilPiilS6_bb.kd
    .uniform_work_group_size: 1
    .uses_dynamic_stack: false
    .vgpr_count:     166
    .vgpr_spill_count: 0
    .wavefront_size: 32
  - .args:
      - .address_space:  global
        .offset:         0
        .size:           8
        .value_kind:     global_buffer
      - .offset:         8
        .size:           4
        .value_kind:     by_value
      - .offset:         12
        .size:           4
        .value_kind:     by_value
      - .offset:         16
        .size:           8
        .value_kind:     by_value
      - .address_space:  global
        .offset:         24
        .size:           8
        .value_kind:     global_buffer
      - .offset:         32
        .size:           4
        .value_kind:     by_value
      - .offset:         40
        .size:           8
        .value_kind:     by_value
      - .address_space:  global
        .offset:         48
        .size:           8
        .value_kind:     global_buffer
      - .offset:         56
        .size:           1
        .value_kind:     by_value
      - .offset:         57
        .size:           1
        .value_kind:     by_value
    .group_segment_fixed_size: 904
    .kernarg_segment_align: 8
    .kernarg_segment_size: 60
    .language:       OpenCL C
    .language_version:
      - 2
      - 0
    .max_flat_workgroup_size: 64
    .name:           _ZN9rocsolver6v33100L18getri_kernel_smallILi56EdPKPdEEvT1_iilPiilS6_bb
    .private_segment_fixed_size: 464
    .sgpr_count:     21
    .sgpr_spill_count: 0
    .symbol:         _ZN9rocsolver6v33100L18getri_kernel_smallILi56EdPKPdEEvT1_iilPiilS6_bb.kd
    .uniform_work_group_size: 1
    .uses_dynamic_stack: false
    .vgpr_count:     170
    .vgpr_spill_count: 0
    .wavefront_size: 32
  - .args:
      - .address_space:  global
        .offset:         0
        .size:           8
        .value_kind:     global_buffer
      - .offset:         8
        .size:           4
        .value_kind:     by_value
      - .offset:         12
        .size:           4
        .value_kind:     by_value
      - .offset:         16
        .size:           8
        .value_kind:     by_value
      - .address_space:  global
        .offset:         24
        .size:           8
        .value_kind:     global_buffer
      - .offset:         32
        .size:           4
        .value_kind:     by_value
      - .offset:         40
        .size:           8
        .value_kind:     by_value
      - .address_space:  global
        .offset:         48
        .size:           8
        .value_kind:     global_buffer
      - .offset:         56
        .size:           1
        .value_kind:     by_value
      - .offset:         57
        .size:           1
        .value_kind:     by_value
    .group_segment_fixed_size: 920
    .kernarg_segment_align: 8
    .kernarg_segment_size: 60
    .language:       OpenCL C
    .language_version:
      - 2
      - 0
    .max_flat_workgroup_size: 64
    .name:           _ZN9rocsolver6v33100L18getri_kernel_smallILi57EdPKPdEEvT1_iilPiilS6_bb
    .private_segment_fixed_size: 464
    .sgpr_count:     21
    .sgpr_spill_count: 0
    .symbol:         _ZN9rocsolver6v33100L18getri_kernel_smallILi57EdPKPdEEvT1_iilPiilS6_bb.kd
    .uniform_work_group_size: 1
    .uses_dynamic_stack: false
    .vgpr_count:     172
    .vgpr_spill_count: 0
    .wavefront_size: 32
  - .args:
      - .address_space:  global
        .offset:         0
        .size:           8
        .value_kind:     global_buffer
      - .offset:         8
        .size:           4
        .value_kind:     by_value
      - .offset:         12
        .size:           4
        .value_kind:     by_value
      - .offset:         16
        .size:           8
        .value_kind:     by_value
      - .address_space:  global
        .offset:         24
        .size:           8
        .value_kind:     global_buffer
      - .offset:         32
        .size:           4
        .value_kind:     by_value
      - .offset:         40
        .size:           8
        .value_kind:     by_value
      - .address_space:  global
        .offset:         48
        .size:           8
        .value_kind:     global_buffer
      - .offset:         56
        .size:           1
        .value_kind:     by_value
      - .offset:         57
        .size:           1
        .value_kind:     by_value
    .group_segment_fixed_size: 936
    .kernarg_segment_align: 8
    .kernarg_segment_size: 60
    .language:       OpenCL C
    .language_version:
      - 2
      - 0
    .max_flat_workgroup_size: 64
    .name:           _ZN9rocsolver6v33100L18getri_kernel_smallILi58EdPKPdEEvT1_iilPiilS6_bb
    .private_segment_fixed_size: 480
    .sgpr_count:     21
    .sgpr_spill_count: 0
    .symbol:         _ZN9rocsolver6v33100L18getri_kernel_smallILi58EdPKPdEEvT1_iilPiilS6_bb.kd
    .uniform_work_group_size: 1
    .uses_dynamic_stack: false
    .vgpr_count:     176
    .vgpr_spill_count: 0
    .wavefront_size: 32
  - .args:
      - .address_space:  global
        .offset:         0
        .size:           8
        .value_kind:     global_buffer
      - .offset:         8
        .size:           4
        .value_kind:     by_value
      - .offset:         12
        .size:           4
        .value_kind:     by_value
      - .offset:         16
        .size:           8
        .value_kind:     by_value
      - .address_space:  global
        .offset:         24
        .size:           8
        .value_kind:     global_buffer
      - .offset:         32
        .size:           4
        .value_kind:     by_value
      - .offset:         40
        .size:           8
        .value_kind:     by_value
      - .address_space:  global
        .offset:         48
        .size:           8
        .value_kind:     global_buffer
      - .offset:         56
        .size:           1
        .value_kind:     by_value
      - .offset:         57
        .size:           1
        .value_kind:     by_value
    .group_segment_fixed_size: 952
    .kernarg_segment_align: 8
    .kernarg_segment_size: 60
    .language:       OpenCL C
    .language_version:
      - 2
      - 0
    .max_flat_workgroup_size: 64
    .name:           _ZN9rocsolver6v33100L18getri_kernel_smallILi59EdPKPdEEvT1_iilPiilS6_bb
    .private_segment_fixed_size: 480
    .sgpr_count:     21
    .sgpr_spill_count: 0
    .symbol:         _ZN9rocsolver6v33100L18getri_kernel_smallILi59EdPKPdEEvT1_iilPiilS6_bb.kd
    .uniform_work_group_size: 1
    .uses_dynamic_stack: false
    .vgpr_count:     178
    .vgpr_spill_count: 0
    .wavefront_size: 32
  - .args:
      - .address_space:  global
        .offset:         0
        .size:           8
        .value_kind:     global_buffer
      - .offset:         8
        .size:           4
        .value_kind:     by_value
      - .offset:         12
        .size:           4
        .value_kind:     by_value
      - .offset:         16
        .size:           8
        .value_kind:     by_value
      - .address_space:  global
        .offset:         24
        .size:           8
        .value_kind:     global_buffer
      - .offset:         32
        .size:           4
        .value_kind:     by_value
      - .offset:         40
        .size:           8
        .value_kind:     by_value
      - .address_space:  global
        .offset:         48
        .size:           8
        .value_kind:     global_buffer
      - .offset:         56
        .size:           1
        .value_kind:     by_value
      - .offset:         57
        .size:           1
        .value_kind:     by_value
    .group_segment_fixed_size: 968
    .kernarg_segment_align: 8
    .kernarg_segment_size: 60
    .language:       OpenCL C
    .language_version:
      - 2
      - 0
    .max_flat_workgroup_size: 64
    .name:           _ZN9rocsolver6v33100L18getri_kernel_smallILi60EdPKPdEEvT1_iilPiilS6_bb
    .private_segment_fixed_size: 496
    .sgpr_count:     21
    .sgpr_spill_count: 0
    .symbol:         _ZN9rocsolver6v33100L18getri_kernel_smallILi60EdPKPdEEvT1_iilPiilS6_bb.kd
    .uniform_work_group_size: 1
    .uses_dynamic_stack: false
    .vgpr_count:     182
    .vgpr_spill_count: 0
    .wavefront_size: 32
  - .args:
      - .address_space:  global
        .offset:         0
        .size:           8
        .value_kind:     global_buffer
      - .offset:         8
        .size:           4
        .value_kind:     by_value
      - .offset:         12
        .size:           4
        .value_kind:     by_value
      - .offset:         16
        .size:           8
        .value_kind:     by_value
      - .address_space:  global
        .offset:         24
        .size:           8
        .value_kind:     global_buffer
      - .offset:         32
        .size:           4
        .value_kind:     by_value
      - .offset:         40
        .size:           8
        .value_kind:     by_value
      - .address_space:  global
        .offset:         48
        .size:           8
        .value_kind:     global_buffer
      - .offset:         56
        .size:           1
        .value_kind:     by_value
      - .offset:         57
        .size:           1
        .value_kind:     by_value
    .group_segment_fixed_size: 984
    .kernarg_segment_align: 8
    .kernarg_segment_size: 60
    .language:       OpenCL C
    .language_version:
      - 2
      - 0
    .max_flat_workgroup_size: 64
    .name:           _ZN9rocsolver6v33100L18getri_kernel_smallILi61EdPKPdEEvT1_iilPiilS6_bb
    .private_segment_fixed_size: 496
    .sgpr_count:     21
    .sgpr_spill_count: 0
    .symbol:         _ZN9rocsolver6v33100L18getri_kernel_smallILi61EdPKPdEEvT1_iilPiilS6_bb.kd
    .uniform_work_group_size: 1
    .uses_dynamic_stack: false
    .vgpr_count:     184
    .vgpr_spill_count: 0
    .wavefront_size: 32
  - .args:
      - .address_space:  global
        .offset:         0
        .size:           8
        .value_kind:     global_buffer
      - .offset:         8
        .size:           4
        .value_kind:     by_value
      - .offset:         12
        .size:           4
        .value_kind:     by_value
      - .offset:         16
        .size:           8
        .value_kind:     by_value
      - .address_space:  global
        .offset:         24
        .size:           8
        .value_kind:     global_buffer
      - .offset:         32
        .size:           4
        .value_kind:     by_value
      - .offset:         40
        .size:           8
        .value_kind:     by_value
      - .address_space:  global
        .offset:         48
        .size:           8
        .value_kind:     global_buffer
      - .offset:         56
        .size:           1
        .value_kind:     by_value
      - .offset:         57
        .size:           1
        .value_kind:     by_value
    .group_segment_fixed_size: 1000
    .kernarg_segment_align: 8
    .kernarg_segment_size: 60
    .language:       OpenCL C
    .language_version:
      - 2
      - 0
    .max_flat_workgroup_size: 64
    .name:           _ZN9rocsolver6v33100L18getri_kernel_smallILi62EdPKPdEEvT1_iilPiilS6_bb
    .private_segment_fixed_size: 512
    .sgpr_count:     21
    .sgpr_spill_count: 0
    .symbol:         _ZN9rocsolver6v33100L18getri_kernel_smallILi62EdPKPdEEvT1_iilPiilS6_bb.kd
    .uniform_work_group_size: 1
    .uses_dynamic_stack: false
    .vgpr_count:     188
    .vgpr_spill_count: 0
    .wavefront_size: 32
  - .args:
      - .address_space:  global
        .offset:         0
        .size:           8
        .value_kind:     global_buffer
      - .offset:         8
        .size:           4
        .value_kind:     by_value
      - .offset:         12
        .size:           4
        .value_kind:     by_value
      - .offset:         16
        .size:           8
        .value_kind:     by_value
      - .address_space:  global
        .offset:         24
        .size:           8
        .value_kind:     global_buffer
      - .offset:         32
        .size:           4
        .value_kind:     by_value
      - .offset:         40
        .size:           8
        .value_kind:     by_value
      - .address_space:  global
        .offset:         48
        .size:           8
        .value_kind:     global_buffer
      - .offset:         56
        .size:           1
        .value_kind:     by_value
      - .offset:         57
        .size:           1
        .value_kind:     by_value
    .group_segment_fixed_size: 1016
    .kernarg_segment_align: 8
    .kernarg_segment_size: 60
    .language:       OpenCL C
    .language_version:
      - 2
      - 0
    .max_flat_workgroup_size: 64
    .name:           _ZN9rocsolver6v33100L18getri_kernel_smallILi63EdPKPdEEvT1_iilPiilS6_bb
    .private_segment_fixed_size: 512
    .sgpr_count:     21
    .sgpr_spill_count: 0
    .symbol:         _ZN9rocsolver6v33100L18getri_kernel_smallILi63EdPKPdEEvT1_iilPiilS6_bb.kd
    .uniform_work_group_size: 1
    .uses_dynamic_stack: false
    .vgpr_count:     190
    .vgpr_spill_count: 0
    .wavefront_size: 32
  - .args:
      - .address_space:  global
        .offset:         0
        .size:           8
        .value_kind:     global_buffer
      - .offset:         8
        .size:           4
        .value_kind:     by_value
      - .offset:         12
        .size:           4
        .value_kind:     by_value
      - .offset:         16
        .size:           8
        .value_kind:     by_value
      - .address_space:  global
        .offset:         24
        .size:           8
        .value_kind:     global_buffer
      - .offset:         32
        .size:           4
        .value_kind:     by_value
      - .offset:         40
        .size:           8
        .value_kind:     by_value
      - .address_space:  global
        .offset:         48
        .size:           8
        .value_kind:     global_buffer
      - .offset:         56
        .size:           1
        .value_kind:     by_value
      - .offset:         57
        .size:           1
        .value_kind:     by_value
    .group_segment_fixed_size: 1032
    .kernarg_segment_align: 8
    .kernarg_segment_size: 60
    .language:       OpenCL C
    .language_version:
      - 2
      - 0
    .max_flat_workgroup_size: 64
    .name:           _ZN9rocsolver6v33100L18getri_kernel_smallILi64EdPKPdEEvT1_iilPiilS6_bb
    .private_segment_fixed_size: 528
    .sgpr_count:     21
    .sgpr_spill_count: 0
    .symbol:         _ZN9rocsolver6v33100L18getri_kernel_smallILi64EdPKPdEEvT1_iilPiilS6_bb.kd
    .uniform_work_group_size: 1
    .uses_dynamic_stack: false
    .vgpr_count:     194
    .vgpr_spill_count: 0
    .wavefront_size: 32
amdhsa.target:   amdgcn-amd-amdhsa--gfx1250
amdhsa.version:
  - 1
  - 2
...

	.end_amdgpu_metadata
